;; amdgpu-corpus repo=pytorch/pytorch kind=compiled arch=gfx1201 opt=O3
	.amdgcn_target "amdgcn-amd-amdhsa--gfx1201"
	.amdhsa_code_object_version 6
	.section	.text._ZN2at6native20bitonicSortKVInPlaceILin2ELin1ELi16ELi16EhlNS0_4LTOpIhLb1EEEjEEvNS_4cuda6detail10TensorInfoIT3_T6_EES8_S8_S8_NS6_IT4_S8_EES8_T5_,"axG",@progbits,_ZN2at6native20bitonicSortKVInPlaceILin2ELin1ELi16ELi16EhlNS0_4LTOpIhLb1EEEjEEvNS_4cuda6detail10TensorInfoIT3_T6_EES8_S8_S8_NS6_IT4_S8_EES8_T5_,comdat
	.protected	_ZN2at6native20bitonicSortKVInPlaceILin2ELin1ELi16ELi16EhlNS0_4LTOpIhLb1EEEjEEvNS_4cuda6detail10TensorInfoIT3_T6_EES8_S8_S8_NS6_IT4_S8_EES8_T5_ ; -- Begin function _ZN2at6native20bitonicSortKVInPlaceILin2ELin1ELi16ELi16EhlNS0_4LTOpIhLb1EEEjEEvNS_4cuda6detail10TensorInfoIT3_T6_EES8_S8_S8_NS6_IT4_S8_EES8_T5_
	.globl	_ZN2at6native20bitonicSortKVInPlaceILin2ELin1ELi16ELi16EhlNS0_4LTOpIhLb1EEEjEEvNS_4cuda6detail10TensorInfoIT3_T6_EES8_S8_S8_NS6_IT4_S8_EES8_T5_
	.p2align	8
	.type	_ZN2at6native20bitonicSortKVInPlaceILin2ELin1ELi16ELi16EhlNS0_4LTOpIhLb1EEEjEEvNS_4cuda6detail10TensorInfoIT3_T6_EES8_S8_S8_NS6_IT4_S8_EES8_T5_,@function
_ZN2at6native20bitonicSortKVInPlaceILin2ELin1ELi16ELi16EhlNS0_4LTOpIhLb1EEEjEEvNS_4cuda6detail10TensorInfoIT3_T6_EES8_S8_S8_NS6_IT4_S8_EES8_T5_: ; @_ZN2at6native20bitonicSortKVInPlaceILin2ELin1ELi16ELi16EhlNS0_4LTOpIhLb1EEEjEEvNS_4cuda6detail10TensorInfoIT3_T6_EES8_S8_S8_NS6_IT4_S8_EES8_T5_
; %bb.0:
	s_clause 0x2
	s_load_b64 s[2:3], s[0:1], 0x1c8
	s_load_u16 s7, s[0:1], 0x1d6
	s_load_b96 s[4:6], s[0:1], 0xd8
	s_lshr_b32 s8, ttmp7, 16
	s_wait_kmcnt 0x0
	s_mul_i32 s3, s3, s8
	s_and_b32 s8, ttmp7, 0xffff
	s_delay_alu instid0(SALU_CYCLE_1) | instskip(NEXT) | instid1(SALU_CYCLE_1)
	s_add_co_i32 s3, s3, s8
	s_mul_i32 s2, s3, s2
	s_delay_alu instid0(SALU_CYCLE_1) | instskip(NEXT) | instid1(SALU_CYCLE_1)
	s_add_co_i32 s2, s2, ttmp9
	s_mul_i32 s2, s2, s7
	s_delay_alu instid0(SALU_CYCLE_1)
	s_cmp_ge_u32 s2, s4
	s_cbranch_scc1 .LBB0_43
; %bb.1:
	s_clause 0x1
	s_load_b32 s7, s[0:1], 0x1b8
	s_load_b64 s[8:9], s[0:1], 0x0
	v_bfe_u32 v8, v0, 10, 10
	s_delay_alu instid0(VALU_DEP_1) | instskip(SKIP_2) | instid1(VALU_DEP_2)
	v_add_nc_u32_e32 v3, s2, v8
	v_mov_b32_e32 v1, 0
	s_add_nc_u64 s[2:3], s[0:1], 0xe8
	v_mov_b32_e32 v4, v3
	s_wait_kmcnt 0x0
	s_cmp_lt_i32 s7, 2
	s_cbranch_scc1 .LBB0_4
; %bb.2:
	s_add_co_i32 s10, s7, -1
	s_mov_b32 s11, 0
	v_dual_mov_b32 v1, 0 :: v_dual_mov_b32 v4, v3
	s_lshl_b64 s[10:11], s[10:11], 2
	s_add_co_i32 s7, s7, 1
	s_wait_alu 0xfffe
	s_add_nc_u64 s[10:11], s[2:3], s[10:11]
	s_delay_alu instid0(SALU_CYCLE_1)
	s_add_nc_u64 s[10:11], s[10:11], 8
.LBB0_3:                                ; =>This Inner Loop Header: Depth=1
	s_clause 0x1
	s_load_b32 s12, s[10:11], 0x0
	s_load_b32 s13, s[10:11], 0x64
	s_add_co_i32 s7, s7, -1
	s_add_nc_u64 s[10:11], s[10:11], -4
	s_wait_kmcnt 0x0
	s_cvt_f32_u32 s14, s12
	s_sub_co_i32 s15, 0, s12
	s_wait_alu 0xfffe
	s_delay_alu instid0(SALU_CYCLE_1) | instskip(NEXT) | instid1(TRANS32_DEP_1)
	v_rcp_iflag_f32_e32 v2, s14
	v_readfirstlane_b32 s14, v2
	v_mov_b32_e32 v2, v4
	s_mul_f32 s14, s14, 0x4f7ffffe
	s_wait_alu 0xfffe
	s_delay_alu instid0(SALU_CYCLE_2) | instskip(SKIP_1) | instid1(SALU_CYCLE_2)
	s_cvt_u32_f32 s14, s14
	s_wait_alu 0xfffe
	s_mul_i32 s15, s15, s14
	s_wait_alu 0xfffe
	s_mul_hi_u32 s15, s14, s15
	s_wait_alu 0xfffe
	s_add_co_i32 s14, s14, s15
	s_cmp_gt_u32 s7, 2
	s_wait_alu 0xfffe
	v_mul_hi_u32 v4, v2, s14
	s_delay_alu instid0(VALU_DEP_1) | instskip(SKIP_1) | instid1(VALU_DEP_2)
	v_mul_lo_u32 v5, v4, s12
	v_add_nc_u32_e32 v6, 1, v4
	v_sub_nc_u32_e32 v5, v2, v5
	s_delay_alu instid0(VALU_DEP_1) | instskip(SKIP_2) | instid1(VALU_DEP_2)
	v_subrev_nc_u32_e32 v7, s12, v5
	v_cmp_le_u32_e32 vcc_lo, s12, v5
	s_wait_alu 0xfffd
	v_dual_cndmask_b32 v4, v4, v6 :: v_dual_cndmask_b32 v5, v5, v7
	s_delay_alu instid0(VALU_DEP_1) | instskip(NEXT) | instid1(VALU_DEP_2)
	v_add_nc_u32_e32 v6, 1, v4
	v_cmp_le_u32_e32 vcc_lo, s12, v5
	s_wait_alu 0xfffd
	s_delay_alu instid0(VALU_DEP_2) | instskip(NEXT) | instid1(VALU_DEP_1)
	v_cndmask_b32_e32 v4, v4, v6, vcc_lo
	v_mul_lo_u32 v5, v4, s12
	s_delay_alu instid0(VALU_DEP_1) | instskip(NEXT) | instid1(VALU_DEP_1)
	v_sub_nc_u32_e32 v2, v2, v5
	v_mad_co_u64_u32 v[1:2], null, s13, v2, v[1:2]
	s_cbranch_scc1 .LBB0_3
.LBB0_4:
	s_load_b32 s13, s[0:1], 0x6c
	s_add_nc_u64 s[10:11], s[0:1], 0x1c8
	s_load_b32 s14, s[2:3], 0x6c
	s_load_b32 s12, s[10:11], 0xc
	s_clause 0x1
	s_load_b32 s7, s[0:1], 0x1c0
	s_load_b64 s[10:11], s[2:3], 0x0
	v_and_b32_e32 v6, 0x3ff, v0
	v_cmp_gt_u32_e64 s0, s4, v3
	v_dual_mov_b32 v10, 0 :: v_dual_mov_b32 v11, 0
	s_wait_kmcnt 0x0
	v_mad_co_u64_u32 v[1:2], null, s14, v4, v[1:2]
	v_mul_lo_u32 v0, s13, v3
	v_mov_b32_e32 v2, 0
	v_mov_b32_e32 v3, 0
	v_cmp_gt_u32_e32 vcc_lo, s5, v6
	v_mov_b32_e32 v4, 0
	v_mov_b32_e32 v5, 0
	s_and_b32 s2, s0, vcc_lo
	s_wait_alu 0xfffe
	s_and_saveexec_b32 s3, s2
	s_cbranch_execz .LBB0_6
; %bb.5:
	v_mad_co_u64_u32 v[4:5], null, v6, s7, v[1:2]
	v_mov_b32_e32 v5, 0
	v_mad_co_u64_u32 v[11:12], null, v6, s6, v[0:1]
	s_delay_alu instid0(VALU_DEP_2) | instskip(NEXT) | instid1(VALU_DEP_1)
	v_lshlrev_b64_e32 v[4:5], 3, v[4:5]
	v_add_co_u32 v4, s1, s10, v4
	s_delay_alu instid0(VALU_DEP_1)
	v_add_co_ci_u32_e64 v5, null, s11, v5, s1
	global_load_u8 v11, v11, s[8:9]
	global_load_b64 v[4:5], v[4:5], off
.LBB0_6:
	s_wait_alu 0xfffe
	s_or_b32 exec_lo, exec_lo, s3
	v_lshlrev_b32_e32 v9, 5, v8
	s_and_b32 s3, 0xffff, s12
	v_lshlrev_b32_e32 v12, 8, v8
	s_wait_alu 0xfffe
	v_add_nc_u32_e32 v7, s3, v6
	v_cndmask_b32_e64 v14, 0, 1, s2
	v_add_nc_u32_e32 v13, 0x1000, v9
	v_add_nc_u32_e32 v15, 0x1200, v9
	v_lshl_add_u32 v8, v6, 3, v12
	v_cmp_gt_u32_e64 s1, s5, v7
	s_delay_alu instid0(VALU_DEP_4) | instskip(NEXT) | instid1(VALU_DEP_4)
	v_add_nc_u32_e32 v9, v13, v6
	v_add_nc_u32_e32 v16, v15, v6
	s_wait_loadcnt 0x1
	ds_store_b8 v9, v11
	s_wait_loadcnt 0x0
	ds_store_b64 v8, v[4:5]
	ds_store_b8 v16, v14
	s_and_b32 s4, s0, s1
	s_wait_alu 0xfffe
	s_and_saveexec_b32 s5, s4
	s_cbranch_execz .LBB0_8
; %bb.7:
	v_mad_co_u64_u32 v[2:3], null, v7, s7, v[1:2]
	v_mov_b32_e32 v3, 0
	v_mad_co_u64_u32 v[4:5], null, v7, s6, v[0:1]
	s_delay_alu instid0(VALU_DEP_2) | instskip(NEXT) | instid1(VALU_DEP_1)
	v_lshlrev_b64_e32 v[2:3], 3, v[2:3]
	v_add_co_u32 v2, s2, s10, v2
	s_wait_alu 0xf1ff
	s_delay_alu instid0(VALU_DEP_2)
	v_add_co_ci_u32_e64 v3, null, s11, v3, s2
	global_load_u8 v10, v4, s[8:9]
	global_load_b64 v[2:3], v[2:3], off
.LBB0_8:
	s_wait_alu 0xfffe
	s_or_b32 exec_lo, exec_lo, s5
	v_add_nc_u32_e32 v4, v13, v7
	v_lshlrev_b32_e32 v16, 1, v6
	v_lshl_add_u32 v5, s3, 3, v8
	v_cndmask_b32_e64 v11, 0, 1, s4
	v_add_nc_u32_e32 v14, v15, v7
	s_wait_loadcnt 0x1
	ds_store_b8 v4, v10
	s_wait_loadcnt 0x0
	ds_store_b64 v5, v[2:3]
	ds_store_b8 v14, v11
	v_add_nc_u32_e32 v2, v13, v16
	v_add_nc_u32_e32 v3, v15, v16
	s_wait_dscnt 0x0
	s_barrier_signal -1
	s_barrier_wait -1
	global_inv scope:SCOPE_SE
	ds_load_u16 v18, v2
	ds_load_u16 v14, v3
	v_and_b32_e32 v10, 1, v6
	s_wait_dscnt 0x1
	v_and_b32_e32 v17, 0xff, v18
	s_wait_dscnt 0x0
	v_lshrrev_b16 v11, 8, v14
	v_lshrrev_b16 v19, 8, v18
	v_and_b32_e32 v20, 1, v14
	s_delay_alu instid0(VALU_DEP_3) | instskip(NEXT) | instid1(VALU_DEP_3)
	v_cmp_ne_u16_e64 s4, v11, v10
	v_cmp_lt_u16_e64 s2, v17, v19
	s_delay_alu instid0(VALU_DEP_3) | instskip(SKIP_1) | instid1(VALU_DEP_3)
	v_cmp_eq_u32_e64 s3, 1, v20
	s_wait_alu 0xf1ff
	v_cndmask_b32_e64 v17, 0, 1, s4
	s_and_b32 s2, s2, s3
	s_wait_alu 0xfffe
	s_delay_alu instid0(VALU_DEP_1) | instskip(NEXT) | instid1(VALU_DEP_1)
	v_cndmask_b32_e64 v17, v17, v6, s2
	v_and_b32_e32 v17, 1, v17
	s_delay_alu instid0(VALU_DEP_1)
	v_cmp_eq_u32_e64 s2, 1, v17
	v_lshl_add_u32 v17, v6, 3, v8
	s_and_saveexec_b32 s3, s2
	s_wait_alu 0xfffe
	s_xor_b32 s2, exec_lo, s3
	s_cbranch_execz .LBB0_10
; %bb.9:
	ds_load_b128 v[20:23], v17
	v_lshlrev_b16 v18, 8, v18
	v_lshlrev_b16 v14, 8, v14
	s_delay_alu instid0(VALU_DEP_2) | instskip(NEXT) | instid1(VALU_DEP_2)
	v_or_b32_e32 v24, v19, v18
	v_or_b32_e32 v11, v11, v14
	s_wait_dscnt 0x0
	v_dual_mov_b32 v18, v22 :: v_dual_mov_b32 v19, v23
	ds_store_b16 v2, v24
	ds_store_b128 v17, v[18:21]
	ds_store_b16 v3, v11
.LBB0_10:
	s_wait_alu 0xfffe
	s_or_b32 exec_lo, exec_lo, s2
	v_sub_nc_u32_e32 v14, v16, v10
	s_wait_loadcnt_dscnt 0x0
	s_barrier_signal -1
	s_barrier_wait -1
	global_inv scope:SCOPE_SE
	v_add_nc_u32_e32 v10, v15, v14
	v_add_nc_u32_e32 v11, v13, v14
	v_bfe_u32 v23, v6, 1, 1
	v_lshl_add_u32 v14, v14, 3, v12
	ds_load_u8 v19, v10
	ds_load_u8 v20, v11
	ds_load_u8 v22, v11 offset:2
	ds_load_u8 v21, v10 offset:2
	s_wait_dscnt 0x3
	v_and_b32_e32 v18, 1, v19
	s_wait_dscnt 0x1
	v_cmp_lt_u16_e64 s2, v20, v22
	s_wait_dscnt 0x0
	v_cmp_ne_u16_e64 s4, v21, v23
	v_cmp_eq_u32_e64 s3, 1, v18
	s_wait_alu 0xf1ff
	s_delay_alu instid0(VALU_DEP_2) | instskip(SKIP_2) | instid1(VALU_DEP_1)
	v_cndmask_b32_e64 v18, 0, 1, s4
	s_and_b32 s2, s2, s3
	s_wait_alu 0xfffe
	v_cndmask_b32_e64 v23, v18, v23, s2
	v_and_b32_e32 v18, 2, v6
	s_delay_alu instid0(VALU_DEP_2) | instskip(NEXT) | instid1(VALU_DEP_2)
	v_and_b32_e32 v23, 1, v23
	v_cmp_ne_u32_e64 s2, 0, v18
	s_delay_alu instid0(VALU_DEP_2)
	v_cmp_eq_u32_e64 s3, 1, v23
	s_and_saveexec_b32 s4, s3
	s_wait_alu 0xfffe
	s_xor_b32 s3, exec_lo, s4
	s_cbranch_execz .LBB0_12
; %bb.11:
	ds_load_2addr_b64 v[23:26], v14 offset1:2
	s_wait_dscnt 0x0
	ds_store_2addr_b64 v14, v[25:26], v[23:24] offset1:2
	ds_store_b8 v11, v22
	ds_store_b8 v11, v20 offset:2
	ds_store_b8 v10, v21
	ds_store_b8 v10, v19 offset:2
.LBB0_12:
	s_wait_alu 0xfffe
	s_or_b32 exec_lo, exec_lo, s3
	s_wait_loadcnt_dscnt 0x0
	s_barrier_signal -1
	s_barrier_wait -1
	global_inv scope:SCOPE_SE
	ds_load_u16 v20, v2
	ds_load_u16 v19, v3
	v_lshrrev_b32_e32 v22, 1, v18
	v_cndmask_b32_e64 v25, 0, 1, s2
	s_wait_dscnt 0x1
	v_and_b32_e32 v23, 0xff, v20
	s_wait_dscnt 0x0
	v_lshrrev_b16 v18, 8, v19
	v_lshrrev_b16 v21, 8, v20
	v_and_b32_e32 v24, 1, v19
	s_delay_alu instid0(VALU_DEP_3) | instskip(NEXT) | instid1(VALU_DEP_3)
	v_cmp_ne_u16_e64 s4, v18, v22
	v_cmp_lt_u16_e64 s2, v23, v21
	s_delay_alu instid0(VALU_DEP_3) | instskip(SKIP_1) | instid1(VALU_DEP_3)
	v_cmp_eq_u32_e64 s3, 1, v24
	s_wait_alu 0xf1ff
	v_cndmask_b32_e64 v22, 0, 1, s4
	s_and_b32 s2, s2, s3
	s_mov_b32 s3, exec_lo
	s_wait_alu 0xfffe
	s_delay_alu instid0(VALU_DEP_1) | instskip(NEXT) | instid1(VALU_DEP_1)
	v_cndmask_b32_e64 v22, v22, v25, s2
	v_and_b32_e32 v22, 1, v22
	s_delay_alu instid0(VALU_DEP_1)
	v_cmpx_eq_u32_e32 1, v22
	s_cbranch_execz .LBB0_14
; %bb.13:
	ds_load_b128 v[22:25], v17
	v_lshlrev_b16 v20, 8, v20
	v_lshlrev_b16 v26, 8, v19
	s_delay_alu instid0(VALU_DEP_2) | instskip(NEXT) | instid1(VALU_DEP_2)
	v_or_b32_e32 v27, v21, v20
	v_or_b32_e32 v18, v18, v26
	s_wait_dscnt 0x0
	v_dual_mov_b32 v19, v24 :: v_dual_mov_b32 v20, v25
	v_dual_mov_b32 v21, v22 :: v_dual_mov_b32 v22, v23
	ds_store_b16 v2, v27
	ds_store_b128 v17, v[19:22]
	ds_store_b16 v3, v18
.LBB0_14:
	s_or_b32 exec_lo, exec_lo, s3
	v_and_b32_e32 v17, 3, v6
	s_wait_loadcnt_dscnt 0x0
	s_barrier_signal -1
	s_barrier_wait -1
	global_inv scope:SCOPE_SE
	v_sub_nc_u32_e32 v20, v16, v17
	v_bfe_u32 v25, v6, 2, 1
	s_delay_alu instid0(VALU_DEP_2)
	v_add_nc_u32_e32 v17, v15, v20
	v_add_nc_u32_e32 v18, v13, v20
	v_lshl_add_u32 v20, v20, 3, v12
	ds_load_u8 v21, v17
	ds_load_u8 v22, v18
	ds_load_u8 v24, v18 offset:4
	ds_load_u8 v23, v17 offset:4
	s_wait_dscnt 0x3
	v_and_b32_e32 v19, 1, v21
	s_wait_dscnt 0x1
	v_cmp_lt_u16_e64 s2, v22, v24
	s_wait_dscnt 0x0
	v_cmp_ne_u16_e64 s4, v23, v25
	v_cmp_eq_u32_e64 s3, 1, v19
	s_wait_alu 0xf1ff
	s_delay_alu instid0(VALU_DEP_2) | instskip(SKIP_3) | instid1(VALU_DEP_1)
	v_cndmask_b32_e64 v19, 0, 1, s4
	s_mov_b32 s4, exec_lo
	s_and_b32 s2, s2, s3
	s_wait_alu 0xfffe
	v_cndmask_b32_e64 v25, v19, v25, s2
	v_and_b32_e32 v19, 4, v6
	s_delay_alu instid0(VALU_DEP_2) | instskip(NEXT) | instid1(VALU_DEP_2)
	v_and_b32_e32 v25, 1, v25
	v_cmp_ne_u32_e64 s2, 0, v19
	s_delay_alu instid0(VALU_DEP_2)
	v_cmpx_eq_u32_e32 1, v25
	s_cbranch_execz .LBB0_16
; %bb.15:
	ds_load_2addr_b64 v[25:28], v20 offset1:4
	s_wait_dscnt 0x0
	ds_store_2addr_b64 v20, v[27:28], v[25:26] offset1:4
	ds_store_b8 v18, v24
	ds_store_b8 v18, v22 offset:4
	ds_store_b8 v17, v23
	ds_store_b8 v17, v21 offset:4
.LBB0_16:
	s_or_b32 exec_lo, exec_lo, s4
	s_wait_loadcnt_dscnt 0x0
	s_barrier_signal -1
	s_barrier_wait -1
	global_inv scope:SCOPE_SE
	ds_load_u8 v22, v10
	ds_load_u8 v23, v11
	ds_load_u8 v25, v11 offset:2
	ds_load_u8 v24, v10 offset:2
	v_lshrrev_b32_e32 v19, 2, v19
	v_cndmask_b32_e64 v21, 0, 1, s2
	s_wait_dscnt 0x3
	v_and_b32_e32 v26, 1, v22
	s_wait_dscnt 0x1
	v_cmp_lt_u16_e64 s2, v23, v25
	s_wait_dscnt 0x0
	v_cmp_ne_u16_e64 s4, v24, v19
	v_cmp_eq_u32_e64 s3, 1, v26
	s_wait_alu 0xf1ff
	s_delay_alu instid0(VALU_DEP_2) | instskip(SKIP_3) | instid1(VALU_DEP_1)
	v_cndmask_b32_e64 v26, 0, 1, s4
	s_and_b32 s2, s2, s3
	s_mov_b32 s3, exec_lo
	s_wait_alu 0xfffe
	v_cndmask_b32_e64 v26, v26, v21, s2
	s_delay_alu instid0(VALU_DEP_1) | instskip(NEXT) | instid1(VALU_DEP_1)
	v_and_b32_e32 v26, 1, v26
	v_cmpx_eq_u32_e32 1, v26
	s_cbranch_execz .LBB0_18
; %bb.17:
	ds_load_2addr_b64 v[26:29], v14 offset1:2
	s_wait_dscnt 0x0
	ds_store_2addr_b64 v14, v[28:29], v[26:27] offset1:2
	ds_store_b8 v11, v25
	ds_store_b8 v11, v23 offset:2
	ds_store_b8 v10, v24
	ds_store_b8 v10, v22 offset:2
.LBB0_18:
	s_or_b32 exec_lo, exec_lo, s3
	s_wait_loadcnt_dscnt 0x0
	s_barrier_signal -1
	s_barrier_wait -1
	global_inv scope:SCOPE_SE
	ds_load_u16 v25, v2
	ds_load_u16 v23, v3
	s_wait_dscnt 0x1
	v_and_b32_e32 v26, 0xff, v25
	s_wait_dscnt 0x0
	v_lshrrev_b16 v22, 8, v23
	v_lshrrev_b16 v24, 8, v25
	v_and_b32_e32 v27, 1, v23
	s_delay_alu instid0(VALU_DEP_3) | instskip(NEXT) | instid1(VALU_DEP_3)
	v_cmp_ne_u16_e64 s4, v22, v19
	v_cmp_lt_u16_e64 s2, v26, v24
	s_delay_alu instid0(VALU_DEP_3) | instskip(SKIP_1) | instid1(VALU_DEP_3)
	v_cmp_eq_u32_e64 s3, 1, v27
	s_wait_alu 0xf1ff
	v_cndmask_b32_e64 v19, 0, 1, s4
	s_and_b32 s2, s2, s3
	s_wait_alu 0xfffe
	s_delay_alu instid0(VALU_DEP_1) | instskip(NEXT) | instid1(VALU_DEP_1)
	v_cndmask_b32_e64 v19, v19, v21, s2
	v_and_b32_e32 v19, 1, v19
	s_delay_alu instid0(VALU_DEP_1)
	v_cmp_eq_u32_e64 s2, 1, v19
	v_lshl_add_u32 v19, v16, 3, v12
	s_and_saveexec_b32 s3, s2
	s_cbranch_execz .LBB0_20
; %bb.19:
	ds_load_b128 v[26:29], v19
	v_lshlrev_b16 v21, 8, v25
	v_lshlrev_b16 v30, 8, v23
	s_delay_alu instid0(VALU_DEP_2) | instskip(NEXT) | instid1(VALU_DEP_2)
	v_or_b32_e32 v21, v24, v21
	v_or_b32_e32 v22, v22, v30
	s_wait_dscnt 0x0
	v_dual_mov_b32 v23, v28 :: v_dual_mov_b32 v24, v29
	v_dual_mov_b32 v25, v26 :: v_dual_mov_b32 v26, v27
	ds_store_b16 v2, v21
	ds_store_b128 v19, v[23:26]
	ds_store_b16 v3, v22
.LBB0_20:
	s_wait_alu 0xfffe
	s_or_b32 exec_lo, exec_lo, s3
	v_and_b32_e32 v21, 7, v6
	s_wait_loadcnt_dscnt 0x0
	s_barrier_signal -1
	s_barrier_wait -1
	global_inv scope:SCOPE_SE
	v_sub_nc_u32_e32 v23, v16, v21
	v_bfe_u32 v29, v6, 3, 1
	s_delay_alu instid0(VALU_DEP_2)
	v_add_nc_u32_e32 v21, v15, v23
	v_add_nc_u32_e32 v22, v13, v23
	v_lshl_add_u32 v23, v23, 3, v12
	ds_load_u8 v25, v21
	ds_load_u8 v26, v22
	ds_load_u8 v28, v22 offset:8
	ds_load_u8 v27, v21 offset:8
	s_wait_dscnt 0x3
	v_and_b32_e32 v24, 1, v25
	s_wait_dscnt 0x1
	v_cmp_lt_u16_e64 s2, v26, v28
	s_wait_dscnt 0x0
	v_cmp_ne_u16_e64 s4, v27, v29
	v_cmp_eq_u32_e64 s3, 1, v24
	s_wait_alu 0xf1ff
	s_delay_alu instid0(VALU_DEP_2) | instskip(SKIP_3) | instid1(VALU_DEP_1)
	v_cndmask_b32_e64 v24, 0, 1, s4
	s_mov_b32 s4, exec_lo
	s_and_b32 s2, s2, s3
	s_wait_alu 0xfffe
	v_cndmask_b32_e64 v29, v24, v29, s2
	v_and_b32_e32 v24, 8, v6
	s_delay_alu instid0(VALU_DEP_2) | instskip(NEXT) | instid1(VALU_DEP_2)
	v_and_b32_e32 v29, 1, v29
	v_cmp_ne_u32_e64 s2, 0, v24
	s_delay_alu instid0(VALU_DEP_2)
	v_cmpx_eq_u32_e32 1, v29
	s_cbranch_execz .LBB0_22
; %bb.21:
	ds_load_2addr_b64 v[29:32], v23 offset1:8
	s_wait_dscnt 0x0
	ds_store_2addr_b64 v23, v[31:32], v[29:30] offset1:8
	ds_store_b8 v22, v28
	ds_store_b8 v22, v26 offset:8
	ds_store_b8 v21, v27
	ds_store_b8 v21, v25 offset:8
.LBB0_22:
	s_or_b32 exec_lo, exec_lo, s4
	s_wait_loadcnt_dscnt 0x0
	s_barrier_signal -1
	s_barrier_wait -1
	global_inv scope:SCOPE_SE
	ds_load_u8 v26, v17
	ds_load_u8 v27, v18
	ds_load_u8 v29, v18 offset:4
	ds_load_u8 v28, v17 offset:4
	v_lshrrev_b32_e32 v24, 3, v24
	v_cndmask_b32_e64 v25, 0, 1, s2
	s_wait_dscnt 0x3
	v_and_b32_e32 v30, 1, v26
	s_wait_dscnt 0x1
	v_cmp_lt_u16_e64 s2, v27, v29
	s_wait_dscnt 0x0
	v_cmp_ne_u16_e64 s4, v28, v24
	v_cmp_eq_u32_e64 s3, 1, v30
	s_wait_alu 0xf1ff
	s_delay_alu instid0(VALU_DEP_2) | instskip(SKIP_3) | instid1(VALU_DEP_1)
	v_cndmask_b32_e64 v30, 0, 1, s4
	s_and_b32 s2, s2, s3
	s_mov_b32 s3, exec_lo
	s_wait_alu 0xfffe
	v_cndmask_b32_e64 v30, v30, v25, s2
	s_delay_alu instid0(VALU_DEP_1) | instskip(NEXT) | instid1(VALU_DEP_1)
	v_and_b32_e32 v30, 1, v30
	v_cmpx_eq_u32_e32 1, v30
	s_cbranch_execz .LBB0_24
; %bb.23:
	ds_load_2addr_b64 v[30:33], v20 offset1:4
	s_wait_dscnt 0x0
	ds_store_2addr_b64 v20, v[32:33], v[30:31] offset1:4
	ds_store_b8 v18, v29
	ds_store_b8 v18, v27 offset:4
	ds_store_b8 v17, v28
	ds_store_b8 v17, v26 offset:4
.LBB0_24:
	s_or_b32 exec_lo, exec_lo, s3
	s_wait_loadcnt_dscnt 0x0
	s_barrier_signal -1
	s_barrier_wait -1
	global_inv scope:SCOPE_SE
	ds_load_u8 v26, v10
	ds_load_u8 v27, v11
	ds_load_u8 v29, v11 offset:2
	ds_load_u8 v28, v10 offset:2
	s_wait_dscnt 0x3
	v_and_b32_e32 v30, 1, v26
	s_wait_dscnt 0x1
	v_cmp_lt_u16_e64 s2, v27, v29
	s_wait_dscnt 0x0
	v_cmp_ne_u16_e64 s4, v28, v24
	v_cmp_eq_u32_e64 s3, 1, v30
	s_wait_alu 0xf1ff
	s_delay_alu instid0(VALU_DEP_2) | instskip(SKIP_3) | instid1(VALU_DEP_1)
	v_cndmask_b32_e64 v30, 0, 1, s4
	s_and_b32 s2, s2, s3
	s_mov_b32 s3, exec_lo
	s_wait_alu 0xfffe
	v_cndmask_b32_e64 v30, v30, v25, s2
	s_delay_alu instid0(VALU_DEP_1) | instskip(NEXT) | instid1(VALU_DEP_1)
	v_and_b32_e32 v30, 1, v30
	v_cmpx_eq_u32_e32 1, v30
	s_cbranch_execz .LBB0_26
; %bb.25:
	ds_load_2addr_b64 v[30:33], v14 offset1:2
	s_wait_dscnt 0x0
	ds_store_2addr_b64 v14, v[32:33], v[30:31] offset1:2
	ds_store_b8 v11, v29
	ds_store_b8 v11, v27 offset:2
	ds_store_b8 v10, v28
	ds_store_b8 v10, v26 offset:2
.LBB0_26:
	s_or_b32 exec_lo, exec_lo, s3
	s_wait_loadcnt_dscnt 0x0
	s_barrier_signal -1
	s_barrier_wait -1
	global_inv scope:SCOPE_SE
	ds_load_u16 v29, v2
	ds_load_u16 v27, v3
	s_wait_dscnt 0x1
	v_and_b32_e32 v30, 0xff, v29
	s_wait_dscnt 0x0
	v_lshrrev_b16 v26, 8, v27
	v_lshrrev_b16 v28, 8, v29
	v_and_b32_e32 v31, 1, v27
	s_delay_alu instid0(VALU_DEP_3) | instskip(NEXT) | instid1(VALU_DEP_3)
	v_cmp_ne_u16_e64 s4, v26, v24
	v_cmp_lt_u16_e64 s2, v30, v28
	s_delay_alu instid0(VALU_DEP_3) | instskip(SKIP_1) | instid1(VALU_DEP_3)
	v_cmp_eq_u32_e64 s3, 1, v31
	s_wait_alu 0xf1ff
	v_cndmask_b32_e64 v24, 0, 1, s4
	s_and_b32 s2, s2, s3
	s_mov_b32 s3, exec_lo
	s_wait_alu 0xfffe
	s_delay_alu instid0(VALU_DEP_1) | instskip(NEXT) | instid1(VALU_DEP_1)
	v_cndmask_b32_e64 v24, v24, v25, s2
	v_and_b32_e32 v24, 1, v24
	s_delay_alu instid0(VALU_DEP_1)
	v_cmpx_eq_u32_e32 1, v24
	s_cbranch_execz .LBB0_28
; %bb.27:
	ds_load_b128 v[30:33], v19
	v_lshlrev_b16 v24, 8, v29
	v_lshlrev_b16 v25, 8, v27
	s_delay_alu instid0(VALU_DEP_2) | instskip(NEXT) | instid1(VALU_DEP_2)
	v_or_b32_e32 v24, v28, v24
	v_or_b32_e32 v25, v26, v25
	s_wait_dscnt 0x0
	v_dual_mov_b32 v27, v32 :: v_dual_mov_b32 v28, v33
	v_dual_mov_b32 v29, v30 :: v_dual_mov_b32 v30, v31
	ds_store_b16 v2, v24
	ds_store_b128 v19, v[27:30]
	ds_store_b16 v3, v25
.LBB0_28:
	s_or_b32 exec_lo, exec_lo, s3
	v_and_b32_e32 v24, 15, v6
	s_wait_loadcnt_dscnt 0x0
	s_barrier_signal -1
	s_barrier_wait -1
	global_inv scope:SCOPE_SE
	v_sub_nc_u32_e32 v16, v16, v24
	s_delay_alu instid0(VALU_DEP_1)
	v_add_nc_u32_e32 v15, v15, v16
	v_add_nc_u32_e32 v13, v13, v16
	ds_load_u8 v24, v15
	ds_load_u8 v27, v15 offset:16
	ds_load_u8 v25, v13
	ds_load_u8 v26, v13 offset:16
	s_wait_dscnt 0x2
	v_and_b32_e32 v27, 0xff, v27
	v_and_b32_e32 v28, 1, v24
	s_wait_dscnt 0x0
	v_cmp_ge_u16_e64 s3, v25, v26
	s_delay_alu instid0(VALU_DEP_3) | instskip(NEXT) | instid1(VALU_DEP_3)
	v_cmp_ne_u16_e64 s4, 0, v27
	v_cmp_eq_u32_e64 s2, 1, v28
	s_xor_b32 s2, s2, -1
	s_wait_alu 0xfffe
	s_or_b32 s2, s3, s2
	s_wait_alu 0xfffe
	s_and_b32 s3, s2, s4
	s_wait_alu 0xfffe
	s_and_saveexec_b32 s2, s3
	s_cbranch_execz .LBB0_30
; %bb.29:
	v_lshl_add_u32 v12, v16, 3, v12
	v_mov_b32_e32 v16, 1
	ds_load_2addr_b64 v[27:30], v12 offset1:16
	s_wait_dscnt 0x0
	ds_store_2addr_b64 v12, v[29:30], v[27:28] offset1:16
	ds_store_b8 v13, v26
	ds_store_b8 v13, v25 offset:16
	ds_store_b8 v15, v16
	ds_store_b8 v15, v24 offset:16
.LBB0_30:
	s_wait_alu 0xfffe
	s_or_b32 exec_lo, exec_lo, s2
	s_wait_loadcnt_dscnt 0x0
	s_barrier_signal -1
	s_barrier_wait -1
	global_inv scope:SCOPE_SE
	ds_load_u8 v12, v21
	ds_load_u8 v16, v21 offset:8
	ds_load_u8 v13, v22
	ds_load_u8 v15, v22 offset:8
	s_wait_dscnt 0x3
	v_and_b32_e32 v24, 1, v12
	s_wait_dscnt 0x2
	v_and_b32_e32 v16, 0xff, v16
	s_wait_dscnt 0x0
	v_cmp_ge_u16_e64 s3, v13, v15
	v_cmp_eq_u32_e64 s2, 1, v24
	s_delay_alu instid0(VALU_DEP_3)
	v_cmp_ne_u16_e64 s4, 0, v16
	s_xor_b32 s2, s2, -1
	s_wait_alu 0xfffe
	s_or_b32 s2, s3, s2
	s_wait_alu 0xfffe
	s_and_b32 s3, s2, s4
	s_wait_alu 0xfffe
	s_and_saveexec_b32 s2, s3
	s_cbranch_execz .LBB0_32
; %bb.31:
	ds_load_2addr_b64 v[24:27], v23 offset1:8
	v_mov_b32_e32 v16, 1
	s_wait_dscnt 0x0
	ds_store_2addr_b64 v23, v[26:27], v[24:25] offset1:8
	ds_store_b8 v22, v15
	ds_store_b8 v22, v13 offset:8
	ds_store_b8 v21, v16
	ds_store_b8 v21, v12 offset:8
.LBB0_32:
	s_wait_alu 0xfffe
	s_or_b32 exec_lo, exec_lo, s2
	s_wait_loadcnt_dscnt 0x0
	s_barrier_signal -1
	s_barrier_wait -1
	global_inv scope:SCOPE_SE
	ds_load_u8 v12, v17
	ds_load_u8 v16, v17 offset:4
	ds_load_u8 v13, v18
	ds_load_u8 v15, v18 offset:4
	s_wait_dscnt 0x3
	v_and_b32_e32 v21, 1, v12
	s_wait_dscnt 0x2
	v_and_b32_e32 v16, 0xff, v16
	s_wait_dscnt 0x0
	v_cmp_ge_u16_e64 s3, v13, v15
	v_cmp_eq_u32_e64 s2, 1, v21
	s_delay_alu instid0(VALU_DEP_3)
	v_cmp_ne_u16_e64 s4, 0, v16
	s_xor_b32 s2, s2, -1
	s_wait_alu 0xfffe
	s_or_b32 s2, s3, s2
	s_wait_alu 0xfffe
	s_and_b32 s3, s2, s4
	s_wait_alu 0xfffe
	s_and_saveexec_b32 s2, s3
	s_cbranch_execz .LBB0_34
; %bb.33:
	ds_load_2addr_b64 v[21:24], v20 offset1:4
	v_mov_b32_e32 v16, 1
	s_wait_dscnt 0x0
	ds_store_2addr_b64 v20, v[23:24], v[21:22] offset1:4
	ds_store_b8 v18, v15
	ds_store_b8 v18, v13 offset:4
	ds_store_b8 v17, v16
	ds_store_b8 v17, v12 offset:4
.LBB0_34:
	;; [unrolled: 37-line block ×3, first 2 shown]
	s_wait_alu 0xfffe
	s_or_b32 exec_lo, exec_lo, s2
	s_wait_loadcnt_dscnt 0x0
	s_barrier_signal -1
	s_barrier_wait -1
	global_inv scope:SCOPE_SE
	ds_load_u16 v10, v3
	ds_load_u16 v12, v2
	s_wait_dscnt 0x1
	v_and_b32_e32 v13, 1, v10
	s_wait_dscnt 0x0
	v_and_b32_e32 v14, 0xff, v12
	v_lshrrev_b16 v11, 8, v12
	v_lshrrev_b16 v15, 8, v10
	v_cmp_eq_u32_e64 s2, 1, v13
	s_delay_alu instid0(VALU_DEP_3) | instskip(NEXT) | instid1(VALU_DEP_3)
	v_cmp_ge_u16_e64 s3, v14, v11
	v_cmp_ne_u16_e64 s4, 0, v15
	s_xor_b32 s2, s2, -1
	s_wait_alu 0xfffe
	s_or_b32 s2, s3, s2
	s_wait_alu 0xfffe
	s_and_b32 s3, s2, s4
	s_wait_alu 0xfffe
	s_and_saveexec_b32 s2, s3
	s_cbranch_execz .LBB0_38
; %bb.37:
	ds_load_b128 v[13:16], v19
	v_lshlrev_b16 v12, 8, v12
	v_lshlrev_b16 v17, 8, v10
	s_delay_alu instid0(VALU_DEP_2)
	v_or_b32_e32 v18, v11, v12
	s_wait_dscnt 0x0
	v_dual_mov_b32 v10, v15 :: v_dual_mov_b32 v11, v16
	v_dual_mov_b32 v12, v13 :: v_dual_mov_b32 v13, v14
	v_or_b32_e32 v14, 1, v17
	ds_store_b16 v2, v18
	ds_store_b128 v19, v[10:13]
	ds_store_b16 v3, v14
.LBB0_38:
	s_wait_alu 0xfffe
	s_or_b32 exec_lo, exec_lo, s2
	s_wait_loadcnt_dscnt 0x0
	s_barrier_signal -1
	s_barrier_wait -1
	global_inv scope:SCOPE_SE
	s_and_saveexec_b32 s2, s0
	s_cbranch_execz .LBB0_43
; %bb.39:
	s_and_saveexec_b32 s0, vcc_lo
	s_cbranch_execz .LBB0_41
; %bb.40:
	v_mad_co_u64_u32 v[2:3], null, v6, s7, v[1:2]
	ds_load_u8 v12, v9
	ds_load_b64 v[8:9], v8
	v_mov_b32_e32 v3, 0
	v_mad_co_u64_u32 v[10:11], null, v6, s6, v[0:1]
	s_delay_alu instid0(VALU_DEP_2) | instskip(NEXT) | instid1(VALU_DEP_1)
	v_lshlrev_b64_e32 v[2:3], 3, v[2:3]
	v_add_co_u32 v2, vcc_lo, s10, v2
	s_wait_alu 0xfffd
	s_delay_alu instid0(VALU_DEP_2)
	v_add_co_ci_u32_e64 v3, null, s11, v3, vcc_lo
	s_wait_dscnt 0x1
	global_store_b8 v10, v12, s[8:9]
	s_wait_dscnt 0x0
	global_store_b64 v[2:3], v[8:9], off
.LBB0_41:
	s_wait_alu 0xfffe
	s_or_b32 exec_lo, exec_lo, s0
	s_delay_alu instid0(SALU_CYCLE_1)
	s_and_b32 exec_lo, exec_lo, s1
	s_cbranch_execz .LBB0_43
; %bb.42:
	v_mad_co_u64_u32 v[1:2], null, v7, s7, v[1:2]
	ds_load_u8 v8, v4
	ds_load_b64 v[3:4], v5
	v_mov_b32_e32 v2, 0
	s_delay_alu instid0(VALU_DEP_1) | instskip(NEXT) | instid1(VALU_DEP_1)
	v_lshlrev_b64_e32 v[1:2], 3, v[1:2]
	v_mad_co_u64_u32 v[5:6], null, v7, s6, v[0:1]
	v_add_co_u32 v0, vcc_lo, s10, v1
	s_wait_alu 0xfffd
	s_delay_alu instid0(VALU_DEP_3)
	v_add_co_ci_u32_e64 v1, null, s11, v2, vcc_lo
	s_wait_dscnt 0x1
	global_store_b8 v5, v8, s[8:9]
	s_wait_dscnt 0x0
	global_store_b64 v[0:1], v[3:4], off
.LBB0_43:
	s_endpgm
	.section	.rodata,"a",@progbits
	.p2align	6, 0x0
	.amdhsa_kernel _ZN2at6native20bitonicSortKVInPlaceILin2ELin1ELi16ELi16EhlNS0_4LTOpIhLb1EEEjEEvNS_4cuda6detail10TensorInfoIT3_T6_EES8_S8_S8_NS6_IT4_S8_EES8_T5_
		.amdhsa_group_segment_fixed_size 5120
		.amdhsa_private_segment_fixed_size 0
		.amdhsa_kernarg_size 712
		.amdhsa_user_sgpr_count 2
		.amdhsa_user_sgpr_dispatch_ptr 0
		.amdhsa_user_sgpr_queue_ptr 0
		.amdhsa_user_sgpr_kernarg_segment_ptr 1
		.amdhsa_user_sgpr_dispatch_id 0
		.amdhsa_user_sgpr_private_segment_size 0
		.amdhsa_wavefront_size32 1
		.amdhsa_uses_dynamic_stack 0
		.amdhsa_enable_private_segment 0
		.amdhsa_system_sgpr_workgroup_id_x 1
		.amdhsa_system_sgpr_workgroup_id_y 1
		.amdhsa_system_sgpr_workgroup_id_z 1
		.amdhsa_system_sgpr_workgroup_info 0
		.amdhsa_system_vgpr_workitem_id 1
		.amdhsa_next_free_vgpr 34
		.amdhsa_next_free_sgpr 16
		.amdhsa_reserve_vcc 1
		.amdhsa_float_round_mode_32 0
		.amdhsa_float_round_mode_16_64 0
		.amdhsa_float_denorm_mode_32 3
		.amdhsa_float_denorm_mode_16_64 3
		.amdhsa_fp16_overflow 0
		.amdhsa_workgroup_processor_mode 1
		.amdhsa_memory_ordered 1
		.amdhsa_forward_progress 1
		.amdhsa_inst_pref_size 37
		.amdhsa_round_robin_scheduling 0
		.amdhsa_exception_fp_ieee_invalid_op 0
		.amdhsa_exception_fp_denorm_src 0
		.amdhsa_exception_fp_ieee_div_zero 0
		.amdhsa_exception_fp_ieee_overflow 0
		.amdhsa_exception_fp_ieee_underflow 0
		.amdhsa_exception_fp_ieee_inexact 0
		.amdhsa_exception_int_div_zero 0
	.end_amdhsa_kernel
	.section	.text._ZN2at6native20bitonicSortKVInPlaceILin2ELin1ELi16ELi16EhlNS0_4LTOpIhLb1EEEjEEvNS_4cuda6detail10TensorInfoIT3_T6_EES8_S8_S8_NS6_IT4_S8_EES8_T5_,"axG",@progbits,_ZN2at6native20bitonicSortKVInPlaceILin2ELin1ELi16ELi16EhlNS0_4LTOpIhLb1EEEjEEvNS_4cuda6detail10TensorInfoIT3_T6_EES8_S8_S8_NS6_IT4_S8_EES8_T5_,comdat
.Lfunc_end0:
	.size	_ZN2at6native20bitonicSortKVInPlaceILin2ELin1ELi16ELi16EhlNS0_4LTOpIhLb1EEEjEEvNS_4cuda6detail10TensorInfoIT3_T6_EES8_S8_S8_NS6_IT4_S8_EES8_T5_, .Lfunc_end0-_ZN2at6native20bitonicSortKVInPlaceILin2ELin1ELi16ELi16EhlNS0_4LTOpIhLb1EEEjEEvNS_4cuda6detail10TensorInfoIT3_T6_EES8_S8_S8_NS6_IT4_S8_EES8_T5_
                                        ; -- End function
	.set _ZN2at6native20bitonicSortKVInPlaceILin2ELin1ELi16ELi16EhlNS0_4LTOpIhLb1EEEjEEvNS_4cuda6detail10TensorInfoIT3_T6_EES8_S8_S8_NS6_IT4_S8_EES8_T5_.num_vgpr, 34
	.set _ZN2at6native20bitonicSortKVInPlaceILin2ELin1ELi16ELi16EhlNS0_4LTOpIhLb1EEEjEEvNS_4cuda6detail10TensorInfoIT3_T6_EES8_S8_S8_NS6_IT4_S8_EES8_T5_.num_agpr, 0
	.set _ZN2at6native20bitonicSortKVInPlaceILin2ELin1ELi16ELi16EhlNS0_4LTOpIhLb1EEEjEEvNS_4cuda6detail10TensorInfoIT3_T6_EES8_S8_S8_NS6_IT4_S8_EES8_T5_.numbered_sgpr, 16
	.set _ZN2at6native20bitonicSortKVInPlaceILin2ELin1ELi16ELi16EhlNS0_4LTOpIhLb1EEEjEEvNS_4cuda6detail10TensorInfoIT3_T6_EES8_S8_S8_NS6_IT4_S8_EES8_T5_.num_named_barrier, 0
	.set _ZN2at6native20bitonicSortKVInPlaceILin2ELin1ELi16ELi16EhlNS0_4LTOpIhLb1EEEjEEvNS_4cuda6detail10TensorInfoIT3_T6_EES8_S8_S8_NS6_IT4_S8_EES8_T5_.private_seg_size, 0
	.set _ZN2at6native20bitonicSortKVInPlaceILin2ELin1ELi16ELi16EhlNS0_4LTOpIhLb1EEEjEEvNS_4cuda6detail10TensorInfoIT3_T6_EES8_S8_S8_NS6_IT4_S8_EES8_T5_.uses_vcc, 1
	.set _ZN2at6native20bitonicSortKVInPlaceILin2ELin1ELi16ELi16EhlNS0_4LTOpIhLb1EEEjEEvNS_4cuda6detail10TensorInfoIT3_T6_EES8_S8_S8_NS6_IT4_S8_EES8_T5_.uses_flat_scratch, 0
	.set _ZN2at6native20bitonicSortKVInPlaceILin2ELin1ELi16ELi16EhlNS0_4LTOpIhLb1EEEjEEvNS_4cuda6detail10TensorInfoIT3_T6_EES8_S8_S8_NS6_IT4_S8_EES8_T5_.has_dyn_sized_stack, 0
	.set _ZN2at6native20bitonicSortKVInPlaceILin2ELin1ELi16ELi16EhlNS0_4LTOpIhLb1EEEjEEvNS_4cuda6detail10TensorInfoIT3_T6_EES8_S8_S8_NS6_IT4_S8_EES8_T5_.has_recursion, 0
	.set _ZN2at6native20bitonicSortKVInPlaceILin2ELin1ELi16ELi16EhlNS0_4LTOpIhLb1EEEjEEvNS_4cuda6detail10TensorInfoIT3_T6_EES8_S8_S8_NS6_IT4_S8_EES8_T5_.has_indirect_call, 0
	.section	.AMDGPU.csdata,"",@progbits
; Kernel info:
; codeLenInByte = 4656
; TotalNumSgprs: 18
; NumVgprs: 34
; ScratchSize: 0
; MemoryBound: 0
; FloatMode: 240
; IeeeMode: 1
; LDSByteSize: 5120 bytes/workgroup (compile time only)
; SGPRBlocks: 0
; VGPRBlocks: 4
; NumSGPRsForWavesPerEU: 18
; NumVGPRsForWavesPerEU: 34
; Occupancy: 16
; WaveLimiterHint : 1
; COMPUTE_PGM_RSRC2:SCRATCH_EN: 0
; COMPUTE_PGM_RSRC2:USER_SGPR: 2
; COMPUTE_PGM_RSRC2:TRAP_HANDLER: 0
; COMPUTE_PGM_RSRC2:TGID_X_EN: 1
; COMPUTE_PGM_RSRC2:TGID_Y_EN: 1
; COMPUTE_PGM_RSRC2:TGID_Z_EN: 1
; COMPUTE_PGM_RSRC2:TIDIG_COMP_CNT: 1
	.section	.text._ZN2at6native20bitonicSortKVInPlaceILin2ELin1ELi16ELi16EhlNS0_4GTOpIhLb1EEEjEEvNS_4cuda6detail10TensorInfoIT3_T6_EES8_S8_S8_NS6_IT4_S8_EES8_T5_,"axG",@progbits,_ZN2at6native20bitonicSortKVInPlaceILin2ELin1ELi16ELi16EhlNS0_4GTOpIhLb1EEEjEEvNS_4cuda6detail10TensorInfoIT3_T6_EES8_S8_S8_NS6_IT4_S8_EES8_T5_,comdat
	.protected	_ZN2at6native20bitonicSortKVInPlaceILin2ELin1ELi16ELi16EhlNS0_4GTOpIhLb1EEEjEEvNS_4cuda6detail10TensorInfoIT3_T6_EES8_S8_S8_NS6_IT4_S8_EES8_T5_ ; -- Begin function _ZN2at6native20bitonicSortKVInPlaceILin2ELin1ELi16ELi16EhlNS0_4GTOpIhLb1EEEjEEvNS_4cuda6detail10TensorInfoIT3_T6_EES8_S8_S8_NS6_IT4_S8_EES8_T5_
	.globl	_ZN2at6native20bitonicSortKVInPlaceILin2ELin1ELi16ELi16EhlNS0_4GTOpIhLb1EEEjEEvNS_4cuda6detail10TensorInfoIT3_T6_EES8_S8_S8_NS6_IT4_S8_EES8_T5_
	.p2align	8
	.type	_ZN2at6native20bitonicSortKVInPlaceILin2ELin1ELi16ELi16EhlNS0_4GTOpIhLb1EEEjEEvNS_4cuda6detail10TensorInfoIT3_T6_EES8_S8_S8_NS6_IT4_S8_EES8_T5_,@function
_ZN2at6native20bitonicSortKVInPlaceILin2ELin1ELi16ELi16EhlNS0_4GTOpIhLb1EEEjEEvNS_4cuda6detail10TensorInfoIT3_T6_EES8_S8_S8_NS6_IT4_S8_EES8_T5_: ; @_ZN2at6native20bitonicSortKVInPlaceILin2ELin1ELi16ELi16EhlNS0_4GTOpIhLb1EEEjEEvNS_4cuda6detail10TensorInfoIT3_T6_EES8_S8_S8_NS6_IT4_S8_EES8_T5_
; %bb.0:
	s_clause 0x2
	s_load_b64 s[2:3], s[0:1], 0x1c8
	s_load_u16 s7, s[0:1], 0x1d6
	s_load_b96 s[4:6], s[0:1], 0xd8
	s_lshr_b32 s8, ttmp7, 16
	s_wait_kmcnt 0x0
	s_mul_i32 s3, s3, s8
	s_and_b32 s8, ttmp7, 0xffff
	s_delay_alu instid0(SALU_CYCLE_1) | instskip(NEXT) | instid1(SALU_CYCLE_1)
	s_add_co_i32 s3, s3, s8
	s_mul_i32 s2, s3, s2
	s_delay_alu instid0(SALU_CYCLE_1) | instskip(NEXT) | instid1(SALU_CYCLE_1)
	s_add_co_i32 s2, s2, ttmp9
	s_mul_i32 s2, s2, s7
	s_delay_alu instid0(SALU_CYCLE_1)
	s_cmp_ge_u32 s2, s4
	s_cbranch_scc1 .LBB1_43
; %bb.1:
	s_clause 0x1
	s_load_b32 s7, s[0:1], 0x1b8
	s_load_b64 s[8:9], s[0:1], 0x0
	v_bfe_u32 v8, v0, 10, 10
	s_delay_alu instid0(VALU_DEP_1) | instskip(SKIP_2) | instid1(VALU_DEP_2)
	v_add_nc_u32_e32 v3, s2, v8
	v_mov_b32_e32 v1, 0
	s_add_nc_u64 s[2:3], s[0:1], 0xe8
	v_mov_b32_e32 v4, v3
	s_wait_kmcnt 0x0
	s_cmp_lt_i32 s7, 2
	s_cbranch_scc1 .LBB1_4
; %bb.2:
	s_add_co_i32 s10, s7, -1
	s_mov_b32 s11, 0
	v_dual_mov_b32 v1, 0 :: v_dual_mov_b32 v4, v3
	s_lshl_b64 s[10:11], s[10:11], 2
	s_add_co_i32 s7, s7, 1
	s_wait_alu 0xfffe
	s_add_nc_u64 s[10:11], s[2:3], s[10:11]
	s_delay_alu instid0(SALU_CYCLE_1)
	s_add_nc_u64 s[10:11], s[10:11], 8
.LBB1_3:                                ; =>This Inner Loop Header: Depth=1
	s_clause 0x1
	s_load_b32 s12, s[10:11], 0x0
	s_load_b32 s13, s[10:11], 0x64
	s_add_co_i32 s7, s7, -1
	s_add_nc_u64 s[10:11], s[10:11], -4
	s_wait_kmcnt 0x0
	s_cvt_f32_u32 s14, s12
	s_sub_co_i32 s15, 0, s12
	s_wait_alu 0xfffe
	s_delay_alu instid0(SALU_CYCLE_1) | instskip(NEXT) | instid1(TRANS32_DEP_1)
	v_rcp_iflag_f32_e32 v2, s14
	v_readfirstlane_b32 s14, v2
	v_mov_b32_e32 v2, v4
	s_mul_f32 s14, s14, 0x4f7ffffe
	s_wait_alu 0xfffe
	s_delay_alu instid0(SALU_CYCLE_2) | instskip(SKIP_1) | instid1(SALU_CYCLE_2)
	s_cvt_u32_f32 s14, s14
	s_wait_alu 0xfffe
	s_mul_i32 s15, s15, s14
	s_wait_alu 0xfffe
	s_mul_hi_u32 s15, s14, s15
	s_wait_alu 0xfffe
	s_add_co_i32 s14, s14, s15
	s_cmp_gt_u32 s7, 2
	s_wait_alu 0xfffe
	v_mul_hi_u32 v4, v2, s14
	s_delay_alu instid0(VALU_DEP_1) | instskip(SKIP_1) | instid1(VALU_DEP_2)
	v_mul_lo_u32 v5, v4, s12
	v_add_nc_u32_e32 v6, 1, v4
	v_sub_nc_u32_e32 v5, v2, v5
	s_delay_alu instid0(VALU_DEP_1) | instskip(SKIP_2) | instid1(VALU_DEP_2)
	v_subrev_nc_u32_e32 v7, s12, v5
	v_cmp_le_u32_e32 vcc_lo, s12, v5
	s_wait_alu 0xfffd
	v_dual_cndmask_b32 v4, v4, v6 :: v_dual_cndmask_b32 v5, v5, v7
	s_delay_alu instid0(VALU_DEP_1) | instskip(NEXT) | instid1(VALU_DEP_2)
	v_add_nc_u32_e32 v6, 1, v4
	v_cmp_le_u32_e32 vcc_lo, s12, v5
	s_wait_alu 0xfffd
	s_delay_alu instid0(VALU_DEP_2) | instskip(NEXT) | instid1(VALU_DEP_1)
	v_cndmask_b32_e32 v4, v4, v6, vcc_lo
	v_mul_lo_u32 v5, v4, s12
	s_delay_alu instid0(VALU_DEP_1) | instskip(NEXT) | instid1(VALU_DEP_1)
	v_sub_nc_u32_e32 v2, v2, v5
	v_mad_co_u64_u32 v[1:2], null, s13, v2, v[1:2]
	s_cbranch_scc1 .LBB1_3
.LBB1_4:
	s_load_b32 s13, s[0:1], 0x6c
	s_add_nc_u64 s[10:11], s[0:1], 0x1c8
	s_load_b32 s14, s[2:3], 0x6c
	s_load_b32 s12, s[10:11], 0xc
	s_clause 0x1
	s_load_b32 s7, s[0:1], 0x1c0
	s_load_b64 s[10:11], s[2:3], 0x0
	v_and_b32_e32 v6, 0x3ff, v0
	v_cmp_gt_u32_e64 s0, s4, v3
	v_dual_mov_b32 v10, 0 :: v_dual_mov_b32 v11, 0
	s_wait_kmcnt 0x0
	v_mad_co_u64_u32 v[1:2], null, s14, v4, v[1:2]
	v_mul_lo_u32 v0, s13, v3
	v_mov_b32_e32 v2, 0
	v_mov_b32_e32 v3, 0
	v_cmp_gt_u32_e32 vcc_lo, s5, v6
	v_mov_b32_e32 v4, 0
	v_mov_b32_e32 v5, 0
	s_and_b32 s2, s0, vcc_lo
	s_wait_alu 0xfffe
	s_and_saveexec_b32 s3, s2
	s_cbranch_execz .LBB1_6
; %bb.5:
	v_mad_co_u64_u32 v[4:5], null, v6, s7, v[1:2]
	v_mov_b32_e32 v5, 0
	v_mad_co_u64_u32 v[11:12], null, v6, s6, v[0:1]
	s_delay_alu instid0(VALU_DEP_2) | instskip(NEXT) | instid1(VALU_DEP_1)
	v_lshlrev_b64_e32 v[4:5], 3, v[4:5]
	v_add_co_u32 v4, s1, s10, v4
	s_delay_alu instid0(VALU_DEP_1)
	v_add_co_ci_u32_e64 v5, null, s11, v5, s1
	global_load_u8 v11, v11, s[8:9]
	global_load_b64 v[4:5], v[4:5], off
.LBB1_6:
	s_wait_alu 0xfffe
	s_or_b32 exec_lo, exec_lo, s3
	v_lshlrev_b32_e32 v9, 5, v8
	s_and_b32 s3, 0xffff, s12
	v_lshlrev_b32_e32 v12, 8, v8
	s_wait_alu 0xfffe
	v_add_nc_u32_e32 v7, s3, v6
	v_cndmask_b32_e64 v14, 0, 1, s2
	v_add_nc_u32_e32 v13, 0x1000, v9
	v_add_nc_u32_e32 v15, 0x1200, v9
	v_lshl_add_u32 v8, v6, 3, v12
	v_cmp_gt_u32_e64 s1, s5, v7
	s_delay_alu instid0(VALU_DEP_4) | instskip(NEXT) | instid1(VALU_DEP_4)
	v_add_nc_u32_e32 v9, v13, v6
	v_add_nc_u32_e32 v16, v15, v6
	s_wait_loadcnt 0x1
	ds_store_b8 v9, v11
	s_wait_loadcnt 0x0
	ds_store_b64 v8, v[4:5]
	ds_store_b8 v16, v14
	s_and_b32 s4, s0, s1
	s_wait_alu 0xfffe
	s_and_saveexec_b32 s5, s4
	s_cbranch_execz .LBB1_8
; %bb.7:
	v_mad_co_u64_u32 v[2:3], null, v7, s7, v[1:2]
	v_mov_b32_e32 v3, 0
	v_mad_co_u64_u32 v[4:5], null, v7, s6, v[0:1]
	s_delay_alu instid0(VALU_DEP_2) | instskip(NEXT) | instid1(VALU_DEP_1)
	v_lshlrev_b64_e32 v[2:3], 3, v[2:3]
	v_add_co_u32 v2, s2, s10, v2
	s_wait_alu 0xf1ff
	s_delay_alu instid0(VALU_DEP_2)
	v_add_co_ci_u32_e64 v3, null, s11, v3, s2
	global_load_u8 v10, v4, s[8:9]
	global_load_b64 v[2:3], v[2:3], off
.LBB1_8:
	s_wait_alu 0xfffe
	s_or_b32 exec_lo, exec_lo, s5
	v_add_nc_u32_e32 v4, v13, v7
	v_lshlrev_b32_e32 v16, 1, v6
	v_lshl_add_u32 v5, s3, 3, v8
	v_cndmask_b32_e64 v11, 0, 1, s4
	v_add_nc_u32_e32 v14, v15, v7
	s_wait_loadcnt 0x1
	ds_store_b8 v4, v10
	s_wait_loadcnt 0x0
	ds_store_b64 v5, v[2:3]
	ds_store_b8 v14, v11
	v_add_nc_u32_e32 v2, v13, v16
	v_add_nc_u32_e32 v3, v15, v16
	s_wait_dscnt 0x0
	s_barrier_signal -1
	s_barrier_wait -1
	global_inv scope:SCOPE_SE
	ds_load_u16 v18, v2
	ds_load_u16 v14, v3
	v_and_b32_e32 v10, 1, v6
	s_wait_dscnt 0x1
	v_and_b32_e32 v17, 0xff, v18
	s_wait_dscnt 0x0
	v_lshrrev_b16 v11, 8, v14
	v_lshrrev_b16 v19, 8, v18
	v_and_b32_e32 v20, 1, v14
	s_delay_alu instid0(VALU_DEP_3) | instskip(NEXT) | instid1(VALU_DEP_3)
	v_cmp_ne_u16_e64 s4, v11, v10
	v_cmp_gt_u16_e64 s2, v17, v19
	s_delay_alu instid0(VALU_DEP_3) | instskip(SKIP_1) | instid1(VALU_DEP_3)
	v_cmp_eq_u32_e64 s3, 1, v20
	s_wait_alu 0xf1ff
	v_cndmask_b32_e64 v17, 0, 1, s4
	s_and_b32 s2, s2, s3
	s_wait_alu 0xfffe
	s_delay_alu instid0(VALU_DEP_1) | instskip(NEXT) | instid1(VALU_DEP_1)
	v_cndmask_b32_e64 v17, v17, v6, s2
	v_and_b32_e32 v17, 1, v17
	s_delay_alu instid0(VALU_DEP_1)
	v_cmp_eq_u32_e64 s2, 1, v17
	v_lshl_add_u32 v17, v6, 3, v8
	s_and_saveexec_b32 s3, s2
	s_wait_alu 0xfffe
	s_xor_b32 s2, exec_lo, s3
	s_cbranch_execz .LBB1_10
; %bb.9:
	ds_load_b128 v[20:23], v17
	v_lshlrev_b16 v18, 8, v18
	v_lshlrev_b16 v14, 8, v14
	s_delay_alu instid0(VALU_DEP_2) | instskip(NEXT) | instid1(VALU_DEP_2)
	v_or_b32_e32 v24, v19, v18
	v_or_b32_e32 v11, v11, v14
	s_wait_dscnt 0x0
	v_dual_mov_b32 v18, v22 :: v_dual_mov_b32 v19, v23
	ds_store_b16 v2, v24
	ds_store_b128 v17, v[18:21]
	ds_store_b16 v3, v11
.LBB1_10:
	s_wait_alu 0xfffe
	s_or_b32 exec_lo, exec_lo, s2
	v_sub_nc_u32_e32 v14, v16, v10
	s_wait_loadcnt_dscnt 0x0
	s_barrier_signal -1
	s_barrier_wait -1
	global_inv scope:SCOPE_SE
	v_add_nc_u32_e32 v10, v15, v14
	v_add_nc_u32_e32 v11, v13, v14
	v_bfe_u32 v23, v6, 1, 1
	v_lshl_add_u32 v14, v14, 3, v12
	ds_load_u8 v19, v10
	ds_load_u8 v20, v11
	ds_load_u8 v22, v11 offset:2
	ds_load_u8 v21, v10 offset:2
	s_wait_dscnt 0x3
	v_and_b32_e32 v18, 1, v19
	s_wait_dscnt 0x1
	v_cmp_gt_u16_e64 s2, v20, v22
	s_wait_dscnt 0x0
	v_cmp_ne_u16_e64 s4, v21, v23
	v_cmp_eq_u32_e64 s3, 1, v18
	s_wait_alu 0xf1ff
	s_delay_alu instid0(VALU_DEP_2) | instskip(SKIP_2) | instid1(VALU_DEP_1)
	v_cndmask_b32_e64 v18, 0, 1, s4
	s_and_b32 s2, s2, s3
	s_wait_alu 0xfffe
	v_cndmask_b32_e64 v23, v18, v23, s2
	v_and_b32_e32 v18, 2, v6
	s_delay_alu instid0(VALU_DEP_2) | instskip(NEXT) | instid1(VALU_DEP_2)
	v_and_b32_e32 v23, 1, v23
	v_cmp_ne_u32_e64 s2, 0, v18
	s_delay_alu instid0(VALU_DEP_2)
	v_cmp_eq_u32_e64 s3, 1, v23
	s_and_saveexec_b32 s4, s3
	s_wait_alu 0xfffe
	s_xor_b32 s3, exec_lo, s4
	s_cbranch_execz .LBB1_12
; %bb.11:
	ds_load_2addr_b64 v[23:26], v14 offset1:2
	s_wait_dscnt 0x0
	ds_store_2addr_b64 v14, v[25:26], v[23:24] offset1:2
	ds_store_b8 v11, v22
	ds_store_b8 v11, v20 offset:2
	ds_store_b8 v10, v21
	ds_store_b8 v10, v19 offset:2
.LBB1_12:
	s_wait_alu 0xfffe
	s_or_b32 exec_lo, exec_lo, s3
	s_wait_loadcnt_dscnt 0x0
	s_barrier_signal -1
	s_barrier_wait -1
	global_inv scope:SCOPE_SE
	ds_load_u16 v20, v2
	ds_load_u16 v19, v3
	v_lshrrev_b32_e32 v22, 1, v18
	v_cndmask_b32_e64 v25, 0, 1, s2
	s_wait_dscnt 0x1
	v_and_b32_e32 v23, 0xff, v20
	s_wait_dscnt 0x0
	v_lshrrev_b16 v18, 8, v19
	v_lshrrev_b16 v21, 8, v20
	v_and_b32_e32 v24, 1, v19
	s_delay_alu instid0(VALU_DEP_3) | instskip(NEXT) | instid1(VALU_DEP_3)
	v_cmp_ne_u16_e64 s4, v18, v22
	v_cmp_gt_u16_e64 s2, v23, v21
	s_delay_alu instid0(VALU_DEP_3) | instskip(SKIP_1) | instid1(VALU_DEP_3)
	v_cmp_eq_u32_e64 s3, 1, v24
	s_wait_alu 0xf1ff
	v_cndmask_b32_e64 v22, 0, 1, s4
	s_and_b32 s2, s2, s3
	s_mov_b32 s3, exec_lo
	s_wait_alu 0xfffe
	s_delay_alu instid0(VALU_DEP_1) | instskip(NEXT) | instid1(VALU_DEP_1)
	v_cndmask_b32_e64 v22, v22, v25, s2
	v_and_b32_e32 v22, 1, v22
	s_delay_alu instid0(VALU_DEP_1)
	v_cmpx_eq_u32_e32 1, v22
	s_cbranch_execz .LBB1_14
; %bb.13:
	ds_load_b128 v[22:25], v17
	v_lshlrev_b16 v20, 8, v20
	v_lshlrev_b16 v26, 8, v19
	s_delay_alu instid0(VALU_DEP_2) | instskip(NEXT) | instid1(VALU_DEP_2)
	v_or_b32_e32 v27, v21, v20
	v_or_b32_e32 v18, v18, v26
	s_wait_dscnt 0x0
	v_dual_mov_b32 v19, v24 :: v_dual_mov_b32 v20, v25
	v_dual_mov_b32 v21, v22 :: v_dual_mov_b32 v22, v23
	ds_store_b16 v2, v27
	ds_store_b128 v17, v[19:22]
	ds_store_b16 v3, v18
.LBB1_14:
	s_or_b32 exec_lo, exec_lo, s3
	v_and_b32_e32 v17, 3, v6
	s_wait_loadcnt_dscnt 0x0
	s_barrier_signal -1
	s_barrier_wait -1
	global_inv scope:SCOPE_SE
	v_sub_nc_u32_e32 v20, v16, v17
	v_bfe_u32 v25, v6, 2, 1
	s_delay_alu instid0(VALU_DEP_2)
	v_add_nc_u32_e32 v17, v15, v20
	v_add_nc_u32_e32 v18, v13, v20
	v_lshl_add_u32 v20, v20, 3, v12
	ds_load_u8 v21, v17
	ds_load_u8 v22, v18
	ds_load_u8 v24, v18 offset:4
	ds_load_u8 v23, v17 offset:4
	s_wait_dscnt 0x3
	v_and_b32_e32 v19, 1, v21
	s_wait_dscnt 0x1
	v_cmp_gt_u16_e64 s2, v22, v24
	s_wait_dscnt 0x0
	v_cmp_ne_u16_e64 s4, v23, v25
	v_cmp_eq_u32_e64 s3, 1, v19
	s_wait_alu 0xf1ff
	s_delay_alu instid0(VALU_DEP_2) | instskip(SKIP_3) | instid1(VALU_DEP_1)
	v_cndmask_b32_e64 v19, 0, 1, s4
	s_mov_b32 s4, exec_lo
	s_and_b32 s2, s2, s3
	s_wait_alu 0xfffe
	v_cndmask_b32_e64 v25, v19, v25, s2
	v_and_b32_e32 v19, 4, v6
	s_delay_alu instid0(VALU_DEP_2) | instskip(NEXT) | instid1(VALU_DEP_2)
	v_and_b32_e32 v25, 1, v25
	v_cmp_ne_u32_e64 s2, 0, v19
	s_delay_alu instid0(VALU_DEP_2)
	v_cmpx_eq_u32_e32 1, v25
	s_cbranch_execz .LBB1_16
; %bb.15:
	ds_load_2addr_b64 v[25:28], v20 offset1:4
	s_wait_dscnt 0x0
	ds_store_2addr_b64 v20, v[27:28], v[25:26] offset1:4
	ds_store_b8 v18, v24
	ds_store_b8 v18, v22 offset:4
	ds_store_b8 v17, v23
	ds_store_b8 v17, v21 offset:4
.LBB1_16:
	s_or_b32 exec_lo, exec_lo, s4
	s_wait_loadcnt_dscnt 0x0
	s_barrier_signal -1
	s_barrier_wait -1
	global_inv scope:SCOPE_SE
	ds_load_u8 v22, v10
	ds_load_u8 v23, v11
	ds_load_u8 v25, v11 offset:2
	ds_load_u8 v24, v10 offset:2
	v_lshrrev_b32_e32 v19, 2, v19
	v_cndmask_b32_e64 v21, 0, 1, s2
	s_wait_dscnt 0x3
	v_and_b32_e32 v26, 1, v22
	s_wait_dscnt 0x1
	v_cmp_gt_u16_e64 s2, v23, v25
	s_wait_dscnt 0x0
	v_cmp_ne_u16_e64 s4, v24, v19
	v_cmp_eq_u32_e64 s3, 1, v26
	s_wait_alu 0xf1ff
	s_delay_alu instid0(VALU_DEP_2) | instskip(SKIP_3) | instid1(VALU_DEP_1)
	v_cndmask_b32_e64 v26, 0, 1, s4
	s_and_b32 s2, s2, s3
	s_mov_b32 s3, exec_lo
	s_wait_alu 0xfffe
	v_cndmask_b32_e64 v26, v26, v21, s2
	s_delay_alu instid0(VALU_DEP_1) | instskip(NEXT) | instid1(VALU_DEP_1)
	v_and_b32_e32 v26, 1, v26
	v_cmpx_eq_u32_e32 1, v26
	s_cbranch_execz .LBB1_18
; %bb.17:
	ds_load_2addr_b64 v[26:29], v14 offset1:2
	s_wait_dscnt 0x0
	ds_store_2addr_b64 v14, v[28:29], v[26:27] offset1:2
	ds_store_b8 v11, v25
	ds_store_b8 v11, v23 offset:2
	ds_store_b8 v10, v24
	ds_store_b8 v10, v22 offset:2
.LBB1_18:
	s_or_b32 exec_lo, exec_lo, s3
	s_wait_loadcnt_dscnt 0x0
	s_barrier_signal -1
	s_barrier_wait -1
	global_inv scope:SCOPE_SE
	ds_load_u16 v25, v2
	ds_load_u16 v23, v3
	s_wait_dscnt 0x1
	v_and_b32_e32 v26, 0xff, v25
	s_wait_dscnt 0x0
	v_lshrrev_b16 v22, 8, v23
	v_lshrrev_b16 v24, 8, v25
	v_and_b32_e32 v27, 1, v23
	s_delay_alu instid0(VALU_DEP_3) | instskip(NEXT) | instid1(VALU_DEP_3)
	v_cmp_ne_u16_e64 s4, v22, v19
	v_cmp_gt_u16_e64 s2, v26, v24
	s_delay_alu instid0(VALU_DEP_3) | instskip(SKIP_1) | instid1(VALU_DEP_3)
	v_cmp_eq_u32_e64 s3, 1, v27
	s_wait_alu 0xf1ff
	v_cndmask_b32_e64 v19, 0, 1, s4
	s_and_b32 s2, s2, s3
	s_wait_alu 0xfffe
	s_delay_alu instid0(VALU_DEP_1) | instskip(NEXT) | instid1(VALU_DEP_1)
	v_cndmask_b32_e64 v19, v19, v21, s2
	v_and_b32_e32 v19, 1, v19
	s_delay_alu instid0(VALU_DEP_1)
	v_cmp_eq_u32_e64 s2, 1, v19
	v_lshl_add_u32 v19, v16, 3, v12
	s_and_saveexec_b32 s3, s2
	s_cbranch_execz .LBB1_20
; %bb.19:
	ds_load_b128 v[26:29], v19
	v_lshlrev_b16 v21, 8, v25
	v_lshlrev_b16 v30, 8, v23
	s_delay_alu instid0(VALU_DEP_2) | instskip(NEXT) | instid1(VALU_DEP_2)
	v_or_b32_e32 v21, v24, v21
	v_or_b32_e32 v22, v22, v30
	s_wait_dscnt 0x0
	v_dual_mov_b32 v23, v28 :: v_dual_mov_b32 v24, v29
	v_dual_mov_b32 v25, v26 :: v_dual_mov_b32 v26, v27
	ds_store_b16 v2, v21
	ds_store_b128 v19, v[23:26]
	ds_store_b16 v3, v22
.LBB1_20:
	s_wait_alu 0xfffe
	s_or_b32 exec_lo, exec_lo, s3
	v_and_b32_e32 v21, 7, v6
	s_wait_loadcnt_dscnt 0x0
	s_barrier_signal -1
	s_barrier_wait -1
	global_inv scope:SCOPE_SE
	v_sub_nc_u32_e32 v23, v16, v21
	v_bfe_u32 v29, v6, 3, 1
	s_delay_alu instid0(VALU_DEP_2)
	v_add_nc_u32_e32 v21, v15, v23
	v_add_nc_u32_e32 v22, v13, v23
	v_lshl_add_u32 v23, v23, 3, v12
	ds_load_u8 v25, v21
	ds_load_u8 v26, v22
	ds_load_u8 v28, v22 offset:8
	ds_load_u8 v27, v21 offset:8
	s_wait_dscnt 0x3
	v_and_b32_e32 v24, 1, v25
	s_wait_dscnt 0x1
	v_cmp_gt_u16_e64 s2, v26, v28
	s_wait_dscnt 0x0
	v_cmp_ne_u16_e64 s4, v27, v29
	v_cmp_eq_u32_e64 s3, 1, v24
	s_wait_alu 0xf1ff
	s_delay_alu instid0(VALU_DEP_2) | instskip(SKIP_3) | instid1(VALU_DEP_1)
	v_cndmask_b32_e64 v24, 0, 1, s4
	s_mov_b32 s4, exec_lo
	s_and_b32 s2, s2, s3
	s_wait_alu 0xfffe
	v_cndmask_b32_e64 v29, v24, v29, s2
	v_and_b32_e32 v24, 8, v6
	s_delay_alu instid0(VALU_DEP_2) | instskip(NEXT) | instid1(VALU_DEP_2)
	v_and_b32_e32 v29, 1, v29
	v_cmp_ne_u32_e64 s2, 0, v24
	s_delay_alu instid0(VALU_DEP_2)
	v_cmpx_eq_u32_e32 1, v29
	s_cbranch_execz .LBB1_22
; %bb.21:
	ds_load_2addr_b64 v[29:32], v23 offset1:8
	s_wait_dscnt 0x0
	ds_store_2addr_b64 v23, v[31:32], v[29:30] offset1:8
	ds_store_b8 v22, v28
	ds_store_b8 v22, v26 offset:8
	ds_store_b8 v21, v27
	ds_store_b8 v21, v25 offset:8
.LBB1_22:
	s_or_b32 exec_lo, exec_lo, s4
	s_wait_loadcnt_dscnt 0x0
	s_barrier_signal -1
	s_barrier_wait -1
	global_inv scope:SCOPE_SE
	ds_load_u8 v26, v17
	ds_load_u8 v27, v18
	ds_load_u8 v29, v18 offset:4
	ds_load_u8 v28, v17 offset:4
	v_lshrrev_b32_e32 v24, 3, v24
	v_cndmask_b32_e64 v25, 0, 1, s2
	s_wait_dscnt 0x3
	v_and_b32_e32 v30, 1, v26
	s_wait_dscnt 0x1
	v_cmp_gt_u16_e64 s2, v27, v29
	s_wait_dscnt 0x0
	v_cmp_ne_u16_e64 s4, v28, v24
	v_cmp_eq_u32_e64 s3, 1, v30
	s_wait_alu 0xf1ff
	s_delay_alu instid0(VALU_DEP_2) | instskip(SKIP_3) | instid1(VALU_DEP_1)
	v_cndmask_b32_e64 v30, 0, 1, s4
	s_and_b32 s2, s2, s3
	s_mov_b32 s3, exec_lo
	s_wait_alu 0xfffe
	v_cndmask_b32_e64 v30, v30, v25, s2
	s_delay_alu instid0(VALU_DEP_1) | instskip(NEXT) | instid1(VALU_DEP_1)
	v_and_b32_e32 v30, 1, v30
	v_cmpx_eq_u32_e32 1, v30
	s_cbranch_execz .LBB1_24
; %bb.23:
	ds_load_2addr_b64 v[30:33], v20 offset1:4
	s_wait_dscnt 0x0
	ds_store_2addr_b64 v20, v[32:33], v[30:31] offset1:4
	ds_store_b8 v18, v29
	ds_store_b8 v18, v27 offset:4
	ds_store_b8 v17, v28
	ds_store_b8 v17, v26 offset:4
.LBB1_24:
	s_or_b32 exec_lo, exec_lo, s3
	s_wait_loadcnt_dscnt 0x0
	s_barrier_signal -1
	s_barrier_wait -1
	global_inv scope:SCOPE_SE
	ds_load_u8 v26, v10
	ds_load_u8 v27, v11
	ds_load_u8 v29, v11 offset:2
	ds_load_u8 v28, v10 offset:2
	s_wait_dscnt 0x3
	v_and_b32_e32 v30, 1, v26
	s_wait_dscnt 0x1
	v_cmp_gt_u16_e64 s2, v27, v29
	s_wait_dscnt 0x0
	v_cmp_ne_u16_e64 s4, v28, v24
	v_cmp_eq_u32_e64 s3, 1, v30
	s_wait_alu 0xf1ff
	s_delay_alu instid0(VALU_DEP_2) | instskip(SKIP_3) | instid1(VALU_DEP_1)
	v_cndmask_b32_e64 v30, 0, 1, s4
	s_and_b32 s2, s2, s3
	s_mov_b32 s3, exec_lo
	s_wait_alu 0xfffe
	v_cndmask_b32_e64 v30, v30, v25, s2
	s_delay_alu instid0(VALU_DEP_1) | instskip(NEXT) | instid1(VALU_DEP_1)
	v_and_b32_e32 v30, 1, v30
	v_cmpx_eq_u32_e32 1, v30
	s_cbranch_execz .LBB1_26
; %bb.25:
	ds_load_2addr_b64 v[30:33], v14 offset1:2
	s_wait_dscnt 0x0
	ds_store_2addr_b64 v14, v[32:33], v[30:31] offset1:2
	ds_store_b8 v11, v29
	ds_store_b8 v11, v27 offset:2
	ds_store_b8 v10, v28
	ds_store_b8 v10, v26 offset:2
.LBB1_26:
	s_or_b32 exec_lo, exec_lo, s3
	s_wait_loadcnt_dscnt 0x0
	s_barrier_signal -1
	s_barrier_wait -1
	global_inv scope:SCOPE_SE
	ds_load_u16 v29, v2
	ds_load_u16 v27, v3
	s_wait_dscnt 0x1
	v_and_b32_e32 v30, 0xff, v29
	s_wait_dscnt 0x0
	v_lshrrev_b16 v26, 8, v27
	v_lshrrev_b16 v28, 8, v29
	v_and_b32_e32 v31, 1, v27
	s_delay_alu instid0(VALU_DEP_3) | instskip(NEXT) | instid1(VALU_DEP_3)
	v_cmp_ne_u16_e64 s4, v26, v24
	v_cmp_gt_u16_e64 s2, v30, v28
	s_delay_alu instid0(VALU_DEP_3) | instskip(SKIP_1) | instid1(VALU_DEP_3)
	v_cmp_eq_u32_e64 s3, 1, v31
	s_wait_alu 0xf1ff
	v_cndmask_b32_e64 v24, 0, 1, s4
	s_and_b32 s2, s2, s3
	s_mov_b32 s3, exec_lo
	s_wait_alu 0xfffe
	s_delay_alu instid0(VALU_DEP_1) | instskip(NEXT) | instid1(VALU_DEP_1)
	v_cndmask_b32_e64 v24, v24, v25, s2
	v_and_b32_e32 v24, 1, v24
	s_delay_alu instid0(VALU_DEP_1)
	v_cmpx_eq_u32_e32 1, v24
	s_cbranch_execz .LBB1_28
; %bb.27:
	ds_load_b128 v[30:33], v19
	v_lshlrev_b16 v24, 8, v29
	v_lshlrev_b16 v25, 8, v27
	s_delay_alu instid0(VALU_DEP_2) | instskip(NEXT) | instid1(VALU_DEP_2)
	v_or_b32_e32 v24, v28, v24
	v_or_b32_e32 v25, v26, v25
	s_wait_dscnt 0x0
	v_dual_mov_b32 v27, v32 :: v_dual_mov_b32 v28, v33
	v_dual_mov_b32 v29, v30 :: v_dual_mov_b32 v30, v31
	ds_store_b16 v2, v24
	ds_store_b128 v19, v[27:30]
	ds_store_b16 v3, v25
.LBB1_28:
	s_or_b32 exec_lo, exec_lo, s3
	v_and_b32_e32 v24, 15, v6
	s_wait_loadcnt_dscnt 0x0
	s_barrier_signal -1
	s_barrier_wait -1
	global_inv scope:SCOPE_SE
	v_sub_nc_u32_e32 v16, v16, v24
	s_delay_alu instid0(VALU_DEP_1)
	v_add_nc_u32_e32 v15, v15, v16
	v_add_nc_u32_e32 v13, v13, v16
	ds_load_u8 v24, v15
	ds_load_u8 v27, v15 offset:16
	ds_load_u8 v25, v13
	ds_load_u8 v26, v13 offset:16
	s_wait_dscnt 0x2
	v_and_b32_e32 v27, 0xff, v27
	v_and_b32_e32 v28, 1, v24
	s_wait_dscnt 0x0
	v_cmp_le_u16_e64 s3, v25, v26
	s_delay_alu instid0(VALU_DEP_3) | instskip(NEXT) | instid1(VALU_DEP_3)
	v_cmp_ne_u16_e64 s4, 0, v27
	v_cmp_eq_u32_e64 s2, 1, v28
	s_xor_b32 s2, s2, -1
	s_wait_alu 0xfffe
	s_or_b32 s2, s3, s2
	s_wait_alu 0xfffe
	s_and_b32 s3, s2, s4
	s_wait_alu 0xfffe
	s_and_saveexec_b32 s2, s3
	s_cbranch_execz .LBB1_30
; %bb.29:
	v_lshl_add_u32 v12, v16, 3, v12
	v_mov_b32_e32 v16, 1
	ds_load_2addr_b64 v[27:30], v12 offset1:16
	s_wait_dscnt 0x0
	ds_store_2addr_b64 v12, v[29:30], v[27:28] offset1:16
	ds_store_b8 v13, v26
	ds_store_b8 v13, v25 offset:16
	ds_store_b8 v15, v16
	ds_store_b8 v15, v24 offset:16
.LBB1_30:
	s_wait_alu 0xfffe
	s_or_b32 exec_lo, exec_lo, s2
	s_wait_loadcnt_dscnt 0x0
	s_barrier_signal -1
	s_barrier_wait -1
	global_inv scope:SCOPE_SE
	ds_load_u8 v12, v21
	ds_load_u8 v16, v21 offset:8
	ds_load_u8 v13, v22
	ds_load_u8 v15, v22 offset:8
	s_wait_dscnt 0x3
	v_and_b32_e32 v24, 1, v12
	s_wait_dscnt 0x2
	v_and_b32_e32 v16, 0xff, v16
	s_wait_dscnt 0x0
	v_cmp_le_u16_e64 s3, v13, v15
	v_cmp_eq_u32_e64 s2, 1, v24
	s_delay_alu instid0(VALU_DEP_3)
	v_cmp_ne_u16_e64 s4, 0, v16
	s_xor_b32 s2, s2, -1
	s_wait_alu 0xfffe
	s_or_b32 s2, s3, s2
	s_wait_alu 0xfffe
	s_and_b32 s3, s2, s4
	s_wait_alu 0xfffe
	s_and_saveexec_b32 s2, s3
	s_cbranch_execz .LBB1_32
; %bb.31:
	ds_load_2addr_b64 v[24:27], v23 offset1:8
	v_mov_b32_e32 v16, 1
	s_wait_dscnt 0x0
	ds_store_2addr_b64 v23, v[26:27], v[24:25] offset1:8
	ds_store_b8 v22, v15
	ds_store_b8 v22, v13 offset:8
	ds_store_b8 v21, v16
	ds_store_b8 v21, v12 offset:8
.LBB1_32:
	s_wait_alu 0xfffe
	s_or_b32 exec_lo, exec_lo, s2
	s_wait_loadcnt_dscnt 0x0
	s_barrier_signal -1
	s_barrier_wait -1
	global_inv scope:SCOPE_SE
	ds_load_u8 v12, v17
	ds_load_u8 v16, v17 offset:4
	ds_load_u8 v13, v18
	ds_load_u8 v15, v18 offset:4
	s_wait_dscnt 0x3
	v_and_b32_e32 v21, 1, v12
	s_wait_dscnt 0x2
	v_and_b32_e32 v16, 0xff, v16
	s_wait_dscnt 0x0
	v_cmp_le_u16_e64 s3, v13, v15
	v_cmp_eq_u32_e64 s2, 1, v21
	s_delay_alu instid0(VALU_DEP_3)
	v_cmp_ne_u16_e64 s4, 0, v16
	s_xor_b32 s2, s2, -1
	s_wait_alu 0xfffe
	s_or_b32 s2, s3, s2
	s_wait_alu 0xfffe
	s_and_b32 s3, s2, s4
	s_wait_alu 0xfffe
	s_and_saveexec_b32 s2, s3
	s_cbranch_execz .LBB1_34
; %bb.33:
	ds_load_2addr_b64 v[21:24], v20 offset1:4
	v_mov_b32_e32 v16, 1
	s_wait_dscnt 0x0
	ds_store_2addr_b64 v20, v[23:24], v[21:22] offset1:4
	ds_store_b8 v18, v15
	ds_store_b8 v18, v13 offset:4
	ds_store_b8 v17, v16
	ds_store_b8 v17, v12 offset:4
.LBB1_34:
	;; [unrolled: 37-line block ×3, first 2 shown]
	s_wait_alu 0xfffe
	s_or_b32 exec_lo, exec_lo, s2
	s_wait_loadcnt_dscnt 0x0
	s_barrier_signal -1
	s_barrier_wait -1
	global_inv scope:SCOPE_SE
	ds_load_u16 v10, v3
	ds_load_u16 v12, v2
	s_wait_dscnt 0x1
	v_and_b32_e32 v13, 1, v10
	s_wait_dscnt 0x0
	v_and_b32_e32 v14, 0xff, v12
	v_lshrrev_b16 v11, 8, v12
	v_lshrrev_b16 v15, 8, v10
	v_cmp_eq_u32_e64 s2, 1, v13
	s_delay_alu instid0(VALU_DEP_3) | instskip(NEXT) | instid1(VALU_DEP_3)
	v_cmp_le_u16_e64 s3, v14, v11
	v_cmp_ne_u16_e64 s4, 0, v15
	s_xor_b32 s2, s2, -1
	s_wait_alu 0xfffe
	s_or_b32 s2, s3, s2
	s_wait_alu 0xfffe
	s_and_b32 s3, s2, s4
	s_wait_alu 0xfffe
	s_and_saveexec_b32 s2, s3
	s_cbranch_execz .LBB1_38
; %bb.37:
	ds_load_b128 v[13:16], v19
	v_lshlrev_b16 v12, 8, v12
	v_lshlrev_b16 v17, 8, v10
	s_delay_alu instid0(VALU_DEP_2)
	v_or_b32_e32 v18, v11, v12
	s_wait_dscnt 0x0
	v_dual_mov_b32 v10, v15 :: v_dual_mov_b32 v11, v16
	v_dual_mov_b32 v12, v13 :: v_dual_mov_b32 v13, v14
	v_or_b32_e32 v14, 1, v17
	ds_store_b16 v2, v18
	ds_store_b128 v19, v[10:13]
	ds_store_b16 v3, v14
.LBB1_38:
	s_wait_alu 0xfffe
	s_or_b32 exec_lo, exec_lo, s2
	s_wait_loadcnt_dscnt 0x0
	s_barrier_signal -1
	s_barrier_wait -1
	global_inv scope:SCOPE_SE
	s_and_saveexec_b32 s2, s0
	s_cbranch_execz .LBB1_43
; %bb.39:
	s_and_saveexec_b32 s0, vcc_lo
	s_cbranch_execz .LBB1_41
; %bb.40:
	v_mad_co_u64_u32 v[2:3], null, v6, s7, v[1:2]
	ds_load_u8 v12, v9
	ds_load_b64 v[8:9], v8
	v_mov_b32_e32 v3, 0
	v_mad_co_u64_u32 v[10:11], null, v6, s6, v[0:1]
	s_delay_alu instid0(VALU_DEP_2) | instskip(NEXT) | instid1(VALU_DEP_1)
	v_lshlrev_b64_e32 v[2:3], 3, v[2:3]
	v_add_co_u32 v2, vcc_lo, s10, v2
	s_wait_alu 0xfffd
	s_delay_alu instid0(VALU_DEP_2)
	v_add_co_ci_u32_e64 v3, null, s11, v3, vcc_lo
	s_wait_dscnt 0x1
	global_store_b8 v10, v12, s[8:9]
	s_wait_dscnt 0x0
	global_store_b64 v[2:3], v[8:9], off
.LBB1_41:
	s_wait_alu 0xfffe
	s_or_b32 exec_lo, exec_lo, s0
	s_delay_alu instid0(SALU_CYCLE_1)
	s_and_b32 exec_lo, exec_lo, s1
	s_cbranch_execz .LBB1_43
; %bb.42:
	v_mad_co_u64_u32 v[1:2], null, v7, s7, v[1:2]
	ds_load_u8 v8, v4
	ds_load_b64 v[3:4], v5
	v_mov_b32_e32 v2, 0
	s_delay_alu instid0(VALU_DEP_1) | instskip(NEXT) | instid1(VALU_DEP_1)
	v_lshlrev_b64_e32 v[1:2], 3, v[1:2]
	v_mad_co_u64_u32 v[5:6], null, v7, s6, v[0:1]
	v_add_co_u32 v0, vcc_lo, s10, v1
	s_wait_alu 0xfffd
	s_delay_alu instid0(VALU_DEP_3)
	v_add_co_ci_u32_e64 v1, null, s11, v2, vcc_lo
	s_wait_dscnt 0x1
	global_store_b8 v5, v8, s[8:9]
	s_wait_dscnt 0x0
	global_store_b64 v[0:1], v[3:4], off
.LBB1_43:
	s_endpgm
	.section	.rodata,"a",@progbits
	.p2align	6, 0x0
	.amdhsa_kernel _ZN2at6native20bitonicSortKVInPlaceILin2ELin1ELi16ELi16EhlNS0_4GTOpIhLb1EEEjEEvNS_4cuda6detail10TensorInfoIT3_T6_EES8_S8_S8_NS6_IT4_S8_EES8_T5_
		.amdhsa_group_segment_fixed_size 5120
		.amdhsa_private_segment_fixed_size 0
		.amdhsa_kernarg_size 712
		.amdhsa_user_sgpr_count 2
		.amdhsa_user_sgpr_dispatch_ptr 0
		.amdhsa_user_sgpr_queue_ptr 0
		.amdhsa_user_sgpr_kernarg_segment_ptr 1
		.amdhsa_user_sgpr_dispatch_id 0
		.amdhsa_user_sgpr_private_segment_size 0
		.amdhsa_wavefront_size32 1
		.amdhsa_uses_dynamic_stack 0
		.amdhsa_enable_private_segment 0
		.amdhsa_system_sgpr_workgroup_id_x 1
		.amdhsa_system_sgpr_workgroup_id_y 1
		.amdhsa_system_sgpr_workgroup_id_z 1
		.amdhsa_system_sgpr_workgroup_info 0
		.amdhsa_system_vgpr_workitem_id 1
		.amdhsa_next_free_vgpr 34
		.amdhsa_next_free_sgpr 16
		.amdhsa_reserve_vcc 1
		.amdhsa_float_round_mode_32 0
		.amdhsa_float_round_mode_16_64 0
		.amdhsa_float_denorm_mode_32 3
		.amdhsa_float_denorm_mode_16_64 3
		.amdhsa_fp16_overflow 0
		.amdhsa_workgroup_processor_mode 1
		.amdhsa_memory_ordered 1
		.amdhsa_forward_progress 1
		.amdhsa_inst_pref_size 37
		.amdhsa_round_robin_scheduling 0
		.amdhsa_exception_fp_ieee_invalid_op 0
		.amdhsa_exception_fp_denorm_src 0
		.amdhsa_exception_fp_ieee_div_zero 0
		.amdhsa_exception_fp_ieee_overflow 0
		.amdhsa_exception_fp_ieee_underflow 0
		.amdhsa_exception_fp_ieee_inexact 0
		.amdhsa_exception_int_div_zero 0
	.end_amdhsa_kernel
	.section	.text._ZN2at6native20bitonicSortKVInPlaceILin2ELin1ELi16ELi16EhlNS0_4GTOpIhLb1EEEjEEvNS_4cuda6detail10TensorInfoIT3_T6_EES8_S8_S8_NS6_IT4_S8_EES8_T5_,"axG",@progbits,_ZN2at6native20bitonicSortKVInPlaceILin2ELin1ELi16ELi16EhlNS0_4GTOpIhLb1EEEjEEvNS_4cuda6detail10TensorInfoIT3_T6_EES8_S8_S8_NS6_IT4_S8_EES8_T5_,comdat
.Lfunc_end1:
	.size	_ZN2at6native20bitonicSortKVInPlaceILin2ELin1ELi16ELi16EhlNS0_4GTOpIhLb1EEEjEEvNS_4cuda6detail10TensorInfoIT3_T6_EES8_S8_S8_NS6_IT4_S8_EES8_T5_, .Lfunc_end1-_ZN2at6native20bitonicSortKVInPlaceILin2ELin1ELi16ELi16EhlNS0_4GTOpIhLb1EEEjEEvNS_4cuda6detail10TensorInfoIT3_T6_EES8_S8_S8_NS6_IT4_S8_EES8_T5_
                                        ; -- End function
	.set _ZN2at6native20bitonicSortKVInPlaceILin2ELin1ELi16ELi16EhlNS0_4GTOpIhLb1EEEjEEvNS_4cuda6detail10TensorInfoIT3_T6_EES8_S8_S8_NS6_IT4_S8_EES8_T5_.num_vgpr, 34
	.set _ZN2at6native20bitonicSortKVInPlaceILin2ELin1ELi16ELi16EhlNS0_4GTOpIhLb1EEEjEEvNS_4cuda6detail10TensorInfoIT3_T6_EES8_S8_S8_NS6_IT4_S8_EES8_T5_.num_agpr, 0
	.set _ZN2at6native20bitonicSortKVInPlaceILin2ELin1ELi16ELi16EhlNS0_4GTOpIhLb1EEEjEEvNS_4cuda6detail10TensorInfoIT3_T6_EES8_S8_S8_NS6_IT4_S8_EES8_T5_.numbered_sgpr, 16
	.set _ZN2at6native20bitonicSortKVInPlaceILin2ELin1ELi16ELi16EhlNS0_4GTOpIhLb1EEEjEEvNS_4cuda6detail10TensorInfoIT3_T6_EES8_S8_S8_NS6_IT4_S8_EES8_T5_.num_named_barrier, 0
	.set _ZN2at6native20bitonicSortKVInPlaceILin2ELin1ELi16ELi16EhlNS0_4GTOpIhLb1EEEjEEvNS_4cuda6detail10TensorInfoIT3_T6_EES8_S8_S8_NS6_IT4_S8_EES8_T5_.private_seg_size, 0
	.set _ZN2at6native20bitonicSortKVInPlaceILin2ELin1ELi16ELi16EhlNS0_4GTOpIhLb1EEEjEEvNS_4cuda6detail10TensorInfoIT3_T6_EES8_S8_S8_NS6_IT4_S8_EES8_T5_.uses_vcc, 1
	.set _ZN2at6native20bitonicSortKVInPlaceILin2ELin1ELi16ELi16EhlNS0_4GTOpIhLb1EEEjEEvNS_4cuda6detail10TensorInfoIT3_T6_EES8_S8_S8_NS6_IT4_S8_EES8_T5_.uses_flat_scratch, 0
	.set _ZN2at6native20bitonicSortKVInPlaceILin2ELin1ELi16ELi16EhlNS0_4GTOpIhLb1EEEjEEvNS_4cuda6detail10TensorInfoIT3_T6_EES8_S8_S8_NS6_IT4_S8_EES8_T5_.has_dyn_sized_stack, 0
	.set _ZN2at6native20bitonicSortKVInPlaceILin2ELin1ELi16ELi16EhlNS0_4GTOpIhLb1EEEjEEvNS_4cuda6detail10TensorInfoIT3_T6_EES8_S8_S8_NS6_IT4_S8_EES8_T5_.has_recursion, 0
	.set _ZN2at6native20bitonicSortKVInPlaceILin2ELin1ELi16ELi16EhlNS0_4GTOpIhLb1EEEjEEvNS_4cuda6detail10TensorInfoIT3_T6_EES8_S8_S8_NS6_IT4_S8_EES8_T5_.has_indirect_call, 0
	.section	.AMDGPU.csdata,"",@progbits
; Kernel info:
; codeLenInByte = 4656
; TotalNumSgprs: 18
; NumVgprs: 34
; ScratchSize: 0
; MemoryBound: 0
; FloatMode: 240
; IeeeMode: 1
; LDSByteSize: 5120 bytes/workgroup (compile time only)
; SGPRBlocks: 0
; VGPRBlocks: 4
; NumSGPRsForWavesPerEU: 18
; NumVGPRsForWavesPerEU: 34
; Occupancy: 16
; WaveLimiterHint : 1
; COMPUTE_PGM_RSRC2:SCRATCH_EN: 0
; COMPUTE_PGM_RSRC2:USER_SGPR: 2
; COMPUTE_PGM_RSRC2:TRAP_HANDLER: 0
; COMPUTE_PGM_RSRC2:TGID_X_EN: 1
; COMPUTE_PGM_RSRC2:TGID_Y_EN: 1
; COMPUTE_PGM_RSRC2:TGID_Z_EN: 1
; COMPUTE_PGM_RSRC2:TIDIG_COMP_CNT: 1
	.section	.text._ZN2at6native20bitonicSortKVInPlaceILi2ELin1ELi16ELi16EhlNS0_4LTOpIhLb1EEEjEEvNS_4cuda6detail10TensorInfoIT3_T6_EES8_S8_S8_NS6_IT4_S8_EES8_T5_,"axG",@progbits,_ZN2at6native20bitonicSortKVInPlaceILi2ELin1ELi16ELi16EhlNS0_4LTOpIhLb1EEEjEEvNS_4cuda6detail10TensorInfoIT3_T6_EES8_S8_S8_NS6_IT4_S8_EES8_T5_,comdat
	.protected	_ZN2at6native20bitonicSortKVInPlaceILi2ELin1ELi16ELi16EhlNS0_4LTOpIhLb1EEEjEEvNS_4cuda6detail10TensorInfoIT3_T6_EES8_S8_S8_NS6_IT4_S8_EES8_T5_ ; -- Begin function _ZN2at6native20bitonicSortKVInPlaceILi2ELin1ELi16ELi16EhlNS0_4LTOpIhLb1EEEjEEvNS_4cuda6detail10TensorInfoIT3_T6_EES8_S8_S8_NS6_IT4_S8_EES8_T5_
	.globl	_ZN2at6native20bitonicSortKVInPlaceILi2ELin1ELi16ELi16EhlNS0_4LTOpIhLb1EEEjEEvNS_4cuda6detail10TensorInfoIT3_T6_EES8_S8_S8_NS6_IT4_S8_EES8_T5_
	.p2align	8
	.type	_ZN2at6native20bitonicSortKVInPlaceILi2ELin1ELi16ELi16EhlNS0_4LTOpIhLb1EEEjEEvNS_4cuda6detail10TensorInfoIT3_T6_EES8_S8_S8_NS6_IT4_S8_EES8_T5_,@function
_ZN2at6native20bitonicSortKVInPlaceILi2ELin1ELi16ELi16EhlNS0_4LTOpIhLb1EEEjEEvNS_4cuda6detail10TensorInfoIT3_T6_EES8_S8_S8_NS6_IT4_S8_EES8_T5_: ; @_ZN2at6native20bitonicSortKVInPlaceILi2ELin1ELi16ELi16EhlNS0_4LTOpIhLb1EEEjEEvNS_4cuda6detail10TensorInfoIT3_T6_EES8_S8_S8_NS6_IT4_S8_EES8_T5_
; %bb.0:
	s_clause 0x2
	s_load_b64 s[2:3], s[0:1], 0x1c8
	s_load_u16 s7, s[0:1], 0x1d6
	s_load_b96 s[4:6], s[0:1], 0xd8
	s_lshr_b32 s8, ttmp7, 16
	s_wait_kmcnt 0x0
	s_mul_i32 s3, s3, s8
	s_and_b32 s8, ttmp7, 0xffff
	s_delay_alu instid0(SALU_CYCLE_1) | instskip(NEXT) | instid1(SALU_CYCLE_1)
	s_add_co_i32 s3, s3, s8
	s_mul_i32 s2, s3, s2
	s_delay_alu instid0(SALU_CYCLE_1) | instskip(NEXT) | instid1(SALU_CYCLE_1)
	s_add_co_i32 s10, s2, ttmp9
	s_mul_i32 s10, s10, s7
	s_delay_alu instid0(SALU_CYCLE_1)
	s_cmp_ge_u32 s10, s4
	s_cbranch_scc1 .LBB2_44
; %bb.1:
	s_clause 0x2
	s_load_b32 s7, s[0:1], 0xc
	s_load_b64 s[2:3], s[0:1], 0x6c
	s_load_b32 s14, s[0:1], 0x1b8
	v_bfe_u32 v8, v0, 10, 10
	s_mov_b32 s13, 0
	s_delay_alu instid0(VALU_DEP_1) | instskip(SKIP_3) | instid1(SALU_CYCLE_2)
	v_add_nc_u32_e32 v4, s10, v8
	s_wait_kmcnt 0x0
	s_cvt_f32_u32 s8, s7
	s_sub_co_i32 s12, 0, s7
	v_rcp_iflag_f32_e32 v1, s8
	s_delay_alu instid0(TRANS32_DEP_1) | instskip(SKIP_3) | instid1(SALU_CYCLE_2)
	v_readfirstlane_b32 s8, v1
	v_mov_b32_e32 v1, 0
	s_mul_f32 s11, s8, 0x4f7ffffe
	s_load_b64 s[8:9], s[0:1], 0x0
	s_cvt_u32_f32 s11, s11
	s_wait_alu 0xfffe
	s_delay_alu instid0(SALU_CYCLE_2) | instskip(NEXT) | instid1(SALU_CYCLE_1)
	s_mul_i32 s12, s12, s11
	s_mul_hi_u32 s10, s11, s12
	s_wait_alu 0xfffe
	s_add_co_i32 s11, s11, s10
	s_cmp_lt_i32 s14, 2
	s_wait_alu 0xfffe
	v_mad_co_u64_u32 v[2:3], null, v4, s11, 0
	s_add_nc_u64 s[10:11], s[0:1], 0xe8
	s_cbranch_scc1 .LBB2_4
; %bb.2:
	s_add_co_i32 s12, s14, -1
	v_mov_b32_e32 v1, 0
	s_lshl_b64 s[12:13], s[12:13], 2
	v_mov_b32_e32 v5, v4
	s_wait_alu 0xfffe
	s_add_nc_u64 s[12:13], s[10:11], s[12:13]
	s_add_co_i32 s14, s14, 1
	s_add_nc_u64 s[12:13], s[12:13], 8
.LBB2_3:                                ; =>This Inner Loop Header: Depth=1
	s_clause 0x1
	s_load_b32 s15, s[12:13], 0x0
	s_load_b32 s16, s[12:13], 0x64
	s_add_co_i32 s14, s14, -1
	s_add_nc_u64 s[12:13], s[12:13], -4
	s_wait_kmcnt 0x0
	s_cvt_f32_u32 s17, s15
	s_sub_co_i32 s18, 0, s15
	s_wait_alu 0xfffe
	s_delay_alu instid0(SALU_CYCLE_1) | instskip(NEXT) | instid1(TRANS32_DEP_1)
	v_rcp_iflag_f32_e32 v2, s17
	v_readfirstlane_b32 s17, v2
	v_mov_b32_e32 v2, v5
	s_mul_f32 s17, s17, 0x4f7ffffe
	s_wait_alu 0xfffe
	s_delay_alu instid0(SALU_CYCLE_2) | instskip(SKIP_1) | instid1(SALU_CYCLE_2)
	s_cvt_u32_f32 s17, s17
	s_wait_alu 0xfffe
	s_mul_i32 s18, s18, s17
	s_delay_alu instid0(SALU_CYCLE_1) | instskip(NEXT) | instid1(SALU_CYCLE_1)
	s_mul_hi_u32 s18, s17, s18
	s_add_co_i32 s17, s17, s18
	s_cmp_gt_u32 s14, 2
	s_wait_alu 0xfffe
	v_mul_hi_u32 v5, v2, s17
	s_delay_alu instid0(VALU_DEP_1) | instskip(SKIP_1) | instid1(VALU_DEP_2)
	v_mul_lo_u32 v6, v5, s15
	v_add_nc_u32_e32 v7, 1, v5
	v_sub_nc_u32_e32 v6, v2, v6
	s_delay_alu instid0(VALU_DEP_1) | instskip(SKIP_2) | instid1(VALU_DEP_2)
	v_subrev_nc_u32_e32 v9, s15, v6
	v_cmp_le_u32_e32 vcc_lo, s15, v6
	s_wait_alu 0xfffd
	v_dual_cndmask_b32 v5, v5, v7 :: v_dual_cndmask_b32 v6, v6, v9
	s_delay_alu instid0(VALU_DEP_1) | instskip(NEXT) | instid1(VALU_DEP_2)
	v_add_nc_u32_e32 v7, 1, v5
	v_cmp_le_u32_e32 vcc_lo, s15, v6
	s_wait_alu 0xfffd
	s_delay_alu instid0(VALU_DEP_2) | instskip(NEXT) | instid1(VALU_DEP_1)
	v_cndmask_b32_e32 v5, v5, v7, vcc_lo
	v_mul_lo_u32 v6, v5, s15
	s_delay_alu instid0(VALU_DEP_1) | instskip(NEXT) | instid1(VALU_DEP_1)
	v_sub_nc_u32_e32 v2, v2, v6
	v_mad_co_u64_u32 v[1:2], null, s16, v2, v[1:2]
	s_cbranch_scc1 .LBB2_3
	s_branch .LBB2_5
.LBB2_4:
	v_mov_b32_e32 v5, v4
.LBB2_5:
	v_mul_lo_u32 v2, v3, s7
	v_add_nc_u32_e32 v6, 1, v3
	s_load_b32 s14, s[10:11], 0x6c
	s_add_nc_u64 s[12:13], s[0:1], 0x1c8
	v_mov_b32_e32 v10, 0
	s_load_b32 s12, s[12:13], 0xc
	v_mov_b32_e32 v11, 0
	s_delay_alu instid0(VALU_DEP_4) | instskip(NEXT) | instid1(VALU_DEP_1)
	v_sub_nc_u32_e32 v2, v4, v2
	v_subrev_nc_u32_e32 v7, s7, v2
	v_cmp_le_u32_e32 vcc_lo, s7, v2
	s_wait_alu 0xfffd
	s_delay_alu instid0(VALU_DEP_2) | instskip(SKIP_1) | instid1(VALU_DEP_2)
	v_dual_cndmask_b32 v3, v3, v6 :: v_dual_cndmask_b32 v2, v2, v7
	v_and_b32_e32 v7, 0x3ff, v0
	v_add_nc_u32_e32 v6, 1, v3
	s_delay_alu instid0(VALU_DEP_3) | instskip(SKIP_1) | instid1(VALU_DEP_2)
	v_cmp_le_u32_e32 vcc_lo, s7, v2
	s_wait_alu 0xfffd
	v_cndmask_b32_e32 v6, v3, v6, vcc_lo
	v_cmp_gt_u32_e32 vcc_lo, s5, v7
	s_delay_alu instid0(VALU_DEP_2) | instskip(SKIP_4) | instid1(VALU_DEP_2)
	v_mul_lo_u32 v2, v6, s7
	s_clause 0x1
	s_load_b32 s7, s[0:1], 0x1c0
	s_load_b64 s[10:11], s[10:11], 0x0
	v_cmp_gt_u32_e64 s0, s4, v4
	v_sub_nc_u32_e32 v2, v4, v2
	s_delay_alu instid0(VALU_DEP_1) | instskip(SKIP_4) | instid1(VALU_DEP_4)
	v_mul_lo_u32 v0, v2, s3
	s_wait_kmcnt 0x0
	v_mad_co_u64_u32 v[2:3], null, s14, v5, v[1:2]
	v_mov_b32_e32 v3, 0
	v_mov_b32_e32 v4, 0
	v_mad_co_u64_u32 v[0:1], null, v6, s2, v[0:1]
	v_mov_b32_e32 v5, 0
	v_mov_b32_e32 v6, 0
	s_and_b32 s2, s0, vcc_lo
	s_wait_alu 0xfffe
	s_and_saveexec_b32 s3, s2
	s_cbranch_execz .LBB2_7
; %bb.6:
	v_mad_co_u64_u32 v[5:6], null, v7, s7, v[2:3]
	v_mov_b32_e32 v6, 0
	v_mad_co_u64_u32 v[11:12], null, v7, s6, v[0:1]
	s_delay_alu instid0(VALU_DEP_2) | instskip(NEXT) | instid1(VALU_DEP_1)
	v_lshlrev_b64_e32 v[5:6], 3, v[5:6]
	v_add_co_u32 v5, s1, s10, v5
	s_delay_alu instid0(VALU_DEP_1)
	v_add_co_ci_u32_e64 v6, null, s11, v6, s1
	global_load_u8 v11, v11, s[8:9]
	global_load_b64 v[5:6], v[5:6], off
.LBB2_7:
	s_wait_alu 0xfffe
	s_or_b32 exec_lo, exec_lo, s3
	v_lshlrev_b32_e32 v9, 5, v8
	s_and_b32 s3, 0xffff, s12
	v_lshlrev_b32_e32 v12, 8, v8
	s_wait_alu 0xfffe
	v_add_nc_u32_e32 v1, s3, v7
	v_cndmask_b32_e64 v14, 0, 1, s2
	v_add_nc_u32_e32 v13, 0x1000, v9
	v_add_nc_u32_e32 v15, 0x1200, v9
	v_lshl_add_u32 v8, v7, 3, v12
	v_cmp_gt_u32_e64 s1, s5, v1
	s_delay_alu instid0(VALU_DEP_4) | instskip(NEXT) | instid1(VALU_DEP_4)
	v_add_nc_u32_e32 v9, v13, v7
	v_add_nc_u32_e32 v16, v15, v7
	s_wait_loadcnt 0x1
	ds_store_b8 v9, v11
	s_wait_loadcnt 0x0
	ds_store_b64 v8, v[5:6]
	ds_store_b8 v16, v14
	s_and_b32 s4, s0, s1
	s_wait_alu 0xfffe
	s_and_saveexec_b32 s5, s4
	s_cbranch_execz .LBB2_9
; %bb.8:
	v_mad_co_u64_u32 v[3:4], null, v1, s7, v[2:3]
	v_mov_b32_e32 v4, 0
	v_mad_co_u64_u32 v[5:6], null, v1, s6, v[0:1]
	s_delay_alu instid0(VALU_DEP_2) | instskip(NEXT) | instid1(VALU_DEP_1)
	v_lshlrev_b64_e32 v[3:4], 3, v[3:4]
	v_add_co_u32 v3, s2, s10, v3
	s_wait_alu 0xf1ff
	s_delay_alu instid0(VALU_DEP_2)
	v_add_co_ci_u32_e64 v4, null, s11, v4, s2
	global_load_u8 v10, v5, s[8:9]
	global_load_b64 v[3:4], v[3:4], off
.LBB2_9:
	s_wait_alu 0xfffe
	s_or_b32 exec_lo, exec_lo, s5
	v_add_nc_u32_e32 v5, v13, v1
	v_lshlrev_b32_e32 v16, 1, v7
	v_lshl_add_u32 v6, s3, 3, v8
	v_cndmask_b32_e64 v11, 0, 1, s4
	v_add_nc_u32_e32 v14, v15, v1
	s_wait_loadcnt 0x1
	ds_store_b8 v5, v10
	s_wait_loadcnt 0x0
	ds_store_b64 v6, v[3:4]
	ds_store_b8 v14, v11
	v_add_nc_u32_e32 v3, v13, v16
	v_add_nc_u32_e32 v4, v15, v16
	s_wait_dscnt 0x0
	s_barrier_signal -1
	s_barrier_wait -1
	global_inv scope:SCOPE_SE
	ds_load_u16 v18, v3
	ds_load_u16 v14, v4
	v_and_b32_e32 v10, 1, v7
	s_wait_dscnt 0x1
	v_and_b32_e32 v17, 0xff, v18
	s_wait_dscnt 0x0
	v_lshrrev_b16 v11, 8, v14
	v_lshrrev_b16 v19, 8, v18
	v_and_b32_e32 v20, 1, v14
	s_delay_alu instid0(VALU_DEP_3) | instskip(NEXT) | instid1(VALU_DEP_3)
	v_cmp_ne_u16_e64 s4, v11, v10
	v_cmp_lt_u16_e64 s2, v17, v19
	s_delay_alu instid0(VALU_DEP_3) | instskip(SKIP_1) | instid1(VALU_DEP_3)
	v_cmp_eq_u32_e64 s3, 1, v20
	s_wait_alu 0xf1ff
	v_cndmask_b32_e64 v17, 0, 1, s4
	s_and_b32 s2, s2, s3
	s_wait_alu 0xfffe
	s_delay_alu instid0(VALU_DEP_1) | instskip(NEXT) | instid1(VALU_DEP_1)
	v_cndmask_b32_e64 v17, v17, v7, s2
	v_and_b32_e32 v17, 1, v17
	s_delay_alu instid0(VALU_DEP_1)
	v_cmp_eq_u32_e64 s2, 1, v17
	v_lshl_add_u32 v17, v7, 3, v8
	s_and_saveexec_b32 s3, s2
	s_wait_alu 0xfffe
	s_xor_b32 s2, exec_lo, s3
	s_cbranch_execz .LBB2_11
; %bb.10:
	ds_load_b128 v[20:23], v17
	v_lshlrev_b16 v18, 8, v18
	v_lshlrev_b16 v14, 8, v14
	s_delay_alu instid0(VALU_DEP_2) | instskip(NEXT) | instid1(VALU_DEP_2)
	v_or_b32_e32 v24, v19, v18
	v_or_b32_e32 v11, v11, v14
	s_wait_dscnt 0x0
	v_dual_mov_b32 v18, v22 :: v_dual_mov_b32 v19, v23
	ds_store_b16 v3, v24
	ds_store_b128 v17, v[18:21]
	ds_store_b16 v4, v11
.LBB2_11:
	s_wait_alu 0xfffe
	s_or_b32 exec_lo, exec_lo, s2
	v_sub_nc_u32_e32 v14, v16, v10
	s_wait_loadcnt_dscnt 0x0
	s_barrier_signal -1
	s_barrier_wait -1
	global_inv scope:SCOPE_SE
	v_add_nc_u32_e32 v10, v15, v14
	v_add_nc_u32_e32 v11, v13, v14
	v_bfe_u32 v23, v7, 1, 1
	v_lshl_add_u32 v14, v14, 3, v12
	ds_load_u8 v19, v10
	ds_load_u8 v20, v11
	ds_load_u8 v22, v11 offset:2
	ds_load_u8 v21, v10 offset:2
	s_wait_dscnt 0x3
	v_and_b32_e32 v18, 1, v19
	s_wait_dscnt 0x1
	v_cmp_lt_u16_e64 s2, v20, v22
	s_wait_dscnt 0x0
	v_cmp_ne_u16_e64 s4, v21, v23
	v_cmp_eq_u32_e64 s3, 1, v18
	s_wait_alu 0xf1ff
	s_delay_alu instid0(VALU_DEP_2) | instskip(SKIP_2) | instid1(VALU_DEP_1)
	v_cndmask_b32_e64 v18, 0, 1, s4
	s_and_b32 s2, s2, s3
	s_wait_alu 0xfffe
	v_cndmask_b32_e64 v23, v18, v23, s2
	v_and_b32_e32 v18, 2, v7
	s_delay_alu instid0(VALU_DEP_2) | instskip(NEXT) | instid1(VALU_DEP_2)
	v_and_b32_e32 v23, 1, v23
	v_cmp_ne_u32_e64 s2, 0, v18
	s_delay_alu instid0(VALU_DEP_2)
	v_cmp_eq_u32_e64 s3, 1, v23
	s_and_saveexec_b32 s4, s3
	s_wait_alu 0xfffe
	s_xor_b32 s3, exec_lo, s4
	s_cbranch_execz .LBB2_13
; %bb.12:
	ds_load_2addr_b64 v[23:26], v14 offset1:2
	s_wait_dscnt 0x0
	ds_store_2addr_b64 v14, v[25:26], v[23:24] offset1:2
	ds_store_b8 v11, v22
	ds_store_b8 v11, v20 offset:2
	ds_store_b8 v10, v21
	ds_store_b8 v10, v19 offset:2
.LBB2_13:
	s_wait_alu 0xfffe
	s_or_b32 exec_lo, exec_lo, s3
	s_wait_loadcnt_dscnt 0x0
	s_barrier_signal -1
	s_barrier_wait -1
	global_inv scope:SCOPE_SE
	ds_load_u16 v20, v3
	ds_load_u16 v19, v4
	v_lshrrev_b32_e32 v22, 1, v18
	v_cndmask_b32_e64 v25, 0, 1, s2
	s_wait_dscnt 0x1
	v_and_b32_e32 v23, 0xff, v20
	s_wait_dscnt 0x0
	v_lshrrev_b16 v18, 8, v19
	v_lshrrev_b16 v21, 8, v20
	v_and_b32_e32 v24, 1, v19
	s_delay_alu instid0(VALU_DEP_3) | instskip(NEXT) | instid1(VALU_DEP_3)
	v_cmp_ne_u16_e64 s4, v18, v22
	v_cmp_lt_u16_e64 s2, v23, v21
	s_delay_alu instid0(VALU_DEP_3) | instskip(SKIP_1) | instid1(VALU_DEP_3)
	v_cmp_eq_u32_e64 s3, 1, v24
	s_wait_alu 0xf1ff
	v_cndmask_b32_e64 v22, 0, 1, s4
	s_and_b32 s2, s2, s3
	s_mov_b32 s3, exec_lo
	s_wait_alu 0xfffe
	s_delay_alu instid0(VALU_DEP_1) | instskip(NEXT) | instid1(VALU_DEP_1)
	v_cndmask_b32_e64 v22, v22, v25, s2
	v_and_b32_e32 v22, 1, v22
	s_delay_alu instid0(VALU_DEP_1)
	v_cmpx_eq_u32_e32 1, v22
	s_cbranch_execz .LBB2_15
; %bb.14:
	ds_load_b128 v[22:25], v17
	v_lshlrev_b16 v20, 8, v20
	v_lshlrev_b16 v26, 8, v19
	s_delay_alu instid0(VALU_DEP_2) | instskip(NEXT) | instid1(VALU_DEP_2)
	v_or_b32_e32 v27, v21, v20
	v_or_b32_e32 v18, v18, v26
	s_wait_dscnt 0x0
	v_dual_mov_b32 v19, v24 :: v_dual_mov_b32 v20, v25
	v_dual_mov_b32 v21, v22 :: v_dual_mov_b32 v22, v23
	ds_store_b16 v3, v27
	ds_store_b128 v17, v[19:22]
	ds_store_b16 v4, v18
.LBB2_15:
	s_or_b32 exec_lo, exec_lo, s3
	v_and_b32_e32 v17, 3, v7
	s_wait_loadcnt_dscnt 0x0
	s_barrier_signal -1
	s_barrier_wait -1
	global_inv scope:SCOPE_SE
	v_sub_nc_u32_e32 v20, v16, v17
	v_bfe_u32 v25, v7, 2, 1
	s_delay_alu instid0(VALU_DEP_2)
	v_add_nc_u32_e32 v17, v15, v20
	v_add_nc_u32_e32 v18, v13, v20
	v_lshl_add_u32 v20, v20, 3, v12
	ds_load_u8 v21, v17
	ds_load_u8 v22, v18
	ds_load_u8 v24, v18 offset:4
	ds_load_u8 v23, v17 offset:4
	s_wait_dscnt 0x3
	v_and_b32_e32 v19, 1, v21
	s_wait_dscnt 0x1
	v_cmp_lt_u16_e64 s2, v22, v24
	s_wait_dscnt 0x0
	v_cmp_ne_u16_e64 s4, v23, v25
	v_cmp_eq_u32_e64 s3, 1, v19
	s_wait_alu 0xf1ff
	s_delay_alu instid0(VALU_DEP_2) | instskip(SKIP_3) | instid1(VALU_DEP_1)
	v_cndmask_b32_e64 v19, 0, 1, s4
	s_mov_b32 s4, exec_lo
	s_and_b32 s2, s2, s3
	s_wait_alu 0xfffe
	v_cndmask_b32_e64 v25, v19, v25, s2
	v_and_b32_e32 v19, 4, v7
	s_delay_alu instid0(VALU_DEP_2) | instskip(NEXT) | instid1(VALU_DEP_2)
	v_and_b32_e32 v25, 1, v25
	v_cmp_ne_u32_e64 s2, 0, v19
	s_delay_alu instid0(VALU_DEP_2)
	v_cmpx_eq_u32_e32 1, v25
	s_cbranch_execz .LBB2_17
; %bb.16:
	ds_load_2addr_b64 v[25:28], v20 offset1:4
	s_wait_dscnt 0x0
	ds_store_2addr_b64 v20, v[27:28], v[25:26] offset1:4
	ds_store_b8 v18, v24
	ds_store_b8 v18, v22 offset:4
	ds_store_b8 v17, v23
	ds_store_b8 v17, v21 offset:4
.LBB2_17:
	s_or_b32 exec_lo, exec_lo, s4
	s_wait_loadcnt_dscnt 0x0
	s_barrier_signal -1
	s_barrier_wait -1
	global_inv scope:SCOPE_SE
	ds_load_u8 v22, v10
	ds_load_u8 v23, v11
	ds_load_u8 v25, v11 offset:2
	ds_load_u8 v24, v10 offset:2
	v_lshrrev_b32_e32 v19, 2, v19
	v_cndmask_b32_e64 v21, 0, 1, s2
	s_wait_dscnt 0x3
	v_and_b32_e32 v26, 1, v22
	s_wait_dscnt 0x1
	v_cmp_lt_u16_e64 s2, v23, v25
	s_wait_dscnt 0x0
	v_cmp_ne_u16_e64 s4, v24, v19
	v_cmp_eq_u32_e64 s3, 1, v26
	s_wait_alu 0xf1ff
	s_delay_alu instid0(VALU_DEP_2) | instskip(SKIP_3) | instid1(VALU_DEP_1)
	v_cndmask_b32_e64 v26, 0, 1, s4
	s_and_b32 s2, s2, s3
	s_mov_b32 s3, exec_lo
	s_wait_alu 0xfffe
	v_cndmask_b32_e64 v26, v26, v21, s2
	s_delay_alu instid0(VALU_DEP_1) | instskip(NEXT) | instid1(VALU_DEP_1)
	v_and_b32_e32 v26, 1, v26
	v_cmpx_eq_u32_e32 1, v26
	s_cbranch_execz .LBB2_19
; %bb.18:
	ds_load_2addr_b64 v[26:29], v14 offset1:2
	s_wait_dscnt 0x0
	ds_store_2addr_b64 v14, v[28:29], v[26:27] offset1:2
	ds_store_b8 v11, v25
	ds_store_b8 v11, v23 offset:2
	ds_store_b8 v10, v24
	ds_store_b8 v10, v22 offset:2
.LBB2_19:
	s_or_b32 exec_lo, exec_lo, s3
	s_wait_loadcnt_dscnt 0x0
	s_barrier_signal -1
	s_barrier_wait -1
	global_inv scope:SCOPE_SE
	ds_load_u16 v25, v3
	ds_load_u16 v23, v4
	s_wait_dscnt 0x1
	v_and_b32_e32 v26, 0xff, v25
	s_wait_dscnt 0x0
	v_lshrrev_b16 v22, 8, v23
	v_lshrrev_b16 v24, 8, v25
	v_and_b32_e32 v27, 1, v23
	s_delay_alu instid0(VALU_DEP_3) | instskip(NEXT) | instid1(VALU_DEP_3)
	v_cmp_ne_u16_e64 s4, v22, v19
	v_cmp_lt_u16_e64 s2, v26, v24
	s_delay_alu instid0(VALU_DEP_3) | instskip(SKIP_1) | instid1(VALU_DEP_3)
	v_cmp_eq_u32_e64 s3, 1, v27
	s_wait_alu 0xf1ff
	v_cndmask_b32_e64 v19, 0, 1, s4
	s_and_b32 s2, s2, s3
	s_wait_alu 0xfffe
	s_delay_alu instid0(VALU_DEP_1) | instskip(NEXT) | instid1(VALU_DEP_1)
	v_cndmask_b32_e64 v19, v19, v21, s2
	v_and_b32_e32 v19, 1, v19
	s_delay_alu instid0(VALU_DEP_1)
	v_cmp_eq_u32_e64 s2, 1, v19
	v_lshl_add_u32 v19, v16, 3, v12
	s_and_saveexec_b32 s3, s2
	s_cbranch_execz .LBB2_21
; %bb.20:
	ds_load_b128 v[26:29], v19
	v_lshlrev_b16 v21, 8, v25
	v_lshlrev_b16 v30, 8, v23
	s_delay_alu instid0(VALU_DEP_2) | instskip(NEXT) | instid1(VALU_DEP_2)
	v_or_b32_e32 v21, v24, v21
	v_or_b32_e32 v22, v22, v30
	s_wait_dscnt 0x0
	v_dual_mov_b32 v23, v28 :: v_dual_mov_b32 v24, v29
	v_dual_mov_b32 v25, v26 :: v_dual_mov_b32 v26, v27
	ds_store_b16 v3, v21
	ds_store_b128 v19, v[23:26]
	ds_store_b16 v4, v22
.LBB2_21:
	s_wait_alu 0xfffe
	s_or_b32 exec_lo, exec_lo, s3
	v_and_b32_e32 v21, 7, v7
	s_wait_loadcnt_dscnt 0x0
	s_barrier_signal -1
	s_barrier_wait -1
	global_inv scope:SCOPE_SE
	v_sub_nc_u32_e32 v23, v16, v21
	v_bfe_u32 v29, v7, 3, 1
	s_delay_alu instid0(VALU_DEP_2)
	v_add_nc_u32_e32 v21, v15, v23
	v_add_nc_u32_e32 v22, v13, v23
	v_lshl_add_u32 v23, v23, 3, v12
	ds_load_u8 v25, v21
	ds_load_u8 v26, v22
	ds_load_u8 v28, v22 offset:8
	ds_load_u8 v27, v21 offset:8
	s_wait_dscnt 0x3
	v_and_b32_e32 v24, 1, v25
	s_wait_dscnt 0x1
	v_cmp_lt_u16_e64 s2, v26, v28
	s_wait_dscnt 0x0
	v_cmp_ne_u16_e64 s4, v27, v29
	v_cmp_eq_u32_e64 s3, 1, v24
	s_wait_alu 0xf1ff
	s_delay_alu instid0(VALU_DEP_2) | instskip(SKIP_3) | instid1(VALU_DEP_1)
	v_cndmask_b32_e64 v24, 0, 1, s4
	s_mov_b32 s4, exec_lo
	s_and_b32 s2, s2, s3
	s_wait_alu 0xfffe
	v_cndmask_b32_e64 v29, v24, v29, s2
	v_and_b32_e32 v24, 8, v7
	s_delay_alu instid0(VALU_DEP_2) | instskip(NEXT) | instid1(VALU_DEP_2)
	v_and_b32_e32 v29, 1, v29
	v_cmp_ne_u32_e64 s2, 0, v24
	s_delay_alu instid0(VALU_DEP_2)
	v_cmpx_eq_u32_e32 1, v29
	s_cbranch_execz .LBB2_23
; %bb.22:
	ds_load_2addr_b64 v[29:32], v23 offset1:8
	s_wait_dscnt 0x0
	ds_store_2addr_b64 v23, v[31:32], v[29:30] offset1:8
	ds_store_b8 v22, v28
	ds_store_b8 v22, v26 offset:8
	ds_store_b8 v21, v27
	ds_store_b8 v21, v25 offset:8
.LBB2_23:
	s_or_b32 exec_lo, exec_lo, s4
	s_wait_loadcnt_dscnt 0x0
	s_barrier_signal -1
	s_barrier_wait -1
	global_inv scope:SCOPE_SE
	ds_load_u8 v26, v17
	ds_load_u8 v27, v18
	ds_load_u8 v29, v18 offset:4
	ds_load_u8 v28, v17 offset:4
	v_lshrrev_b32_e32 v24, 3, v24
	v_cndmask_b32_e64 v25, 0, 1, s2
	s_wait_dscnt 0x3
	v_and_b32_e32 v30, 1, v26
	s_wait_dscnt 0x1
	v_cmp_lt_u16_e64 s2, v27, v29
	s_wait_dscnt 0x0
	v_cmp_ne_u16_e64 s4, v28, v24
	v_cmp_eq_u32_e64 s3, 1, v30
	s_wait_alu 0xf1ff
	s_delay_alu instid0(VALU_DEP_2) | instskip(SKIP_3) | instid1(VALU_DEP_1)
	v_cndmask_b32_e64 v30, 0, 1, s4
	s_and_b32 s2, s2, s3
	s_mov_b32 s3, exec_lo
	s_wait_alu 0xfffe
	v_cndmask_b32_e64 v30, v30, v25, s2
	s_delay_alu instid0(VALU_DEP_1) | instskip(NEXT) | instid1(VALU_DEP_1)
	v_and_b32_e32 v30, 1, v30
	v_cmpx_eq_u32_e32 1, v30
	s_cbranch_execz .LBB2_25
; %bb.24:
	ds_load_2addr_b64 v[30:33], v20 offset1:4
	s_wait_dscnt 0x0
	ds_store_2addr_b64 v20, v[32:33], v[30:31] offset1:4
	ds_store_b8 v18, v29
	ds_store_b8 v18, v27 offset:4
	ds_store_b8 v17, v28
	ds_store_b8 v17, v26 offset:4
.LBB2_25:
	s_or_b32 exec_lo, exec_lo, s3
	s_wait_loadcnt_dscnt 0x0
	s_barrier_signal -1
	s_barrier_wait -1
	global_inv scope:SCOPE_SE
	ds_load_u8 v26, v10
	ds_load_u8 v27, v11
	ds_load_u8 v29, v11 offset:2
	ds_load_u8 v28, v10 offset:2
	s_wait_dscnt 0x3
	v_and_b32_e32 v30, 1, v26
	s_wait_dscnt 0x1
	v_cmp_lt_u16_e64 s2, v27, v29
	s_wait_dscnt 0x0
	v_cmp_ne_u16_e64 s4, v28, v24
	v_cmp_eq_u32_e64 s3, 1, v30
	s_wait_alu 0xf1ff
	s_delay_alu instid0(VALU_DEP_2) | instskip(SKIP_3) | instid1(VALU_DEP_1)
	v_cndmask_b32_e64 v30, 0, 1, s4
	s_and_b32 s2, s2, s3
	s_mov_b32 s3, exec_lo
	s_wait_alu 0xfffe
	v_cndmask_b32_e64 v30, v30, v25, s2
	s_delay_alu instid0(VALU_DEP_1) | instskip(NEXT) | instid1(VALU_DEP_1)
	v_and_b32_e32 v30, 1, v30
	v_cmpx_eq_u32_e32 1, v30
	s_cbranch_execz .LBB2_27
; %bb.26:
	ds_load_2addr_b64 v[30:33], v14 offset1:2
	s_wait_dscnt 0x0
	ds_store_2addr_b64 v14, v[32:33], v[30:31] offset1:2
	ds_store_b8 v11, v29
	ds_store_b8 v11, v27 offset:2
	ds_store_b8 v10, v28
	ds_store_b8 v10, v26 offset:2
.LBB2_27:
	s_or_b32 exec_lo, exec_lo, s3
	s_wait_loadcnt_dscnt 0x0
	s_barrier_signal -1
	s_barrier_wait -1
	global_inv scope:SCOPE_SE
	ds_load_u16 v29, v3
	ds_load_u16 v27, v4
	s_wait_dscnt 0x1
	v_and_b32_e32 v30, 0xff, v29
	s_wait_dscnt 0x0
	v_lshrrev_b16 v26, 8, v27
	v_lshrrev_b16 v28, 8, v29
	v_and_b32_e32 v31, 1, v27
	s_delay_alu instid0(VALU_DEP_3) | instskip(NEXT) | instid1(VALU_DEP_3)
	v_cmp_ne_u16_e64 s4, v26, v24
	v_cmp_lt_u16_e64 s2, v30, v28
	s_delay_alu instid0(VALU_DEP_3) | instskip(SKIP_1) | instid1(VALU_DEP_3)
	v_cmp_eq_u32_e64 s3, 1, v31
	s_wait_alu 0xf1ff
	v_cndmask_b32_e64 v24, 0, 1, s4
	s_and_b32 s2, s2, s3
	s_mov_b32 s3, exec_lo
	s_wait_alu 0xfffe
	s_delay_alu instid0(VALU_DEP_1) | instskip(NEXT) | instid1(VALU_DEP_1)
	v_cndmask_b32_e64 v24, v24, v25, s2
	v_and_b32_e32 v24, 1, v24
	s_delay_alu instid0(VALU_DEP_1)
	v_cmpx_eq_u32_e32 1, v24
	s_cbranch_execz .LBB2_29
; %bb.28:
	ds_load_b128 v[30:33], v19
	v_lshlrev_b16 v24, 8, v29
	v_lshlrev_b16 v25, 8, v27
	s_delay_alu instid0(VALU_DEP_2) | instskip(NEXT) | instid1(VALU_DEP_2)
	v_or_b32_e32 v24, v28, v24
	v_or_b32_e32 v25, v26, v25
	s_wait_dscnt 0x0
	v_dual_mov_b32 v27, v32 :: v_dual_mov_b32 v28, v33
	v_dual_mov_b32 v29, v30 :: v_dual_mov_b32 v30, v31
	ds_store_b16 v3, v24
	ds_store_b128 v19, v[27:30]
	ds_store_b16 v4, v25
.LBB2_29:
	s_or_b32 exec_lo, exec_lo, s3
	v_and_b32_e32 v24, 15, v7
	s_wait_loadcnt_dscnt 0x0
	s_barrier_signal -1
	s_barrier_wait -1
	global_inv scope:SCOPE_SE
	v_sub_nc_u32_e32 v16, v16, v24
	s_delay_alu instid0(VALU_DEP_1)
	v_add_nc_u32_e32 v15, v15, v16
	v_add_nc_u32_e32 v13, v13, v16
	ds_load_u8 v24, v15
	ds_load_u8 v27, v15 offset:16
	ds_load_u8 v25, v13
	ds_load_u8 v26, v13 offset:16
	s_wait_dscnt 0x2
	v_and_b32_e32 v27, 0xff, v27
	v_and_b32_e32 v28, 1, v24
	s_wait_dscnt 0x0
	v_cmp_ge_u16_e64 s3, v25, v26
	s_delay_alu instid0(VALU_DEP_3) | instskip(NEXT) | instid1(VALU_DEP_3)
	v_cmp_ne_u16_e64 s4, 0, v27
	v_cmp_eq_u32_e64 s2, 1, v28
	s_xor_b32 s2, s2, -1
	s_wait_alu 0xfffe
	s_or_b32 s2, s3, s2
	s_wait_alu 0xfffe
	s_and_b32 s3, s2, s4
	s_wait_alu 0xfffe
	s_and_saveexec_b32 s2, s3
	s_cbranch_execz .LBB2_31
; %bb.30:
	v_lshl_add_u32 v12, v16, 3, v12
	v_mov_b32_e32 v16, 1
	ds_load_2addr_b64 v[27:30], v12 offset1:16
	s_wait_dscnt 0x0
	ds_store_2addr_b64 v12, v[29:30], v[27:28] offset1:16
	ds_store_b8 v13, v26
	ds_store_b8 v13, v25 offset:16
	ds_store_b8 v15, v16
	ds_store_b8 v15, v24 offset:16
.LBB2_31:
	s_wait_alu 0xfffe
	s_or_b32 exec_lo, exec_lo, s2
	s_wait_loadcnt_dscnt 0x0
	s_barrier_signal -1
	s_barrier_wait -1
	global_inv scope:SCOPE_SE
	ds_load_u8 v12, v21
	ds_load_u8 v16, v21 offset:8
	ds_load_u8 v13, v22
	ds_load_u8 v15, v22 offset:8
	s_wait_dscnt 0x3
	v_and_b32_e32 v24, 1, v12
	s_wait_dscnt 0x2
	v_and_b32_e32 v16, 0xff, v16
	s_wait_dscnt 0x0
	v_cmp_ge_u16_e64 s3, v13, v15
	v_cmp_eq_u32_e64 s2, 1, v24
	s_delay_alu instid0(VALU_DEP_3)
	v_cmp_ne_u16_e64 s4, 0, v16
	s_xor_b32 s2, s2, -1
	s_wait_alu 0xfffe
	s_or_b32 s2, s3, s2
	s_wait_alu 0xfffe
	s_and_b32 s3, s2, s4
	s_wait_alu 0xfffe
	s_and_saveexec_b32 s2, s3
	s_cbranch_execz .LBB2_33
; %bb.32:
	ds_load_2addr_b64 v[24:27], v23 offset1:8
	v_mov_b32_e32 v16, 1
	s_wait_dscnt 0x0
	ds_store_2addr_b64 v23, v[26:27], v[24:25] offset1:8
	ds_store_b8 v22, v15
	ds_store_b8 v22, v13 offset:8
	ds_store_b8 v21, v16
	ds_store_b8 v21, v12 offset:8
.LBB2_33:
	s_wait_alu 0xfffe
	s_or_b32 exec_lo, exec_lo, s2
	s_wait_loadcnt_dscnt 0x0
	s_barrier_signal -1
	s_barrier_wait -1
	global_inv scope:SCOPE_SE
	ds_load_u8 v12, v17
	ds_load_u8 v16, v17 offset:4
	ds_load_u8 v13, v18
	ds_load_u8 v15, v18 offset:4
	s_wait_dscnt 0x3
	v_and_b32_e32 v21, 1, v12
	s_wait_dscnt 0x2
	v_and_b32_e32 v16, 0xff, v16
	s_wait_dscnt 0x0
	v_cmp_ge_u16_e64 s3, v13, v15
	v_cmp_eq_u32_e64 s2, 1, v21
	s_delay_alu instid0(VALU_DEP_3)
	v_cmp_ne_u16_e64 s4, 0, v16
	s_xor_b32 s2, s2, -1
	s_wait_alu 0xfffe
	s_or_b32 s2, s3, s2
	s_wait_alu 0xfffe
	s_and_b32 s3, s2, s4
	s_wait_alu 0xfffe
	s_and_saveexec_b32 s2, s3
	s_cbranch_execz .LBB2_35
; %bb.34:
	ds_load_2addr_b64 v[21:24], v20 offset1:4
	v_mov_b32_e32 v16, 1
	s_wait_dscnt 0x0
	ds_store_2addr_b64 v20, v[23:24], v[21:22] offset1:4
	ds_store_b8 v18, v15
	ds_store_b8 v18, v13 offset:4
	ds_store_b8 v17, v16
	ds_store_b8 v17, v12 offset:4
.LBB2_35:
	;; [unrolled: 37-line block ×3, first 2 shown]
	s_wait_alu 0xfffe
	s_or_b32 exec_lo, exec_lo, s2
	s_wait_loadcnt_dscnt 0x0
	s_barrier_signal -1
	s_barrier_wait -1
	global_inv scope:SCOPE_SE
	ds_load_u16 v10, v4
	ds_load_u16 v12, v3
	s_wait_dscnt 0x1
	v_and_b32_e32 v13, 1, v10
	s_wait_dscnt 0x0
	v_and_b32_e32 v14, 0xff, v12
	v_lshrrev_b16 v11, 8, v12
	v_lshrrev_b16 v15, 8, v10
	v_cmp_eq_u32_e64 s2, 1, v13
	s_delay_alu instid0(VALU_DEP_3) | instskip(NEXT) | instid1(VALU_DEP_3)
	v_cmp_ge_u16_e64 s3, v14, v11
	v_cmp_ne_u16_e64 s4, 0, v15
	s_xor_b32 s2, s2, -1
	s_wait_alu 0xfffe
	s_or_b32 s2, s3, s2
	s_wait_alu 0xfffe
	s_and_b32 s3, s2, s4
	s_wait_alu 0xfffe
	s_and_saveexec_b32 s2, s3
	s_cbranch_execz .LBB2_39
; %bb.38:
	ds_load_b128 v[13:16], v19
	v_lshlrev_b16 v12, 8, v12
	v_lshlrev_b16 v17, 8, v10
	s_delay_alu instid0(VALU_DEP_2)
	v_or_b32_e32 v18, v11, v12
	s_wait_dscnt 0x0
	v_dual_mov_b32 v10, v15 :: v_dual_mov_b32 v11, v16
	v_dual_mov_b32 v12, v13 :: v_dual_mov_b32 v13, v14
	v_or_b32_e32 v14, 1, v17
	ds_store_b16 v3, v18
	ds_store_b128 v19, v[10:13]
	ds_store_b16 v4, v14
.LBB2_39:
	s_wait_alu 0xfffe
	s_or_b32 exec_lo, exec_lo, s2
	s_wait_loadcnt_dscnt 0x0
	s_barrier_signal -1
	s_barrier_wait -1
	global_inv scope:SCOPE_SE
	s_and_saveexec_b32 s2, s0
	s_cbranch_execz .LBB2_44
; %bb.40:
	s_and_saveexec_b32 s0, vcc_lo
	s_cbranch_execz .LBB2_42
; %bb.41:
	v_mad_co_u64_u32 v[3:4], null, v7, s7, v[2:3]
	ds_load_u8 v12, v9
	ds_load_b64 v[8:9], v8
	v_mov_b32_e32 v4, 0
	v_mad_co_u64_u32 v[10:11], null, v7, s6, v[0:1]
	s_delay_alu instid0(VALU_DEP_2) | instskip(NEXT) | instid1(VALU_DEP_1)
	v_lshlrev_b64_e32 v[3:4], 3, v[3:4]
	v_add_co_u32 v3, vcc_lo, s10, v3
	s_wait_alu 0xfffd
	s_delay_alu instid0(VALU_DEP_2)
	v_add_co_ci_u32_e64 v4, null, s11, v4, vcc_lo
	s_wait_dscnt 0x1
	global_store_b8 v10, v12, s[8:9]
	s_wait_dscnt 0x0
	global_store_b64 v[3:4], v[8:9], off
.LBB2_42:
	s_wait_alu 0xfffe
	s_or_b32 exec_lo, exec_lo, s0
	s_delay_alu instid0(SALU_CYCLE_1)
	s_and_b32 exec_lo, exec_lo, s1
	s_cbranch_execz .LBB2_44
; %bb.43:
	v_mad_co_u64_u32 v[2:3], null, v1, s7, v[2:3]
	ds_load_u8 v7, v5
	ds_load_b64 v[4:5], v6
	v_mov_b32_e32 v3, 0
	v_mad_co_u64_u32 v[0:1], null, v1, s6, v[0:1]
	s_delay_alu instid0(VALU_DEP_2) | instskip(NEXT) | instid1(VALU_DEP_1)
	v_lshlrev_b64_e32 v[2:3], 3, v[2:3]
	v_add_co_u32 v1, vcc_lo, s10, v2
	s_wait_alu 0xfffd
	s_delay_alu instid0(VALU_DEP_2)
	v_add_co_ci_u32_e64 v2, null, s11, v3, vcc_lo
	s_wait_dscnt 0x1
	global_store_b8 v0, v7, s[8:9]
	s_wait_dscnt 0x0
	global_store_b64 v[1:2], v[4:5], off
.LBB2_44:
	s_endpgm
	.section	.rodata,"a",@progbits
	.p2align	6, 0x0
	.amdhsa_kernel _ZN2at6native20bitonicSortKVInPlaceILi2ELin1ELi16ELi16EhlNS0_4LTOpIhLb1EEEjEEvNS_4cuda6detail10TensorInfoIT3_T6_EES8_S8_S8_NS6_IT4_S8_EES8_T5_
		.amdhsa_group_segment_fixed_size 5120
		.amdhsa_private_segment_fixed_size 0
		.amdhsa_kernarg_size 712
		.amdhsa_user_sgpr_count 2
		.amdhsa_user_sgpr_dispatch_ptr 0
		.amdhsa_user_sgpr_queue_ptr 0
		.amdhsa_user_sgpr_kernarg_segment_ptr 1
		.amdhsa_user_sgpr_dispatch_id 0
		.amdhsa_user_sgpr_private_segment_size 0
		.amdhsa_wavefront_size32 1
		.amdhsa_uses_dynamic_stack 0
		.amdhsa_enable_private_segment 0
		.amdhsa_system_sgpr_workgroup_id_x 1
		.amdhsa_system_sgpr_workgroup_id_y 1
		.amdhsa_system_sgpr_workgroup_id_z 1
		.amdhsa_system_sgpr_workgroup_info 0
		.amdhsa_system_vgpr_workitem_id 1
		.amdhsa_next_free_vgpr 34
		.amdhsa_next_free_sgpr 19
		.amdhsa_reserve_vcc 1
		.amdhsa_float_round_mode_32 0
		.amdhsa_float_round_mode_16_64 0
		.amdhsa_float_denorm_mode_32 3
		.amdhsa_float_denorm_mode_16_64 3
		.amdhsa_fp16_overflow 0
		.amdhsa_workgroup_processor_mode 1
		.amdhsa_memory_ordered 1
		.amdhsa_forward_progress 1
		.amdhsa_inst_pref_size 38
		.amdhsa_round_robin_scheduling 0
		.amdhsa_exception_fp_ieee_invalid_op 0
		.amdhsa_exception_fp_denorm_src 0
		.amdhsa_exception_fp_ieee_div_zero 0
		.amdhsa_exception_fp_ieee_overflow 0
		.amdhsa_exception_fp_ieee_underflow 0
		.amdhsa_exception_fp_ieee_inexact 0
		.amdhsa_exception_int_div_zero 0
	.end_amdhsa_kernel
	.section	.text._ZN2at6native20bitonicSortKVInPlaceILi2ELin1ELi16ELi16EhlNS0_4LTOpIhLb1EEEjEEvNS_4cuda6detail10TensorInfoIT3_T6_EES8_S8_S8_NS6_IT4_S8_EES8_T5_,"axG",@progbits,_ZN2at6native20bitonicSortKVInPlaceILi2ELin1ELi16ELi16EhlNS0_4LTOpIhLb1EEEjEEvNS_4cuda6detail10TensorInfoIT3_T6_EES8_S8_S8_NS6_IT4_S8_EES8_T5_,comdat
.Lfunc_end2:
	.size	_ZN2at6native20bitonicSortKVInPlaceILi2ELin1ELi16ELi16EhlNS0_4LTOpIhLb1EEEjEEvNS_4cuda6detail10TensorInfoIT3_T6_EES8_S8_S8_NS6_IT4_S8_EES8_T5_, .Lfunc_end2-_ZN2at6native20bitonicSortKVInPlaceILi2ELin1ELi16ELi16EhlNS0_4LTOpIhLb1EEEjEEvNS_4cuda6detail10TensorInfoIT3_T6_EES8_S8_S8_NS6_IT4_S8_EES8_T5_
                                        ; -- End function
	.set _ZN2at6native20bitonicSortKVInPlaceILi2ELin1ELi16ELi16EhlNS0_4LTOpIhLb1EEEjEEvNS_4cuda6detail10TensorInfoIT3_T6_EES8_S8_S8_NS6_IT4_S8_EES8_T5_.num_vgpr, 34
	.set _ZN2at6native20bitonicSortKVInPlaceILi2ELin1ELi16ELi16EhlNS0_4LTOpIhLb1EEEjEEvNS_4cuda6detail10TensorInfoIT3_T6_EES8_S8_S8_NS6_IT4_S8_EES8_T5_.num_agpr, 0
	.set _ZN2at6native20bitonicSortKVInPlaceILi2ELin1ELi16ELi16EhlNS0_4LTOpIhLb1EEEjEEvNS_4cuda6detail10TensorInfoIT3_T6_EES8_S8_S8_NS6_IT4_S8_EES8_T5_.numbered_sgpr, 19
	.set _ZN2at6native20bitonicSortKVInPlaceILi2ELin1ELi16ELi16EhlNS0_4LTOpIhLb1EEEjEEvNS_4cuda6detail10TensorInfoIT3_T6_EES8_S8_S8_NS6_IT4_S8_EES8_T5_.num_named_barrier, 0
	.set _ZN2at6native20bitonicSortKVInPlaceILi2ELin1ELi16ELi16EhlNS0_4LTOpIhLb1EEEjEEvNS_4cuda6detail10TensorInfoIT3_T6_EES8_S8_S8_NS6_IT4_S8_EES8_T5_.private_seg_size, 0
	.set _ZN2at6native20bitonicSortKVInPlaceILi2ELin1ELi16ELi16EhlNS0_4LTOpIhLb1EEEjEEvNS_4cuda6detail10TensorInfoIT3_T6_EES8_S8_S8_NS6_IT4_S8_EES8_T5_.uses_vcc, 1
	.set _ZN2at6native20bitonicSortKVInPlaceILi2ELin1ELi16ELi16EhlNS0_4LTOpIhLb1EEEjEEvNS_4cuda6detail10TensorInfoIT3_T6_EES8_S8_S8_NS6_IT4_S8_EES8_T5_.uses_flat_scratch, 0
	.set _ZN2at6native20bitonicSortKVInPlaceILi2ELin1ELi16ELi16EhlNS0_4LTOpIhLb1EEEjEEvNS_4cuda6detail10TensorInfoIT3_T6_EES8_S8_S8_NS6_IT4_S8_EES8_T5_.has_dyn_sized_stack, 0
	.set _ZN2at6native20bitonicSortKVInPlaceILi2ELin1ELi16ELi16EhlNS0_4LTOpIhLb1EEEjEEvNS_4cuda6detail10TensorInfoIT3_T6_EES8_S8_S8_NS6_IT4_S8_EES8_T5_.has_recursion, 0
	.set _ZN2at6native20bitonicSortKVInPlaceILi2ELin1ELi16ELi16EhlNS0_4LTOpIhLb1EEEjEEvNS_4cuda6detail10TensorInfoIT3_T6_EES8_S8_S8_NS6_IT4_S8_EES8_T5_.has_indirect_call, 0
	.section	.AMDGPU.csdata,"",@progbits
; Kernel info:
; codeLenInByte = 4820
; TotalNumSgprs: 21
; NumVgprs: 34
; ScratchSize: 0
; MemoryBound: 0
; FloatMode: 240
; IeeeMode: 1
; LDSByteSize: 5120 bytes/workgroup (compile time only)
; SGPRBlocks: 0
; VGPRBlocks: 4
; NumSGPRsForWavesPerEU: 21
; NumVGPRsForWavesPerEU: 34
; Occupancy: 16
; WaveLimiterHint : 1
; COMPUTE_PGM_RSRC2:SCRATCH_EN: 0
; COMPUTE_PGM_RSRC2:USER_SGPR: 2
; COMPUTE_PGM_RSRC2:TRAP_HANDLER: 0
; COMPUTE_PGM_RSRC2:TGID_X_EN: 1
; COMPUTE_PGM_RSRC2:TGID_Y_EN: 1
; COMPUTE_PGM_RSRC2:TGID_Z_EN: 1
; COMPUTE_PGM_RSRC2:TIDIG_COMP_CNT: 1
	.section	.text._ZN2at6native20bitonicSortKVInPlaceILi2ELin1ELi16ELi16EhlNS0_4GTOpIhLb1EEEjEEvNS_4cuda6detail10TensorInfoIT3_T6_EES8_S8_S8_NS6_IT4_S8_EES8_T5_,"axG",@progbits,_ZN2at6native20bitonicSortKVInPlaceILi2ELin1ELi16ELi16EhlNS0_4GTOpIhLb1EEEjEEvNS_4cuda6detail10TensorInfoIT3_T6_EES8_S8_S8_NS6_IT4_S8_EES8_T5_,comdat
	.protected	_ZN2at6native20bitonicSortKVInPlaceILi2ELin1ELi16ELi16EhlNS0_4GTOpIhLb1EEEjEEvNS_4cuda6detail10TensorInfoIT3_T6_EES8_S8_S8_NS6_IT4_S8_EES8_T5_ ; -- Begin function _ZN2at6native20bitonicSortKVInPlaceILi2ELin1ELi16ELi16EhlNS0_4GTOpIhLb1EEEjEEvNS_4cuda6detail10TensorInfoIT3_T6_EES8_S8_S8_NS6_IT4_S8_EES8_T5_
	.globl	_ZN2at6native20bitonicSortKVInPlaceILi2ELin1ELi16ELi16EhlNS0_4GTOpIhLb1EEEjEEvNS_4cuda6detail10TensorInfoIT3_T6_EES8_S8_S8_NS6_IT4_S8_EES8_T5_
	.p2align	8
	.type	_ZN2at6native20bitonicSortKVInPlaceILi2ELin1ELi16ELi16EhlNS0_4GTOpIhLb1EEEjEEvNS_4cuda6detail10TensorInfoIT3_T6_EES8_S8_S8_NS6_IT4_S8_EES8_T5_,@function
_ZN2at6native20bitonicSortKVInPlaceILi2ELin1ELi16ELi16EhlNS0_4GTOpIhLb1EEEjEEvNS_4cuda6detail10TensorInfoIT3_T6_EES8_S8_S8_NS6_IT4_S8_EES8_T5_: ; @_ZN2at6native20bitonicSortKVInPlaceILi2ELin1ELi16ELi16EhlNS0_4GTOpIhLb1EEEjEEvNS_4cuda6detail10TensorInfoIT3_T6_EES8_S8_S8_NS6_IT4_S8_EES8_T5_
; %bb.0:
	s_clause 0x2
	s_load_b64 s[2:3], s[0:1], 0x1c8
	s_load_u16 s7, s[0:1], 0x1d6
	s_load_b96 s[4:6], s[0:1], 0xd8
	s_lshr_b32 s8, ttmp7, 16
	s_wait_kmcnt 0x0
	s_mul_i32 s3, s3, s8
	s_and_b32 s8, ttmp7, 0xffff
	s_delay_alu instid0(SALU_CYCLE_1) | instskip(NEXT) | instid1(SALU_CYCLE_1)
	s_add_co_i32 s3, s3, s8
	s_mul_i32 s2, s3, s2
	s_delay_alu instid0(SALU_CYCLE_1) | instskip(NEXT) | instid1(SALU_CYCLE_1)
	s_add_co_i32 s10, s2, ttmp9
	s_mul_i32 s10, s10, s7
	s_delay_alu instid0(SALU_CYCLE_1)
	s_cmp_ge_u32 s10, s4
	s_cbranch_scc1 .LBB3_44
; %bb.1:
	s_clause 0x2
	s_load_b32 s7, s[0:1], 0xc
	s_load_b64 s[2:3], s[0:1], 0x6c
	s_load_b32 s14, s[0:1], 0x1b8
	v_bfe_u32 v8, v0, 10, 10
	s_mov_b32 s13, 0
	s_delay_alu instid0(VALU_DEP_1) | instskip(SKIP_3) | instid1(SALU_CYCLE_2)
	v_add_nc_u32_e32 v4, s10, v8
	s_wait_kmcnt 0x0
	s_cvt_f32_u32 s8, s7
	s_sub_co_i32 s12, 0, s7
	v_rcp_iflag_f32_e32 v1, s8
	s_delay_alu instid0(TRANS32_DEP_1) | instskip(SKIP_3) | instid1(SALU_CYCLE_2)
	v_readfirstlane_b32 s8, v1
	v_mov_b32_e32 v1, 0
	s_mul_f32 s11, s8, 0x4f7ffffe
	s_load_b64 s[8:9], s[0:1], 0x0
	s_cvt_u32_f32 s11, s11
	s_wait_alu 0xfffe
	s_delay_alu instid0(SALU_CYCLE_2) | instskip(NEXT) | instid1(SALU_CYCLE_1)
	s_mul_i32 s12, s12, s11
	s_mul_hi_u32 s10, s11, s12
	s_wait_alu 0xfffe
	s_add_co_i32 s11, s11, s10
	s_cmp_lt_i32 s14, 2
	s_wait_alu 0xfffe
	v_mad_co_u64_u32 v[2:3], null, v4, s11, 0
	s_add_nc_u64 s[10:11], s[0:1], 0xe8
	s_cbranch_scc1 .LBB3_4
; %bb.2:
	s_add_co_i32 s12, s14, -1
	v_mov_b32_e32 v1, 0
	s_lshl_b64 s[12:13], s[12:13], 2
	v_mov_b32_e32 v5, v4
	s_wait_alu 0xfffe
	s_add_nc_u64 s[12:13], s[10:11], s[12:13]
	s_add_co_i32 s14, s14, 1
	s_add_nc_u64 s[12:13], s[12:13], 8
.LBB3_3:                                ; =>This Inner Loop Header: Depth=1
	s_clause 0x1
	s_load_b32 s15, s[12:13], 0x0
	s_load_b32 s16, s[12:13], 0x64
	s_add_co_i32 s14, s14, -1
	s_add_nc_u64 s[12:13], s[12:13], -4
	s_wait_kmcnt 0x0
	s_cvt_f32_u32 s17, s15
	s_sub_co_i32 s18, 0, s15
	s_wait_alu 0xfffe
	s_delay_alu instid0(SALU_CYCLE_1) | instskip(NEXT) | instid1(TRANS32_DEP_1)
	v_rcp_iflag_f32_e32 v2, s17
	v_readfirstlane_b32 s17, v2
	v_mov_b32_e32 v2, v5
	s_mul_f32 s17, s17, 0x4f7ffffe
	s_wait_alu 0xfffe
	s_delay_alu instid0(SALU_CYCLE_2) | instskip(SKIP_1) | instid1(SALU_CYCLE_2)
	s_cvt_u32_f32 s17, s17
	s_wait_alu 0xfffe
	s_mul_i32 s18, s18, s17
	s_delay_alu instid0(SALU_CYCLE_1) | instskip(NEXT) | instid1(SALU_CYCLE_1)
	s_mul_hi_u32 s18, s17, s18
	s_add_co_i32 s17, s17, s18
	s_cmp_gt_u32 s14, 2
	s_wait_alu 0xfffe
	v_mul_hi_u32 v5, v2, s17
	s_delay_alu instid0(VALU_DEP_1) | instskip(SKIP_1) | instid1(VALU_DEP_2)
	v_mul_lo_u32 v6, v5, s15
	v_add_nc_u32_e32 v7, 1, v5
	v_sub_nc_u32_e32 v6, v2, v6
	s_delay_alu instid0(VALU_DEP_1) | instskip(SKIP_2) | instid1(VALU_DEP_2)
	v_subrev_nc_u32_e32 v9, s15, v6
	v_cmp_le_u32_e32 vcc_lo, s15, v6
	s_wait_alu 0xfffd
	v_dual_cndmask_b32 v5, v5, v7 :: v_dual_cndmask_b32 v6, v6, v9
	s_delay_alu instid0(VALU_DEP_1) | instskip(NEXT) | instid1(VALU_DEP_2)
	v_add_nc_u32_e32 v7, 1, v5
	v_cmp_le_u32_e32 vcc_lo, s15, v6
	s_wait_alu 0xfffd
	s_delay_alu instid0(VALU_DEP_2) | instskip(NEXT) | instid1(VALU_DEP_1)
	v_cndmask_b32_e32 v5, v5, v7, vcc_lo
	v_mul_lo_u32 v6, v5, s15
	s_delay_alu instid0(VALU_DEP_1) | instskip(NEXT) | instid1(VALU_DEP_1)
	v_sub_nc_u32_e32 v2, v2, v6
	v_mad_co_u64_u32 v[1:2], null, s16, v2, v[1:2]
	s_cbranch_scc1 .LBB3_3
	s_branch .LBB3_5
.LBB3_4:
	v_mov_b32_e32 v5, v4
.LBB3_5:
	v_mul_lo_u32 v2, v3, s7
	v_add_nc_u32_e32 v6, 1, v3
	s_load_b32 s14, s[10:11], 0x6c
	s_add_nc_u64 s[12:13], s[0:1], 0x1c8
	v_mov_b32_e32 v10, 0
	s_load_b32 s12, s[12:13], 0xc
	v_mov_b32_e32 v11, 0
	s_delay_alu instid0(VALU_DEP_4) | instskip(NEXT) | instid1(VALU_DEP_1)
	v_sub_nc_u32_e32 v2, v4, v2
	v_subrev_nc_u32_e32 v7, s7, v2
	v_cmp_le_u32_e32 vcc_lo, s7, v2
	s_wait_alu 0xfffd
	s_delay_alu instid0(VALU_DEP_2) | instskip(SKIP_1) | instid1(VALU_DEP_2)
	v_dual_cndmask_b32 v3, v3, v6 :: v_dual_cndmask_b32 v2, v2, v7
	v_and_b32_e32 v7, 0x3ff, v0
	v_add_nc_u32_e32 v6, 1, v3
	s_delay_alu instid0(VALU_DEP_3) | instskip(SKIP_1) | instid1(VALU_DEP_2)
	v_cmp_le_u32_e32 vcc_lo, s7, v2
	s_wait_alu 0xfffd
	v_cndmask_b32_e32 v6, v3, v6, vcc_lo
	v_cmp_gt_u32_e32 vcc_lo, s5, v7
	s_delay_alu instid0(VALU_DEP_2) | instskip(SKIP_4) | instid1(VALU_DEP_2)
	v_mul_lo_u32 v2, v6, s7
	s_clause 0x1
	s_load_b32 s7, s[0:1], 0x1c0
	s_load_b64 s[10:11], s[10:11], 0x0
	v_cmp_gt_u32_e64 s0, s4, v4
	v_sub_nc_u32_e32 v2, v4, v2
	s_delay_alu instid0(VALU_DEP_1) | instskip(SKIP_4) | instid1(VALU_DEP_4)
	v_mul_lo_u32 v0, v2, s3
	s_wait_kmcnt 0x0
	v_mad_co_u64_u32 v[2:3], null, s14, v5, v[1:2]
	v_mov_b32_e32 v3, 0
	v_mov_b32_e32 v4, 0
	v_mad_co_u64_u32 v[0:1], null, v6, s2, v[0:1]
	v_mov_b32_e32 v5, 0
	v_mov_b32_e32 v6, 0
	s_and_b32 s2, s0, vcc_lo
	s_wait_alu 0xfffe
	s_and_saveexec_b32 s3, s2
	s_cbranch_execz .LBB3_7
; %bb.6:
	v_mad_co_u64_u32 v[5:6], null, v7, s7, v[2:3]
	v_mov_b32_e32 v6, 0
	v_mad_co_u64_u32 v[11:12], null, v7, s6, v[0:1]
	s_delay_alu instid0(VALU_DEP_2) | instskip(NEXT) | instid1(VALU_DEP_1)
	v_lshlrev_b64_e32 v[5:6], 3, v[5:6]
	v_add_co_u32 v5, s1, s10, v5
	s_delay_alu instid0(VALU_DEP_1)
	v_add_co_ci_u32_e64 v6, null, s11, v6, s1
	global_load_u8 v11, v11, s[8:9]
	global_load_b64 v[5:6], v[5:6], off
.LBB3_7:
	s_wait_alu 0xfffe
	s_or_b32 exec_lo, exec_lo, s3
	v_lshlrev_b32_e32 v9, 5, v8
	s_and_b32 s3, 0xffff, s12
	v_lshlrev_b32_e32 v12, 8, v8
	s_wait_alu 0xfffe
	v_add_nc_u32_e32 v1, s3, v7
	v_cndmask_b32_e64 v14, 0, 1, s2
	v_add_nc_u32_e32 v13, 0x1000, v9
	v_add_nc_u32_e32 v15, 0x1200, v9
	v_lshl_add_u32 v8, v7, 3, v12
	v_cmp_gt_u32_e64 s1, s5, v1
	s_delay_alu instid0(VALU_DEP_4) | instskip(NEXT) | instid1(VALU_DEP_4)
	v_add_nc_u32_e32 v9, v13, v7
	v_add_nc_u32_e32 v16, v15, v7
	s_wait_loadcnt 0x1
	ds_store_b8 v9, v11
	s_wait_loadcnt 0x0
	ds_store_b64 v8, v[5:6]
	ds_store_b8 v16, v14
	s_and_b32 s4, s0, s1
	s_wait_alu 0xfffe
	s_and_saveexec_b32 s5, s4
	s_cbranch_execz .LBB3_9
; %bb.8:
	v_mad_co_u64_u32 v[3:4], null, v1, s7, v[2:3]
	v_mov_b32_e32 v4, 0
	v_mad_co_u64_u32 v[5:6], null, v1, s6, v[0:1]
	s_delay_alu instid0(VALU_DEP_2) | instskip(NEXT) | instid1(VALU_DEP_1)
	v_lshlrev_b64_e32 v[3:4], 3, v[3:4]
	v_add_co_u32 v3, s2, s10, v3
	s_wait_alu 0xf1ff
	s_delay_alu instid0(VALU_DEP_2)
	v_add_co_ci_u32_e64 v4, null, s11, v4, s2
	global_load_u8 v10, v5, s[8:9]
	global_load_b64 v[3:4], v[3:4], off
.LBB3_9:
	s_wait_alu 0xfffe
	s_or_b32 exec_lo, exec_lo, s5
	v_add_nc_u32_e32 v5, v13, v1
	v_lshlrev_b32_e32 v16, 1, v7
	v_lshl_add_u32 v6, s3, 3, v8
	v_cndmask_b32_e64 v11, 0, 1, s4
	v_add_nc_u32_e32 v14, v15, v1
	s_wait_loadcnt 0x1
	ds_store_b8 v5, v10
	s_wait_loadcnt 0x0
	ds_store_b64 v6, v[3:4]
	ds_store_b8 v14, v11
	v_add_nc_u32_e32 v3, v13, v16
	v_add_nc_u32_e32 v4, v15, v16
	s_wait_dscnt 0x0
	s_barrier_signal -1
	s_barrier_wait -1
	global_inv scope:SCOPE_SE
	ds_load_u16 v18, v3
	ds_load_u16 v14, v4
	v_and_b32_e32 v10, 1, v7
	s_wait_dscnt 0x1
	v_and_b32_e32 v17, 0xff, v18
	s_wait_dscnt 0x0
	v_lshrrev_b16 v11, 8, v14
	v_lshrrev_b16 v19, 8, v18
	v_and_b32_e32 v20, 1, v14
	s_delay_alu instid0(VALU_DEP_3) | instskip(NEXT) | instid1(VALU_DEP_3)
	v_cmp_ne_u16_e64 s4, v11, v10
	v_cmp_gt_u16_e64 s2, v17, v19
	s_delay_alu instid0(VALU_DEP_3) | instskip(SKIP_1) | instid1(VALU_DEP_3)
	v_cmp_eq_u32_e64 s3, 1, v20
	s_wait_alu 0xf1ff
	v_cndmask_b32_e64 v17, 0, 1, s4
	s_and_b32 s2, s2, s3
	s_wait_alu 0xfffe
	s_delay_alu instid0(VALU_DEP_1) | instskip(NEXT) | instid1(VALU_DEP_1)
	v_cndmask_b32_e64 v17, v17, v7, s2
	v_and_b32_e32 v17, 1, v17
	s_delay_alu instid0(VALU_DEP_1)
	v_cmp_eq_u32_e64 s2, 1, v17
	v_lshl_add_u32 v17, v7, 3, v8
	s_and_saveexec_b32 s3, s2
	s_wait_alu 0xfffe
	s_xor_b32 s2, exec_lo, s3
	s_cbranch_execz .LBB3_11
; %bb.10:
	ds_load_b128 v[20:23], v17
	v_lshlrev_b16 v18, 8, v18
	v_lshlrev_b16 v14, 8, v14
	s_delay_alu instid0(VALU_DEP_2) | instskip(NEXT) | instid1(VALU_DEP_2)
	v_or_b32_e32 v24, v19, v18
	v_or_b32_e32 v11, v11, v14
	s_wait_dscnt 0x0
	v_dual_mov_b32 v18, v22 :: v_dual_mov_b32 v19, v23
	ds_store_b16 v3, v24
	ds_store_b128 v17, v[18:21]
	ds_store_b16 v4, v11
.LBB3_11:
	s_wait_alu 0xfffe
	s_or_b32 exec_lo, exec_lo, s2
	v_sub_nc_u32_e32 v14, v16, v10
	s_wait_loadcnt_dscnt 0x0
	s_barrier_signal -1
	s_barrier_wait -1
	global_inv scope:SCOPE_SE
	v_add_nc_u32_e32 v10, v15, v14
	v_add_nc_u32_e32 v11, v13, v14
	v_bfe_u32 v23, v7, 1, 1
	v_lshl_add_u32 v14, v14, 3, v12
	ds_load_u8 v19, v10
	ds_load_u8 v20, v11
	ds_load_u8 v22, v11 offset:2
	ds_load_u8 v21, v10 offset:2
	s_wait_dscnt 0x3
	v_and_b32_e32 v18, 1, v19
	s_wait_dscnt 0x1
	v_cmp_gt_u16_e64 s2, v20, v22
	s_wait_dscnt 0x0
	v_cmp_ne_u16_e64 s4, v21, v23
	v_cmp_eq_u32_e64 s3, 1, v18
	s_wait_alu 0xf1ff
	s_delay_alu instid0(VALU_DEP_2) | instskip(SKIP_2) | instid1(VALU_DEP_1)
	v_cndmask_b32_e64 v18, 0, 1, s4
	s_and_b32 s2, s2, s3
	s_wait_alu 0xfffe
	v_cndmask_b32_e64 v23, v18, v23, s2
	v_and_b32_e32 v18, 2, v7
	s_delay_alu instid0(VALU_DEP_2) | instskip(NEXT) | instid1(VALU_DEP_2)
	v_and_b32_e32 v23, 1, v23
	v_cmp_ne_u32_e64 s2, 0, v18
	s_delay_alu instid0(VALU_DEP_2)
	v_cmp_eq_u32_e64 s3, 1, v23
	s_and_saveexec_b32 s4, s3
	s_wait_alu 0xfffe
	s_xor_b32 s3, exec_lo, s4
	s_cbranch_execz .LBB3_13
; %bb.12:
	ds_load_2addr_b64 v[23:26], v14 offset1:2
	s_wait_dscnt 0x0
	ds_store_2addr_b64 v14, v[25:26], v[23:24] offset1:2
	ds_store_b8 v11, v22
	ds_store_b8 v11, v20 offset:2
	ds_store_b8 v10, v21
	ds_store_b8 v10, v19 offset:2
.LBB3_13:
	s_wait_alu 0xfffe
	s_or_b32 exec_lo, exec_lo, s3
	s_wait_loadcnt_dscnt 0x0
	s_barrier_signal -1
	s_barrier_wait -1
	global_inv scope:SCOPE_SE
	ds_load_u16 v20, v3
	ds_load_u16 v19, v4
	v_lshrrev_b32_e32 v22, 1, v18
	v_cndmask_b32_e64 v25, 0, 1, s2
	s_wait_dscnt 0x1
	v_and_b32_e32 v23, 0xff, v20
	s_wait_dscnt 0x0
	v_lshrrev_b16 v18, 8, v19
	v_lshrrev_b16 v21, 8, v20
	v_and_b32_e32 v24, 1, v19
	s_delay_alu instid0(VALU_DEP_3) | instskip(NEXT) | instid1(VALU_DEP_3)
	v_cmp_ne_u16_e64 s4, v18, v22
	v_cmp_gt_u16_e64 s2, v23, v21
	s_delay_alu instid0(VALU_DEP_3) | instskip(SKIP_1) | instid1(VALU_DEP_3)
	v_cmp_eq_u32_e64 s3, 1, v24
	s_wait_alu 0xf1ff
	v_cndmask_b32_e64 v22, 0, 1, s4
	s_and_b32 s2, s2, s3
	s_mov_b32 s3, exec_lo
	s_wait_alu 0xfffe
	s_delay_alu instid0(VALU_DEP_1) | instskip(NEXT) | instid1(VALU_DEP_1)
	v_cndmask_b32_e64 v22, v22, v25, s2
	v_and_b32_e32 v22, 1, v22
	s_delay_alu instid0(VALU_DEP_1)
	v_cmpx_eq_u32_e32 1, v22
	s_cbranch_execz .LBB3_15
; %bb.14:
	ds_load_b128 v[22:25], v17
	v_lshlrev_b16 v20, 8, v20
	v_lshlrev_b16 v26, 8, v19
	s_delay_alu instid0(VALU_DEP_2) | instskip(NEXT) | instid1(VALU_DEP_2)
	v_or_b32_e32 v27, v21, v20
	v_or_b32_e32 v18, v18, v26
	s_wait_dscnt 0x0
	v_dual_mov_b32 v19, v24 :: v_dual_mov_b32 v20, v25
	v_dual_mov_b32 v21, v22 :: v_dual_mov_b32 v22, v23
	ds_store_b16 v3, v27
	ds_store_b128 v17, v[19:22]
	ds_store_b16 v4, v18
.LBB3_15:
	s_or_b32 exec_lo, exec_lo, s3
	v_and_b32_e32 v17, 3, v7
	s_wait_loadcnt_dscnt 0x0
	s_barrier_signal -1
	s_barrier_wait -1
	global_inv scope:SCOPE_SE
	v_sub_nc_u32_e32 v20, v16, v17
	v_bfe_u32 v25, v7, 2, 1
	s_delay_alu instid0(VALU_DEP_2)
	v_add_nc_u32_e32 v17, v15, v20
	v_add_nc_u32_e32 v18, v13, v20
	v_lshl_add_u32 v20, v20, 3, v12
	ds_load_u8 v21, v17
	ds_load_u8 v22, v18
	ds_load_u8 v24, v18 offset:4
	ds_load_u8 v23, v17 offset:4
	s_wait_dscnt 0x3
	v_and_b32_e32 v19, 1, v21
	s_wait_dscnt 0x1
	v_cmp_gt_u16_e64 s2, v22, v24
	s_wait_dscnt 0x0
	v_cmp_ne_u16_e64 s4, v23, v25
	v_cmp_eq_u32_e64 s3, 1, v19
	s_wait_alu 0xf1ff
	s_delay_alu instid0(VALU_DEP_2) | instskip(SKIP_3) | instid1(VALU_DEP_1)
	v_cndmask_b32_e64 v19, 0, 1, s4
	s_mov_b32 s4, exec_lo
	s_and_b32 s2, s2, s3
	s_wait_alu 0xfffe
	v_cndmask_b32_e64 v25, v19, v25, s2
	v_and_b32_e32 v19, 4, v7
	s_delay_alu instid0(VALU_DEP_2) | instskip(NEXT) | instid1(VALU_DEP_2)
	v_and_b32_e32 v25, 1, v25
	v_cmp_ne_u32_e64 s2, 0, v19
	s_delay_alu instid0(VALU_DEP_2)
	v_cmpx_eq_u32_e32 1, v25
	s_cbranch_execz .LBB3_17
; %bb.16:
	ds_load_2addr_b64 v[25:28], v20 offset1:4
	s_wait_dscnt 0x0
	ds_store_2addr_b64 v20, v[27:28], v[25:26] offset1:4
	ds_store_b8 v18, v24
	ds_store_b8 v18, v22 offset:4
	ds_store_b8 v17, v23
	ds_store_b8 v17, v21 offset:4
.LBB3_17:
	s_or_b32 exec_lo, exec_lo, s4
	s_wait_loadcnt_dscnt 0x0
	s_barrier_signal -1
	s_barrier_wait -1
	global_inv scope:SCOPE_SE
	ds_load_u8 v22, v10
	ds_load_u8 v23, v11
	ds_load_u8 v25, v11 offset:2
	ds_load_u8 v24, v10 offset:2
	v_lshrrev_b32_e32 v19, 2, v19
	v_cndmask_b32_e64 v21, 0, 1, s2
	s_wait_dscnt 0x3
	v_and_b32_e32 v26, 1, v22
	s_wait_dscnt 0x1
	v_cmp_gt_u16_e64 s2, v23, v25
	s_wait_dscnt 0x0
	v_cmp_ne_u16_e64 s4, v24, v19
	v_cmp_eq_u32_e64 s3, 1, v26
	s_wait_alu 0xf1ff
	s_delay_alu instid0(VALU_DEP_2) | instskip(SKIP_3) | instid1(VALU_DEP_1)
	v_cndmask_b32_e64 v26, 0, 1, s4
	s_and_b32 s2, s2, s3
	s_mov_b32 s3, exec_lo
	s_wait_alu 0xfffe
	v_cndmask_b32_e64 v26, v26, v21, s2
	s_delay_alu instid0(VALU_DEP_1) | instskip(NEXT) | instid1(VALU_DEP_1)
	v_and_b32_e32 v26, 1, v26
	v_cmpx_eq_u32_e32 1, v26
	s_cbranch_execz .LBB3_19
; %bb.18:
	ds_load_2addr_b64 v[26:29], v14 offset1:2
	s_wait_dscnt 0x0
	ds_store_2addr_b64 v14, v[28:29], v[26:27] offset1:2
	ds_store_b8 v11, v25
	ds_store_b8 v11, v23 offset:2
	ds_store_b8 v10, v24
	ds_store_b8 v10, v22 offset:2
.LBB3_19:
	s_or_b32 exec_lo, exec_lo, s3
	s_wait_loadcnt_dscnt 0x0
	s_barrier_signal -1
	s_barrier_wait -1
	global_inv scope:SCOPE_SE
	ds_load_u16 v25, v3
	ds_load_u16 v23, v4
	s_wait_dscnt 0x1
	v_and_b32_e32 v26, 0xff, v25
	s_wait_dscnt 0x0
	v_lshrrev_b16 v22, 8, v23
	v_lshrrev_b16 v24, 8, v25
	v_and_b32_e32 v27, 1, v23
	s_delay_alu instid0(VALU_DEP_3) | instskip(NEXT) | instid1(VALU_DEP_3)
	v_cmp_ne_u16_e64 s4, v22, v19
	v_cmp_gt_u16_e64 s2, v26, v24
	s_delay_alu instid0(VALU_DEP_3) | instskip(SKIP_1) | instid1(VALU_DEP_3)
	v_cmp_eq_u32_e64 s3, 1, v27
	s_wait_alu 0xf1ff
	v_cndmask_b32_e64 v19, 0, 1, s4
	s_and_b32 s2, s2, s3
	s_wait_alu 0xfffe
	s_delay_alu instid0(VALU_DEP_1) | instskip(NEXT) | instid1(VALU_DEP_1)
	v_cndmask_b32_e64 v19, v19, v21, s2
	v_and_b32_e32 v19, 1, v19
	s_delay_alu instid0(VALU_DEP_1)
	v_cmp_eq_u32_e64 s2, 1, v19
	v_lshl_add_u32 v19, v16, 3, v12
	s_and_saveexec_b32 s3, s2
	s_cbranch_execz .LBB3_21
; %bb.20:
	ds_load_b128 v[26:29], v19
	v_lshlrev_b16 v21, 8, v25
	v_lshlrev_b16 v30, 8, v23
	s_delay_alu instid0(VALU_DEP_2) | instskip(NEXT) | instid1(VALU_DEP_2)
	v_or_b32_e32 v21, v24, v21
	v_or_b32_e32 v22, v22, v30
	s_wait_dscnt 0x0
	v_dual_mov_b32 v23, v28 :: v_dual_mov_b32 v24, v29
	v_dual_mov_b32 v25, v26 :: v_dual_mov_b32 v26, v27
	ds_store_b16 v3, v21
	ds_store_b128 v19, v[23:26]
	ds_store_b16 v4, v22
.LBB3_21:
	s_wait_alu 0xfffe
	s_or_b32 exec_lo, exec_lo, s3
	v_and_b32_e32 v21, 7, v7
	s_wait_loadcnt_dscnt 0x0
	s_barrier_signal -1
	s_barrier_wait -1
	global_inv scope:SCOPE_SE
	v_sub_nc_u32_e32 v23, v16, v21
	v_bfe_u32 v29, v7, 3, 1
	s_delay_alu instid0(VALU_DEP_2)
	v_add_nc_u32_e32 v21, v15, v23
	v_add_nc_u32_e32 v22, v13, v23
	v_lshl_add_u32 v23, v23, 3, v12
	ds_load_u8 v25, v21
	ds_load_u8 v26, v22
	ds_load_u8 v28, v22 offset:8
	ds_load_u8 v27, v21 offset:8
	s_wait_dscnt 0x3
	v_and_b32_e32 v24, 1, v25
	s_wait_dscnt 0x1
	v_cmp_gt_u16_e64 s2, v26, v28
	s_wait_dscnt 0x0
	v_cmp_ne_u16_e64 s4, v27, v29
	v_cmp_eq_u32_e64 s3, 1, v24
	s_wait_alu 0xf1ff
	s_delay_alu instid0(VALU_DEP_2) | instskip(SKIP_3) | instid1(VALU_DEP_1)
	v_cndmask_b32_e64 v24, 0, 1, s4
	s_mov_b32 s4, exec_lo
	s_and_b32 s2, s2, s3
	s_wait_alu 0xfffe
	v_cndmask_b32_e64 v29, v24, v29, s2
	v_and_b32_e32 v24, 8, v7
	s_delay_alu instid0(VALU_DEP_2) | instskip(NEXT) | instid1(VALU_DEP_2)
	v_and_b32_e32 v29, 1, v29
	v_cmp_ne_u32_e64 s2, 0, v24
	s_delay_alu instid0(VALU_DEP_2)
	v_cmpx_eq_u32_e32 1, v29
	s_cbranch_execz .LBB3_23
; %bb.22:
	ds_load_2addr_b64 v[29:32], v23 offset1:8
	s_wait_dscnt 0x0
	ds_store_2addr_b64 v23, v[31:32], v[29:30] offset1:8
	ds_store_b8 v22, v28
	ds_store_b8 v22, v26 offset:8
	ds_store_b8 v21, v27
	ds_store_b8 v21, v25 offset:8
.LBB3_23:
	s_or_b32 exec_lo, exec_lo, s4
	s_wait_loadcnt_dscnt 0x0
	s_barrier_signal -1
	s_barrier_wait -1
	global_inv scope:SCOPE_SE
	ds_load_u8 v26, v17
	ds_load_u8 v27, v18
	ds_load_u8 v29, v18 offset:4
	ds_load_u8 v28, v17 offset:4
	v_lshrrev_b32_e32 v24, 3, v24
	v_cndmask_b32_e64 v25, 0, 1, s2
	s_wait_dscnt 0x3
	v_and_b32_e32 v30, 1, v26
	s_wait_dscnt 0x1
	v_cmp_gt_u16_e64 s2, v27, v29
	s_wait_dscnt 0x0
	v_cmp_ne_u16_e64 s4, v28, v24
	v_cmp_eq_u32_e64 s3, 1, v30
	s_wait_alu 0xf1ff
	s_delay_alu instid0(VALU_DEP_2) | instskip(SKIP_3) | instid1(VALU_DEP_1)
	v_cndmask_b32_e64 v30, 0, 1, s4
	s_and_b32 s2, s2, s3
	s_mov_b32 s3, exec_lo
	s_wait_alu 0xfffe
	v_cndmask_b32_e64 v30, v30, v25, s2
	s_delay_alu instid0(VALU_DEP_1) | instskip(NEXT) | instid1(VALU_DEP_1)
	v_and_b32_e32 v30, 1, v30
	v_cmpx_eq_u32_e32 1, v30
	s_cbranch_execz .LBB3_25
; %bb.24:
	ds_load_2addr_b64 v[30:33], v20 offset1:4
	s_wait_dscnt 0x0
	ds_store_2addr_b64 v20, v[32:33], v[30:31] offset1:4
	ds_store_b8 v18, v29
	ds_store_b8 v18, v27 offset:4
	ds_store_b8 v17, v28
	ds_store_b8 v17, v26 offset:4
.LBB3_25:
	s_or_b32 exec_lo, exec_lo, s3
	s_wait_loadcnt_dscnt 0x0
	s_barrier_signal -1
	s_barrier_wait -1
	global_inv scope:SCOPE_SE
	ds_load_u8 v26, v10
	ds_load_u8 v27, v11
	ds_load_u8 v29, v11 offset:2
	ds_load_u8 v28, v10 offset:2
	s_wait_dscnt 0x3
	v_and_b32_e32 v30, 1, v26
	s_wait_dscnt 0x1
	v_cmp_gt_u16_e64 s2, v27, v29
	s_wait_dscnt 0x0
	v_cmp_ne_u16_e64 s4, v28, v24
	v_cmp_eq_u32_e64 s3, 1, v30
	s_wait_alu 0xf1ff
	s_delay_alu instid0(VALU_DEP_2) | instskip(SKIP_3) | instid1(VALU_DEP_1)
	v_cndmask_b32_e64 v30, 0, 1, s4
	s_and_b32 s2, s2, s3
	s_mov_b32 s3, exec_lo
	s_wait_alu 0xfffe
	v_cndmask_b32_e64 v30, v30, v25, s2
	s_delay_alu instid0(VALU_DEP_1) | instskip(NEXT) | instid1(VALU_DEP_1)
	v_and_b32_e32 v30, 1, v30
	v_cmpx_eq_u32_e32 1, v30
	s_cbranch_execz .LBB3_27
; %bb.26:
	ds_load_2addr_b64 v[30:33], v14 offset1:2
	s_wait_dscnt 0x0
	ds_store_2addr_b64 v14, v[32:33], v[30:31] offset1:2
	ds_store_b8 v11, v29
	ds_store_b8 v11, v27 offset:2
	ds_store_b8 v10, v28
	ds_store_b8 v10, v26 offset:2
.LBB3_27:
	s_or_b32 exec_lo, exec_lo, s3
	s_wait_loadcnt_dscnt 0x0
	s_barrier_signal -1
	s_barrier_wait -1
	global_inv scope:SCOPE_SE
	ds_load_u16 v29, v3
	ds_load_u16 v27, v4
	s_wait_dscnt 0x1
	v_and_b32_e32 v30, 0xff, v29
	s_wait_dscnt 0x0
	v_lshrrev_b16 v26, 8, v27
	v_lshrrev_b16 v28, 8, v29
	v_and_b32_e32 v31, 1, v27
	s_delay_alu instid0(VALU_DEP_3) | instskip(NEXT) | instid1(VALU_DEP_3)
	v_cmp_ne_u16_e64 s4, v26, v24
	v_cmp_gt_u16_e64 s2, v30, v28
	s_delay_alu instid0(VALU_DEP_3) | instskip(SKIP_1) | instid1(VALU_DEP_3)
	v_cmp_eq_u32_e64 s3, 1, v31
	s_wait_alu 0xf1ff
	v_cndmask_b32_e64 v24, 0, 1, s4
	s_and_b32 s2, s2, s3
	s_mov_b32 s3, exec_lo
	s_wait_alu 0xfffe
	s_delay_alu instid0(VALU_DEP_1) | instskip(NEXT) | instid1(VALU_DEP_1)
	v_cndmask_b32_e64 v24, v24, v25, s2
	v_and_b32_e32 v24, 1, v24
	s_delay_alu instid0(VALU_DEP_1)
	v_cmpx_eq_u32_e32 1, v24
	s_cbranch_execz .LBB3_29
; %bb.28:
	ds_load_b128 v[30:33], v19
	v_lshlrev_b16 v24, 8, v29
	v_lshlrev_b16 v25, 8, v27
	s_delay_alu instid0(VALU_DEP_2) | instskip(NEXT) | instid1(VALU_DEP_2)
	v_or_b32_e32 v24, v28, v24
	v_or_b32_e32 v25, v26, v25
	s_wait_dscnt 0x0
	v_dual_mov_b32 v27, v32 :: v_dual_mov_b32 v28, v33
	v_dual_mov_b32 v29, v30 :: v_dual_mov_b32 v30, v31
	ds_store_b16 v3, v24
	ds_store_b128 v19, v[27:30]
	ds_store_b16 v4, v25
.LBB3_29:
	s_or_b32 exec_lo, exec_lo, s3
	v_and_b32_e32 v24, 15, v7
	s_wait_loadcnt_dscnt 0x0
	s_barrier_signal -1
	s_barrier_wait -1
	global_inv scope:SCOPE_SE
	v_sub_nc_u32_e32 v16, v16, v24
	s_delay_alu instid0(VALU_DEP_1)
	v_add_nc_u32_e32 v15, v15, v16
	v_add_nc_u32_e32 v13, v13, v16
	ds_load_u8 v24, v15
	ds_load_u8 v27, v15 offset:16
	ds_load_u8 v25, v13
	ds_load_u8 v26, v13 offset:16
	s_wait_dscnt 0x2
	v_and_b32_e32 v27, 0xff, v27
	v_and_b32_e32 v28, 1, v24
	s_wait_dscnt 0x0
	v_cmp_le_u16_e64 s3, v25, v26
	s_delay_alu instid0(VALU_DEP_3) | instskip(NEXT) | instid1(VALU_DEP_3)
	v_cmp_ne_u16_e64 s4, 0, v27
	v_cmp_eq_u32_e64 s2, 1, v28
	s_xor_b32 s2, s2, -1
	s_wait_alu 0xfffe
	s_or_b32 s2, s3, s2
	s_wait_alu 0xfffe
	s_and_b32 s3, s2, s4
	s_wait_alu 0xfffe
	s_and_saveexec_b32 s2, s3
	s_cbranch_execz .LBB3_31
; %bb.30:
	v_lshl_add_u32 v12, v16, 3, v12
	v_mov_b32_e32 v16, 1
	ds_load_2addr_b64 v[27:30], v12 offset1:16
	s_wait_dscnt 0x0
	ds_store_2addr_b64 v12, v[29:30], v[27:28] offset1:16
	ds_store_b8 v13, v26
	ds_store_b8 v13, v25 offset:16
	ds_store_b8 v15, v16
	ds_store_b8 v15, v24 offset:16
.LBB3_31:
	s_wait_alu 0xfffe
	s_or_b32 exec_lo, exec_lo, s2
	s_wait_loadcnt_dscnt 0x0
	s_barrier_signal -1
	s_barrier_wait -1
	global_inv scope:SCOPE_SE
	ds_load_u8 v12, v21
	ds_load_u8 v16, v21 offset:8
	ds_load_u8 v13, v22
	ds_load_u8 v15, v22 offset:8
	s_wait_dscnt 0x3
	v_and_b32_e32 v24, 1, v12
	s_wait_dscnt 0x2
	v_and_b32_e32 v16, 0xff, v16
	s_wait_dscnt 0x0
	v_cmp_le_u16_e64 s3, v13, v15
	v_cmp_eq_u32_e64 s2, 1, v24
	s_delay_alu instid0(VALU_DEP_3)
	v_cmp_ne_u16_e64 s4, 0, v16
	s_xor_b32 s2, s2, -1
	s_wait_alu 0xfffe
	s_or_b32 s2, s3, s2
	s_wait_alu 0xfffe
	s_and_b32 s3, s2, s4
	s_wait_alu 0xfffe
	s_and_saveexec_b32 s2, s3
	s_cbranch_execz .LBB3_33
; %bb.32:
	ds_load_2addr_b64 v[24:27], v23 offset1:8
	v_mov_b32_e32 v16, 1
	s_wait_dscnt 0x0
	ds_store_2addr_b64 v23, v[26:27], v[24:25] offset1:8
	ds_store_b8 v22, v15
	ds_store_b8 v22, v13 offset:8
	ds_store_b8 v21, v16
	ds_store_b8 v21, v12 offset:8
.LBB3_33:
	s_wait_alu 0xfffe
	s_or_b32 exec_lo, exec_lo, s2
	s_wait_loadcnt_dscnt 0x0
	s_barrier_signal -1
	s_barrier_wait -1
	global_inv scope:SCOPE_SE
	ds_load_u8 v12, v17
	ds_load_u8 v16, v17 offset:4
	ds_load_u8 v13, v18
	ds_load_u8 v15, v18 offset:4
	s_wait_dscnt 0x3
	v_and_b32_e32 v21, 1, v12
	s_wait_dscnt 0x2
	v_and_b32_e32 v16, 0xff, v16
	s_wait_dscnt 0x0
	v_cmp_le_u16_e64 s3, v13, v15
	v_cmp_eq_u32_e64 s2, 1, v21
	s_delay_alu instid0(VALU_DEP_3)
	v_cmp_ne_u16_e64 s4, 0, v16
	s_xor_b32 s2, s2, -1
	s_wait_alu 0xfffe
	s_or_b32 s2, s3, s2
	s_wait_alu 0xfffe
	s_and_b32 s3, s2, s4
	s_wait_alu 0xfffe
	s_and_saveexec_b32 s2, s3
	s_cbranch_execz .LBB3_35
; %bb.34:
	ds_load_2addr_b64 v[21:24], v20 offset1:4
	v_mov_b32_e32 v16, 1
	s_wait_dscnt 0x0
	ds_store_2addr_b64 v20, v[23:24], v[21:22] offset1:4
	ds_store_b8 v18, v15
	ds_store_b8 v18, v13 offset:4
	ds_store_b8 v17, v16
	ds_store_b8 v17, v12 offset:4
.LBB3_35:
	;; [unrolled: 37-line block ×3, first 2 shown]
	s_wait_alu 0xfffe
	s_or_b32 exec_lo, exec_lo, s2
	s_wait_loadcnt_dscnt 0x0
	s_barrier_signal -1
	s_barrier_wait -1
	global_inv scope:SCOPE_SE
	ds_load_u16 v10, v4
	ds_load_u16 v12, v3
	s_wait_dscnt 0x1
	v_and_b32_e32 v13, 1, v10
	s_wait_dscnt 0x0
	v_and_b32_e32 v14, 0xff, v12
	v_lshrrev_b16 v11, 8, v12
	v_lshrrev_b16 v15, 8, v10
	v_cmp_eq_u32_e64 s2, 1, v13
	s_delay_alu instid0(VALU_DEP_3) | instskip(NEXT) | instid1(VALU_DEP_3)
	v_cmp_le_u16_e64 s3, v14, v11
	v_cmp_ne_u16_e64 s4, 0, v15
	s_xor_b32 s2, s2, -1
	s_wait_alu 0xfffe
	s_or_b32 s2, s3, s2
	s_wait_alu 0xfffe
	s_and_b32 s3, s2, s4
	s_wait_alu 0xfffe
	s_and_saveexec_b32 s2, s3
	s_cbranch_execz .LBB3_39
; %bb.38:
	ds_load_b128 v[13:16], v19
	v_lshlrev_b16 v12, 8, v12
	v_lshlrev_b16 v17, 8, v10
	s_delay_alu instid0(VALU_DEP_2)
	v_or_b32_e32 v18, v11, v12
	s_wait_dscnt 0x0
	v_dual_mov_b32 v10, v15 :: v_dual_mov_b32 v11, v16
	v_dual_mov_b32 v12, v13 :: v_dual_mov_b32 v13, v14
	v_or_b32_e32 v14, 1, v17
	ds_store_b16 v3, v18
	ds_store_b128 v19, v[10:13]
	ds_store_b16 v4, v14
.LBB3_39:
	s_wait_alu 0xfffe
	s_or_b32 exec_lo, exec_lo, s2
	s_wait_loadcnt_dscnt 0x0
	s_barrier_signal -1
	s_barrier_wait -1
	global_inv scope:SCOPE_SE
	s_and_saveexec_b32 s2, s0
	s_cbranch_execz .LBB3_44
; %bb.40:
	s_and_saveexec_b32 s0, vcc_lo
	s_cbranch_execz .LBB3_42
; %bb.41:
	v_mad_co_u64_u32 v[3:4], null, v7, s7, v[2:3]
	ds_load_u8 v12, v9
	ds_load_b64 v[8:9], v8
	v_mov_b32_e32 v4, 0
	v_mad_co_u64_u32 v[10:11], null, v7, s6, v[0:1]
	s_delay_alu instid0(VALU_DEP_2) | instskip(NEXT) | instid1(VALU_DEP_1)
	v_lshlrev_b64_e32 v[3:4], 3, v[3:4]
	v_add_co_u32 v3, vcc_lo, s10, v3
	s_wait_alu 0xfffd
	s_delay_alu instid0(VALU_DEP_2)
	v_add_co_ci_u32_e64 v4, null, s11, v4, vcc_lo
	s_wait_dscnt 0x1
	global_store_b8 v10, v12, s[8:9]
	s_wait_dscnt 0x0
	global_store_b64 v[3:4], v[8:9], off
.LBB3_42:
	s_wait_alu 0xfffe
	s_or_b32 exec_lo, exec_lo, s0
	s_delay_alu instid0(SALU_CYCLE_1)
	s_and_b32 exec_lo, exec_lo, s1
	s_cbranch_execz .LBB3_44
; %bb.43:
	v_mad_co_u64_u32 v[2:3], null, v1, s7, v[2:3]
	ds_load_u8 v7, v5
	ds_load_b64 v[4:5], v6
	v_mov_b32_e32 v3, 0
	v_mad_co_u64_u32 v[0:1], null, v1, s6, v[0:1]
	s_delay_alu instid0(VALU_DEP_2) | instskip(NEXT) | instid1(VALU_DEP_1)
	v_lshlrev_b64_e32 v[2:3], 3, v[2:3]
	v_add_co_u32 v1, vcc_lo, s10, v2
	s_wait_alu 0xfffd
	s_delay_alu instid0(VALU_DEP_2)
	v_add_co_ci_u32_e64 v2, null, s11, v3, vcc_lo
	s_wait_dscnt 0x1
	global_store_b8 v0, v7, s[8:9]
	s_wait_dscnt 0x0
	global_store_b64 v[1:2], v[4:5], off
.LBB3_44:
	s_endpgm
	.section	.rodata,"a",@progbits
	.p2align	6, 0x0
	.amdhsa_kernel _ZN2at6native20bitonicSortKVInPlaceILi2ELin1ELi16ELi16EhlNS0_4GTOpIhLb1EEEjEEvNS_4cuda6detail10TensorInfoIT3_T6_EES8_S8_S8_NS6_IT4_S8_EES8_T5_
		.amdhsa_group_segment_fixed_size 5120
		.amdhsa_private_segment_fixed_size 0
		.amdhsa_kernarg_size 712
		.amdhsa_user_sgpr_count 2
		.amdhsa_user_sgpr_dispatch_ptr 0
		.amdhsa_user_sgpr_queue_ptr 0
		.amdhsa_user_sgpr_kernarg_segment_ptr 1
		.amdhsa_user_sgpr_dispatch_id 0
		.amdhsa_user_sgpr_private_segment_size 0
		.amdhsa_wavefront_size32 1
		.amdhsa_uses_dynamic_stack 0
		.amdhsa_enable_private_segment 0
		.amdhsa_system_sgpr_workgroup_id_x 1
		.amdhsa_system_sgpr_workgroup_id_y 1
		.amdhsa_system_sgpr_workgroup_id_z 1
		.amdhsa_system_sgpr_workgroup_info 0
		.amdhsa_system_vgpr_workitem_id 1
		.amdhsa_next_free_vgpr 34
		.amdhsa_next_free_sgpr 19
		.amdhsa_reserve_vcc 1
		.amdhsa_float_round_mode_32 0
		.amdhsa_float_round_mode_16_64 0
		.amdhsa_float_denorm_mode_32 3
		.amdhsa_float_denorm_mode_16_64 3
		.amdhsa_fp16_overflow 0
		.amdhsa_workgroup_processor_mode 1
		.amdhsa_memory_ordered 1
		.amdhsa_forward_progress 1
		.amdhsa_inst_pref_size 38
		.amdhsa_round_robin_scheduling 0
		.amdhsa_exception_fp_ieee_invalid_op 0
		.amdhsa_exception_fp_denorm_src 0
		.amdhsa_exception_fp_ieee_div_zero 0
		.amdhsa_exception_fp_ieee_overflow 0
		.amdhsa_exception_fp_ieee_underflow 0
		.amdhsa_exception_fp_ieee_inexact 0
		.amdhsa_exception_int_div_zero 0
	.end_amdhsa_kernel
	.section	.text._ZN2at6native20bitonicSortKVInPlaceILi2ELin1ELi16ELi16EhlNS0_4GTOpIhLb1EEEjEEvNS_4cuda6detail10TensorInfoIT3_T6_EES8_S8_S8_NS6_IT4_S8_EES8_T5_,"axG",@progbits,_ZN2at6native20bitonicSortKVInPlaceILi2ELin1ELi16ELi16EhlNS0_4GTOpIhLb1EEEjEEvNS_4cuda6detail10TensorInfoIT3_T6_EES8_S8_S8_NS6_IT4_S8_EES8_T5_,comdat
.Lfunc_end3:
	.size	_ZN2at6native20bitonicSortKVInPlaceILi2ELin1ELi16ELi16EhlNS0_4GTOpIhLb1EEEjEEvNS_4cuda6detail10TensorInfoIT3_T6_EES8_S8_S8_NS6_IT4_S8_EES8_T5_, .Lfunc_end3-_ZN2at6native20bitonicSortKVInPlaceILi2ELin1ELi16ELi16EhlNS0_4GTOpIhLb1EEEjEEvNS_4cuda6detail10TensorInfoIT3_T6_EES8_S8_S8_NS6_IT4_S8_EES8_T5_
                                        ; -- End function
	.set _ZN2at6native20bitonicSortKVInPlaceILi2ELin1ELi16ELi16EhlNS0_4GTOpIhLb1EEEjEEvNS_4cuda6detail10TensorInfoIT3_T6_EES8_S8_S8_NS6_IT4_S8_EES8_T5_.num_vgpr, 34
	.set _ZN2at6native20bitonicSortKVInPlaceILi2ELin1ELi16ELi16EhlNS0_4GTOpIhLb1EEEjEEvNS_4cuda6detail10TensorInfoIT3_T6_EES8_S8_S8_NS6_IT4_S8_EES8_T5_.num_agpr, 0
	.set _ZN2at6native20bitonicSortKVInPlaceILi2ELin1ELi16ELi16EhlNS0_4GTOpIhLb1EEEjEEvNS_4cuda6detail10TensorInfoIT3_T6_EES8_S8_S8_NS6_IT4_S8_EES8_T5_.numbered_sgpr, 19
	.set _ZN2at6native20bitonicSortKVInPlaceILi2ELin1ELi16ELi16EhlNS0_4GTOpIhLb1EEEjEEvNS_4cuda6detail10TensorInfoIT3_T6_EES8_S8_S8_NS6_IT4_S8_EES8_T5_.num_named_barrier, 0
	.set _ZN2at6native20bitonicSortKVInPlaceILi2ELin1ELi16ELi16EhlNS0_4GTOpIhLb1EEEjEEvNS_4cuda6detail10TensorInfoIT3_T6_EES8_S8_S8_NS6_IT4_S8_EES8_T5_.private_seg_size, 0
	.set _ZN2at6native20bitonicSortKVInPlaceILi2ELin1ELi16ELi16EhlNS0_4GTOpIhLb1EEEjEEvNS_4cuda6detail10TensorInfoIT3_T6_EES8_S8_S8_NS6_IT4_S8_EES8_T5_.uses_vcc, 1
	.set _ZN2at6native20bitonicSortKVInPlaceILi2ELin1ELi16ELi16EhlNS0_4GTOpIhLb1EEEjEEvNS_4cuda6detail10TensorInfoIT3_T6_EES8_S8_S8_NS6_IT4_S8_EES8_T5_.uses_flat_scratch, 0
	.set _ZN2at6native20bitonicSortKVInPlaceILi2ELin1ELi16ELi16EhlNS0_4GTOpIhLb1EEEjEEvNS_4cuda6detail10TensorInfoIT3_T6_EES8_S8_S8_NS6_IT4_S8_EES8_T5_.has_dyn_sized_stack, 0
	.set _ZN2at6native20bitonicSortKVInPlaceILi2ELin1ELi16ELi16EhlNS0_4GTOpIhLb1EEEjEEvNS_4cuda6detail10TensorInfoIT3_T6_EES8_S8_S8_NS6_IT4_S8_EES8_T5_.has_recursion, 0
	.set _ZN2at6native20bitonicSortKVInPlaceILi2ELin1ELi16ELi16EhlNS0_4GTOpIhLb1EEEjEEvNS_4cuda6detail10TensorInfoIT3_T6_EES8_S8_S8_NS6_IT4_S8_EES8_T5_.has_indirect_call, 0
	.section	.AMDGPU.csdata,"",@progbits
; Kernel info:
; codeLenInByte = 4820
; TotalNumSgprs: 21
; NumVgprs: 34
; ScratchSize: 0
; MemoryBound: 0
; FloatMode: 240
; IeeeMode: 1
; LDSByteSize: 5120 bytes/workgroup (compile time only)
; SGPRBlocks: 0
; VGPRBlocks: 4
; NumSGPRsForWavesPerEU: 21
; NumVGPRsForWavesPerEU: 34
; Occupancy: 16
; WaveLimiterHint : 1
; COMPUTE_PGM_RSRC2:SCRATCH_EN: 0
; COMPUTE_PGM_RSRC2:USER_SGPR: 2
; COMPUTE_PGM_RSRC2:TRAP_HANDLER: 0
; COMPUTE_PGM_RSRC2:TGID_X_EN: 1
; COMPUTE_PGM_RSRC2:TGID_Y_EN: 1
; COMPUTE_PGM_RSRC2:TGID_Z_EN: 1
; COMPUTE_PGM_RSRC2:TIDIG_COMP_CNT: 1
	.section	.text._ZN2at6native20bitonicSortKVInPlaceILin1ELin1ELi16ELi16EhlNS0_4LTOpIhLb1EEEjEEvNS_4cuda6detail10TensorInfoIT3_T6_EES8_S8_S8_NS6_IT4_S8_EES8_T5_,"axG",@progbits,_ZN2at6native20bitonicSortKVInPlaceILin1ELin1ELi16ELi16EhlNS0_4LTOpIhLb1EEEjEEvNS_4cuda6detail10TensorInfoIT3_T6_EES8_S8_S8_NS6_IT4_S8_EES8_T5_,comdat
	.protected	_ZN2at6native20bitonicSortKVInPlaceILin1ELin1ELi16ELi16EhlNS0_4LTOpIhLb1EEEjEEvNS_4cuda6detail10TensorInfoIT3_T6_EES8_S8_S8_NS6_IT4_S8_EES8_T5_ ; -- Begin function _ZN2at6native20bitonicSortKVInPlaceILin1ELin1ELi16ELi16EhlNS0_4LTOpIhLb1EEEjEEvNS_4cuda6detail10TensorInfoIT3_T6_EES8_S8_S8_NS6_IT4_S8_EES8_T5_
	.globl	_ZN2at6native20bitonicSortKVInPlaceILin1ELin1ELi16ELi16EhlNS0_4LTOpIhLb1EEEjEEvNS_4cuda6detail10TensorInfoIT3_T6_EES8_S8_S8_NS6_IT4_S8_EES8_T5_
	.p2align	8
	.type	_ZN2at6native20bitonicSortKVInPlaceILin1ELin1ELi16ELi16EhlNS0_4LTOpIhLb1EEEjEEvNS_4cuda6detail10TensorInfoIT3_T6_EES8_S8_S8_NS6_IT4_S8_EES8_T5_,@function
_ZN2at6native20bitonicSortKVInPlaceILin1ELin1ELi16ELi16EhlNS0_4LTOpIhLb1EEEjEEvNS_4cuda6detail10TensorInfoIT3_T6_EES8_S8_S8_NS6_IT4_S8_EES8_T5_: ; @_ZN2at6native20bitonicSortKVInPlaceILin1ELin1ELi16ELi16EhlNS0_4LTOpIhLb1EEEjEEvNS_4cuda6detail10TensorInfoIT3_T6_EES8_S8_S8_NS6_IT4_S8_EES8_T5_
; %bb.0:
	s_clause 0x2
	s_load_b64 s[2:3], s[0:1], 0x1c8
	s_load_u16 s7, s[0:1], 0x1d6
	s_load_b96 s[4:6], s[0:1], 0xd8
	s_lshr_b32 s8, ttmp7, 16
	s_wait_kmcnt 0x0
	s_mul_i32 s3, s3, s8
	s_and_b32 s8, ttmp7, 0xffff
	s_delay_alu instid0(SALU_CYCLE_1) | instskip(NEXT) | instid1(SALU_CYCLE_1)
	s_add_co_i32 s3, s3, s8
	s_mul_i32 s2, s3, s2
	s_delay_alu instid0(SALU_CYCLE_1) | instskip(NEXT) | instid1(SALU_CYCLE_1)
	s_add_co_i32 s3, s2, ttmp9
	s_mul_i32 s3, s3, s7
	s_delay_alu instid0(SALU_CYCLE_1)
	s_cmp_ge_u32 s3, s4
	s_cbranch_scc1 .LBB4_46
; %bb.1:
	s_load_b32 s2, s[0:1], 0xd0
	v_bfe_u32 v8, v0, 10, 10
	s_delay_alu instid0(VALU_DEP_1) | instskip(NEXT) | instid1(VALU_DEP_1)
	v_dual_mov_b32 v1, 0 :: v_dual_add_nc_u32 v4, s3, v8
	v_mov_b32_e32 v5, v4
	s_wait_kmcnt 0x0
	s_cmp_lt_i32 s2, 2
	s_cbranch_scc1 .LBB4_4
; %bb.2:
	s_add_co_i32 s8, s2, -1
	s_mov_b32 s9, 0
	v_mov_b32_e32 v1, 0
	s_lshl_b64 s[8:9], s[8:9], 2
	v_mov_b32_e32 v5, v4
	s_add_nc_u64 s[8:9], s[0:1], s[8:9]
	s_add_co_i32 s7, s2, 1
	s_add_nc_u64 s[2:3], s[8:9], 8
.LBB4_3:                                ; =>This Inner Loop Header: Depth=1
	s_clause 0x1
	s_load_b32 s8, s[2:3], 0x0
	s_load_b32 s9, s[2:3], 0x64
	s_add_co_i32 s7, s7, -1
	s_add_nc_u64 s[2:3], s[2:3], -4
	s_wait_kmcnt 0x0
	s_cvt_f32_u32 s10, s8
	s_sub_co_i32 s11, 0, s8
	s_wait_alu 0xfffe
	s_delay_alu instid0(SALU_CYCLE_1) | instskip(NEXT) | instid1(TRANS32_DEP_1)
	v_rcp_iflag_f32_e32 v2, s10
	v_readfirstlane_b32 s10, v2
	v_mov_b32_e32 v2, v5
	s_mul_f32 s10, s10, 0x4f7ffffe
	s_wait_alu 0xfffe
	s_delay_alu instid0(SALU_CYCLE_2) | instskip(SKIP_1) | instid1(SALU_CYCLE_2)
	s_cvt_u32_f32 s10, s10
	s_wait_alu 0xfffe
	s_mul_i32 s11, s11, s10
	s_wait_alu 0xfffe
	s_mul_hi_u32 s11, s10, s11
	s_wait_alu 0xfffe
	s_add_co_i32 s10, s10, s11
	s_cmp_gt_u32 s7, 2
	s_wait_alu 0xfffe
	v_mul_hi_u32 v3, v2, s10
	s_delay_alu instid0(VALU_DEP_1) | instskip(SKIP_1) | instid1(VALU_DEP_2)
	v_mul_lo_u32 v5, v3, s8
	v_add_nc_u32_e32 v6, 1, v3
	v_sub_nc_u32_e32 v5, v2, v5
	s_delay_alu instid0(VALU_DEP_1) | instskip(SKIP_3) | instid1(VALU_DEP_3)
	v_subrev_nc_u32_e32 v7, s8, v5
	v_cmp_le_u32_e32 vcc_lo, s8, v5
	s_wait_alu 0xfffd
	v_cndmask_b32_e32 v3, v3, v6, vcc_lo
	v_cndmask_b32_e32 v5, v5, v7, vcc_lo
	s_delay_alu instid0(VALU_DEP_2) | instskip(NEXT) | instid1(VALU_DEP_2)
	v_add_nc_u32_e32 v6, 1, v3
	v_cmp_le_u32_e32 vcc_lo, s8, v5
	s_wait_alu 0xfffd
	s_delay_alu instid0(VALU_DEP_2) | instskip(NEXT) | instid1(VALU_DEP_1)
	v_cndmask_b32_e32 v5, v3, v6, vcc_lo
	v_mul_lo_u32 v3, v5, s8
	s_delay_alu instid0(VALU_DEP_1) | instskip(NEXT) | instid1(VALU_DEP_1)
	v_sub_nc_u32_e32 v2, v2, v3
	v_mad_co_u64_u32 v[1:2], null, s9, v2, v[1:2]
	s_cbranch_scc1 .LBB4_3
.LBB4_4:
	s_load_b32 s7, s[0:1], 0x1b8
	v_dual_mov_b32 v2, 0 :: v_dual_mov_b32 v7, v4
	s_add_nc_u64 s[2:3], s[0:1], 0x1c8
	s_wait_kmcnt 0x0
	s_cmp_lt_i32 s7, 2
	s_cbranch_scc1 .LBB4_7
; %bb.5:
	s_add_co_i32 s8, s7, -1
	s_mov_b32 s9, 0
	v_dual_mov_b32 v2, 0 :: v_dual_mov_b32 v7, v4
	s_wait_alu 0xfffe
	s_lshl_b64 s[8:9], s[8:9], 2
	s_add_co_i32 s7, s7, 1
	s_wait_alu 0xfffe
	s_add_nc_u64 s[8:9], s[0:1], s[8:9]
	s_wait_alu 0xfffe
	s_add_nc_u64 s[8:9], s[8:9], 0xf0
.LBB4_6:                                ; =>This Inner Loop Header: Depth=1
	s_clause 0x1
	s_load_b32 s10, s[8:9], 0x0
	s_load_b32 s11, s[8:9], 0x64
	s_add_co_i32 s7, s7, -1
	s_add_nc_u64 s[8:9], s[8:9], -4
	s_wait_kmcnt 0x0
	s_cvt_f32_u32 s12, s10
	s_sub_co_i32 s13, 0, s10
	s_wait_alu 0xfffe
	s_delay_alu instid0(SALU_CYCLE_1) | instskip(NEXT) | instid1(TRANS32_DEP_1)
	v_rcp_iflag_f32_e32 v3, s12
	v_readfirstlane_b32 s12, v3
	v_mov_b32_e32 v3, v7
	s_mul_f32 s12, s12, 0x4f7ffffe
	s_wait_alu 0xfffe
	s_delay_alu instid0(SALU_CYCLE_2) | instskip(SKIP_1) | instid1(SALU_CYCLE_2)
	s_cvt_u32_f32 s12, s12
	s_wait_alu 0xfffe
	s_mul_i32 s13, s13, s12
	s_wait_alu 0xfffe
	s_mul_hi_u32 s13, s12, s13
	s_wait_alu 0xfffe
	s_add_co_i32 s12, s12, s13
	s_cmp_gt_u32 s7, 2
	s_wait_alu 0xfffe
	v_mul_hi_u32 v6, v3, s12
	s_delay_alu instid0(VALU_DEP_1) | instskip(SKIP_1) | instid1(VALU_DEP_2)
	v_mul_lo_u32 v7, v6, s10
	v_add_nc_u32_e32 v9, 1, v6
	v_sub_nc_u32_e32 v7, v3, v7
	s_delay_alu instid0(VALU_DEP_1) | instskip(SKIP_2) | instid1(VALU_DEP_2)
	v_subrev_nc_u32_e32 v10, s10, v7
	v_cmp_le_u32_e32 vcc_lo, s10, v7
	s_wait_alu 0xfffd
	v_dual_cndmask_b32 v6, v6, v9 :: v_dual_cndmask_b32 v7, v7, v10
	s_delay_alu instid0(VALU_DEP_1) | instskip(NEXT) | instid1(VALU_DEP_2)
	v_add_nc_u32_e32 v9, 1, v6
	v_cmp_le_u32_e32 vcc_lo, s10, v7
	s_wait_alu 0xfffd
	s_delay_alu instid0(VALU_DEP_2) | instskip(NEXT) | instid1(VALU_DEP_1)
	v_cndmask_b32_e32 v7, v6, v9, vcc_lo
	v_mul_lo_u32 v6, v7, s10
	s_delay_alu instid0(VALU_DEP_1) | instskip(NEXT) | instid1(VALU_DEP_1)
	v_sub_nc_u32_e32 v3, v3, v6
	v_mad_co_u64_u32 v[2:3], null, s11, v3, v[2:3]
	s_cbranch_scc1 .LBB4_6
.LBB4_7:
	s_clause 0x1
	s_load_b32 s12, s[0:1], 0x6c
	s_load_b32 s13, s[0:1], 0x154
	;; [unrolled: 1-line block ×3, first 2 shown]
	s_clause 0x2
	s_load_b32 s7, s[0:1], 0x1c0
	s_load_b64 s[8:9], s[0:1], 0x0
	s_load_b64 s[10:11], s[0:1], 0xe8
	v_and_b32_e32 v6, 0x3ff, v0
	v_cmp_gt_u32_e64 s0, s4, v4
	v_dual_mov_b32 v10, 0 :: v_dual_mov_b32 v11, 0
	s_wait_kmcnt 0x0
	v_mad_co_u64_u32 v[0:1], null, s12, v5, v[1:2]
	v_mad_co_u64_u32 v[1:2], null, s13, v7, v[2:3]
	v_mov_b32_e32 v2, 0
	v_mov_b32_e32 v3, 0
	v_cmp_gt_u32_e32 vcc_lo, s5, v6
	v_mov_b32_e32 v4, 0
	v_mov_b32_e32 v5, 0
	s_and_b32 s4, s0, vcc_lo
	s_wait_alu 0xfffe
	s_and_saveexec_b32 s3, s4
	s_cbranch_execz .LBB4_9
; %bb.8:
	v_mad_co_u64_u32 v[4:5], null, v6, s7, v[1:2]
	v_mov_b32_e32 v5, 0
	v_mad_co_u64_u32 v[11:12], null, v6, s6, v[0:1]
	s_delay_alu instid0(VALU_DEP_2) | instskip(NEXT) | instid1(VALU_DEP_1)
	v_lshlrev_b64_e32 v[4:5], 3, v[4:5]
	v_add_co_u32 v4, s1, s10, v4
	s_delay_alu instid0(VALU_DEP_1)
	v_add_co_ci_u32_e64 v5, null, s11, v5, s1
	global_load_u8 v11, v11, s[8:9]
	global_load_b64 v[4:5], v[4:5], off
.LBB4_9:
	s_wait_alu 0xfffe
	s_or_b32 exec_lo, exec_lo, s3
	v_lshlrev_b32_e32 v9, 5, v8
	s_and_b32 s3, 0xffff, s2
	v_lshlrev_b32_e32 v12, 8, v8
	s_wait_alu 0xfffe
	v_add_nc_u32_e32 v7, s3, v6
	v_cndmask_b32_e64 v14, 0, 1, s4
	v_add_nc_u32_e32 v13, 0x1000, v9
	v_add_nc_u32_e32 v15, 0x1200, v9
	v_lshl_add_u32 v8, v6, 3, v12
	v_cmp_gt_u32_e64 s1, s5, v7
	s_delay_alu instid0(VALU_DEP_4) | instskip(NEXT) | instid1(VALU_DEP_4)
	v_add_nc_u32_e32 v9, v13, v6
	v_add_nc_u32_e32 v16, v15, v6
	s_wait_loadcnt 0x1
	ds_store_b8 v9, v11
	s_wait_loadcnt 0x0
	ds_store_b64 v8, v[4:5]
	ds_store_b8 v16, v14
	s_and_b32 s4, s0, s1
	s_wait_alu 0xfffe
	s_and_saveexec_b32 s5, s4
	s_cbranch_execz .LBB4_11
; %bb.10:
	v_mad_co_u64_u32 v[2:3], null, v7, s7, v[1:2]
	v_mov_b32_e32 v3, 0
	v_mad_co_u64_u32 v[4:5], null, v7, s6, v[0:1]
	s_delay_alu instid0(VALU_DEP_2) | instskip(NEXT) | instid1(VALU_DEP_1)
	v_lshlrev_b64_e32 v[2:3], 3, v[2:3]
	v_add_co_u32 v2, s2, s10, v2
	s_wait_alu 0xf1ff
	s_delay_alu instid0(VALU_DEP_2)
	v_add_co_ci_u32_e64 v3, null, s11, v3, s2
	global_load_u8 v10, v4, s[8:9]
	global_load_b64 v[2:3], v[2:3], off
.LBB4_11:
	s_wait_alu 0xfffe
	s_or_b32 exec_lo, exec_lo, s5
	v_add_nc_u32_e32 v4, v13, v7
	v_lshlrev_b32_e32 v16, 1, v6
	v_lshl_add_u32 v5, s3, 3, v8
	v_cndmask_b32_e64 v11, 0, 1, s4
	v_add_nc_u32_e32 v14, v15, v7
	s_wait_loadcnt 0x1
	ds_store_b8 v4, v10
	s_wait_loadcnt 0x0
	ds_store_b64 v5, v[2:3]
	ds_store_b8 v14, v11
	v_add_nc_u32_e32 v2, v13, v16
	v_add_nc_u32_e32 v3, v15, v16
	s_wait_dscnt 0x0
	s_barrier_signal -1
	s_barrier_wait -1
	global_inv scope:SCOPE_SE
	ds_load_u16 v18, v2
	ds_load_u16 v14, v3
	v_and_b32_e32 v10, 1, v6
	s_wait_dscnt 0x1
	v_and_b32_e32 v17, 0xff, v18
	s_wait_dscnt 0x0
	v_lshrrev_b16 v11, 8, v14
	v_lshrrev_b16 v19, 8, v18
	v_and_b32_e32 v20, 1, v14
	s_delay_alu instid0(VALU_DEP_3) | instskip(NEXT) | instid1(VALU_DEP_3)
	v_cmp_ne_u16_e64 s4, v11, v10
	v_cmp_lt_u16_e64 s2, v17, v19
	s_delay_alu instid0(VALU_DEP_3) | instskip(SKIP_1) | instid1(VALU_DEP_3)
	v_cmp_eq_u32_e64 s3, 1, v20
	s_wait_alu 0xf1ff
	v_cndmask_b32_e64 v17, 0, 1, s4
	s_and_b32 s2, s2, s3
	s_wait_alu 0xfffe
	s_delay_alu instid0(VALU_DEP_1) | instskip(NEXT) | instid1(VALU_DEP_1)
	v_cndmask_b32_e64 v17, v17, v6, s2
	v_and_b32_e32 v17, 1, v17
	s_delay_alu instid0(VALU_DEP_1)
	v_cmp_eq_u32_e64 s2, 1, v17
	v_lshl_add_u32 v17, v6, 3, v8
	s_and_saveexec_b32 s3, s2
	s_wait_alu 0xfffe
	s_xor_b32 s2, exec_lo, s3
	s_cbranch_execz .LBB4_13
; %bb.12:
	ds_load_b128 v[20:23], v17
	v_lshlrev_b16 v18, 8, v18
	v_lshlrev_b16 v14, 8, v14
	s_delay_alu instid0(VALU_DEP_2) | instskip(NEXT) | instid1(VALU_DEP_2)
	v_or_b32_e32 v24, v19, v18
	v_or_b32_e32 v11, v11, v14
	s_wait_dscnt 0x0
	v_dual_mov_b32 v18, v22 :: v_dual_mov_b32 v19, v23
	ds_store_b16 v2, v24
	ds_store_b128 v17, v[18:21]
	ds_store_b16 v3, v11
.LBB4_13:
	s_wait_alu 0xfffe
	s_or_b32 exec_lo, exec_lo, s2
	v_sub_nc_u32_e32 v14, v16, v10
	s_wait_loadcnt_dscnt 0x0
	s_barrier_signal -1
	s_barrier_wait -1
	global_inv scope:SCOPE_SE
	v_add_nc_u32_e32 v10, v15, v14
	v_add_nc_u32_e32 v11, v13, v14
	v_bfe_u32 v23, v6, 1, 1
	v_lshl_add_u32 v14, v14, 3, v12
	ds_load_u8 v19, v10
	ds_load_u8 v20, v11
	ds_load_u8 v22, v11 offset:2
	ds_load_u8 v21, v10 offset:2
	s_wait_dscnt 0x3
	v_and_b32_e32 v18, 1, v19
	s_wait_dscnt 0x1
	v_cmp_lt_u16_e64 s2, v20, v22
	s_wait_dscnt 0x0
	v_cmp_ne_u16_e64 s4, v21, v23
	v_cmp_eq_u32_e64 s3, 1, v18
	s_wait_alu 0xf1ff
	s_delay_alu instid0(VALU_DEP_2) | instskip(SKIP_2) | instid1(VALU_DEP_1)
	v_cndmask_b32_e64 v18, 0, 1, s4
	s_and_b32 s2, s2, s3
	s_wait_alu 0xfffe
	v_cndmask_b32_e64 v23, v18, v23, s2
	v_and_b32_e32 v18, 2, v6
	s_delay_alu instid0(VALU_DEP_2) | instskip(NEXT) | instid1(VALU_DEP_2)
	v_and_b32_e32 v23, 1, v23
	v_cmp_ne_u32_e64 s2, 0, v18
	s_delay_alu instid0(VALU_DEP_2)
	v_cmp_eq_u32_e64 s3, 1, v23
	s_and_saveexec_b32 s4, s3
	s_wait_alu 0xfffe
	s_xor_b32 s3, exec_lo, s4
	s_cbranch_execz .LBB4_15
; %bb.14:
	ds_load_2addr_b64 v[23:26], v14 offset1:2
	s_wait_dscnt 0x0
	ds_store_2addr_b64 v14, v[25:26], v[23:24] offset1:2
	ds_store_b8 v11, v22
	ds_store_b8 v11, v20 offset:2
	ds_store_b8 v10, v21
	ds_store_b8 v10, v19 offset:2
.LBB4_15:
	s_wait_alu 0xfffe
	s_or_b32 exec_lo, exec_lo, s3
	s_wait_loadcnt_dscnt 0x0
	s_barrier_signal -1
	s_barrier_wait -1
	global_inv scope:SCOPE_SE
	ds_load_u16 v20, v2
	ds_load_u16 v19, v3
	v_lshrrev_b32_e32 v22, 1, v18
	v_cndmask_b32_e64 v25, 0, 1, s2
	s_wait_dscnt 0x1
	v_and_b32_e32 v23, 0xff, v20
	s_wait_dscnt 0x0
	v_lshrrev_b16 v18, 8, v19
	v_lshrrev_b16 v21, 8, v20
	v_and_b32_e32 v24, 1, v19
	s_delay_alu instid0(VALU_DEP_3) | instskip(NEXT) | instid1(VALU_DEP_3)
	v_cmp_ne_u16_e64 s4, v18, v22
	v_cmp_lt_u16_e64 s2, v23, v21
	s_delay_alu instid0(VALU_DEP_3) | instskip(SKIP_1) | instid1(VALU_DEP_3)
	v_cmp_eq_u32_e64 s3, 1, v24
	s_wait_alu 0xf1ff
	v_cndmask_b32_e64 v22, 0, 1, s4
	s_and_b32 s2, s2, s3
	s_mov_b32 s3, exec_lo
	s_wait_alu 0xfffe
	s_delay_alu instid0(VALU_DEP_1) | instskip(NEXT) | instid1(VALU_DEP_1)
	v_cndmask_b32_e64 v22, v22, v25, s2
	v_and_b32_e32 v22, 1, v22
	s_delay_alu instid0(VALU_DEP_1)
	v_cmpx_eq_u32_e32 1, v22
	s_cbranch_execz .LBB4_17
; %bb.16:
	ds_load_b128 v[22:25], v17
	v_lshlrev_b16 v20, 8, v20
	v_lshlrev_b16 v26, 8, v19
	s_delay_alu instid0(VALU_DEP_2) | instskip(NEXT) | instid1(VALU_DEP_2)
	v_or_b32_e32 v27, v21, v20
	v_or_b32_e32 v18, v18, v26
	s_wait_dscnt 0x0
	v_dual_mov_b32 v19, v24 :: v_dual_mov_b32 v20, v25
	v_dual_mov_b32 v21, v22 :: v_dual_mov_b32 v22, v23
	ds_store_b16 v2, v27
	ds_store_b128 v17, v[19:22]
	ds_store_b16 v3, v18
.LBB4_17:
	s_or_b32 exec_lo, exec_lo, s3
	v_and_b32_e32 v17, 3, v6
	s_wait_loadcnt_dscnt 0x0
	s_barrier_signal -1
	s_barrier_wait -1
	global_inv scope:SCOPE_SE
	v_sub_nc_u32_e32 v20, v16, v17
	v_bfe_u32 v25, v6, 2, 1
	s_delay_alu instid0(VALU_DEP_2)
	v_add_nc_u32_e32 v17, v15, v20
	v_add_nc_u32_e32 v18, v13, v20
	v_lshl_add_u32 v20, v20, 3, v12
	ds_load_u8 v21, v17
	ds_load_u8 v22, v18
	ds_load_u8 v24, v18 offset:4
	ds_load_u8 v23, v17 offset:4
	s_wait_dscnt 0x3
	v_and_b32_e32 v19, 1, v21
	s_wait_dscnt 0x1
	v_cmp_lt_u16_e64 s2, v22, v24
	s_wait_dscnt 0x0
	v_cmp_ne_u16_e64 s4, v23, v25
	v_cmp_eq_u32_e64 s3, 1, v19
	s_wait_alu 0xf1ff
	s_delay_alu instid0(VALU_DEP_2) | instskip(SKIP_3) | instid1(VALU_DEP_1)
	v_cndmask_b32_e64 v19, 0, 1, s4
	s_mov_b32 s4, exec_lo
	s_and_b32 s2, s2, s3
	s_wait_alu 0xfffe
	v_cndmask_b32_e64 v25, v19, v25, s2
	v_and_b32_e32 v19, 4, v6
	s_delay_alu instid0(VALU_DEP_2) | instskip(NEXT) | instid1(VALU_DEP_2)
	v_and_b32_e32 v25, 1, v25
	v_cmp_ne_u32_e64 s2, 0, v19
	s_delay_alu instid0(VALU_DEP_2)
	v_cmpx_eq_u32_e32 1, v25
	s_cbranch_execz .LBB4_19
; %bb.18:
	ds_load_2addr_b64 v[25:28], v20 offset1:4
	s_wait_dscnt 0x0
	ds_store_2addr_b64 v20, v[27:28], v[25:26] offset1:4
	ds_store_b8 v18, v24
	ds_store_b8 v18, v22 offset:4
	ds_store_b8 v17, v23
	ds_store_b8 v17, v21 offset:4
.LBB4_19:
	s_or_b32 exec_lo, exec_lo, s4
	s_wait_loadcnt_dscnt 0x0
	s_barrier_signal -1
	s_barrier_wait -1
	global_inv scope:SCOPE_SE
	ds_load_u8 v22, v10
	ds_load_u8 v23, v11
	ds_load_u8 v25, v11 offset:2
	ds_load_u8 v24, v10 offset:2
	v_lshrrev_b32_e32 v19, 2, v19
	v_cndmask_b32_e64 v21, 0, 1, s2
	s_wait_dscnt 0x3
	v_and_b32_e32 v26, 1, v22
	s_wait_dscnt 0x1
	v_cmp_lt_u16_e64 s2, v23, v25
	s_wait_dscnt 0x0
	v_cmp_ne_u16_e64 s4, v24, v19
	v_cmp_eq_u32_e64 s3, 1, v26
	s_wait_alu 0xf1ff
	s_delay_alu instid0(VALU_DEP_2) | instskip(SKIP_3) | instid1(VALU_DEP_1)
	v_cndmask_b32_e64 v26, 0, 1, s4
	s_and_b32 s2, s2, s3
	s_mov_b32 s3, exec_lo
	s_wait_alu 0xfffe
	v_cndmask_b32_e64 v26, v26, v21, s2
	s_delay_alu instid0(VALU_DEP_1) | instskip(NEXT) | instid1(VALU_DEP_1)
	v_and_b32_e32 v26, 1, v26
	v_cmpx_eq_u32_e32 1, v26
	s_cbranch_execz .LBB4_21
; %bb.20:
	ds_load_2addr_b64 v[26:29], v14 offset1:2
	s_wait_dscnt 0x0
	ds_store_2addr_b64 v14, v[28:29], v[26:27] offset1:2
	ds_store_b8 v11, v25
	ds_store_b8 v11, v23 offset:2
	ds_store_b8 v10, v24
	ds_store_b8 v10, v22 offset:2
.LBB4_21:
	s_or_b32 exec_lo, exec_lo, s3
	s_wait_loadcnt_dscnt 0x0
	s_barrier_signal -1
	s_barrier_wait -1
	global_inv scope:SCOPE_SE
	ds_load_u16 v25, v2
	ds_load_u16 v23, v3
	s_wait_dscnt 0x1
	v_and_b32_e32 v26, 0xff, v25
	s_wait_dscnt 0x0
	v_lshrrev_b16 v22, 8, v23
	v_lshrrev_b16 v24, 8, v25
	v_and_b32_e32 v27, 1, v23
	s_delay_alu instid0(VALU_DEP_3) | instskip(NEXT) | instid1(VALU_DEP_3)
	v_cmp_ne_u16_e64 s4, v22, v19
	v_cmp_lt_u16_e64 s2, v26, v24
	s_delay_alu instid0(VALU_DEP_3) | instskip(SKIP_1) | instid1(VALU_DEP_3)
	v_cmp_eq_u32_e64 s3, 1, v27
	s_wait_alu 0xf1ff
	v_cndmask_b32_e64 v19, 0, 1, s4
	s_and_b32 s2, s2, s3
	s_wait_alu 0xfffe
	s_delay_alu instid0(VALU_DEP_1) | instskip(NEXT) | instid1(VALU_DEP_1)
	v_cndmask_b32_e64 v19, v19, v21, s2
	v_and_b32_e32 v19, 1, v19
	s_delay_alu instid0(VALU_DEP_1)
	v_cmp_eq_u32_e64 s2, 1, v19
	v_lshl_add_u32 v19, v16, 3, v12
	s_and_saveexec_b32 s3, s2
	s_cbranch_execz .LBB4_23
; %bb.22:
	ds_load_b128 v[26:29], v19
	v_lshlrev_b16 v21, 8, v25
	v_lshlrev_b16 v30, 8, v23
	s_delay_alu instid0(VALU_DEP_2) | instskip(NEXT) | instid1(VALU_DEP_2)
	v_or_b32_e32 v21, v24, v21
	v_or_b32_e32 v22, v22, v30
	s_wait_dscnt 0x0
	v_dual_mov_b32 v23, v28 :: v_dual_mov_b32 v24, v29
	v_dual_mov_b32 v25, v26 :: v_dual_mov_b32 v26, v27
	ds_store_b16 v2, v21
	ds_store_b128 v19, v[23:26]
	ds_store_b16 v3, v22
.LBB4_23:
	s_wait_alu 0xfffe
	s_or_b32 exec_lo, exec_lo, s3
	v_and_b32_e32 v21, 7, v6
	s_wait_loadcnt_dscnt 0x0
	s_barrier_signal -1
	s_barrier_wait -1
	global_inv scope:SCOPE_SE
	v_sub_nc_u32_e32 v23, v16, v21
	v_bfe_u32 v29, v6, 3, 1
	s_delay_alu instid0(VALU_DEP_2)
	v_add_nc_u32_e32 v21, v15, v23
	v_add_nc_u32_e32 v22, v13, v23
	v_lshl_add_u32 v23, v23, 3, v12
	ds_load_u8 v25, v21
	ds_load_u8 v26, v22
	ds_load_u8 v28, v22 offset:8
	ds_load_u8 v27, v21 offset:8
	s_wait_dscnt 0x3
	v_and_b32_e32 v24, 1, v25
	s_wait_dscnt 0x1
	v_cmp_lt_u16_e64 s2, v26, v28
	s_wait_dscnt 0x0
	v_cmp_ne_u16_e64 s4, v27, v29
	v_cmp_eq_u32_e64 s3, 1, v24
	s_wait_alu 0xf1ff
	s_delay_alu instid0(VALU_DEP_2) | instskip(SKIP_3) | instid1(VALU_DEP_1)
	v_cndmask_b32_e64 v24, 0, 1, s4
	s_mov_b32 s4, exec_lo
	s_and_b32 s2, s2, s3
	s_wait_alu 0xfffe
	v_cndmask_b32_e64 v29, v24, v29, s2
	v_and_b32_e32 v24, 8, v6
	s_delay_alu instid0(VALU_DEP_2) | instskip(NEXT) | instid1(VALU_DEP_2)
	v_and_b32_e32 v29, 1, v29
	v_cmp_ne_u32_e64 s2, 0, v24
	s_delay_alu instid0(VALU_DEP_2)
	v_cmpx_eq_u32_e32 1, v29
	s_cbranch_execz .LBB4_25
; %bb.24:
	ds_load_2addr_b64 v[29:32], v23 offset1:8
	s_wait_dscnt 0x0
	ds_store_2addr_b64 v23, v[31:32], v[29:30] offset1:8
	ds_store_b8 v22, v28
	ds_store_b8 v22, v26 offset:8
	ds_store_b8 v21, v27
	ds_store_b8 v21, v25 offset:8
.LBB4_25:
	s_or_b32 exec_lo, exec_lo, s4
	s_wait_loadcnt_dscnt 0x0
	s_barrier_signal -1
	s_barrier_wait -1
	global_inv scope:SCOPE_SE
	ds_load_u8 v26, v17
	ds_load_u8 v27, v18
	ds_load_u8 v29, v18 offset:4
	ds_load_u8 v28, v17 offset:4
	v_lshrrev_b32_e32 v24, 3, v24
	v_cndmask_b32_e64 v25, 0, 1, s2
	s_wait_dscnt 0x3
	v_and_b32_e32 v30, 1, v26
	s_wait_dscnt 0x1
	v_cmp_lt_u16_e64 s2, v27, v29
	s_wait_dscnt 0x0
	v_cmp_ne_u16_e64 s4, v28, v24
	v_cmp_eq_u32_e64 s3, 1, v30
	s_wait_alu 0xf1ff
	s_delay_alu instid0(VALU_DEP_2) | instskip(SKIP_3) | instid1(VALU_DEP_1)
	v_cndmask_b32_e64 v30, 0, 1, s4
	s_and_b32 s2, s2, s3
	s_mov_b32 s3, exec_lo
	s_wait_alu 0xfffe
	v_cndmask_b32_e64 v30, v30, v25, s2
	s_delay_alu instid0(VALU_DEP_1) | instskip(NEXT) | instid1(VALU_DEP_1)
	v_and_b32_e32 v30, 1, v30
	v_cmpx_eq_u32_e32 1, v30
	s_cbranch_execz .LBB4_27
; %bb.26:
	ds_load_2addr_b64 v[30:33], v20 offset1:4
	s_wait_dscnt 0x0
	ds_store_2addr_b64 v20, v[32:33], v[30:31] offset1:4
	ds_store_b8 v18, v29
	ds_store_b8 v18, v27 offset:4
	ds_store_b8 v17, v28
	ds_store_b8 v17, v26 offset:4
.LBB4_27:
	s_or_b32 exec_lo, exec_lo, s3
	s_wait_loadcnt_dscnt 0x0
	s_barrier_signal -1
	s_barrier_wait -1
	global_inv scope:SCOPE_SE
	ds_load_u8 v26, v10
	ds_load_u8 v27, v11
	ds_load_u8 v29, v11 offset:2
	ds_load_u8 v28, v10 offset:2
	s_wait_dscnt 0x3
	v_and_b32_e32 v30, 1, v26
	s_wait_dscnt 0x1
	v_cmp_lt_u16_e64 s2, v27, v29
	s_wait_dscnt 0x0
	v_cmp_ne_u16_e64 s4, v28, v24
	v_cmp_eq_u32_e64 s3, 1, v30
	s_wait_alu 0xf1ff
	s_delay_alu instid0(VALU_DEP_2) | instskip(SKIP_3) | instid1(VALU_DEP_1)
	v_cndmask_b32_e64 v30, 0, 1, s4
	s_and_b32 s2, s2, s3
	s_mov_b32 s3, exec_lo
	s_wait_alu 0xfffe
	v_cndmask_b32_e64 v30, v30, v25, s2
	s_delay_alu instid0(VALU_DEP_1) | instskip(NEXT) | instid1(VALU_DEP_1)
	v_and_b32_e32 v30, 1, v30
	v_cmpx_eq_u32_e32 1, v30
	s_cbranch_execz .LBB4_29
; %bb.28:
	ds_load_2addr_b64 v[30:33], v14 offset1:2
	s_wait_dscnt 0x0
	ds_store_2addr_b64 v14, v[32:33], v[30:31] offset1:2
	ds_store_b8 v11, v29
	ds_store_b8 v11, v27 offset:2
	ds_store_b8 v10, v28
	ds_store_b8 v10, v26 offset:2
.LBB4_29:
	s_or_b32 exec_lo, exec_lo, s3
	s_wait_loadcnt_dscnt 0x0
	s_barrier_signal -1
	s_barrier_wait -1
	global_inv scope:SCOPE_SE
	ds_load_u16 v29, v2
	ds_load_u16 v27, v3
	s_wait_dscnt 0x1
	v_and_b32_e32 v30, 0xff, v29
	s_wait_dscnt 0x0
	v_lshrrev_b16 v26, 8, v27
	v_lshrrev_b16 v28, 8, v29
	v_and_b32_e32 v31, 1, v27
	s_delay_alu instid0(VALU_DEP_3) | instskip(NEXT) | instid1(VALU_DEP_3)
	v_cmp_ne_u16_e64 s4, v26, v24
	v_cmp_lt_u16_e64 s2, v30, v28
	s_delay_alu instid0(VALU_DEP_3) | instskip(SKIP_1) | instid1(VALU_DEP_3)
	v_cmp_eq_u32_e64 s3, 1, v31
	s_wait_alu 0xf1ff
	v_cndmask_b32_e64 v24, 0, 1, s4
	s_and_b32 s2, s2, s3
	s_mov_b32 s3, exec_lo
	s_wait_alu 0xfffe
	s_delay_alu instid0(VALU_DEP_1) | instskip(NEXT) | instid1(VALU_DEP_1)
	v_cndmask_b32_e64 v24, v24, v25, s2
	v_and_b32_e32 v24, 1, v24
	s_delay_alu instid0(VALU_DEP_1)
	v_cmpx_eq_u32_e32 1, v24
	s_cbranch_execz .LBB4_31
; %bb.30:
	ds_load_b128 v[30:33], v19
	v_lshlrev_b16 v24, 8, v29
	v_lshlrev_b16 v25, 8, v27
	s_delay_alu instid0(VALU_DEP_2) | instskip(NEXT) | instid1(VALU_DEP_2)
	v_or_b32_e32 v24, v28, v24
	v_or_b32_e32 v25, v26, v25
	s_wait_dscnt 0x0
	v_dual_mov_b32 v27, v32 :: v_dual_mov_b32 v28, v33
	v_dual_mov_b32 v29, v30 :: v_dual_mov_b32 v30, v31
	ds_store_b16 v2, v24
	ds_store_b128 v19, v[27:30]
	ds_store_b16 v3, v25
.LBB4_31:
	s_or_b32 exec_lo, exec_lo, s3
	v_and_b32_e32 v24, 15, v6
	s_wait_loadcnt_dscnt 0x0
	s_barrier_signal -1
	s_barrier_wait -1
	global_inv scope:SCOPE_SE
	v_sub_nc_u32_e32 v16, v16, v24
	s_delay_alu instid0(VALU_DEP_1)
	v_add_nc_u32_e32 v15, v15, v16
	v_add_nc_u32_e32 v13, v13, v16
	ds_load_u8 v24, v15
	ds_load_u8 v27, v15 offset:16
	ds_load_u8 v25, v13
	ds_load_u8 v26, v13 offset:16
	s_wait_dscnt 0x2
	v_and_b32_e32 v27, 0xff, v27
	v_and_b32_e32 v28, 1, v24
	s_wait_dscnt 0x0
	v_cmp_ge_u16_e64 s3, v25, v26
	s_delay_alu instid0(VALU_DEP_3) | instskip(NEXT) | instid1(VALU_DEP_3)
	v_cmp_ne_u16_e64 s4, 0, v27
	v_cmp_eq_u32_e64 s2, 1, v28
	s_xor_b32 s2, s2, -1
	s_wait_alu 0xfffe
	s_or_b32 s2, s3, s2
	s_wait_alu 0xfffe
	s_and_b32 s3, s2, s4
	s_wait_alu 0xfffe
	s_and_saveexec_b32 s2, s3
	s_cbranch_execz .LBB4_33
; %bb.32:
	v_lshl_add_u32 v12, v16, 3, v12
	v_mov_b32_e32 v16, 1
	ds_load_2addr_b64 v[27:30], v12 offset1:16
	s_wait_dscnt 0x0
	ds_store_2addr_b64 v12, v[29:30], v[27:28] offset1:16
	ds_store_b8 v13, v26
	ds_store_b8 v13, v25 offset:16
	ds_store_b8 v15, v16
	ds_store_b8 v15, v24 offset:16
.LBB4_33:
	s_wait_alu 0xfffe
	s_or_b32 exec_lo, exec_lo, s2
	s_wait_loadcnt_dscnt 0x0
	s_barrier_signal -1
	s_barrier_wait -1
	global_inv scope:SCOPE_SE
	ds_load_u8 v12, v21
	ds_load_u8 v16, v21 offset:8
	ds_load_u8 v13, v22
	ds_load_u8 v15, v22 offset:8
	s_wait_dscnt 0x3
	v_and_b32_e32 v24, 1, v12
	s_wait_dscnt 0x2
	v_and_b32_e32 v16, 0xff, v16
	s_wait_dscnt 0x0
	v_cmp_ge_u16_e64 s3, v13, v15
	v_cmp_eq_u32_e64 s2, 1, v24
	s_delay_alu instid0(VALU_DEP_3)
	v_cmp_ne_u16_e64 s4, 0, v16
	s_xor_b32 s2, s2, -1
	s_wait_alu 0xfffe
	s_or_b32 s2, s3, s2
	s_wait_alu 0xfffe
	s_and_b32 s3, s2, s4
	s_wait_alu 0xfffe
	s_and_saveexec_b32 s2, s3
	s_cbranch_execz .LBB4_35
; %bb.34:
	ds_load_2addr_b64 v[24:27], v23 offset1:8
	v_mov_b32_e32 v16, 1
	s_wait_dscnt 0x0
	ds_store_2addr_b64 v23, v[26:27], v[24:25] offset1:8
	ds_store_b8 v22, v15
	ds_store_b8 v22, v13 offset:8
	ds_store_b8 v21, v16
	ds_store_b8 v21, v12 offset:8
.LBB4_35:
	s_wait_alu 0xfffe
	s_or_b32 exec_lo, exec_lo, s2
	s_wait_loadcnt_dscnt 0x0
	s_barrier_signal -1
	s_barrier_wait -1
	global_inv scope:SCOPE_SE
	ds_load_u8 v12, v17
	ds_load_u8 v16, v17 offset:4
	ds_load_u8 v13, v18
	ds_load_u8 v15, v18 offset:4
	s_wait_dscnt 0x3
	v_and_b32_e32 v21, 1, v12
	s_wait_dscnt 0x2
	v_and_b32_e32 v16, 0xff, v16
	s_wait_dscnt 0x0
	v_cmp_ge_u16_e64 s3, v13, v15
	v_cmp_eq_u32_e64 s2, 1, v21
	s_delay_alu instid0(VALU_DEP_3)
	v_cmp_ne_u16_e64 s4, 0, v16
	s_xor_b32 s2, s2, -1
	s_wait_alu 0xfffe
	s_or_b32 s2, s3, s2
	s_wait_alu 0xfffe
	s_and_b32 s3, s2, s4
	s_wait_alu 0xfffe
	s_and_saveexec_b32 s2, s3
	s_cbranch_execz .LBB4_37
; %bb.36:
	ds_load_2addr_b64 v[21:24], v20 offset1:4
	v_mov_b32_e32 v16, 1
	s_wait_dscnt 0x0
	ds_store_2addr_b64 v20, v[23:24], v[21:22] offset1:4
	ds_store_b8 v18, v15
	ds_store_b8 v18, v13 offset:4
	ds_store_b8 v17, v16
	ds_store_b8 v17, v12 offset:4
.LBB4_37:
	;; [unrolled: 37-line block ×3, first 2 shown]
	s_wait_alu 0xfffe
	s_or_b32 exec_lo, exec_lo, s2
	s_wait_loadcnt_dscnt 0x0
	s_barrier_signal -1
	s_barrier_wait -1
	global_inv scope:SCOPE_SE
	ds_load_u16 v10, v3
	ds_load_u16 v12, v2
	s_wait_dscnt 0x1
	v_and_b32_e32 v13, 1, v10
	s_wait_dscnt 0x0
	v_and_b32_e32 v14, 0xff, v12
	v_lshrrev_b16 v11, 8, v12
	v_lshrrev_b16 v15, 8, v10
	v_cmp_eq_u32_e64 s2, 1, v13
	s_delay_alu instid0(VALU_DEP_3) | instskip(NEXT) | instid1(VALU_DEP_3)
	v_cmp_ge_u16_e64 s3, v14, v11
	v_cmp_ne_u16_e64 s4, 0, v15
	s_xor_b32 s2, s2, -1
	s_wait_alu 0xfffe
	s_or_b32 s2, s3, s2
	s_wait_alu 0xfffe
	s_and_b32 s3, s2, s4
	s_wait_alu 0xfffe
	s_and_saveexec_b32 s2, s3
	s_cbranch_execz .LBB4_41
; %bb.40:
	ds_load_b128 v[13:16], v19
	v_lshlrev_b16 v12, 8, v12
	v_lshlrev_b16 v17, 8, v10
	s_delay_alu instid0(VALU_DEP_2)
	v_or_b32_e32 v18, v11, v12
	s_wait_dscnt 0x0
	v_dual_mov_b32 v10, v15 :: v_dual_mov_b32 v11, v16
	v_dual_mov_b32 v12, v13 :: v_dual_mov_b32 v13, v14
	v_or_b32_e32 v14, 1, v17
	ds_store_b16 v2, v18
	ds_store_b128 v19, v[10:13]
	ds_store_b16 v3, v14
.LBB4_41:
	s_wait_alu 0xfffe
	s_or_b32 exec_lo, exec_lo, s2
	s_wait_loadcnt_dscnt 0x0
	s_barrier_signal -1
	s_barrier_wait -1
	global_inv scope:SCOPE_SE
	s_and_saveexec_b32 s2, s0
	s_cbranch_execz .LBB4_46
; %bb.42:
	s_and_saveexec_b32 s0, vcc_lo
	s_cbranch_execz .LBB4_44
; %bb.43:
	v_mad_co_u64_u32 v[2:3], null, v6, s7, v[1:2]
	ds_load_u8 v12, v9
	ds_load_b64 v[8:9], v8
	v_mov_b32_e32 v3, 0
	v_mad_co_u64_u32 v[10:11], null, v6, s6, v[0:1]
	s_delay_alu instid0(VALU_DEP_2) | instskip(NEXT) | instid1(VALU_DEP_1)
	v_lshlrev_b64_e32 v[2:3], 3, v[2:3]
	v_add_co_u32 v2, vcc_lo, s10, v2
	s_wait_alu 0xfffd
	s_delay_alu instid0(VALU_DEP_2)
	v_add_co_ci_u32_e64 v3, null, s11, v3, vcc_lo
	s_wait_dscnt 0x1
	global_store_b8 v10, v12, s[8:9]
	s_wait_dscnt 0x0
	global_store_b64 v[2:3], v[8:9], off
.LBB4_44:
	s_wait_alu 0xfffe
	s_or_b32 exec_lo, exec_lo, s0
	s_delay_alu instid0(SALU_CYCLE_1)
	s_and_b32 exec_lo, exec_lo, s1
	s_cbranch_execz .LBB4_46
; %bb.45:
	v_mad_co_u64_u32 v[1:2], null, v7, s7, v[1:2]
	ds_load_u8 v8, v4
	ds_load_b64 v[3:4], v5
	v_mov_b32_e32 v2, 0
	s_delay_alu instid0(VALU_DEP_1) | instskip(NEXT) | instid1(VALU_DEP_1)
	v_lshlrev_b64_e32 v[1:2], 3, v[1:2]
	v_mad_co_u64_u32 v[5:6], null, v7, s6, v[0:1]
	v_add_co_u32 v0, vcc_lo, s10, v1
	s_wait_alu 0xfffd
	s_delay_alu instid0(VALU_DEP_3)
	v_add_co_ci_u32_e64 v1, null, s11, v2, vcc_lo
	s_wait_dscnt 0x1
	global_store_b8 v5, v8, s[8:9]
	s_wait_dscnt 0x0
	global_store_b64 v[0:1], v[3:4], off
.LBB4_46:
	s_endpgm
	.section	.rodata,"a",@progbits
	.p2align	6, 0x0
	.amdhsa_kernel _ZN2at6native20bitonicSortKVInPlaceILin1ELin1ELi16ELi16EhlNS0_4LTOpIhLb1EEEjEEvNS_4cuda6detail10TensorInfoIT3_T6_EES8_S8_S8_NS6_IT4_S8_EES8_T5_
		.amdhsa_group_segment_fixed_size 5120
		.amdhsa_private_segment_fixed_size 0
		.amdhsa_kernarg_size 712
		.amdhsa_user_sgpr_count 2
		.amdhsa_user_sgpr_dispatch_ptr 0
		.amdhsa_user_sgpr_queue_ptr 0
		.amdhsa_user_sgpr_kernarg_segment_ptr 1
		.amdhsa_user_sgpr_dispatch_id 0
		.amdhsa_user_sgpr_private_segment_size 0
		.amdhsa_wavefront_size32 1
		.amdhsa_uses_dynamic_stack 0
		.amdhsa_enable_private_segment 0
		.amdhsa_system_sgpr_workgroup_id_x 1
		.amdhsa_system_sgpr_workgroup_id_y 1
		.amdhsa_system_sgpr_workgroup_id_z 1
		.amdhsa_system_sgpr_workgroup_info 0
		.amdhsa_system_vgpr_workitem_id 1
		.amdhsa_next_free_vgpr 34
		.amdhsa_next_free_sgpr 14
		.amdhsa_reserve_vcc 1
		.amdhsa_float_round_mode_32 0
		.amdhsa_float_round_mode_16_64 0
		.amdhsa_float_denorm_mode_32 3
		.amdhsa_float_denorm_mode_16_64 3
		.amdhsa_fp16_overflow 0
		.amdhsa_workgroup_processor_mode 1
		.amdhsa_memory_ordered 1
		.amdhsa_forward_progress 1
		.amdhsa_inst_pref_size 39
		.amdhsa_round_robin_scheduling 0
		.amdhsa_exception_fp_ieee_invalid_op 0
		.amdhsa_exception_fp_denorm_src 0
		.amdhsa_exception_fp_ieee_div_zero 0
		.amdhsa_exception_fp_ieee_overflow 0
		.amdhsa_exception_fp_ieee_underflow 0
		.amdhsa_exception_fp_ieee_inexact 0
		.amdhsa_exception_int_div_zero 0
	.end_amdhsa_kernel
	.section	.text._ZN2at6native20bitonicSortKVInPlaceILin1ELin1ELi16ELi16EhlNS0_4LTOpIhLb1EEEjEEvNS_4cuda6detail10TensorInfoIT3_T6_EES8_S8_S8_NS6_IT4_S8_EES8_T5_,"axG",@progbits,_ZN2at6native20bitonicSortKVInPlaceILin1ELin1ELi16ELi16EhlNS0_4LTOpIhLb1EEEjEEvNS_4cuda6detail10TensorInfoIT3_T6_EES8_S8_S8_NS6_IT4_S8_EES8_T5_,comdat
.Lfunc_end4:
	.size	_ZN2at6native20bitonicSortKVInPlaceILin1ELin1ELi16ELi16EhlNS0_4LTOpIhLb1EEEjEEvNS_4cuda6detail10TensorInfoIT3_T6_EES8_S8_S8_NS6_IT4_S8_EES8_T5_, .Lfunc_end4-_ZN2at6native20bitonicSortKVInPlaceILin1ELin1ELi16ELi16EhlNS0_4LTOpIhLb1EEEjEEvNS_4cuda6detail10TensorInfoIT3_T6_EES8_S8_S8_NS6_IT4_S8_EES8_T5_
                                        ; -- End function
	.set _ZN2at6native20bitonicSortKVInPlaceILin1ELin1ELi16ELi16EhlNS0_4LTOpIhLb1EEEjEEvNS_4cuda6detail10TensorInfoIT3_T6_EES8_S8_S8_NS6_IT4_S8_EES8_T5_.num_vgpr, 34
	.set _ZN2at6native20bitonicSortKVInPlaceILin1ELin1ELi16ELi16EhlNS0_4LTOpIhLb1EEEjEEvNS_4cuda6detail10TensorInfoIT3_T6_EES8_S8_S8_NS6_IT4_S8_EES8_T5_.num_agpr, 0
	.set _ZN2at6native20bitonicSortKVInPlaceILin1ELin1ELi16ELi16EhlNS0_4LTOpIhLb1EEEjEEvNS_4cuda6detail10TensorInfoIT3_T6_EES8_S8_S8_NS6_IT4_S8_EES8_T5_.numbered_sgpr, 14
	.set _ZN2at6native20bitonicSortKVInPlaceILin1ELin1ELi16ELi16EhlNS0_4LTOpIhLb1EEEjEEvNS_4cuda6detail10TensorInfoIT3_T6_EES8_S8_S8_NS6_IT4_S8_EES8_T5_.num_named_barrier, 0
	.set _ZN2at6native20bitonicSortKVInPlaceILin1ELin1ELi16ELi16EhlNS0_4LTOpIhLb1EEEjEEvNS_4cuda6detail10TensorInfoIT3_T6_EES8_S8_S8_NS6_IT4_S8_EES8_T5_.private_seg_size, 0
	.set _ZN2at6native20bitonicSortKVInPlaceILin1ELin1ELi16ELi16EhlNS0_4LTOpIhLb1EEEjEEvNS_4cuda6detail10TensorInfoIT3_T6_EES8_S8_S8_NS6_IT4_S8_EES8_T5_.uses_vcc, 1
	.set _ZN2at6native20bitonicSortKVInPlaceILin1ELin1ELi16ELi16EhlNS0_4LTOpIhLb1EEEjEEvNS_4cuda6detail10TensorInfoIT3_T6_EES8_S8_S8_NS6_IT4_S8_EES8_T5_.uses_flat_scratch, 0
	.set _ZN2at6native20bitonicSortKVInPlaceILin1ELin1ELi16ELi16EhlNS0_4LTOpIhLb1EEEjEEvNS_4cuda6detail10TensorInfoIT3_T6_EES8_S8_S8_NS6_IT4_S8_EES8_T5_.has_dyn_sized_stack, 0
	.set _ZN2at6native20bitonicSortKVInPlaceILin1ELin1ELi16ELi16EhlNS0_4LTOpIhLb1EEEjEEvNS_4cuda6detail10TensorInfoIT3_T6_EES8_S8_S8_NS6_IT4_S8_EES8_T5_.has_recursion, 0
	.set _ZN2at6native20bitonicSortKVInPlaceILin1ELin1ELi16ELi16EhlNS0_4LTOpIhLb1EEEjEEvNS_4cuda6detail10TensorInfoIT3_T6_EES8_S8_S8_NS6_IT4_S8_EES8_T5_.has_indirect_call, 0
	.section	.AMDGPU.csdata,"",@progbits
; Kernel info:
; codeLenInByte = 4932
; TotalNumSgprs: 16
; NumVgprs: 34
; ScratchSize: 0
; MemoryBound: 0
; FloatMode: 240
; IeeeMode: 1
; LDSByteSize: 5120 bytes/workgroup (compile time only)
; SGPRBlocks: 0
; VGPRBlocks: 4
; NumSGPRsForWavesPerEU: 16
; NumVGPRsForWavesPerEU: 34
; Occupancy: 16
; WaveLimiterHint : 1
; COMPUTE_PGM_RSRC2:SCRATCH_EN: 0
; COMPUTE_PGM_RSRC2:USER_SGPR: 2
; COMPUTE_PGM_RSRC2:TRAP_HANDLER: 0
; COMPUTE_PGM_RSRC2:TGID_X_EN: 1
; COMPUTE_PGM_RSRC2:TGID_Y_EN: 1
; COMPUTE_PGM_RSRC2:TGID_Z_EN: 1
; COMPUTE_PGM_RSRC2:TIDIG_COMP_CNT: 1
	.section	.text._ZN2at6native20bitonicSortKVInPlaceILin1ELin1ELi16ELi16EhlNS0_4GTOpIhLb1EEEjEEvNS_4cuda6detail10TensorInfoIT3_T6_EES8_S8_S8_NS6_IT4_S8_EES8_T5_,"axG",@progbits,_ZN2at6native20bitonicSortKVInPlaceILin1ELin1ELi16ELi16EhlNS0_4GTOpIhLb1EEEjEEvNS_4cuda6detail10TensorInfoIT3_T6_EES8_S8_S8_NS6_IT4_S8_EES8_T5_,comdat
	.protected	_ZN2at6native20bitonicSortKVInPlaceILin1ELin1ELi16ELi16EhlNS0_4GTOpIhLb1EEEjEEvNS_4cuda6detail10TensorInfoIT3_T6_EES8_S8_S8_NS6_IT4_S8_EES8_T5_ ; -- Begin function _ZN2at6native20bitonicSortKVInPlaceILin1ELin1ELi16ELi16EhlNS0_4GTOpIhLb1EEEjEEvNS_4cuda6detail10TensorInfoIT3_T6_EES8_S8_S8_NS6_IT4_S8_EES8_T5_
	.globl	_ZN2at6native20bitonicSortKVInPlaceILin1ELin1ELi16ELi16EhlNS0_4GTOpIhLb1EEEjEEvNS_4cuda6detail10TensorInfoIT3_T6_EES8_S8_S8_NS6_IT4_S8_EES8_T5_
	.p2align	8
	.type	_ZN2at6native20bitonicSortKVInPlaceILin1ELin1ELi16ELi16EhlNS0_4GTOpIhLb1EEEjEEvNS_4cuda6detail10TensorInfoIT3_T6_EES8_S8_S8_NS6_IT4_S8_EES8_T5_,@function
_ZN2at6native20bitonicSortKVInPlaceILin1ELin1ELi16ELi16EhlNS0_4GTOpIhLb1EEEjEEvNS_4cuda6detail10TensorInfoIT3_T6_EES8_S8_S8_NS6_IT4_S8_EES8_T5_: ; @_ZN2at6native20bitonicSortKVInPlaceILin1ELin1ELi16ELi16EhlNS0_4GTOpIhLb1EEEjEEvNS_4cuda6detail10TensorInfoIT3_T6_EES8_S8_S8_NS6_IT4_S8_EES8_T5_
; %bb.0:
	s_clause 0x2
	s_load_b64 s[2:3], s[0:1], 0x1c8
	s_load_u16 s7, s[0:1], 0x1d6
	s_load_b96 s[4:6], s[0:1], 0xd8
	s_lshr_b32 s8, ttmp7, 16
	s_wait_kmcnt 0x0
	s_mul_i32 s3, s3, s8
	s_and_b32 s8, ttmp7, 0xffff
	s_delay_alu instid0(SALU_CYCLE_1) | instskip(NEXT) | instid1(SALU_CYCLE_1)
	s_add_co_i32 s3, s3, s8
	s_mul_i32 s2, s3, s2
	s_delay_alu instid0(SALU_CYCLE_1) | instskip(NEXT) | instid1(SALU_CYCLE_1)
	s_add_co_i32 s3, s2, ttmp9
	s_mul_i32 s3, s3, s7
	s_delay_alu instid0(SALU_CYCLE_1)
	s_cmp_ge_u32 s3, s4
	s_cbranch_scc1 .LBB5_46
; %bb.1:
	s_load_b32 s2, s[0:1], 0xd0
	v_bfe_u32 v8, v0, 10, 10
	s_delay_alu instid0(VALU_DEP_1) | instskip(NEXT) | instid1(VALU_DEP_1)
	v_dual_mov_b32 v1, 0 :: v_dual_add_nc_u32 v4, s3, v8
	v_mov_b32_e32 v5, v4
	s_wait_kmcnt 0x0
	s_cmp_lt_i32 s2, 2
	s_cbranch_scc1 .LBB5_4
; %bb.2:
	s_add_co_i32 s8, s2, -1
	s_mov_b32 s9, 0
	v_mov_b32_e32 v1, 0
	s_lshl_b64 s[8:9], s[8:9], 2
	v_mov_b32_e32 v5, v4
	s_add_nc_u64 s[8:9], s[0:1], s[8:9]
	s_add_co_i32 s7, s2, 1
	s_add_nc_u64 s[2:3], s[8:9], 8
.LBB5_3:                                ; =>This Inner Loop Header: Depth=1
	s_clause 0x1
	s_load_b32 s8, s[2:3], 0x0
	s_load_b32 s9, s[2:3], 0x64
	s_add_co_i32 s7, s7, -1
	s_add_nc_u64 s[2:3], s[2:3], -4
	s_wait_kmcnt 0x0
	s_cvt_f32_u32 s10, s8
	s_sub_co_i32 s11, 0, s8
	s_wait_alu 0xfffe
	s_delay_alu instid0(SALU_CYCLE_1) | instskip(NEXT) | instid1(TRANS32_DEP_1)
	v_rcp_iflag_f32_e32 v2, s10
	v_readfirstlane_b32 s10, v2
	v_mov_b32_e32 v2, v5
	s_mul_f32 s10, s10, 0x4f7ffffe
	s_wait_alu 0xfffe
	s_delay_alu instid0(SALU_CYCLE_2) | instskip(SKIP_1) | instid1(SALU_CYCLE_2)
	s_cvt_u32_f32 s10, s10
	s_wait_alu 0xfffe
	s_mul_i32 s11, s11, s10
	s_wait_alu 0xfffe
	s_mul_hi_u32 s11, s10, s11
	s_wait_alu 0xfffe
	s_add_co_i32 s10, s10, s11
	s_cmp_gt_u32 s7, 2
	s_wait_alu 0xfffe
	v_mul_hi_u32 v3, v2, s10
	s_delay_alu instid0(VALU_DEP_1) | instskip(SKIP_1) | instid1(VALU_DEP_2)
	v_mul_lo_u32 v5, v3, s8
	v_add_nc_u32_e32 v6, 1, v3
	v_sub_nc_u32_e32 v5, v2, v5
	s_delay_alu instid0(VALU_DEP_1) | instskip(SKIP_3) | instid1(VALU_DEP_3)
	v_subrev_nc_u32_e32 v7, s8, v5
	v_cmp_le_u32_e32 vcc_lo, s8, v5
	s_wait_alu 0xfffd
	v_cndmask_b32_e32 v3, v3, v6, vcc_lo
	v_cndmask_b32_e32 v5, v5, v7, vcc_lo
	s_delay_alu instid0(VALU_DEP_2) | instskip(NEXT) | instid1(VALU_DEP_2)
	v_add_nc_u32_e32 v6, 1, v3
	v_cmp_le_u32_e32 vcc_lo, s8, v5
	s_wait_alu 0xfffd
	s_delay_alu instid0(VALU_DEP_2) | instskip(NEXT) | instid1(VALU_DEP_1)
	v_cndmask_b32_e32 v5, v3, v6, vcc_lo
	v_mul_lo_u32 v3, v5, s8
	s_delay_alu instid0(VALU_DEP_1) | instskip(NEXT) | instid1(VALU_DEP_1)
	v_sub_nc_u32_e32 v2, v2, v3
	v_mad_co_u64_u32 v[1:2], null, s9, v2, v[1:2]
	s_cbranch_scc1 .LBB5_3
.LBB5_4:
	s_load_b32 s7, s[0:1], 0x1b8
	v_dual_mov_b32 v2, 0 :: v_dual_mov_b32 v7, v4
	s_add_nc_u64 s[2:3], s[0:1], 0x1c8
	s_wait_kmcnt 0x0
	s_cmp_lt_i32 s7, 2
	s_cbranch_scc1 .LBB5_7
; %bb.5:
	s_add_co_i32 s8, s7, -1
	s_mov_b32 s9, 0
	v_dual_mov_b32 v2, 0 :: v_dual_mov_b32 v7, v4
	s_wait_alu 0xfffe
	s_lshl_b64 s[8:9], s[8:9], 2
	s_add_co_i32 s7, s7, 1
	s_wait_alu 0xfffe
	s_add_nc_u64 s[8:9], s[0:1], s[8:9]
	s_wait_alu 0xfffe
	s_add_nc_u64 s[8:9], s[8:9], 0xf0
.LBB5_6:                                ; =>This Inner Loop Header: Depth=1
	s_clause 0x1
	s_load_b32 s10, s[8:9], 0x0
	s_load_b32 s11, s[8:9], 0x64
	s_add_co_i32 s7, s7, -1
	s_add_nc_u64 s[8:9], s[8:9], -4
	s_wait_kmcnt 0x0
	s_cvt_f32_u32 s12, s10
	s_sub_co_i32 s13, 0, s10
	s_wait_alu 0xfffe
	s_delay_alu instid0(SALU_CYCLE_1) | instskip(NEXT) | instid1(TRANS32_DEP_1)
	v_rcp_iflag_f32_e32 v3, s12
	v_readfirstlane_b32 s12, v3
	v_mov_b32_e32 v3, v7
	s_mul_f32 s12, s12, 0x4f7ffffe
	s_wait_alu 0xfffe
	s_delay_alu instid0(SALU_CYCLE_2) | instskip(SKIP_1) | instid1(SALU_CYCLE_2)
	s_cvt_u32_f32 s12, s12
	s_wait_alu 0xfffe
	s_mul_i32 s13, s13, s12
	s_wait_alu 0xfffe
	s_mul_hi_u32 s13, s12, s13
	s_wait_alu 0xfffe
	s_add_co_i32 s12, s12, s13
	s_cmp_gt_u32 s7, 2
	s_wait_alu 0xfffe
	v_mul_hi_u32 v6, v3, s12
	s_delay_alu instid0(VALU_DEP_1) | instskip(SKIP_1) | instid1(VALU_DEP_2)
	v_mul_lo_u32 v7, v6, s10
	v_add_nc_u32_e32 v9, 1, v6
	v_sub_nc_u32_e32 v7, v3, v7
	s_delay_alu instid0(VALU_DEP_1) | instskip(SKIP_2) | instid1(VALU_DEP_2)
	v_subrev_nc_u32_e32 v10, s10, v7
	v_cmp_le_u32_e32 vcc_lo, s10, v7
	s_wait_alu 0xfffd
	v_dual_cndmask_b32 v6, v6, v9 :: v_dual_cndmask_b32 v7, v7, v10
	s_delay_alu instid0(VALU_DEP_1) | instskip(NEXT) | instid1(VALU_DEP_2)
	v_add_nc_u32_e32 v9, 1, v6
	v_cmp_le_u32_e32 vcc_lo, s10, v7
	s_wait_alu 0xfffd
	s_delay_alu instid0(VALU_DEP_2) | instskip(NEXT) | instid1(VALU_DEP_1)
	v_cndmask_b32_e32 v7, v6, v9, vcc_lo
	v_mul_lo_u32 v6, v7, s10
	s_delay_alu instid0(VALU_DEP_1) | instskip(NEXT) | instid1(VALU_DEP_1)
	v_sub_nc_u32_e32 v3, v3, v6
	v_mad_co_u64_u32 v[2:3], null, s11, v3, v[2:3]
	s_cbranch_scc1 .LBB5_6
.LBB5_7:
	s_clause 0x1
	s_load_b32 s12, s[0:1], 0x6c
	s_load_b32 s13, s[0:1], 0x154
	;; [unrolled: 1-line block ×3, first 2 shown]
	s_clause 0x2
	s_load_b32 s7, s[0:1], 0x1c0
	s_load_b64 s[8:9], s[0:1], 0x0
	s_load_b64 s[10:11], s[0:1], 0xe8
	v_and_b32_e32 v6, 0x3ff, v0
	v_cmp_gt_u32_e64 s0, s4, v4
	v_dual_mov_b32 v10, 0 :: v_dual_mov_b32 v11, 0
	s_wait_kmcnt 0x0
	v_mad_co_u64_u32 v[0:1], null, s12, v5, v[1:2]
	v_mad_co_u64_u32 v[1:2], null, s13, v7, v[2:3]
	v_mov_b32_e32 v2, 0
	v_mov_b32_e32 v3, 0
	v_cmp_gt_u32_e32 vcc_lo, s5, v6
	v_mov_b32_e32 v4, 0
	v_mov_b32_e32 v5, 0
	s_and_b32 s4, s0, vcc_lo
	s_wait_alu 0xfffe
	s_and_saveexec_b32 s3, s4
	s_cbranch_execz .LBB5_9
; %bb.8:
	v_mad_co_u64_u32 v[4:5], null, v6, s7, v[1:2]
	v_mov_b32_e32 v5, 0
	v_mad_co_u64_u32 v[11:12], null, v6, s6, v[0:1]
	s_delay_alu instid0(VALU_DEP_2) | instskip(NEXT) | instid1(VALU_DEP_1)
	v_lshlrev_b64_e32 v[4:5], 3, v[4:5]
	v_add_co_u32 v4, s1, s10, v4
	s_delay_alu instid0(VALU_DEP_1)
	v_add_co_ci_u32_e64 v5, null, s11, v5, s1
	global_load_u8 v11, v11, s[8:9]
	global_load_b64 v[4:5], v[4:5], off
.LBB5_9:
	s_wait_alu 0xfffe
	s_or_b32 exec_lo, exec_lo, s3
	v_lshlrev_b32_e32 v9, 5, v8
	s_and_b32 s3, 0xffff, s2
	v_lshlrev_b32_e32 v12, 8, v8
	s_wait_alu 0xfffe
	v_add_nc_u32_e32 v7, s3, v6
	v_cndmask_b32_e64 v14, 0, 1, s4
	v_add_nc_u32_e32 v13, 0x1000, v9
	v_add_nc_u32_e32 v15, 0x1200, v9
	v_lshl_add_u32 v8, v6, 3, v12
	v_cmp_gt_u32_e64 s1, s5, v7
	s_delay_alu instid0(VALU_DEP_4) | instskip(NEXT) | instid1(VALU_DEP_4)
	v_add_nc_u32_e32 v9, v13, v6
	v_add_nc_u32_e32 v16, v15, v6
	s_wait_loadcnt 0x1
	ds_store_b8 v9, v11
	s_wait_loadcnt 0x0
	ds_store_b64 v8, v[4:5]
	ds_store_b8 v16, v14
	s_and_b32 s4, s0, s1
	s_wait_alu 0xfffe
	s_and_saveexec_b32 s5, s4
	s_cbranch_execz .LBB5_11
; %bb.10:
	v_mad_co_u64_u32 v[2:3], null, v7, s7, v[1:2]
	v_mov_b32_e32 v3, 0
	v_mad_co_u64_u32 v[4:5], null, v7, s6, v[0:1]
	s_delay_alu instid0(VALU_DEP_2) | instskip(NEXT) | instid1(VALU_DEP_1)
	v_lshlrev_b64_e32 v[2:3], 3, v[2:3]
	v_add_co_u32 v2, s2, s10, v2
	s_wait_alu 0xf1ff
	s_delay_alu instid0(VALU_DEP_2)
	v_add_co_ci_u32_e64 v3, null, s11, v3, s2
	global_load_u8 v10, v4, s[8:9]
	global_load_b64 v[2:3], v[2:3], off
.LBB5_11:
	s_wait_alu 0xfffe
	s_or_b32 exec_lo, exec_lo, s5
	v_add_nc_u32_e32 v4, v13, v7
	v_lshlrev_b32_e32 v16, 1, v6
	v_lshl_add_u32 v5, s3, 3, v8
	v_cndmask_b32_e64 v11, 0, 1, s4
	v_add_nc_u32_e32 v14, v15, v7
	s_wait_loadcnt 0x1
	ds_store_b8 v4, v10
	s_wait_loadcnt 0x0
	ds_store_b64 v5, v[2:3]
	ds_store_b8 v14, v11
	v_add_nc_u32_e32 v2, v13, v16
	v_add_nc_u32_e32 v3, v15, v16
	s_wait_dscnt 0x0
	s_barrier_signal -1
	s_barrier_wait -1
	global_inv scope:SCOPE_SE
	ds_load_u16 v18, v2
	ds_load_u16 v14, v3
	v_and_b32_e32 v10, 1, v6
	s_wait_dscnt 0x1
	v_and_b32_e32 v17, 0xff, v18
	s_wait_dscnt 0x0
	v_lshrrev_b16 v11, 8, v14
	v_lshrrev_b16 v19, 8, v18
	v_and_b32_e32 v20, 1, v14
	s_delay_alu instid0(VALU_DEP_3) | instskip(NEXT) | instid1(VALU_DEP_3)
	v_cmp_ne_u16_e64 s4, v11, v10
	v_cmp_gt_u16_e64 s2, v17, v19
	s_delay_alu instid0(VALU_DEP_3) | instskip(SKIP_1) | instid1(VALU_DEP_3)
	v_cmp_eq_u32_e64 s3, 1, v20
	s_wait_alu 0xf1ff
	v_cndmask_b32_e64 v17, 0, 1, s4
	s_and_b32 s2, s2, s3
	s_wait_alu 0xfffe
	s_delay_alu instid0(VALU_DEP_1) | instskip(NEXT) | instid1(VALU_DEP_1)
	v_cndmask_b32_e64 v17, v17, v6, s2
	v_and_b32_e32 v17, 1, v17
	s_delay_alu instid0(VALU_DEP_1)
	v_cmp_eq_u32_e64 s2, 1, v17
	v_lshl_add_u32 v17, v6, 3, v8
	s_and_saveexec_b32 s3, s2
	s_wait_alu 0xfffe
	s_xor_b32 s2, exec_lo, s3
	s_cbranch_execz .LBB5_13
; %bb.12:
	ds_load_b128 v[20:23], v17
	v_lshlrev_b16 v18, 8, v18
	v_lshlrev_b16 v14, 8, v14
	s_delay_alu instid0(VALU_DEP_2) | instskip(NEXT) | instid1(VALU_DEP_2)
	v_or_b32_e32 v24, v19, v18
	v_or_b32_e32 v11, v11, v14
	s_wait_dscnt 0x0
	v_dual_mov_b32 v18, v22 :: v_dual_mov_b32 v19, v23
	ds_store_b16 v2, v24
	ds_store_b128 v17, v[18:21]
	ds_store_b16 v3, v11
.LBB5_13:
	s_wait_alu 0xfffe
	s_or_b32 exec_lo, exec_lo, s2
	v_sub_nc_u32_e32 v14, v16, v10
	s_wait_loadcnt_dscnt 0x0
	s_barrier_signal -1
	s_barrier_wait -1
	global_inv scope:SCOPE_SE
	v_add_nc_u32_e32 v10, v15, v14
	v_add_nc_u32_e32 v11, v13, v14
	v_bfe_u32 v23, v6, 1, 1
	v_lshl_add_u32 v14, v14, 3, v12
	ds_load_u8 v19, v10
	ds_load_u8 v20, v11
	ds_load_u8 v22, v11 offset:2
	ds_load_u8 v21, v10 offset:2
	s_wait_dscnt 0x3
	v_and_b32_e32 v18, 1, v19
	s_wait_dscnt 0x1
	v_cmp_gt_u16_e64 s2, v20, v22
	s_wait_dscnt 0x0
	v_cmp_ne_u16_e64 s4, v21, v23
	v_cmp_eq_u32_e64 s3, 1, v18
	s_wait_alu 0xf1ff
	s_delay_alu instid0(VALU_DEP_2) | instskip(SKIP_2) | instid1(VALU_DEP_1)
	v_cndmask_b32_e64 v18, 0, 1, s4
	s_and_b32 s2, s2, s3
	s_wait_alu 0xfffe
	v_cndmask_b32_e64 v23, v18, v23, s2
	v_and_b32_e32 v18, 2, v6
	s_delay_alu instid0(VALU_DEP_2) | instskip(NEXT) | instid1(VALU_DEP_2)
	v_and_b32_e32 v23, 1, v23
	v_cmp_ne_u32_e64 s2, 0, v18
	s_delay_alu instid0(VALU_DEP_2)
	v_cmp_eq_u32_e64 s3, 1, v23
	s_and_saveexec_b32 s4, s3
	s_wait_alu 0xfffe
	s_xor_b32 s3, exec_lo, s4
	s_cbranch_execz .LBB5_15
; %bb.14:
	ds_load_2addr_b64 v[23:26], v14 offset1:2
	s_wait_dscnt 0x0
	ds_store_2addr_b64 v14, v[25:26], v[23:24] offset1:2
	ds_store_b8 v11, v22
	ds_store_b8 v11, v20 offset:2
	ds_store_b8 v10, v21
	ds_store_b8 v10, v19 offset:2
.LBB5_15:
	s_wait_alu 0xfffe
	s_or_b32 exec_lo, exec_lo, s3
	s_wait_loadcnt_dscnt 0x0
	s_barrier_signal -1
	s_barrier_wait -1
	global_inv scope:SCOPE_SE
	ds_load_u16 v20, v2
	ds_load_u16 v19, v3
	v_lshrrev_b32_e32 v22, 1, v18
	v_cndmask_b32_e64 v25, 0, 1, s2
	s_wait_dscnt 0x1
	v_and_b32_e32 v23, 0xff, v20
	s_wait_dscnt 0x0
	v_lshrrev_b16 v18, 8, v19
	v_lshrrev_b16 v21, 8, v20
	v_and_b32_e32 v24, 1, v19
	s_delay_alu instid0(VALU_DEP_3) | instskip(NEXT) | instid1(VALU_DEP_3)
	v_cmp_ne_u16_e64 s4, v18, v22
	v_cmp_gt_u16_e64 s2, v23, v21
	s_delay_alu instid0(VALU_DEP_3) | instskip(SKIP_1) | instid1(VALU_DEP_3)
	v_cmp_eq_u32_e64 s3, 1, v24
	s_wait_alu 0xf1ff
	v_cndmask_b32_e64 v22, 0, 1, s4
	s_and_b32 s2, s2, s3
	s_mov_b32 s3, exec_lo
	s_wait_alu 0xfffe
	s_delay_alu instid0(VALU_DEP_1) | instskip(NEXT) | instid1(VALU_DEP_1)
	v_cndmask_b32_e64 v22, v22, v25, s2
	v_and_b32_e32 v22, 1, v22
	s_delay_alu instid0(VALU_DEP_1)
	v_cmpx_eq_u32_e32 1, v22
	s_cbranch_execz .LBB5_17
; %bb.16:
	ds_load_b128 v[22:25], v17
	v_lshlrev_b16 v20, 8, v20
	v_lshlrev_b16 v26, 8, v19
	s_delay_alu instid0(VALU_DEP_2) | instskip(NEXT) | instid1(VALU_DEP_2)
	v_or_b32_e32 v27, v21, v20
	v_or_b32_e32 v18, v18, v26
	s_wait_dscnt 0x0
	v_dual_mov_b32 v19, v24 :: v_dual_mov_b32 v20, v25
	v_dual_mov_b32 v21, v22 :: v_dual_mov_b32 v22, v23
	ds_store_b16 v2, v27
	ds_store_b128 v17, v[19:22]
	ds_store_b16 v3, v18
.LBB5_17:
	s_or_b32 exec_lo, exec_lo, s3
	v_and_b32_e32 v17, 3, v6
	s_wait_loadcnt_dscnt 0x0
	s_barrier_signal -1
	s_barrier_wait -1
	global_inv scope:SCOPE_SE
	v_sub_nc_u32_e32 v20, v16, v17
	v_bfe_u32 v25, v6, 2, 1
	s_delay_alu instid0(VALU_DEP_2)
	v_add_nc_u32_e32 v17, v15, v20
	v_add_nc_u32_e32 v18, v13, v20
	v_lshl_add_u32 v20, v20, 3, v12
	ds_load_u8 v21, v17
	ds_load_u8 v22, v18
	ds_load_u8 v24, v18 offset:4
	ds_load_u8 v23, v17 offset:4
	s_wait_dscnt 0x3
	v_and_b32_e32 v19, 1, v21
	s_wait_dscnt 0x1
	v_cmp_gt_u16_e64 s2, v22, v24
	s_wait_dscnt 0x0
	v_cmp_ne_u16_e64 s4, v23, v25
	v_cmp_eq_u32_e64 s3, 1, v19
	s_wait_alu 0xf1ff
	s_delay_alu instid0(VALU_DEP_2) | instskip(SKIP_3) | instid1(VALU_DEP_1)
	v_cndmask_b32_e64 v19, 0, 1, s4
	s_mov_b32 s4, exec_lo
	s_and_b32 s2, s2, s3
	s_wait_alu 0xfffe
	v_cndmask_b32_e64 v25, v19, v25, s2
	v_and_b32_e32 v19, 4, v6
	s_delay_alu instid0(VALU_DEP_2) | instskip(NEXT) | instid1(VALU_DEP_2)
	v_and_b32_e32 v25, 1, v25
	v_cmp_ne_u32_e64 s2, 0, v19
	s_delay_alu instid0(VALU_DEP_2)
	v_cmpx_eq_u32_e32 1, v25
	s_cbranch_execz .LBB5_19
; %bb.18:
	ds_load_2addr_b64 v[25:28], v20 offset1:4
	s_wait_dscnt 0x0
	ds_store_2addr_b64 v20, v[27:28], v[25:26] offset1:4
	ds_store_b8 v18, v24
	ds_store_b8 v18, v22 offset:4
	ds_store_b8 v17, v23
	ds_store_b8 v17, v21 offset:4
.LBB5_19:
	s_or_b32 exec_lo, exec_lo, s4
	s_wait_loadcnt_dscnt 0x0
	s_barrier_signal -1
	s_barrier_wait -1
	global_inv scope:SCOPE_SE
	ds_load_u8 v22, v10
	ds_load_u8 v23, v11
	ds_load_u8 v25, v11 offset:2
	ds_load_u8 v24, v10 offset:2
	v_lshrrev_b32_e32 v19, 2, v19
	v_cndmask_b32_e64 v21, 0, 1, s2
	s_wait_dscnt 0x3
	v_and_b32_e32 v26, 1, v22
	s_wait_dscnt 0x1
	v_cmp_gt_u16_e64 s2, v23, v25
	s_wait_dscnt 0x0
	v_cmp_ne_u16_e64 s4, v24, v19
	v_cmp_eq_u32_e64 s3, 1, v26
	s_wait_alu 0xf1ff
	s_delay_alu instid0(VALU_DEP_2) | instskip(SKIP_3) | instid1(VALU_DEP_1)
	v_cndmask_b32_e64 v26, 0, 1, s4
	s_and_b32 s2, s2, s3
	s_mov_b32 s3, exec_lo
	s_wait_alu 0xfffe
	v_cndmask_b32_e64 v26, v26, v21, s2
	s_delay_alu instid0(VALU_DEP_1) | instskip(NEXT) | instid1(VALU_DEP_1)
	v_and_b32_e32 v26, 1, v26
	v_cmpx_eq_u32_e32 1, v26
	s_cbranch_execz .LBB5_21
; %bb.20:
	ds_load_2addr_b64 v[26:29], v14 offset1:2
	s_wait_dscnt 0x0
	ds_store_2addr_b64 v14, v[28:29], v[26:27] offset1:2
	ds_store_b8 v11, v25
	ds_store_b8 v11, v23 offset:2
	ds_store_b8 v10, v24
	ds_store_b8 v10, v22 offset:2
.LBB5_21:
	s_or_b32 exec_lo, exec_lo, s3
	s_wait_loadcnt_dscnt 0x0
	s_barrier_signal -1
	s_barrier_wait -1
	global_inv scope:SCOPE_SE
	ds_load_u16 v25, v2
	ds_load_u16 v23, v3
	s_wait_dscnt 0x1
	v_and_b32_e32 v26, 0xff, v25
	s_wait_dscnt 0x0
	v_lshrrev_b16 v22, 8, v23
	v_lshrrev_b16 v24, 8, v25
	v_and_b32_e32 v27, 1, v23
	s_delay_alu instid0(VALU_DEP_3) | instskip(NEXT) | instid1(VALU_DEP_3)
	v_cmp_ne_u16_e64 s4, v22, v19
	v_cmp_gt_u16_e64 s2, v26, v24
	s_delay_alu instid0(VALU_DEP_3) | instskip(SKIP_1) | instid1(VALU_DEP_3)
	v_cmp_eq_u32_e64 s3, 1, v27
	s_wait_alu 0xf1ff
	v_cndmask_b32_e64 v19, 0, 1, s4
	s_and_b32 s2, s2, s3
	s_wait_alu 0xfffe
	s_delay_alu instid0(VALU_DEP_1) | instskip(NEXT) | instid1(VALU_DEP_1)
	v_cndmask_b32_e64 v19, v19, v21, s2
	v_and_b32_e32 v19, 1, v19
	s_delay_alu instid0(VALU_DEP_1)
	v_cmp_eq_u32_e64 s2, 1, v19
	v_lshl_add_u32 v19, v16, 3, v12
	s_and_saveexec_b32 s3, s2
	s_cbranch_execz .LBB5_23
; %bb.22:
	ds_load_b128 v[26:29], v19
	v_lshlrev_b16 v21, 8, v25
	v_lshlrev_b16 v30, 8, v23
	s_delay_alu instid0(VALU_DEP_2) | instskip(NEXT) | instid1(VALU_DEP_2)
	v_or_b32_e32 v21, v24, v21
	v_or_b32_e32 v22, v22, v30
	s_wait_dscnt 0x0
	v_dual_mov_b32 v23, v28 :: v_dual_mov_b32 v24, v29
	v_dual_mov_b32 v25, v26 :: v_dual_mov_b32 v26, v27
	ds_store_b16 v2, v21
	ds_store_b128 v19, v[23:26]
	ds_store_b16 v3, v22
.LBB5_23:
	s_wait_alu 0xfffe
	s_or_b32 exec_lo, exec_lo, s3
	v_and_b32_e32 v21, 7, v6
	s_wait_loadcnt_dscnt 0x0
	s_barrier_signal -1
	s_barrier_wait -1
	global_inv scope:SCOPE_SE
	v_sub_nc_u32_e32 v23, v16, v21
	v_bfe_u32 v29, v6, 3, 1
	s_delay_alu instid0(VALU_DEP_2)
	v_add_nc_u32_e32 v21, v15, v23
	v_add_nc_u32_e32 v22, v13, v23
	v_lshl_add_u32 v23, v23, 3, v12
	ds_load_u8 v25, v21
	ds_load_u8 v26, v22
	ds_load_u8 v28, v22 offset:8
	ds_load_u8 v27, v21 offset:8
	s_wait_dscnt 0x3
	v_and_b32_e32 v24, 1, v25
	s_wait_dscnt 0x1
	v_cmp_gt_u16_e64 s2, v26, v28
	s_wait_dscnt 0x0
	v_cmp_ne_u16_e64 s4, v27, v29
	v_cmp_eq_u32_e64 s3, 1, v24
	s_wait_alu 0xf1ff
	s_delay_alu instid0(VALU_DEP_2) | instskip(SKIP_3) | instid1(VALU_DEP_1)
	v_cndmask_b32_e64 v24, 0, 1, s4
	s_mov_b32 s4, exec_lo
	s_and_b32 s2, s2, s3
	s_wait_alu 0xfffe
	v_cndmask_b32_e64 v29, v24, v29, s2
	v_and_b32_e32 v24, 8, v6
	s_delay_alu instid0(VALU_DEP_2) | instskip(NEXT) | instid1(VALU_DEP_2)
	v_and_b32_e32 v29, 1, v29
	v_cmp_ne_u32_e64 s2, 0, v24
	s_delay_alu instid0(VALU_DEP_2)
	v_cmpx_eq_u32_e32 1, v29
	s_cbranch_execz .LBB5_25
; %bb.24:
	ds_load_2addr_b64 v[29:32], v23 offset1:8
	s_wait_dscnt 0x0
	ds_store_2addr_b64 v23, v[31:32], v[29:30] offset1:8
	ds_store_b8 v22, v28
	ds_store_b8 v22, v26 offset:8
	ds_store_b8 v21, v27
	ds_store_b8 v21, v25 offset:8
.LBB5_25:
	s_or_b32 exec_lo, exec_lo, s4
	s_wait_loadcnt_dscnt 0x0
	s_barrier_signal -1
	s_barrier_wait -1
	global_inv scope:SCOPE_SE
	ds_load_u8 v26, v17
	ds_load_u8 v27, v18
	ds_load_u8 v29, v18 offset:4
	ds_load_u8 v28, v17 offset:4
	v_lshrrev_b32_e32 v24, 3, v24
	v_cndmask_b32_e64 v25, 0, 1, s2
	s_wait_dscnt 0x3
	v_and_b32_e32 v30, 1, v26
	s_wait_dscnt 0x1
	v_cmp_gt_u16_e64 s2, v27, v29
	s_wait_dscnt 0x0
	v_cmp_ne_u16_e64 s4, v28, v24
	v_cmp_eq_u32_e64 s3, 1, v30
	s_wait_alu 0xf1ff
	s_delay_alu instid0(VALU_DEP_2) | instskip(SKIP_3) | instid1(VALU_DEP_1)
	v_cndmask_b32_e64 v30, 0, 1, s4
	s_and_b32 s2, s2, s3
	s_mov_b32 s3, exec_lo
	s_wait_alu 0xfffe
	v_cndmask_b32_e64 v30, v30, v25, s2
	s_delay_alu instid0(VALU_DEP_1) | instskip(NEXT) | instid1(VALU_DEP_1)
	v_and_b32_e32 v30, 1, v30
	v_cmpx_eq_u32_e32 1, v30
	s_cbranch_execz .LBB5_27
; %bb.26:
	ds_load_2addr_b64 v[30:33], v20 offset1:4
	s_wait_dscnt 0x0
	ds_store_2addr_b64 v20, v[32:33], v[30:31] offset1:4
	ds_store_b8 v18, v29
	ds_store_b8 v18, v27 offset:4
	ds_store_b8 v17, v28
	ds_store_b8 v17, v26 offset:4
.LBB5_27:
	s_or_b32 exec_lo, exec_lo, s3
	s_wait_loadcnt_dscnt 0x0
	s_barrier_signal -1
	s_barrier_wait -1
	global_inv scope:SCOPE_SE
	ds_load_u8 v26, v10
	ds_load_u8 v27, v11
	ds_load_u8 v29, v11 offset:2
	ds_load_u8 v28, v10 offset:2
	s_wait_dscnt 0x3
	v_and_b32_e32 v30, 1, v26
	s_wait_dscnt 0x1
	v_cmp_gt_u16_e64 s2, v27, v29
	s_wait_dscnt 0x0
	v_cmp_ne_u16_e64 s4, v28, v24
	v_cmp_eq_u32_e64 s3, 1, v30
	s_wait_alu 0xf1ff
	s_delay_alu instid0(VALU_DEP_2) | instskip(SKIP_3) | instid1(VALU_DEP_1)
	v_cndmask_b32_e64 v30, 0, 1, s4
	s_and_b32 s2, s2, s3
	s_mov_b32 s3, exec_lo
	s_wait_alu 0xfffe
	v_cndmask_b32_e64 v30, v30, v25, s2
	s_delay_alu instid0(VALU_DEP_1) | instskip(NEXT) | instid1(VALU_DEP_1)
	v_and_b32_e32 v30, 1, v30
	v_cmpx_eq_u32_e32 1, v30
	s_cbranch_execz .LBB5_29
; %bb.28:
	ds_load_2addr_b64 v[30:33], v14 offset1:2
	s_wait_dscnt 0x0
	ds_store_2addr_b64 v14, v[32:33], v[30:31] offset1:2
	ds_store_b8 v11, v29
	ds_store_b8 v11, v27 offset:2
	ds_store_b8 v10, v28
	ds_store_b8 v10, v26 offset:2
.LBB5_29:
	s_or_b32 exec_lo, exec_lo, s3
	s_wait_loadcnt_dscnt 0x0
	s_barrier_signal -1
	s_barrier_wait -1
	global_inv scope:SCOPE_SE
	ds_load_u16 v29, v2
	ds_load_u16 v27, v3
	s_wait_dscnt 0x1
	v_and_b32_e32 v30, 0xff, v29
	s_wait_dscnt 0x0
	v_lshrrev_b16 v26, 8, v27
	v_lshrrev_b16 v28, 8, v29
	v_and_b32_e32 v31, 1, v27
	s_delay_alu instid0(VALU_DEP_3) | instskip(NEXT) | instid1(VALU_DEP_3)
	v_cmp_ne_u16_e64 s4, v26, v24
	v_cmp_gt_u16_e64 s2, v30, v28
	s_delay_alu instid0(VALU_DEP_3) | instskip(SKIP_1) | instid1(VALU_DEP_3)
	v_cmp_eq_u32_e64 s3, 1, v31
	s_wait_alu 0xf1ff
	v_cndmask_b32_e64 v24, 0, 1, s4
	s_and_b32 s2, s2, s3
	s_mov_b32 s3, exec_lo
	s_wait_alu 0xfffe
	s_delay_alu instid0(VALU_DEP_1) | instskip(NEXT) | instid1(VALU_DEP_1)
	v_cndmask_b32_e64 v24, v24, v25, s2
	v_and_b32_e32 v24, 1, v24
	s_delay_alu instid0(VALU_DEP_1)
	v_cmpx_eq_u32_e32 1, v24
	s_cbranch_execz .LBB5_31
; %bb.30:
	ds_load_b128 v[30:33], v19
	v_lshlrev_b16 v24, 8, v29
	v_lshlrev_b16 v25, 8, v27
	s_delay_alu instid0(VALU_DEP_2) | instskip(NEXT) | instid1(VALU_DEP_2)
	v_or_b32_e32 v24, v28, v24
	v_or_b32_e32 v25, v26, v25
	s_wait_dscnt 0x0
	v_dual_mov_b32 v27, v32 :: v_dual_mov_b32 v28, v33
	v_dual_mov_b32 v29, v30 :: v_dual_mov_b32 v30, v31
	ds_store_b16 v2, v24
	ds_store_b128 v19, v[27:30]
	ds_store_b16 v3, v25
.LBB5_31:
	s_or_b32 exec_lo, exec_lo, s3
	v_and_b32_e32 v24, 15, v6
	s_wait_loadcnt_dscnt 0x0
	s_barrier_signal -1
	s_barrier_wait -1
	global_inv scope:SCOPE_SE
	v_sub_nc_u32_e32 v16, v16, v24
	s_delay_alu instid0(VALU_DEP_1)
	v_add_nc_u32_e32 v15, v15, v16
	v_add_nc_u32_e32 v13, v13, v16
	ds_load_u8 v24, v15
	ds_load_u8 v27, v15 offset:16
	ds_load_u8 v25, v13
	ds_load_u8 v26, v13 offset:16
	s_wait_dscnt 0x2
	v_and_b32_e32 v27, 0xff, v27
	v_and_b32_e32 v28, 1, v24
	s_wait_dscnt 0x0
	v_cmp_le_u16_e64 s3, v25, v26
	s_delay_alu instid0(VALU_DEP_3) | instskip(NEXT) | instid1(VALU_DEP_3)
	v_cmp_ne_u16_e64 s4, 0, v27
	v_cmp_eq_u32_e64 s2, 1, v28
	s_xor_b32 s2, s2, -1
	s_wait_alu 0xfffe
	s_or_b32 s2, s3, s2
	s_wait_alu 0xfffe
	s_and_b32 s3, s2, s4
	s_wait_alu 0xfffe
	s_and_saveexec_b32 s2, s3
	s_cbranch_execz .LBB5_33
; %bb.32:
	v_lshl_add_u32 v12, v16, 3, v12
	v_mov_b32_e32 v16, 1
	ds_load_2addr_b64 v[27:30], v12 offset1:16
	s_wait_dscnt 0x0
	ds_store_2addr_b64 v12, v[29:30], v[27:28] offset1:16
	ds_store_b8 v13, v26
	ds_store_b8 v13, v25 offset:16
	ds_store_b8 v15, v16
	ds_store_b8 v15, v24 offset:16
.LBB5_33:
	s_wait_alu 0xfffe
	s_or_b32 exec_lo, exec_lo, s2
	s_wait_loadcnt_dscnt 0x0
	s_barrier_signal -1
	s_barrier_wait -1
	global_inv scope:SCOPE_SE
	ds_load_u8 v12, v21
	ds_load_u8 v16, v21 offset:8
	ds_load_u8 v13, v22
	ds_load_u8 v15, v22 offset:8
	s_wait_dscnt 0x3
	v_and_b32_e32 v24, 1, v12
	s_wait_dscnt 0x2
	v_and_b32_e32 v16, 0xff, v16
	s_wait_dscnt 0x0
	v_cmp_le_u16_e64 s3, v13, v15
	v_cmp_eq_u32_e64 s2, 1, v24
	s_delay_alu instid0(VALU_DEP_3)
	v_cmp_ne_u16_e64 s4, 0, v16
	s_xor_b32 s2, s2, -1
	s_wait_alu 0xfffe
	s_or_b32 s2, s3, s2
	s_wait_alu 0xfffe
	s_and_b32 s3, s2, s4
	s_wait_alu 0xfffe
	s_and_saveexec_b32 s2, s3
	s_cbranch_execz .LBB5_35
; %bb.34:
	ds_load_2addr_b64 v[24:27], v23 offset1:8
	v_mov_b32_e32 v16, 1
	s_wait_dscnt 0x0
	ds_store_2addr_b64 v23, v[26:27], v[24:25] offset1:8
	ds_store_b8 v22, v15
	ds_store_b8 v22, v13 offset:8
	ds_store_b8 v21, v16
	ds_store_b8 v21, v12 offset:8
.LBB5_35:
	s_wait_alu 0xfffe
	s_or_b32 exec_lo, exec_lo, s2
	s_wait_loadcnt_dscnt 0x0
	s_barrier_signal -1
	s_barrier_wait -1
	global_inv scope:SCOPE_SE
	ds_load_u8 v12, v17
	ds_load_u8 v16, v17 offset:4
	ds_load_u8 v13, v18
	ds_load_u8 v15, v18 offset:4
	s_wait_dscnt 0x3
	v_and_b32_e32 v21, 1, v12
	s_wait_dscnt 0x2
	v_and_b32_e32 v16, 0xff, v16
	s_wait_dscnt 0x0
	v_cmp_le_u16_e64 s3, v13, v15
	v_cmp_eq_u32_e64 s2, 1, v21
	s_delay_alu instid0(VALU_DEP_3)
	v_cmp_ne_u16_e64 s4, 0, v16
	s_xor_b32 s2, s2, -1
	s_wait_alu 0xfffe
	s_or_b32 s2, s3, s2
	s_wait_alu 0xfffe
	s_and_b32 s3, s2, s4
	s_wait_alu 0xfffe
	s_and_saveexec_b32 s2, s3
	s_cbranch_execz .LBB5_37
; %bb.36:
	ds_load_2addr_b64 v[21:24], v20 offset1:4
	v_mov_b32_e32 v16, 1
	s_wait_dscnt 0x0
	ds_store_2addr_b64 v20, v[23:24], v[21:22] offset1:4
	ds_store_b8 v18, v15
	ds_store_b8 v18, v13 offset:4
	ds_store_b8 v17, v16
	ds_store_b8 v17, v12 offset:4
.LBB5_37:
	;; [unrolled: 37-line block ×3, first 2 shown]
	s_wait_alu 0xfffe
	s_or_b32 exec_lo, exec_lo, s2
	s_wait_loadcnt_dscnt 0x0
	s_barrier_signal -1
	s_barrier_wait -1
	global_inv scope:SCOPE_SE
	ds_load_u16 v10, v3
	ds_load_u16 v12, v2
	s_wait_dscnt 0x1
	v_and_b32_e32 v13, 1, v10
	s_wait_dscnt 0x0
	v_and_b32_e32 v14, 0xff, v12
	v_lshrrev_b16 v11, 8, v12
	v_lshrrev_b16 v15, 8, v10
	v_cmp_eq_u32_e64 s2, 1, v13
	s_delay_alu instid0(VALU_DEP_3) | instskip(NEXT) | instid1(VALU_DEP_3)
	v_cmp_le_u16_e64 s3, v14, v11
	v_cmp_ne_u16_e64 s4, 0, v15
	s_xor_b32 s2, s2, -1
	s_wait_alu 0xfffe
	s_or_b32 s2, s3, s2
	s_wait_alu 0xfffe
	s_and_b32 s3, s2, s4
	s_wait_alu 0xfffe
	s_and_saveexec_b32 s2, s3
	s_cbranch_execz .LBB5_41
; %bb.40:
	ds_load_b128 v[13:16], v19
	v_lshlrev_b16 v12, 8, v12
	v_lshlrev_b16 v17, 8, v10
	s_delay_alu instid0(VALU_DEP_2)
	v_or_b32_e32 v18, v11, v12
	s_wait_dscnt 0x0
	v_dual_mov_b32 v10, v15 :: v_dual_mov_b32 v11, v16
	v_dual_mov_b32 v12, v13 :: v_dual_mov_b32 v13, v14
	v_or_b32_e32 v14, 1, v17
	ds_store_b16 v2, v18
	ds_store_b128 v19, v[10:13]
	ds_store_b16 v3, v14
.LBB5_41:
	s_wait_alu 0xfffe
	s_or_b32 exec_lo, exec_lo, s2
	s_wait_loadcnt_dscnt 0x0
	s_barrier_signal -1
	s_barrier_wait -1
	global_inv scope:SCOPE_SE
	s_and_saveexec_b32 s2, s0
	s_cbranch_execz .LBB5_46
; %bb.42:
	s_and_saveexec_b32 s0, vcc_lo
	s_cbranch_execz .LBB5_44
; %bb.43:
	v_mad_co_u64_u32 v[2:3], null, v6, s7, v[1:2]
	ds_load_u8 v12, v9
	ds_load_b64 v[8:9], v8
	v_mov_b32_e32 v3, 0
	v_mad_co_u64_u32 v[10:11], null, v6, s6, v[0:1]
	s_delay_alu instid0(VALU_DEP_2) | instskip(NEXT) | instid1(VALU_DEP_1)
	v_lshlrev_b64_e32 v[2:3], 3, v[2:3]
	v_add_co_u32 v2, vcc_lo, s10, v2
	s_wait_alu 0xfffd
	s_delay_alu instid0(VALU_DEP_2)
	v_add_co_ci_u32_e64 v3, null, s11, v3, vcc_lo
	s_wait_dscnt 0x1
	global_store_b8 v10, v12, s[8:9]
	s_wait_dscnt 0x0
	global_store_b64 v[2:3], v[8:9], off
.LBB5_44:
	s_wait_alu 0xfffe
	s_or_b32 exec_lo, exec_lo, s0
	s_delay_alu instid0(SALU_CYCLE_1)
	s_and_b32 exec_lo, exec_lo, s1
	s_cbranch_execz .LBB5_46
; %bb.45:
	v_mad_co_u64_u32 v[1:2], null, v7, s7, v[1:2]
	ds_load_u8 v8, v4
	ds_load_b64 v[3:4], v5
	v_mov_b32_e32 v2, 0
	s_delay_alu instid0(VALU_DEP_1) | instskip(NEXT) | instid1(VALU_DEP_1)
	v_lshlrev_b64_e32 v[1:2], 3, v[1:2]
	v_mad_co_u64_u32 v[5:6], null, v7, s6, v[0:1]
	v_add_co_u32 v0, vcc_lo, s10, v1
	s_wait_alu 0xfffd
	s_delay_alu instid0(VALU_DEP_3)
	v_add_co_ci_u32_e64 v1, null, s11, v2, vcc_lo
	s_wait_dscnt 0x1
	global_store_b8 v5, v8, s[8:9]
	s_wait_dscnt 0x0
	global_store_b64 v[0:1], v[3:4], off
.LBB5_46:
	s_endpgm
	.section	.rodata,"a",@progbits
	.p2align	6, 0x0
	.amdhsa_kernel _ZN2at6native20bitonicSortKVInPlaceILin1ELin1ELi16ELi16EhlNS0_4GTOpIhLb1EEEjEEvNS_4cuda6detail10TensorInfoIT3_T6_EES8_S8_S8_NS6_IT4_S8_EES8_T5_
		.amdhsa_group_segment_fixed_size 5120
		.amdhsa_private_segment_fixed_size 0
		.amdhsa_kernarg_size 712
		.amdhsa_user_sgpr_count 2
		.amdhsa_user_sgpr_dispatch_ptr 0
		.amdhsa_user_sgpr_queue_ptr 0
		.amdhsa_user_sgpr_kernarg_segment_ptr 1
		.amdhsa_user_sgpr_dispatch_id 0
		.amdhsa_user_sgpr_private_segment_size 0
		.amdhsa_wavefront_size32 1
		.amdhsa_uses_dynamic_stack 0
		.amdhsa_enable_private_segment 0
		.amdhsa_system_sgpr_workgroup_id_x 1
		.amdhsa_system_sgpr_workgroup_id_y 1
		.amdhsa_system_sgpr_workgroup_id_z 1
		.amdhsa_system_sgpr_workgroup_info 0
		.amdhsa_system_vgpr_workitem_id 1
		.amdhsa_next_free_vgpr 34
		.amdhsa_next_free_sgpr 14
		.amdhsa_reserve_vcc 1
		.amdhsa_float_round_mode_32 0
		.amdhsa_float_round_mode_16_64 0
		.amdhsa_float_denorm_mode_32 3
		.amdhsa_float_denorm_mode_16_64 3
		.amdhsa_fp16_overflow 0
		.amdhsa_workgroup_processor_mode 1
		.amdhsa_memory_ordered 1
		.amdhsa_forward_progress 1
		.amdhsa_inst_pref_size 39
		.amdhsa_round_robin_scheduling 0
		.amdhsa_exception_fp_ieee_invalid_op 0
		.amdhsa_exception_fp_denorm_src 0
		.amdhsa_exception_fp_ieee_div_zero 0
		.amdhsa_exception_fp_ieee_overflow 0
		.amdhsa_exception_fp_ieee_underflow 0
		.amdhsa_exception_fp_ieee_inexact 0
		.amdhsa_exception_int_div_zero 0
	.end_amdhsa_kernel
	.section	.text._ZN2at6native20bitonicSortKVInPlaceILin1ELin1ELi16ELi16EhlNS0_4GTOpIhLb1EEEjEEvNS_4cuda6detail10TensorInfoIT3_T6_EES8_S8_S8_NS6_IT4_S8_EES8_T5_,"axG",@progbits,_ZN2at6native20bitonicSortKVInPlaceILin1ELin1ELi16ELi16EhlNS0_4GTOpIhLb1EEEjEEvNS_4cuda6detail10TensorInfoIT3_T6_EES8_S8_S8_NS6_IT4_S8_EES8_T5_,comdat
.Lfunc_end5:
	.size	_ZN2at6native20bitonicSortKVInPlaceILin1ELin1ELi16ELi16EhlNS0_4GTOpIhLb1EEEjEEvNS_4cuda6detail10TensorInfoIT3_T6_EES8_S8_S8_NS6_IT4_S8_EES8_T5_, .Lfunc_end5-_ZN2at6native20bitonicSortKVInPlaceILin1ELin1ELi16ELi16EhlNS0_4GTOpIhLb1EEEjEEvNS_4cuda6detail10TensorInfoIT3_T6_EES8_S8_S8_NS6_IT4_S8_EES8_T5_
                                        ; -- End function
	.set _ZN2at6native20bitonicSortKVInPlaceILin1ELin1ELi16ELi16EhlNS0_4GTOpIhLb1EEEjEEvNS_4cuda6detail10TensorInfoIT3_T6_EES8_S8_S8_NS6_IT4_S8_EES8_T5_.num_vgpr, 34
	.set _ZN2at6native20bitonicSortKVInPlaceILin1ELin1ELi16ELi16EhlNS0_4GTOpIhLb1EEEjEEvNS_4cuda6detail10TensorInfoIT3_T6_EES8_S8_S8_NS6_IT4_S8_EES8_T5_.num_agpr, 0
	.set _ZN2at6native20bitonicSortKVInPlaceILin1ELin1ELi16ELi16EhlNS0_4GTOpIhLb1EEEjEEvNS_4cuda6detail10TensorInfoIT3_T6_EES8_S8_S8_NS6_IT4_S8_EES8_T5_.numbered_sgpr, 14
	.set _ZN2at6native20bitonicSortKVInPlaceILin1ELin1ELi16ELi16EhlNS0_4GTOpIhLb1EEEjEEvNS_4cuda6detail10TensorInfoIT3_T6_EES8_S8_S8_NS6_IT4_S8_EES8_T5_.num_named_barrier, 0
	.set _ZN2at6native20bitonicSortKVInPlaceILin1ELin1ELi16ELi16EhlNS0_4GTOpIhLb1EEEjEEvNS_4cuda6detail10TensorInfoIT3_T6_EES8_S8_S8_NS6_IT4_S8_EES8_T5_.private_seg_size, 0
	.set _ZN2at6native20bitonicSortKVInPlaceILin1ELin1ELi16ELi16EhlNS0_4GTOpIhLb1EEEjEEvNS_4cuda6detail10TensorInfoIT3_T6_EES8_S8_S8_NS6_IT4_S8_EES8_T5_.uses_vcc, 1
	.set _ZN2at6native20bitonicSortKVInPlaceILin1ELin1ELi16ELi16EhlNS0_4GTOpIhLb1EEEjEEvNS_4cuda6detail10TensorInfoIT3_T6_EES8_S8_S8_NS6_IT4_S8_EES8_T5_.uses_flat_scratch, 0
	.set _ZN2at6native20bitonicSortKVInPlaceILin1ELin1ELi16ELi16EhlNS0_4GTOpIhLb1EEEjEEvNS_4cuda6detail10TensorInfoIT3_T6_EES8_S8_S8_NS6_IT4_S8_EES8_T5_.has_dyn_sized_stack, 0
	.set _ZN2at6native20bitonicSortKVInPlaceILin1ELin1ELi16ELi16EhlNS0_4GTOpIhLb1EEEjEEvNS_4cuda6detail10TensorInfoIT3_T6_EES8_S8_S8_NS6_IT4_S8_EES8_T5_.has_recursion, 0
	.set _ZN2at6native20bitonicSortKVInPlaceILin1ELin1ELi16ELi16EhlNS0_4GTOpIhLb1EEEjEEvNS_4cuda6detail10TensorInfoIT3_T6_EES8_S8_S8_NS6_IT4_S8_EES8_T5_.has_indirect_call, 0
	.section	.AMDGPU.csdata,"",@progbits
; Kernel info:
; codeLenInByte = 4932
; TotalNumSgprs: 16
; NumVgprs: 34
; ScratchSize: 0
; MemoryBound: 0
; FloatMode: 240
; IeeeMode: 1
; LDSByteSize: 5120 bytes/workgroup (compile time only)
; SGPRBlocks: 0
; VGPRBlocks: 4
; NumSGPRsForWavesPerEU: 16
; NumVGPRsForWavesPerEU: 34
; Occupancy: 16
; WaveLimiterHint : 1
; COMPUTE_PGM_RSRC2:SCRATCH_EN: 0
; COMPUTE_PGM_RSRC2:USER_SGPR: 2
; COMPUTE_PGM_RSRC2:TRAP_HANDLER: 0
; COMPUTE_PGM_RSRC2:TGID_X_EN: 1
; COMPUTE_PGM_RSRC2:TGID_Y_EN: 1
; COMPUTE_PGM_RSRC2:TGID_Z_EN: 1
; COMPUTE_PGM_RSRC2:TIDIG_COMP_CNT: 1
	.section	.text._ZN2at6native20bitonicSortKVInPlaceILin1ELin1ELi16ELi16EhlNS0_4LTOpIhLb1EEEmEEvNS_4cuda6detail10TensorInfoIT3_T6_EES8_S8_S8_NS6_IT4_S8_EES8_T5_,"axG",@progbits,_ZN2at6native20bitonicSortKVInPlaceILin1ELin1ELi16ELi16EhlNS0_4LTOpIhLb1EEEmEEvNS_4cuda6detail10TensorInfoIT3_T6_EES8_S8_S8_NS6_IT4_S8_EES8_T5_,comdat
	.protected	_ZN2at6native20bitonicSortKVInPlaceILin1ELin1ELi16ELi16EhlNS0_4LTOpIhLb1EEEmEEvNS_4cuda6detail10TensorInfoIT3_T6_EES8_S8_S8_NS6_IT4_S8_EES8_T5_ ; -- Begin function _ZN2at6native20bitonicSortKVInPlaceILin1ELin1ELi16ELi16EhlNS0_4LTOpIhLb1EEEmEEvNS_4cuda6detail10TensorInfoIT3_T6_EES8_S8_S8_NS6_IT4_S8_EES8_T5_
	.globl	_ZN2at6native20bitonicSortKVInPlaceILin1ELin1ELi16ELi16EhlNS0_4LTOpIhLb1EEEmEEvNS_4cuda6detail10TensorInfoIT3_T6_EES8_S8_S8_NS6_IT4_S8_EES8_T5_
	.p2align	8
	.type	_ZN2at6native20bitonicSortKVInPlaceILin1ELin1ELi16ELi16EhlNS0_4LTOpIhLb1EEEmEEvNS_4cuda6detail10TensorInfoIT3_T6_EES8_S8_S8_NS6_IT4_S8_EES8_T5_,@function
_ZN2at6native20bitonicSortKVInPlaceILin1ELin1ELi16ELi16EhlNS0_4LTOpIhLb1EEEmEEvNS_4cuda6detail10TensorInfoIT3_T6_EES8_S8_S8_NS6_IT4_S8_EES8_T5_: ; @_ZN2at6native20bitonicSortKVInPlaceILin1ELin1ELi16ELi16EhlNS0_4LTOpIhLb1EEEmEEvNS_4cuda6detail10TensorInfoIT3_T6_EES8_S8_S8_NS6_IT4_S8_EES8_T5_
; %bb.0:
	v_mov_b32_e32 v1, 0
	s_lshr_b32 s8, ttmp7, 16
	s_and_b32 s9, ttmp7, 0xffff
	global_load_u16 v1, v1, s[0:1] offset:886
	s_clause 0x1
	s_load_b64 s[2:3], s[0:1], 0x368
	s_load_b128 s[4:7], s[0:1], 0x1a0
	s_wait_kmcnt 0x0
	s_mul_i32 s3, s3, s8
	s_delay_alu instid0(SALU_CYCLE_1) | instskip(NEXT) | instid1(SALU_CYCLE_1)
	s_add_co_i32 s3, s3, s9
	s_mul_i32 s2, s3, s2
	s_delay_alu instid0(SALU_CYCLE_1) | instskip(SKIP_2) | instid1(VALU_DEP_1)
	s_add_co_i32 s2, s2, ttmp9
	s_wait_loadcnt 0x0
	v_and_b32_e32 v1, 0xffff, v1
	v_mul_hi_u32 v2, v1, s2
	v_mul_lo_u32 v1, v1, s2
	s_delay_alu instid0(VALU_DEP_1)
	v_cmp_le_u64_e32 vcc_lo, s[4:5], v[1:2]
	s_cbranch_vccnz .LBB6_56
; %bb.1:
	s_clause 0x1
	s_load_b32 s10, s[0:1], 0x198
	s_load_b64 s[8:9], s[0:1], 0x1b0
	v_bfe_u32 v16, v0, 10, 10
	s_delay_alu instid0(VALU_DEP_1) | instskip(NEXT) | instid1(VALU_DEP_1)
	v_add_co_u32 v4, vcc_lo, v1, v16
	v_add_co_ci_u32_e64 v5, null, 0, v2, vcc_lo
	v_mov_b32_e32 v2, 0
	v_mov_b32_e32 v3, 0
	s_delay_alu instid0(VALU_DEP_3)
	v_dual_mov_b32 v7, v5 :: v_dual_mov_b32 v6, v4
	s_wait_kmcnt 0x0
	s_cmp_lt_i32 s10, 2
	s_cbranch_scc1 .LBB6_9
; %bb.2:
	s_add_co_i32 s2, s10, -1
	s_mov_b32 s3, 0
	v_dual_mov_b32 v2, 0 :: v_dual_mov_b32 v11, v5
	s_wait_alu 0xfffe
	s_lshl_b64 s[12:13], s[2:3], 3
	v_dual_mov_b32 v3, 0 :: v_dual_mov_b32 v8, 0
	v_mov_b32_e32 v10, v4
	s_add_nc_u64 s[12:13], s[0:1], s[12:13]
	s_add_co_i32 s14, s10, 1
	s_add_nc_u64 s[10:11], s[12:13], 8
.LBB6_3:                                ; =>This Inner Loop Header: Depth=1
	s_load_b64 s[12:13], s[10:11], 0x0
                                        ; implicit-def: $vgpr6_vgpr7
	s_mov_b32 s2, exec_lo
	s_wait_kmcnt 0x0
	v_or_b32_e32 v9, s13, v11
	s_delay_alu instid0(VALU_DEP_1)
	v_cmpx_ne_u64_e32 0, v[8:9]
	s_wait_alu 0xfffe
	s_xor_b32 s15, exec_lo, s2
	s_cbranch_execz .LBB6_5
; %bb.4:                                ;   in Loop: Header=BB6_3 Depth=1
	s_cvt_f32_u32 s2, s12
	s_cvt_f32_u32 s16, s13
	s_sub_nc_u64 s[18:19], 0, s[12:13]
	s_wait_alu 0xfffe
	s_delay_alu instid0(SALU_CYCLE_1) | instskip(SKIP_1) | instid1(SALU_CYCLE_2)
	s_fmamk_f32 s2, s16, 0x4f800000, s2
	s_wait_alu 0xfffe
	v_s_rcp_f32 s2, s2
	s_delay_alu instid0(TRANS32_DEP_1) | instskip(SKIP_1) | instid1(SALU_CYCLE_2)
	s_mul_f32 s2, s2, 0x5f7ffffc
	s_wait_alu 0xfffe
	s_mul_f32 s16, s2, 0x2f800000
	s_wait_alu 0xfffe
	s_delay_alu instid0(SALU_CYCLE_2) | instskip(SKIP_1) | instid1(SALU_CYCLE_2)
	s_trunc_f32 s16, s16
	s_wait_alu 0xfffe
	s_fmamk_f32 s2, s16, 0xcf800000, s2
	s_cvt_u32_f32 s17, s16
	s_wait_alu 0xfffe
	s_delay_alu instid0(SALU_CYCLE_1) | instskip(SKIP_1) | instid1(SALU_CYCLE_2)
	s_cvt_u32_f32 s16, s2
	s_wait_alu 0xfffe
	s_mul_u64 s[20:21], s[18:19], s[16:17]
	s_delay_alu instid0(SALU_CYCLE_1)
	s_mul_hi_u32 s23, s16, s21
	s_mul_i32 s22, s16, s21
	s_mul_hi_u32 s2, s16, s20
	s_mul_i32 s25, s17, s20
	s_wait_alu 0xfffe
	s_add_nc_u64 s[22:23], s[2:3], s[22:23]
	s_mul_hi_u32 s24, s17, s20
	s_mul_hi_u32 s26, s17, s21
	s_add_co_u32 s2, s22, s25
	s_add_co_ci_u32 s2, s23, s24
	s_mul_i32 s20, s17, s21
	s_add_co_ci_u32 s21, s26, 0
	s_wait_alu 0xfffe
	s_add_nc_u64 s[20:21], s[2:3], s[20:21]
	s_delay_alu instid0(SALU_CYCLE_1)
	s_add_co_u32 s16, s16, s20
	s_cselect_b32 s2, -1, 0
	s_wait_alu 0xfffe
	s_cmp_lg_u32 s2, 0
	s_add_co_ci_u32 s17, s17, s21
	s_wait_alu 0xfffe
	s_mul_u64 s[18:19], s[18:19], s[16:17]
	s_delay_alu instid0(SALU_CYCLE_1)
	s_mul_hi_u32 s21, s16, s19
	s_mul_i32 s20, s16, s19
	s_mul_hi_u32 s2, s16, s18
	s_mul_i32 s23, s17, s18
	s_wait_alu 0xfffe
	s_add_nc_u64 s[20:21], s[2:3], s[20:21]
	s_mul_hi_u32 s22, s17, s18
	s_mul_hi_u32 s24, s17, s19
	s_add_co_u32 s2, s20, s23
	s_add_co_ci_u32 s2, s21, s22
	s_mul_i32 s18, s17, s19
	s_add_co_ci_u32 s19, s24, 0
	s_wait_alu 0xfffe
	s_add_nc_u64 s[18:19], s[2:3], s[18:19]
	s_delay_alu instid0(SALU_CYCLE_1)
	s_add_co_u32 s2, s16, s18
	s_cselect_b32 s16, -1, 0
	s_wait_alu 0xfffe
	v_mul_hi_u32 v1, v10, s2
	s_cmp_lg_u32 s16, 0
	v_mad_co_u64_u32 v[12:13], null, v11, s2, 0
	s_add_co_ci_u32 s16, s17, s19
	s_wait_alu 0xfffe
	v_mad_co_u64_u32 v[6:7], null, v10, s16, 0
	v_mad_co_u64_u32 v[14:15], null, v11, s16, 0
	s_delay_alu instid0(VALU_DEP_2) | instskip(SKIP_1) | instid1(VALU_DEP_3)
	v_add_co_u32 v1, vcc_lo, v1, v6
	s_wait_alu 0xfffd
	v_add_co_ci_u32_e64 v6, null, 0, v7, vcc_lo
	s_delay_alu instid0(VALU_DEP_2) | instskip(SKIP_1) | instid1(VALU_DEP_2)
	v_add_co_u32 v1, vcc_lo, v1, v12
	s_wait_alu 0xfffd
	v_add_co_ci_u32_e32 v1, vcc_lo, v6, v13, vcc_lo
	s_wait_alu 0xfffd
	v_add_co_ci_u32_e32 v6, vcc_lo, 0, v15, vcc_lo
	s_delay_alu instid0(VALU_DEP_2) | instskip(SKIP_1) | instid1(VALU_DEP_2)
	v_add_co_u32 v1, vcc_lo, v1, v14
	s_wait_alu 0xfffd
	v_add_co_ci_u32_e64 v9, null, 0, v6, vcc_lo
	s_delay_alu instid0(VALU_DEP_2) | instskip(SKIP_1) | instid1(VALU_DEP_3)
	v_mul_lo_u32 v12, s13, v1
	v_mad_co_u64_u32 v[6:7], null, s12, v1, 0
	v_mul_lo_u32 v13, s12, v9
	s_delay_alu instid0(VALU_DEP_2) | instskip(NEXT) | instid1(VALU_DEP_2)
	v_sub_co_u32 v6, vcc_lo, v10, v6
	v_add3_u32 v7, v7, v13, v12
	v_add_co_u32 v13, s2, v1, 2
	s_wait_alu 0xf1ff
	v_add_co_ci_u32_e64 v14, null, 0, v9, s2
	s_delay_alu instid0(VALU_DEP_3) | instskip(SKIP_3) | instid1(VALU_DEP_3)
	v_sub_nc_u32_e32 v12, v11, v7
	v_sub_co_u32 v15, s2, v6, s12
	s_wait_alu 0xfffd
	v_sub_co_ci_u32_e64 v7, null, v11, v7, vcc_lo
	v_subrev_co_ci_u32_e64 v12, null, s13, v12, vcc_lo
	s_delay_alu instid0(VALU_DEP_3) | instskip(SKIP_1) | instid1(VALU_DEP_2)
	v_cmp_le_u32_e32 vcc_lo, s12, v15
	s_wait_alu 0xf1ff
	v_subrev_co_ci_u32_e64 v12, null, 0, v12, s2
	s_wait_alu 0xfffd
	v_cndmask_b32_e64 v15, 0, -1, vcc_lo
	v_cmp_eq_u32_e64 s2, s13, v7
	s_delay_alu instid0(VALU_DEP_3)
	v_cmp_le_u32_e32 vcc_lo, s13, v12
	s_wait_alu 0xfffd
	v_cndmask_b32_e64 v17, 0, -1, vcc_lo
	v_cmp_le_u32_e32 vcc_lo, s12, v6
	s_wait_alu 0xfffd
	v_cndmask_b32_e64 v6, 0, -1, vcc_lo
	;; [unrolled: 3-line block ×3, first 2 shown]
	v_cmp_eq_u32_e32 vcc_lo, s13, v12
	s_wait_alu 0xf1ff
	s_delay_alu instid0(VALU_DEP_2)
	v_cndmask_b32_e64 v6, v18, v6, s2
	s_wait_alu 0xfffd
	v_cndmask_b32_e32 v12, v17, v15, vcc_lo
	v_add_co_u32 v15, vcc_lo, v1, 1
	s_wait_alu 0xfffd
	v_add_co_ci_u32_e64 v17, null, 0, v9, vcc_lo
	s_delay_alu instid0(VALU_DEP_3) | instskip(SKIP_1) | instid1(VALU_DEP_2)
	v_cmp_ne_u32_e32 vcc_lo, 0, v12
	s_wait_alu 0xfffd
	v_dual_cndmask_b32 v7, v17, v14 :: v_dual_cndmask_b32 v12, v15, v13
	v_cmp_ne_u32_e32 vcc_lo, 0, v6
	s_wait_alu 0xfffd
	s_delay_alu instid0(VALU_DEP_2) | instskip(NEXT) | instid1(VALU_DEP_3)
	v_cndmask_b32_e32 v7, v9, v7, vcc_lo
	v_cndmask_b32_e32 v6, v1, v12, vcc_lo
.LBB6_5:                                ;   in Loop: Header=BB6_3 Depth=1
	s_wait_alu 0xfffe
	s_and_not1_saveexec_b32 s2, s15
	s_cbranch_execz .LBB6_7
; %bb.6:                                ;   in Loop: Header=BB6_3 Depth=1
	v_cvt_f32_u32_e32 v1, s12
	s_sub_co_i32 s15, 0, s12
	s_delay_alu instid0(VALU_DEP_1) | instskip(NEXT) | instid1(TRANS32_DEP_1)
	v_rcp_iflag_f32_e32 v1, v1
	v_mul_f32_e32 v1, 0x4f7ffffe, v1
	s_delay_alu instid0(VALU_DEP_1) | instskip(SKIP_1) | instid1(VALU_DEP_1)
	v_cvt_u32_f32_e32 v1, v1
	s_wait_alu 0xfffe
	v_mul_lo_u32 v6, s15, v1
	s_delay_alu instid0(VALU_DEP_1) | instskip(NEXT) | instid1(VALU_DEP_1)
	v_mul_hi_u32 v6, v1, v6
	v_add_nc_u32_e32 v1, v1, v6
	s_delay_alu instid0(VALU_DEP_1) | instskip(NEXT) | instid1(VALU_DEP_1)
	v_mul_hi_u32 v1, v10, v1
	v_mul_lo_u32 v6, v1, s12
	v_add_nc_u32_e32 v7, 1, v1
	s_delay_alu instid0(VALU_DEP_2) | instskip(NEXT) | instid1(VALU_DEP_1)
	v_sub_nc_u32_e32 v6, v10, v6
	v_subrev_nc_u32_e32 v9, s12, v6
	v_cmp_le_u32_e32 vcc_lo, s12, v6
	s_wait_alu 0xfffd
	s_delay_alu instid0(VALU_DEP_2) | instskip(NEXT) | instid1(VALU_DEP_1)
	v_dual_cndmask_b32 v6, v6, v9 :: v_dual_cndmask_b32 v1, v1, v7
	v_cmp_le_u32_e32 vcc_lo, s12, v6
	s_delay_alu instid0(VALU_DEP_2) | instskip(SKIP_1) | instid1(VALU_DEP_1)
	v_add_nc_u32_e32 v7, 1, v1
	s_wait_alu 0xfffd
	v_dual_cndmask_b32 v6, v1, v7 :: v_dual_mov_b32 v7, v8
.LBB6_7:                                ;   in Loop: Header=BB6_3 Depth=1
	s_wait_alu 0xfffe
	s_or_b32 exec_lo, exec_lo, s2
	s_load_b64 s[16:17], s[10:11], 0xc8
	s_delay_alu instid0(VALU_DEP_1)
	v_mul_lo_u32 v1, v7, s12
	v_mul_lo_u32 v9, v6, s13
	v_mad_co_u64_u32 v[12:13], null, v6, s12, 0
	s_add_co_i32 s14, s14, -1
	s_add_nc_u64 s[10:11], s[10:11], -8
	s_wait_alu 0xfffe
	s_cmp_gt_u32 s14, 2
	v_add3_u32 v1, v13, v9, v1
	v_sub_co_u32 v9, vcc_lo, v10, v12
	s_wait_alu 0xfffd
	s_delay_alu instid0(VALU_DEP_2) | instskip(SKIP_1) | instid1(VALU_DEP_2)
	v_sub_co_ci_u32_e64 v1, null, v11, v1, vcc_lo
	s_wait_kmcnt 0x0
	v_mul_lo_u32 v10, s17, v9
	s_delay_alu instid0(VALU_DEP_2) | instskip(SKIP_1) | instid1(VALU_DEP_1)
	v_mul_lo_u32 v1, s16, v1
	v_mad_co_u64_u32 v[2:3], null, s16, v9, v[2:3]
	v_add3_u32 v3, v10, v3, v1
	s_cbranch_scc0 .LBB6_9
; %bb.8:                                ;   in Loop: Header=BB6_3 Depth=1
	v_dual_mov_b32 v11, v7 :: v_dual_mov_b32 v10, v6
	s_branch .LBB6_3
.LBB6_9:
	s_clause 0x1
	s_load_b32 s10, s[0:1], 0x350
	s_load_b64 s[12:13], s[0:1], 0xd0
	v_dual_mov_b32 v8, 0 :: v_dual_mov_b32 v15, v5
	v_dual_mov_b32 v9, 0 :: v_dual_mov_b32 v14, v4
	s_add_nc_u64 s[14:15], s[0:1], 0x368
	s_wait_kmcnt 0x0
	s_cmp_lt_i32 s10, 2
	s_cbranch_scc1 .LBB6_17
; %bb.10:
	s_add_co_i32 s2, s10, -1
	s_mov_b32 s3, 0
	v_dual_mov_b32 v8, 0 :: v_dual_mov_b32 v13, v5
	s_wait_alu 0xfffe
	s_lshl_b64 s[16:17], s[2:3], 3
	v_dual_mov_b32 v9, 0 :: v_dual_mov_b32 v10, 0
	v_mov_b32_e32 v12, v4
	s_wait_alu 0xfffe
	s_add_nc_u64 s[16:17], s[0:1], s[16:17]
	s_add_co_i32 s18, s10, 1
	s_wait_alu 0xfffe
	s_add_nc_u64 s[10:11], s[16:17], 0x1c0
.LBB6_11:                               ; =>This Inner Loop Header: Depth=1
	s_load_b64 s[16:17], s[10:11], 0x0
                                        ; implicit-def: $vgpr14_vgpr15
	s_mov_b32 s2, exec_lo
	s_wait_kmcnt 0x0
	v_or_b32_e32 v11, s17, v13
	s_delay_alu instid0(VALU_DEP_1)
	v_cmpx_ne_u64_e32 0, v[10:11]
	s_wait_alu 0xfffe
	s_xor_b32 s19, exec_lo, s2
	s_cbranch_execz .LBB6_13
; %bb.12:                               ;   in Loop: Header=BB6_11 Depth=1
	s_cvt_f32_u32 s2, s16
	s_cvt_f32_u32 s20, s17
	s_sub_nc_u64 s[22:23], 0, s[16:17]
	s_wait_alu 0xfffe
	s_delay_alu instid0(SALU_CYCLE_1) | instskip(SKIP_1) | instid1(SALU_CYCLE_2)
	s_fmamk_f32 s2, s20, 0x4f800000, s2
	s_wait_alu 0xfffe
	v_s_rcp_f32 s2, s2
	s_delay_alu instid0(TRANS32_DEP_1) | instskip(SKIP_1) | instid1(SALU_CYCLE_2)
	s_mul_f32 s2, s2, 0x5f7ffffc
	s_wait_alu 0xfffe
	s_mul_f32 s20, s2, 0x2f800000
	s_wait_alu 0xfffe
	s_delay_alu instid0(SALU_CYCLE_2) | instskip(SKIP_1) | instid1(SALU_CYCLE_2)
	s_trunc_f32 s20, s20
	s_wait_alu 0xfffe
	s_fmamk_f32 s2, s20, 0xcf800000, s2
	s_cvt_u32_f32 s21, s20
	s_wait_alu 0xfffe
	s_delay_alu instid0(SALU_CYCLE_1) | instskip(SKIP_1) | instid1(SALU_CYCLE_2)
	s_cvt_u32_f32 s20, s2
	s_wait_alu 0xfffe
	s_mul_u64 s[24:25], s[22:23], s[20:21]
	s_delay_alu instid0(SALU_CYCLE_1)
	s_mul_hi_u32 s27, s20, s25
	s_mul_i32 s26, s20, s25
	s_mul_hi_u32 s2, s20, s24
	s_mul_i32 s29, s21, s24
	s_wait_alu 0xfffe
	s_add_nc_u64 s[26:27], s[2:3], s[26:27]
	s_mul_hi_u32 s28, s21, s24
	s_mul_hi_u32 s30, s21, s25
	s_add_co_u32 s2, s26, s29
	s_add_co_ci_u32 s2, s27, s28
	s_mul_i32 s24, s21, s25
	s_add_co_ci_u32 s25, s30, 0
	s_wait_alu 0xfffe
	s_add_nc_u64 s[24:25], s[2:3], s[24:25]
	s_delay_alu instid0(SALU_CYCLE_1)
	s_add_co_u32 s20, s20, s24
	s_cselect_b32 s2, -1, 0
	s_wait_alu 0xfffe
	s_cmp_lg_u32 s2, 0
	s_add_co_ci_u32 s21, s21, s25
	s_wait_alu 0xfffe
	s_mul_u64 s[22:23], s[22:23], s[20:21]
	s_delay_alu instid0(SALU_CYCLE_1)
	s_mul_hi_u32 s25, s20, s23
	s_mul_i32 s24, s20, s23
	s_mul_hi_u32 s2, s20, s22
	s_mul_i32 s27, s21, s22
	s_wait_alu 0xfffe
	s_add_nc_u64 s[24:25], s[2:3], s[24:25]
	s_mul_hi_u32 s26, s21, s22
	s_mul_hi_u32 s28, s21, s23
	s_add_co_u32 s2, s24, s27
	s_add_co_ci_u32 s2, s25, s26
	s_mul_i32 s22, s21, s23
	s_add_co_ci_u32 s23, s28, 0
	s_wait_alu 0xfffe
	s_add_nc_u64 s[22:23], s[2:3], s[22:23]
	s_delay_alu instid0(SALU_CYCLE_1)
	s_add_co_u32 s2, s20, s22
	s_cselect_b32 s20, -1, 0
	s_wait_alu 0xfffe
	v_mul_hi_u32 v1, v12, s2
	s_cmp_lg_u32 s20, 0
	v_mad_co_u64_u32 v[17:18], null, v13, s2, 0
	s_add_co_ci_u32 s20, s21, s23
	s_wait_alu 0xfffe
	v_mad_co_u64_u32 v[14:15], null, v12, s20, 0
	v_mad_co_u64_u32 v[19:20], null, v13, s20, 0
	s_delay_alu instid0(VALU_DEP_2) | instskip(SKIP_1) | instid1(VALU_DEP_3)
	v_add_co_u32 v1, vcc_lo, v1, v14
	s_wait_alu 0xfffd
	v_add_co_ci_u32_e64 v11, null, 0, v15, vcc_lo
	s_delay_alu instid0(VALU_DEP_2) | instskip(SKIP_1) | instid1(VALU_DEP_2)
	v_add_co_u32 v1, vcc_lo, v1, v17
	s_wait_alu 0xfffd
	v_add_co_ci_u32_e32 v1, vcc_lo, v11, v18, vcc_lo
	s_wait_alu 0xfffd
	v_add_co_ci_u32_e32 v11, vcc_lo, 0, v20, vcc_lo
	s_delay_alu instid0(VALU_DEP_2) | instskip(SKIP_1) | instid1(VALU_DEP_2)
	v_add_co_u32 v1, vcc_lo, v1, v19
	s_wait_alu 0xfffd
	v_add_co_ci_u32_e64 v11, null, 0, v11, vcc_lo
	s_delay_alu instid0(VALU_DEP_2) | instskip(SKIP_1) | instid1(VALU_DEP_3)
	v_mul_lo_u32 v17, s17, v1
	v_mad_co_u64_u32 v[14:15], null, s16, v1, 0
	v_mul_lo_u32 v18, s16, v11
	s_delay_alu instid0(VALU_DEP_2) | instskip(NEXT) | instid1(VALU_DEP_2)
	v_sub_co_u32 v14, vcc_lo, v12, v14
	v_add3_u32 v15, v15, v18, v17
	v_add_co_u32 v18, s2, v1, 2
	s_wait_alu 0xf1ff
	v_add_co_ci_u32_e64 v19, null, 0, v11, s2
	s_delay_alu instid0(VALU_DEP_3) | instskip(SKIP_3) | instid1(VALU_DEP_3)
	v_sub_nc_u32_e32 v17, v13, v15
	v_sub_co_u32 v20, s2, v14, s16
	s_wait_alu 0xfffd
	v_sub_co_ci_u32_e64 v15, null, v13, v15, vcc_lo
	v_subrev_co_ci_u32_e64 v17, null, s17, v17, vcc_lo
	s_delay_alu instid0(VALU_DEP_3) | instskip(SKIP_1) | instid1(VALU_DEP_2)
	v_cmp_le_u32_e32 vcc_lo, s16, v20
	s_wait_alu 0xf1ff
	v_subrev_co_ci_u32_e64 v17, null, 0, v17, s2
	s_wait_alu 0xfffd
	v_cndmask_b32_e64 v20, 0, -1, vcc_lo
	v_cmp_eq_u32_e64 s2, s17, v15
	s_delay_alu instid0(VALU_DEP_3)
	v_cmp_le_u32_e32 vcc_lo, s17, v17
	s_wait_alu 0xfffd
	v_cndmask_b32_e64 v21, 0, -1, vcc_lo
	v_cmp_le_u32_e32 vcc_lo, s16, v14
	s_wait_alu 0xfffd
	v_cndmask_b32_e64 v14, 0, -1, vcc_lo
	;; [unrolled: 3-line block ×3, first 2 shown]
	v_cmp_eq_u32_e32 vcc_lo, s17, v17
	s_wait_alu 0xf1ff
	s_delay_alu instid0(VALU_DEP_2)
	v_cndmask_b32_e64 v14, v22, v14, s2
	s_wait_alu 0xfffd
	v_cndmask_b32_e32 v17, v21, v20, vcc_lo
	v_add_co_u32 v20, vcc_lo, v1, 1
	s_wait_alu 0xfffd
	v_add_co_ci_u32_e64 v21, null, 0, v11, vcc_lo
	s_delay_alu instid0(VALU_DEP_3) | instskip(SKIP_1) | instid1(VALU_DEP_2)
	v_cmp_ne_u32_e32 vcc_lo, 0, v17
	s_wait_alu 0xfffd
	v_cndmask_b32_e32 v15, v21, v19, vcc_lo
	v_cndmask_b32_e32 v17, v20, v18, vcc_lo
	v_cmp_ne_u32_e32 vcc_lo, 0, v14
	s_wait_alu 0xfffd
	s_delay_alu instid0(VALU_DEP_2)
	v_dual_cndmask_b32 v15, v11, v15 :: v_dual_cndmask_b32 v14, v1, v17
.LBB6_13:                               ;   in Loop: Header=BB6_11 Depth=1
	s_wait_alu 0xfffe
	s_and_not1_saveexec_b32 s2, s19
	s_cbranch_execz .LBB6_15
; %bb.14:                               ;   in Loop: Header=BB6_11 Depth=1
	v_cvt_f32_u32_e32 v1, s16
	s_sub_co_i32 s19, 0, s16
	s_delay_alu instid0(VALU_DEP_1) | instskip(NEXT) | instid1(TRANS32_DEP_1)
	v_rcp_iflag_f32_e32 v1, v1
	v_mul_f32_e32 v1, 0x4f7ffffe, v1
	s_delay_alu instid0(VALU_DEP_1) | instskip(SKIP_1) | instid1(VALU_DEP_1)
	v_cvt_u32_f32_e32 v1, v1
	s_wait_alu 0xfffe
	v_mul_lo_u32 v11, s19, v1
	s_delay_alu instid0(VALU_DEP_1) | instskip(NEXT) | instid1(VALU_DEP_1)
	v_mul_hi_u32 v11, v1, v11
	v_add_nc_u32_e32 v1, v1, v11
	s_delay_alu instid0(VALU_DEP_1) | instskip(NEXT) | instid1(VALU_DEP_1)
	v_mul_hi_u32 v1, v12, v1
	v_mul_lo_u32 v11, v1, s16
	s_delay_alu instid0(VALU_DEP_1) | instskip(NEXT) | instid1(VALU_DEP_1)
	v_sub_nc_u32_e32 v11, v12, v11
	v_subrev_nc_u32_e32 v15, s16, v11
	v_cmp_le_u32_e32 vcc_lo, s16, v11
	s_wait_alu 0xfffd
	s_delay_alu instid0(VALU_DEP_2) | instskip(NEXT) | instid1(VALU_DEP_1)
	v_dual_cndmask_b32 v11, v11, v15 :: v_dual_add_nc_u32 v14, 1, v1
	v_cndmask_b32_e32 v1, v1, v14, vcc_lo
	v_mov_b32_e32 v15, v10
	s_delay_alu instid0(VALU_DEP_3) | instskip(NEXT) | instid1(VALU_DEP_3)
	v_cmp_le_u32_e32 vcc_lo, s16, v11
	v_add_nc_u32_e32 v14, 1, v1
	s_wait_alu 0xfffd
	s_delay_alu instid0(VALU_DEP_1)
	v_cndmask_b32_e32 v14, v1, v14, vcc_lo
.LBB6_15:                               ;   in Loop: Header=BB6_11 Depth=1
	s_wait_alu 0xfffe
	s_or_b32 exec_lo, exec_lo, s2
	s_load_b64 s[20:21], s[10:11], 0xc8
	v_mul_lo_u32 v1, v15, s16
	v_mul_lo_u32 v11, v14, s17
	v_mad_co_u64_u32 v[17:18], null, v14, s16, 0
	s_add_co_i32 s18, s18, -1
	s_add_nc_u64 s[10:11], s[10:11], -8
	s_wait_alu 0xfffe
	s_cmp_gt_u32 s18, 2
	v_add3_u32 v1, v18, v11, v1
	v_sub_co_u32 v11, vcc_lo, v12, v17
	s_wait_alu 0xfffd
	s_delay_alu instid0(VALU_DEP_2) | instskip(SKIP_1) | instid1(VALU_DEP_2)
	v_sub_co_ci_u32_e64 v1, null, v13, v1, vcc_lo
	s_wait_kmcnt 0x0
	v_mul_lo_u32 v12, s21, v11
	s_delay_alu instid0(VALU_DEP_2) | instskip(SKIP_1) | instid1(VALU_DEP_1)
	v_mul_lo_u32 v1, s20, v1
	v_mad_co_u64_u32 v[8:9], null, s20, v11, v[8:9]
	v_add3_u32 v9, v12, v9, v1
	s_cbranch_scc0 .LBB6_17
; %bb.16:                               ;   in Loop: Header=BB6_11 Depth=1
	v_dual_mov_b32 v12, v14 :: v_dual_mov_b32 v13, v15
	s_branch .LBB6_11
.LBB6_17:
	s_clause 0x2
	s_load_b64 s[2:3], s[0:1], 0x288
	s_load_b64 s[16:17], s[0:1], 0x0
	s_load_b64 s[18:19], s[0:1], 0x1b8
	v_mov_b32_e32 v1, 0
	s_load_b64 s[10:11], s[0:1], 0x358
	v_mul_lo_u32 v17, s12, v7
	v_mul_lo_u32 v18, s13, v6
	v_cmp_gt_u64_e32 vcc_lo, s[4:5], v[4:5]
	v_dual_mov_b32 v5, v1 :: v_dual_and_b32 v4, 0x3ff, v0
	s_wait_kmcnt 0x0
	v_mul_lo_u32 v12, s3, v14
	v_mul_lo_u32 v13, s2, v15
	v_mad_co_u64_u32 v[10:11], null, s2, v14, 0
	s_load_b32 s2, s[14:15], 0xc
	v_lshlrev_b64_e32 v[14:15], 3, v[8:9]
	v_mov_b32_e32 v8, 0
	v_mov_b32_e32 v9, 0
	v_add3_u32 v11, v11, v13, v12
	v_mad_co_u64_u32 v[12:13], null, s12, v6, s[16:17]
	v_mov_b32_e32 v6, 0
	v_cmp_gt_u64_e64 s0, s[6:7], v[4:5]
	s_delay_alu instid0(VALU_DEP_4) | instskip(SKIP_3) | instid1(VALU_DEP_3)
	v_lshlrev_b64_e32 v[10:11], 3, v[10:11]
	v_mov_b32_e32 v7, 0
	v_add3_u32 v0, v18, v13, v17
	s_and_b32 s4, vcc_lo, s0
	v_add_co_u32 v5, s1, s18, v10
	s_delay_alu instid0(VALU_DEP_1)
	v_add_co_ci_u32_e64 v10, null, s19, v11, s1
	v_add_co_u32 v2, s1, v12, v2
	s_wait_alu 0xf1ff
	v_add_co_ci_u32_e64 v3, null, v0, v3, s1
	v_add_co_u32 v5, s1, v5, v14
	s_wait_alu 0xf1ff
	v_add_co_ci_u32_e64 v10, null, v10, v15, s1
	v_mov_b32_e32 v14, 0
	s_wait_alu 0xfffe
	s_and_saveexec_b32 s3, s4
	s_cbranch_execz .LBB6_19
; %bb.18:
	v_mad_co_u64_u32 v[8:9], null, s10, v4, 0
	v_mad_co_u64_u32 v[11:12], null, s8, v4, v[2:3]
	s_delay_alu instid0(VALU_DEP_2) | instskip(NEXT) | instid1(VALU_DEP_1)
	v_mov_b32_e32 v0, v9
	v_mad_co_u64_u32 v[13:14], null, s11, v4, v[0:1]
	s_delay_alu instid0(VALU_DEP_1) | instskip(NEXT) | instid1(VALU_DEP_1)
	v_dual_mov_b32 v0, v12 :: v_dual_mov_b32 v9, v13
	v_mad_co_u64_u32 v[12:13], null, s9, v4, v[0:1]
	s_delay_alu instid0(VALU_DEP_2) | instskip(NEXT) | instid1(VALU_DEP_1)
	v_lshlrev_b64_e32 v[8:9], 3, v[8:9]
	v_add_co_u32 v8, s1, v5, v8
	s_wait_alu 0xf1ff
	s_delay_alu instid0(VALU_DEP_2)
	v_add_co_ci_u32_e64 v9, null, v10, v9, s1
	global_load_u8 v14, v[11:12], off
	global_load_b64 v[8:9], v[8:9], off
.LBB6_19:
	s_wait_alu 0xfffe
	s_or_b32 exec_lo, exec_lo, s3
	v_lshlrev_b32_e32 v11, 5, v16
	s_wait_kmcnt 0x0
	s_and_b32 s3, 0xffff, s2
	v_lshlrev_b32_e32 v13, 8, v16
	s_wait_alu 0xfffe
	v_add_nc_u32_e32 v0, s3, v4
	v_cndmask_b32_e64 v16, 0, 1, s4
	v_add_nc_u32_e32 v15, 0x1000, v11
	v_add_nc_u32_e32 v17, 0x1200, v11
	v_lshl_add_u32 v11, v4, 3, v13
	v_cmp_gt_u64_e64 s1, s[6:7], v[0:1]
	s_delay_alu instid0(VALU_DEP_4) | instskip(NEXT) | instid1(VALU_DEP_4)
	v_add_nc_u32_e32 v12, v15, v4
	v_add_nc_u32_e32 v18, v17, v4
	s_wait_loadcnt 0x1
	ds_store_b8 v12, v14
	s_wait_loadcnt 0x0
	ds_store_b64 v11, v[8:9]
	ds_store_b8 v18, v16
	s_and_b32 s4, vcc_lo, s1
	s_wait_alu 0xfffe
	s_and_saveexec_b32 s5, s4
	s_cbranch_execz .LBB6_21
; %bb.20:
	v_mad_co_u64_u32 v[6:7], null, s10, v0, 0
	v_mad_co_u64_u32 v[8:9], null, s8, v0, v[2:3]
	s_delay_alu instid0(VALU_DEP_2) | instskip(NEXT) | instid1(VALU_DEP_1)
	v_mov_b32_e32 v1, v7
	v_mad_co_u64_u32 v[18:19], null, s11, v0, v[1:2]
	s_delay_alu instid0(VALU_DEP_3) | instskip(NEXT) | instid1(VALU_DEP_2)
	v_mov_b32_e32 v1, v9
	v_mov_b32_e32 v7, v18
	s_delay_alu instid0(VALU_DEP_2) | instskip(NEXT) | instid1(VALU_DEP_2)
	v_mad_co_u64_u32 v[18:19], null, s9, v0, v[1:2]
	v_lshlrev_b64_e32 v[6:7], 3, v[6:7]
	s_delay_alu instid0(VALU_DEP_2) | instskip(NEXT) | instid1(VALU_DEP_2)
	v_mov_b32_e32 v9, v18
	v_add_co_u32 v6, s2, v5, v6
	s_wait_alu 0xf1ff
	s_delay_alu instid0(VALU_DEP_3)
	v_add_co_ci_u32_e64 v7, null, v10, v7, s2
	global_load_u8 v1, v[8:9], off
	global_load_b64 v[6:7], v[6:7], off
.LBB6_21:
	s_wait_alu 0xfffe
	s_or_b32 exec_lo, exec_lo, s5
	v_add_nc_u32_e32 v8, v15, v0
	v_lshlrev_b32_e32 v18, 1, v4
	v_lshl_add_u32 v9, s3, 3, v11
	v_cndmask_b32_e64 v14, 0, 1, s4
	v_add_nc_u32_e32 v16, v17, v0
	s_wait_loadcnt 0x1
	ds_store_b8 v8, v1
	s_wait_loadcnt 0x0
	ds_store_b64 v9, v[6:7]
	ds_store_b8 v16, v14
	v_add_nc_u32_e32 v1, v15, v18
	v_add_nc_u32_e32 v6, v17, v18
	s_wait_dscnt 0x0
	s_barrier_signal -1
	s_barrier_wait -1
	global_inv scope:SCOPE_SE
	ds_load_u16 v20, v1
	ds_load_u16 v16, v6
	v_and_b32_e32 v7, 1, v4
	s_wait_dscnt 0x1
	v_and_b32_e32 v19, 0xff, v20
	s_wait_dscnt 0x0
	v_lshrrev_b16 v14, 8, v16
	v_lshrrev_b16 v21, 8, v20
	v_and_b32_e32 v22, 1, v16
	s_delay_alu instid0(VALU_DEP_3) | instskip(NEXT) | instid1(VALU_DEP_3)
	v_cmp_ne_u16_e64 s4, v14, v7
	v_cmp_lt_u16_e64 s2, v19, v21
	s_delay_alu instid0(VALU_DEP_3) | instskip(SKIP_1) | instid1(VALU_DEP_3)
	v_cmp_eq_u32_e64 s3, 1, v22
	s_wait_alu 0xf1ff
	v_cndmask_b32_e64 v19, 0, 1, s4
	s_and_b32 s2, s2, s3
	s_wait_alu 0xfffe
	s_delay_alu instid0(VALU_DEP_1) | instskip(NEXT) | instid1(VALU_DEP_1)
	v_cndmask_b32_e64 v19, v19, v4, s2
	v_and_b32_e32 v19, 1, v19
	s_delay_alu instid0(VALU_DEP_1)
	v_cmp_eq_u32_e64 s2, 1, v19
	v_lshl_add_u32 v19, v4, 3, v11
	s_and_saveexec_b32 s3, s2
	s_wait_alu 0xfffe
	s_xor_b32 s2, exec_lo, s3
	s_cbranch_execz .LBB6_23
; %bb.22:
	ds_load_b128 v[22:25], v19
	v_lshlrev_b16 v20, 8, v20
	v_lshlrev_b16 v16, 8, v16
	s_delay_alu instid0(VALU_DEP_2) | instskip(NEXT) | instid1(VALU_DEP_2)
	v_or_b32_e32 v26, v21, v20
	v_or_b32_e32 v14, v14, v16
	s_wait_dscnt 0x0
	v_dual_mov_b32 v20, v24 :: v_dual_mov_b32 v21, v25
	ds_store_b16 v1, v26
	ds_store_b128 v19, v[20:23]
	ds_store_b16 v6, v14
.LBB6_23:
	s_wait_alu 0xfffe
	s_or_b32 exec_lo, exec_lo, s2
	v_sub_nc_u32_e32 v16, v18, v7
	s_wait_loadcnt_dscnt 0x0
	s_barrier_signal -1
	s_barrier_wait -1
	global_inv scope:SCOPE_SE
	v_add_nc_u32_e32 v7, v17, v16
	v_add_nc_u32_e32 v14, v15, v16
	v_bfe_u32 v25, v4, 1, 1
	v_lshl_add_u32 v16, v16, 3, v13
	ds_load_u8 v21, v7
	ds_load_u8 v22, v14
	ds_load_u8 v24, v14 offset:2
	ds_load_u8 v23, v7 offset:2
	s_wait_dscnt 0x3
	v_and_b32_e32 v20, 1, v21
	s_wait_dscnt 0x1
	v_cmp_lt_u16_e64 s2, v22, v24
	s_wait_dscnt 0x0
	v_cmp_ne_u16_e64 s4, v23, v25
	v_cmp_eq_u32_e64 s3, 1, v20
	s_wait_alu 0xf1ff
	s_delay_alu instid0(VALU_DEP_2) | instskip(SKIP_2) | instid1(VALU_DEP_1)
	v_cndmask_b32_e64 v20, 0, 1, s4
	s_and_b32 s2, s2, s3
	s_wait_alu 0xfffe
	v_cndmask_b32_e64 v25, v20, v25, s2
	v_and_b32_e32 v20, 2, v4
	s_delay_alu instid0(VALU_DEP_2) | instskip(NEXT) | instid1(VALU_DEP_2)
	v_and_b32_e32 v25, 1, v25
	v_cmp_ne_u32_e64 s2, 0, v20
	s_delay_alu instid0(VALU_DEP_2)
	v_cmp_eq_u32_e64 s3, 1, v25
	s_and_saveexec_b32 s4, s3
	s_wait_alu 0xfffe
	s_xor_b32 s3, exec_lo, s4
	s_cbranch_execz .LBB6_25
; %bb.24:
	ds_load_2addr_b64 v[25:28], v16 offset1:2
	s_wait_dscnt 0x0
	ds_store_2addr_b64 v16, v[27:28], v[25:26] offset1:2
	ds_store_b8 v14, v24
	ds_store_b8 v14, v22 offset:2
	ds_store_b8 v7, v23
	ds_store_b8 v7, v21 offset:2
.LBB6_25:
	s_wait_alu 0xfffe
	s_or_b32 exec_lo, exec_lo, s3
	s_wait_loadcnt_dscnt 0x0
	s_barrier_signal -1
	s_barrier_wait -1
	global_inv scope:SCOPE_SE
	ds_load_u16 v22, v1
	ds_load_u16 v21, v6
	v_lshrrev_b32_e32 v24, 1, v20
	v_cndmask_b32_e64 v27, 0, 1, s2
	s_wait_dscnt 0x1
	v_and_b32_e32 v25, 0xff, v22
	s_wait_dscnt 0x0
	v_lshrrev_b16 v20, 8, v21
	v_lshrrev_b16 v23, 8, v22
	v_and_b32_e32 v26, 1, v21
	s_delay_alu instid0(VALU_DEP_3) | instskip(NEXT) | instid1(VALU_DEP_3)
	v_cmp_ne_u16_e64 s4, v20, v24
	v_cmp_lt_u16_e64 s2, v25, v23
	s_delay_alu instid0(VALU_DEP_3) | instskip(SKIP_1) | instid1(VALU_DEP_3)
	v_cmp_eq_u32_e64 s3, 1, v26
	s_wait_alu 0xf1ff
	v_cndmask_b32_e64 v24, 0, 1, s4
	s_and_b32 s2, s2, s3
	s_mov_b32 s3, exec_lo
	s_wait_alu 0xfffe
	s_delay_alu instid0(VALU_DEP_1) | instskip(NEXT) | instid1(VALU_DEP_1)
	v_cndmask_b32_e64 v24, v24, v27, s2
	v_and_b32_e32 v24, 1, v24
	s_delay_alu instid0(VALU_DEP_1)
	v_cmpx_eq_u32_e32 1, v24
	s_cbranch_execz .LBB6_27
; %bb.26:
	ds_load_b128 v[24:27], v19
	v_lshlrev_b16 v22, 8, v22
	v_lshlrev_b16 v28, 8, v21
	s_delay_alu instid0(VALU_DEP_2) | instskip(NEXT) | instid1(VALU_DEP_2)
	v_or_b32_e32 v29, v23, v22
	v_or_b32_e32 v20, v20, v28
	s_wait_dscnt 0x0
	v_dual_mov_b32 v21, v26 :: v_dual_mov_b32 v22, v27
	v_dual_mov_b32 v23, v24 :: v_dual_mov_b32 v24, v25
	ds_store_b16 v1, v29
	ds_store_b128 v19, v[21:24]
	ds_store_b16 v6, v20
.LBB6_27:
	s_or_b32 exec_lo, exec_lo, s3
	v_and_b32_e32 v19, 3, v4
	s_wait_loadcnt_dscnt 0x0
	s_barrier_signal -1
	s_barrier_wait -1
	global_inv scope:SCOPE_SE
	v_sub_nc_u32_e32 v22, v18, v19
	v_bfe_u32 v27, v4, 2, 1
	s_delay_alu instid0(VALU_DEP_2)
	v_add_nc_u32_e32 v19, v17, v22
	v_add_nc_u32_e32 v20, v15, v22
	v_lshl_add_u32 v22, v22, 3, v13
	ds_load_u8 v23, v19
	ds_load_u8 v24, v20
	ds_load_u8 v26, v20 offset:4
	ds_load_u8 v25, v19 offset:4
	s_wait_dscnt 0x3
	v_and_b32_e32 v21, 1, v23
	s_wait_dscnt 0x1
	v_cmp_lt_u16_e64 s2, v24, v26
	s_wait_dscnt 0x0
	v_cmp_ne_u16_e64 s4, v25, v27
	v_cmp_eq_u32_e64 s3, 1, v21
	s_wait_alu 0xf1ff
	s_delay_alu instid0(VALU_DEP_2) | instskip(SKIP_3) | instid1(VALU_DEP_1)
	v_cndmask_b32_e64 v21, 0, 1, s4
	s_mov_b32 s4, exec_lo
	s_and_b32 s2, s2, s3
	s_wait_alu 0xfffe
	v_cndmask_b32_e64 v27, v21, v27, s2
	v_and_b32_e32 v21, 4, v4
	s_delay_alu instid0(VALU_DEP_2) | instskip(NEXT) | instid1(VALU_DEP_2)
	v_and_b32_e32 v27, 1, v27
	v_cmp_ne_u32_e64 s2, 0, v21
	s_delay_alu instid0(VALU_DEP_2)
	v_cmpx_eq_u32_e32 1, v27
	s_cbranch_execz .LBB6_29
; %bb.28:
	ds_load_2addr_b64 v[27:30], v22 offset1:4
	s_wait_dscnt 0x0
	ds_store_2addr_b64 v22, v[29:30], v[27:28] offset1:4
	ds_store_b8 v20, v26
	ds_store_b8 v20, v24 offset:4
	ds_store_b8 v19, v25
	ds_store_b8 v19, v23 offset:4
.LBB6_29:
	s_or_b32 exec_lo, exec_lo, s4
	s_wait_loadcnt_dscnt 0x0
	s_barrier_signal -1
	s_barrier_wait -1
	global_inv scope:SCOPE_SE
	ds_load_u8 v24, v7
	ds_load_u8 v25, v14
	ds_load_u8 v27, v14 offset:2
	ds_load_u8 v26, v7 offset:2
	v_lshrrev_b32_e32 v21, 2, v21
	v_cndmask_b32_e64 v23, 0, 1, s2
	s_wait_dscnt 0x3
	v_and_b32_e32 v28, 1, v24
	s_wait_dscnt 0x1
	v_cmp_lt_u16_e64 s2, v25, v27
	s_wait_dscnt 0x0
	v_cmp_ne_u16_e64 s4, v26, v21
	v_cmp_eq_u32_e64 s3, 1, v28
	s_wait_alu 0xf1ff
	s_delay_alu instid0(VALU_DEP_2) | instskip(SKIP_3) | instid1(VALU_DEP_1)
	v_cndmask_b32_e64 v28, 0, 1, s4
	s_and_b32 s2, s2, s3
	s_mov_b32 s3, exec_lo
	s_wait_alu 0xfffe
	v_cndmask_b32_e64 v28, v28, v23, s2
	s_delay_alu instid0(VALU_DEP_1) | instskip(NEXT) | instid1(VALU_DEP_1)
	v_and_b32_e32 v28, 1, v28
	v_cmpx_eq_u32_e32 1, v28
	s_cbranch_execz .LBB6_31
; %bb.30:
	ds_load_2addr_b64 v[28:31], v16 offset1:2
	s_wait_dscnt 0x0
	ds_store_2addr_b64 v16, v[30:31], v[28:29] offset1:2
	ds_store_b8 v14, v27
	ds_store_b8 v14, v25 offset:2
	ds_store_b8 v7, v26
	ds_store_b8 v7, v24 offset:2
.LBB6_31:
	s_or_b32 exec_lo, exec_lo, s3
	s_wait_loadcnt_dscnt 0x0
	s_barrier_signal -1
	s_barrier_wait -1
	global_inv scope:SCOPE_SE
	ds_load_u16 v27, v1
	ds_load_u16 v25, v6
	s_wait_dscnt 0x1
	v_and_b32_e32 v28, 0xff, v27
	s_wait_dscnt 0x0
	v_lshrrev_b16 v24, 8, v25
	v_lshrrev_b16 v26, 8, v27
	v_and_b32_e32 v29, 1, v25
	s_delay_alu instid0(VALU_DEP_3) | instskip(NEXT) | instid1(VALU_DEP_3)
	v_cmp_ne_u16_e64 s4, v24, v21
	v_cmp_lt_u16_e64 s2, v28, v26
	s_delay_alu instid0(VALU_DEP_3) | instskip(SKIP_1) | instid1(VALU_DEP_3)
	v_cmp_eq_u32_e64 s3, 1, v29
	s_wait_alu 0xf1ff
	v_cndmask_b32_e64 v21, 0, 1, s4
	s_and_b32 s2, s2, s3
	s_wait_alu 0xfffe
	s_delay_alu instid0(VALU_DEP_1) | instskip(NEXT) | instid1(VALU_DEP_1)
	v_cndmask_b32_e64 v21, v21, v23, s2
	v_and_b32_e32 v21, 1, v21
	s_delay_alu instid0(VALU_DEP_1)
	v_cmp_eq_u32_e64 s2, 1, v21
	v_lshl_add_u32 v21, v18, 3, v13
	s_and_saveexec_b32 s3, s2
	s_cbranch_execz .LBB6_33
; %bb.32:
	ds_load_b128 v[28:31], v21
	v_lshlrev_b16 v23, 8, v27
	v_lshlrev_b16 v32, 8, v25
	s_delay_alu instid0(VALU_DEP_2) | instskip(NEXT) | instid1(VALU_DEP_2)
	v_or_b32_e32 v23, v26, v23
	v_or_b32_e32 v24, v24, v32
	s_wait_dscnt 0x0
	v_dual_mov_b32 v25, v30 :: v_dual_mov_b32 v26, v31
	v_dual_mov_b32 v27, v28 :: v_dual_mov_b32 v28, v29
	ds_store_b16 v1, v23
	ds_store_b128 v21, v[25:28]
	ds_store_b16 v6, v24
.LBB6_33:
	s_wait_alu 0xfffe
	s_or_b32 exec_lo, exec_lo, s3
	v_and_b32_e32 v23, 7, v4
	s_wait_loadcnt_dscnt 0x0
	s_barrier_signal -1
	s_barrier_wait -1
	global_inv scope:SCOPE_SE
	v_sub_nc_u32_e32 v25, v18, v23
	v_bfe_u32 v31, v4, 3, 1
	s_delay_alu instid0(VALU_DEP_2)
	v_add_nc_u32_e32 v23, v17, v25
	v_add_nc_u32_e32 v24, v15, v25
	v_lshl_add_u32 v25, v25, 3, v13
	ds_load_u8 v27, v23
	ds_load_u8 v28, v24
	ds_load_u8 v30, v24 offset:8
	ds_load_u8 v29, v23 offset:8
	s_wait_dscnt 0x3
	v_and_b32_e32 v26, 1, v27
	s_wait_dscnt 0x1
	v_cmp_lt_u16_e64 s2, v28, v30
	s_wait_dscnt 0x0
	v_cmp_ne_u16_e64 s4, v29, v31
	v_cmp_eq_u32_e64 s3, 1, v26
	s_wait_alu 0xf1ff
	s_delay_alu instid0(VALU_DEP_2) | instskip(SKIP_3) | instid1(VALU_DEP_1)
	v_cndmask_b32_e64 v26, 0, 1, s4
	s_mov_b32 s4, exec_lo
	s_and_b32 s2, s2, s3
	s_wait_alu 0xfffe
	v_cndmask_b32_e64 v31, v26, v31, s2
	v_and_b32_e32 v26, 8, v4
	s_delay_alu instid0(VALU_DEP_2) | instskip(NEXT) | instid1(VALU_DEP_2)
	v_and_b32_e32 v31, 1, v31
	v_cmp_ne_u32_e64 s2, 0, v26
	s_delay_alu instid0(VALU_DEP_2)
	v_cmpx_eq_u32_e32 1, v31
	s_cbranch_execz .LBB6_35
; %bb.34:
	ds_load_2addr_b64 v[31:34], v25 offset1:8
	s_wait_dscnt 0x0
	ds_store_2addr_b64 v25, v[33:34], v[31:32] offset1:8
	ds_store_b8 v24, v30
	ds_store_b8 v24, v28 offset:8
	ds_store_b8 v23, v29
	ds_store_b8 v23, v27 offset:8
.LBB6_35:
	s_or_b32 exec_lo, exec_lo, s4
	s_wait_loadcnt_dscnt 0x0
	s_barrier_signal -1
	s_barrier_wait -1
	global_inv scope:SCOPE_SE
	ds_load_u8 v28, v19
	ds_load_u8 v29, v20
	ds_load_u8 v31, v20 offset:4
	ds_load_u8 v30, v19 offset:4
	v_lshrrev_b32_e32 v26, 3, v26
	v_cndmask_b32_e64 v27, 0, 1, s2
	s_wait_dscnt 0x3
	v_and_b32_e32 v32, 1, v28
	s_wait_dscnt 0x1
	v_cmp_lt_u16_e64 s2, v29, v31
	s_wait_dscnt 0x0
	v_cmp_ne_u16_e64 s4, v30, v26
	v_cmp_eq_u32_e64 s3, 1, v32
	s_wait_alu 0xf1ff
	s_delay_alu instid0(VALU_DEP_2) | instskip(SKIP_3) | instid1(VALU_DEP_1)
	v_cndmask_b32_e64 v32, 0, 1, s4
	s_and_b32 s2, s2, s3
	s_mov_b32 s3, exec_lo
	s_wait_alu 0xfffe
	v_cndmask_b32_e64 v32, v32, v27, s2
	s_delay_alu instid0(VALU_DEP_1) | instskip(NEXT) | instid1(VALU_DEP_1)
	v_and_b32_e32 v32, 1, v32
	v_cmpx_eq_u32_e32 1, v32
	s_cbranch_execz .LBB6_37
; %bb.36:
	ds_load_2addr_b64 v[32:35], v22 offset1:4
	s_wait_dscnt 0x0
	ds_store_2addr_b64 v22, v[34:35], v[32:33] offset1:4
	ds_store_b8 v20, v31
	ds_store_b8 v20, v29 offset:4
	ds_store_b8 v19, v30
	ds_store_b8 v19, v28 offset:4
.LBB6_37:
	s_or_b32 exec_lo, exec_lo, s3
	s_wait_loadcnt_dscnt 0x0
	s_barrier_signal -1
	s_barrier_wait -1
	global_inv scope:SCOPE_SE
	ds_load_u8 v28, v7
	ds_load_u8 v29, v14
	ds_load_u8 v31, v14 offset:2
	ds_load_u8 v30, v7 offset:2
	s_wait_dscnt 0x3
	v_and_b32_e32 v32, 1, v28
	s_wait_dscnt 0x1
	v_cmp_lt_u16_e64 s2, v29, v31
	s_wait_dscnt 0x0
	v_cmp_ne_u16_e64 s4, v30, v26
	v_cmp_eq_u32_e64 s3, 1, v32
	s_wait_alu 0xf1ff
	s_delay_alu instid0(VALU_DEP_2) | instskip(SKIP_3) | instid1(VALU_DEP_1)
	v_cndmask_b32_e64 v32, 0, 1, s4
	s_and_b32 s2, s2, s3
	s_mov_b32 s3, exec_lo
	s_wait_alu 0xfffe
	v_cndmask_b32_e64 v32, v32, v27, s2
	s_delay_alu instid0(VALU_DEP_1) | instskip(NEXT) | instid1(VALU_DEP_1)
	v_and_b32_e32 v32, 1, v32
	v_cmpx_eq_u32_e32 1, v32
	s_cbranch_execz .LBB6_39
; %bb.38:
	ds_load_2addr_b64 v[32:35], v16 offset1:2
	s_wait_dscnt 0x0
	ds_store_2addr_b64 v16, v[34:35], v[32:33] offset1:2
	ds_store_b8 v14, v31
	ds_store_b8 v14, v29 offset:2
	ds_store_b8 v7, v30
	ds_store_b8 v7, v28 offset:2
.LBB6_39:
	s_or_b32 exec_lo, exec_lo, s3
	s_wait_loadcnt_dscnt 0x0
	s_barrier_signal -1
	s_barrier_wait -1
	global_inv scope:SCOPE_SE
	ds_load_u16 v31, v1
	ds_load_u16 v29, v6
	s_wait_dscnt 0x1
	v_and_b32_e32 v32, 0xff, v31
	s_wait_dscnt 0x0
	v_lshrrev_b16 v28, 8, v29
	v_lshrrev_b16 v30, 8, v31
	v_and_b32_e32 v33, 1, v29
	s_delay_alu instid0(VALU_DEP_3) | instskip(NEXT) | instid1(VALU_DEP_3)
	v_cmp_ne_u16_e64 s4, v28, v26
	v_cmp_lt_u16_e64 s2, v32, v30
	s_delay_alu instid0(VALU_DEP_3) | instskip(SKIP_1) | instid1(VALU_DEP_3)
	v_cmp_eq_u32_e64 s3, 1, v33
	s_wait_alu 0xf1ff
	v_cndmask_b32_e64 v26, 0, 1, s4
	s_and_b32 s2, s2, s3
	s_mov_b32 s3, exec_lo
	s_wait_alu 0xfffe
	s_delay_alu instid0(VALU_DEP_1) | instskip(NEXT) | instid1(VALU_DEP_1)
	v_cndmask_b32_e64 v26, v26, v27, s2
	v_and_b32_e32 v26, 1, v26
	s_delay_alu instid0(VALU_DEP_1)
	v_cmpx_eq_u32_e32 1, v26
	s_cbranch_execz .LBB6_41
; %bb.40:
	ds_load_b128 v[32:35], v21
	v_lshlrev_b16 v26, 8, v31
	v_lshlrev_b16 v27, 8, v29
	s_delay_alu instid0(VALU_DEP_2) | instskip(NEXT) | instid1(VALU_DEP_2)
	v_or_b32_e32 v26, v30, v26
	v_or_b32_e32 v27, v28, v27
	s_wait_dscnt 0x0
	v_dual_mov_b32 v29, v34 :: v_dual_mov_b32 v30, v35
	v_dual_mov_b32 v31, v32 :: v_dual_mov_b32 v32, v33
	ds_store_b16 v1, v26
	ds_store_b128 v21, v[29:32]
	ds_store_b16 v6, v27
.LBB6_41:
	s_or_b32 exec_lo, exec_lo, s3
	v_and_b32_e32 v26, 15, v4
	s_wait_loadcnt_dscnt 0x0
	s_barrier_signal -1
	s_barrier_wait -1
	global_inv scope:SCOPE_SE
	v_sub_nc_u32_e32 v18, v18, v26
	s_delay_alu instid0(VALU_DEP_1)
	v_add_nc_u32_e32 v17, v17, v18
	v_add_nc_u32_e32 v15, v15, v18
	ds_load_u8 v26, v17
	ds_load_u8 v29, v17 offset:16
	ds_load_u8 v27, v15
	ds_load_u8 v28, v15 offset:16
	s_wait_dscnt 0x2
	v_and_b32_e32 v29, 0xff, v29
	v_and_b32_e32 v30, 1, v26
	s_wait_dscnt 0x0
	v_cmp_ge_u16_e64 s3, v27, v28
	s_delay_alu instid0(VALU_DEP_3) | instskip(NEXT) | instid1(VALU_DEP_3)
	v_cmp_ne_u16_e64 s4, 0, v29
	v_cmp_eq_u32_e64 s2, 1, v30
	s_xor_b32 s2, s2, -1
	s_wait_alu 0xfffe
	s_or_b32 s2, s3, s2
	s_wait_alu 0xfffe
	s_and_b32 s3, s2, s4
	s_wait_alu 0xfffe
	s_and_saveexec_b32 s2, s3
	s_cbranch_execz .LBB6_43
; %bb.42:
	v_lshl_add_u32 v13, v18, 3, v13
	v_mov_b32_e32 v18, 1
	ds_load_2addr_b64 v[29:32], v13 offset1:16
	s_wait_dscnt 0x0
	ds_store_2addr_b64 v13, v[31:32], v[29:30] offset1:16
	ds_store_b8 v15, v28
	ds_store_b8 v15, v27 offset:16
	ds_store_b8 v17, v18
	ds_store_b8 v17, v26 offset:16
.LBB6_43:
	s_wait_alu 0xfffe
	s_or_b32 exec_lo, exec_lo, s2
	s_wait_loadcnt_dscnt 0x0
	s_barrier_signal -1
	s_barrier_wait -1
	global_inv scope:SCOPE_SE
	ds_load_u8 v13, v23
	ds_load_u8 v18, v23 offset:8
	ds_load_u8 v15, v24
	ds_load_u8 v17, v24 offset:8
	s_wait_dscnt 0x3
	v_and_b32_e32 v26, 1, v13
	s_wait_dscnt 0x2
	v_and_b32_e32 v18, 0xff, v18
	s_wait_dscnt 0x0
	v_cmp_ge_u16_e64 s3, v15, v17
	v_cmp_eq_u32_e64 s2, 1, v26
	s_delay_alu instid0(VALU_DEP_3)
	v_cmp_ne_u16_e64 s4, 0, v18
	s_xor_b32 s2, s2, -1
	s_wait_alu 0xfffe
	s_or_b32 s2, s3, s2
	s_wait_alu 0xfffe
	s_and_b32 s3, s2, s4
	s_wait_alu 0xfffe
	s_and_saveexec_b32 s2, s3
	s_cbranch_execz .LBB6_45
; %bb.44:
	ds_load_2addr_b64 v[26:29], v25 offset1:8
	v_mov_b32_e32 v18, 1
	s_wait_dscnt 0x0
	ds_store_2addr_b64 v25, v[28:29], v[26:27] offset1:8
	ds_store_b8 v24, v17
	ds_store_b8 v24, v15 offset:8
	ds_store_b8 v23, v18
	ds_store_b8 v23, v13 offset:8
.LBB6_45:
	s_wait_alu 0xfffe
	s_or_b32 exec_lo, exec_lo, s2
	s_wait_loadcnt_dscnt 0x0
	s_barrier_signal -1
	s_barrier_wait -1
	global_inv scope:SCOPE_SE
	ds_load_u8 v13, v19
	ds_load_u8 v18, v19 offset:4
	ds_load_u8 v15, v20
	ds_load_u8 v17, v20 offset:4
	s_wait_dscnt 0x3
	v_and_b32_e32 v23, 1, v13
	s_wait_dscnt 0x2
	v_and_b32_e32 v18, 0xff, v18
	s_wait_dscnt 0x0
	v_cmp_ge_u16_e64 s3, v15, v17
	v_cmp_eq_u32_e64 s2, 1, v23
	s_delay_alu instid0(VALU_DEP_3)
	v_cmp_ne_u16_e64 s4, 0, v18
	s_xor_b32 s2, s2, -1
	s_wait_alu 0xfffe
	s_or_b32 s2, s3, s2
	s_wait_alu 0xfffe
	s_and_b32 s3, s2, s4
	s_wait_alu 0xfffe
	s_and_saveexec_b32 s2, s3
	s_cbranch_execz .LBB6_47
; %bb.46:
	ds_load_2addr_b64 v[23:26], v22 offset1:4
	v_mov_b32_e32 v18, 1
	s_wait_dscnt 0x0
	ds_store_2addr_b64 v22, v[25:26], v[23:24] offset1:4
	ds_store_b8 v20, v17
	ds_store_b8 v20, v15 offset:4
	ds_store_b8 v19, v18
	ds_store_b8 v19, v13 offset:4
.LBB6_47:
	;; [unrolled: 37-line block ×3, first 2 shown]
	s_wait_alu 0xfffe
	s_or_b32 exec_lo, exec_lo, s2
	s_wait_loadcnt_dscnt 0x0
	s_barrier_signal -1
	s_barrier_wait -1
	global_inv scope:SCOPE_SE
	ds_load_u16 v7, v6
	ds_load_u16 v14, v1
	s_wait_dscnt 0x1
	v_and_b32_e32 v15, 1, v7
	s_wait_dscnt 0x0
	v_and_b32_e32 v16, 0xff, v14
	v_lshrrev_b16 v13, 8, v14
	v_lshrrev_b16 v17, 8, v7
	v_cmp_eq_u32_e64 s2, 1, v15
	s_delay_alu instid0(VALU_DEP_3) | instskip(NEXT) | instid1(VALU_DEP_3)
	v_cmp_ge_u16_e64 s3, v16, v13
	v_cmp_ne_u16_e64 s4, 0, v17
	s_xor_b32 s2, s2, -1
	s_wait_alu 0xfffe
	s_or_b32 s2, s3, s2
	s_wait_alu 0xfffe
	s_and_b32 s3, s2, s4
	s_wait_alu 0xfffe
	s_and_saveexec_b32 s2, s3
	s_cbranch_execz .LBB6_51
; %bb.50:
	ds_load_b128 v[15:18], v21
	v_lshlrev_b16 v14, 8, v14
	v_lshlrev_b16 v7, 8, v7
	s_delay_alu instid0(VALU_DEP_2) | instskip(NEXT) | instid1(VALU_DEP_2)
	v_or_b32_e32 v19, v13, v14
	v_or_b32_e32 v7, 1, v7
	s_wait_dscnt 0x0
	v_dual_mov_b32 v13, v17 :: v_dual_mov_b32 v14, v18
	ds_store_b16 v1, v19
	ds_store_b128 v21, v[13:16]
	ds_store_b16 v6, v7
.LBB6_51:
	s_wait_alu 0xfffe
	s_or_b32 exec_lo, exec_lo, s2
	s_wait_loadcnt_dscnt 0x0
	s_barrier_signal -1
	s_barrier_wait -1
	global_inv scope:SCOPE_SE
	s_and_saveexec_b32 s2, vcc_lo
	s_cbranch_execz .LBB6_56
; %bb.52:
	s_and_saveexec_b32 s2, s0
	s_cbranch_execz .LBB6_54
; %bb.53:
	v_mad_co_u64_u32 v[6:7], null, s10, v4, 0
	v_mad_co_u64_u32 v[13:14], null, s8, v4, v[2:3]
	s_delay_alu instid0(VALU_DEP_2) | instskip(NEXT) | instid1(VALU_DEP_1)
	v_mov_b32_e32 v1, v7
	v_mad_co_u64_u32 v[15:16], null, s11, v4, v[1:2]
	ds_load_u8 v16, v12
	ds_load_b64 v[11:12], v11
	v_mov_b32_e32 v1, v14
	v_mov_b32_e32 v7, v15
	s_delay_alu instid0(VALU_DEP_2) | instskip(NEXT) | instid1(VALU_DEP_2)
	v_mad_co_u64_u32 v[14:15], null, s9, v4, v[1:2]
	v_lshlrev_b64_e32 v[6:7], 3, v[6:7]
	s_delay_alu instid0(VALU_DEP_1) | instskip(SKIP_1) | instid1(VALU_DEP_2)
	v_add_co_u32 v6, vcc_lo, v5, v6
	s_wait_alu 0xfffd
	v_add_co_ci_u32_e64 v7, null, v10, v7, vcc_lo
	s_wait_dscnt 0x1
	global_store_b8 v[13:14], v16, off
	s_wait_dscnt 0x0
	global_store_b64 v[6:7], v[11:12], off
.LBB6_54:
	s_wait_alu 0xfffe
	s_or_b32 exec_lo, exec_lo, s2
	s_delay_alu instid0(SALU_CYCLE_1)
	s_and_b32 exec_lo, exec_lo, s1
	s_cbranch_execz .LBB6_56
; %bb.55:
	v_mad_co_u64_u32 v[6:7], null, s10, v0, 0
	v_mad_co_u64_u32 v[2:3], null, s8, v0, v[2:3]
	ds_load_u8 v4, v8
	ds_load_b64 v[8:9], v9
	v_mov_b32_e32 v1, v7
	s_delay_alu instid0(VALU_DEP_1) | instskip(SKIP_1) | instid1(VALU_DEP_1)
	v_mad_co_u64_u32 v[11:12], null, s11, v0, v[1:2]
	v_mov_b32_e32 v1, v3
	v_mad_co_u64_u32 v[0:1], null, s9, v0, v[1:2]
	s_delay_alu instid0(VALU_DEP_3) | instskip(NEXT) | instid1(VALU_DEP_1)
	v_mov_b32_e32 v7, v11
	v_lshlrev_b64_e32 v[6:7], 3, v[6:7]
	s_delay_alu instid0(VALU_DEP_3) | instskip(NEXT) | instid1(VALU_DEP_2)
	v_mov_b32_e32 v3, v0
	v_add_co_u32 v0, vcc_lo, v5, v6
	s_wait_alu 0xfffd
	s_delay_alu instid0(VALU_DEP_3)
	v_add_co_ci_u32_e64 v1, null, v10, v7, vcc_lo
	s_wait_dscnt 0x1
	global_store_b8 v[2:3], v4, off
	s_wait_dscnt 0x0
	global_store_b64 v[0:1], v[8:9], off
.LBB6_56:
	s_endpgm
	.section	.rodata,"a",@progbits
	.p2align	6, 0x0
	.amdhsa_kernel _ZN2at6native20bitonicSortKVInPlaceILin1ELin1ELi16ELi16EhlNS0_4LTOpIhLb1EEEmEEvNS_4cuda6detail10TensorInfoIT3_T6_EES8_S8_S8_NS6_IT4_S8_EES8_T5_
		.amdhsa_group_segment_fixed_size 5120
		.amdhsa_private_segment_fixed_size 0
		.amdhsa_kernarg_size 1128
		.amdhsa_user_sgpr_count 2
		.amdhsa_user_sgpr_dispatch_ptr 0
		.amdhsa_user_sgpr_queue_ptr 0
		.amdhsa_user_sgpr_kernarg_segment_ptr 1
		.amdhsa_user_sgpr_dispatch_id 0
		.amdhsa_user_sgpr_private_segment_size 0
		.amdhsa_wavefront_size32 1
		.amdhsa_uses_dynamic_stack 0
		.amdhsa_enable_private_segment 0
		.amdhsa_system_sgpr_workgroup_id_x 1
		.amdhsa_system_sgpr_workgroup_id_y 1
		.amdhsa_system_sgpr_workgroup_id_z 1
		.amdhsa_system_sgpr_workgroup_info 0
		.amdhsa_system_vgpr_workitem_id 1
		.amdhsa_next_free_vgpr 36
		.amdhsa_next_free_sgpr 31
		.amdhsa_reserve_vcc 1
		.amdhsa_float_round_mode_32 0
		.amdhsa_float_round_mode_16_64 0
		.amdhsa_float_denorm_mode_32 3
		.amdhsa_float_denorm_mode_16_64 3
		.amdhsa_fp16_overflow 0
		.amdhsa_workgroup_processor_mode 1
		.amdhsa_memory_ordered 1
		.amdhsa_forward_progress 1
		.amdhsa_inst_pref_size 54
		.amdhsa_round_robin_scheduling 0
		.amdhsa_exception_fp_ieee_invalid_op 0
		.amdhsa_exception_fp_denorm_src 0
		.amdhsa_exception_fp_ieee_div_zero 0
		.amdhsa_exception_fp_ieee_overflow 0
		.amdhsa_exception_fp_ieee_underflow 0
		.amdhsa_exception_fp_ieee_inexact 0
		.amdhsa_exception_int_div_zero 0
	.end_amdhsa_kernel
	.section	.text._ZN2at6native20bitonicSortKVInPlaceILin1ELin1ELi16ELi16EhlNS0_4LTOpIhLb1EEEmEEvNS_4cuda6detail10TensorInfoIT3_T6_EES8_S8_S8_NS6_IT4_S8_EES8_T5_,"axG",@progbits,_ZN2at6native20bitonicSortKVInPlaceILin1ELin1ELi16ELi16EhlNS0_4LTOpIhLb1EEEmEEvNS_4cuda6detail10TensorInfoIT3_T6_EES8_S8_S8_NS6_IT4_S8_EES8_T5_,comdat
.Lfunc_end6:
	.size	_ZN2at6native20bitonicSortKVInPlaceILin1ELin1ELi16ELi16EhlNS0_4LTOpIhLb1EEEmEEvNS_4cuda6detail10TensorInfoIT3_T6_EES8_S8_S8_NS6_IT4_S8_EES8_T5_, .Lfunc_end6-_ZN2at6native20bitonicSortKVInPlaceILin1ELin1ELi16ELi16EhlNS0_4LTOpIhLb1EEEmEEvNS_4cuda6detail10TensorInfoIT3_T6_EES8_S8_S8_NS6_IT4_S8_EES8_T5_
                                        ; -- End function
	.set _ZN2at6native20bitonicSortKVInPlaceILin1ELin1ELi16ELi16EhlNS0_4LTOpIhLb1EEEmEEvNS_4cuda6detail10TensorInfoIT3_T6_EES8_S8_S8_NS6_IT4_S8_EES8_T5_.num_vgpr, 36
	.set _ZN2at6native20bitonicSortKVInPlaceILin1ELin1ELi16ELi16EhlNS0_4LTOpIhLb1EEEmEEvNS_4cuda6detail10TensorInfoIT3_T6_EES8_S8_S8_NS6_IT4_S8_EES8_T5_.num_agpr, 0
	.set _ZN2at6native20bitonicSortKVInPlaceILin1ELin1ELi16ELi16EhlNS0_4LTOpIhLb1EEEmEEvNS_4cuda6detail10TensorInfoIT3_T6_EES8_S8_S8_NS6_IT4_S8_EES8_T5_.numbered_sgpr, 31
	.set _ZN2at6native20bitonicSortKVInPlaceILin1ELin1ELi16ELi16EhlNS0_4LTOpIhLb1EEEmEEvNS_4cuda6detail10TensorInfoIT3_T6_EES8_S8_S8_NS6_IT4_S8_EES8_T5_.num_named_barrier, 0
	.set _ZN2at6native20bitonicSortKVInPlaceILin1ELin1ELi16ELi16EhlNS0_4LTOpIhLb1EEEmEEvNS_4cuda6detail10TensorInfoIT3_T6_EES8_S8_S8_NS6_IT4_S8_EES8_T5_.private_seg_size, 0
	.set _ZN2at6native20bitonicSortKVInPlaceILin1ELin1ELi16ELi16EhlNS0_4LTOpIhLb1EEEmEEvNS_4cuda6detail10TensorInfoIT3_T6_EES8_S8_S8_NS6_IT4_S8_EES8_T5_.uses_vcc, 1
	.set _ZN2at6native20bitonicSortKVInPlaceILin1ELin1ELi16ELi16EhlNS0_4LTOpIhLb1EEEmEEvNS_4cuda6detail10TensorInfoIT3_T6_EES8_S8_S8_NS6_IT4_S8_EES8_T5_.uses_flat_scratch, 0
	.set _ZN2at6native20bitonicSortKVInPlaceILin1ELin1ELi16ELi16EhlNS0_4LTOpIhLb1EEEmEEvNS_4cuda6detail10TensorInfoIT3_T6_EES8_S8_S8_NS6_IT4_S8_EES8_T5_.has_dyn_sized_stack, 0
	.set _ZN2at6native20bitonicSortKVInPlaceILin1ELin1ELi16ELi16EhlNS0_4LTOpIhLb1EEEmEEvNS_4cuda6detail10TensorInfoIT3_T6_EES8_S8_S8_NS6_IT4_S8_EES8_T5_.has_recursion, 0
	.set _ZN2at6native20bitonicSortKVInPlaceILin1ELin1ELi16ELi16EhlNS0_4LTOpIhLb1EEEmEEvNS_4cuda6detail10TensorInfoIT3_T6_EES8_S8_S8_NS6_IT4_S8_EES8_T5_.has_indirect_call, 0
	.section	.AMDGPU.csdata,"",@progbits
; Kernel info:
; codeLenInByte = 6912
; TotalNumSgprs: 33
; NumVgprs: 36
; ScratchSize: 0
; MemoryBound: 0
; FloatMode: 240
; IeeeMode: 1
; LDSByteSize: 5120 bytes/workgroup (compile time only)
; SGPRBlocks: 0
; VGPRBlocks: 4
; NumSGPRsForWavesPerEU: 33
; NumVGPRsForWavesPerEU: 36
; Occupancy: 16
; WaveLimiterHint : 1
; COMPUTE_PGM_RSRC2:SCRATCH_EN: 0
; COMPUTE_PGM_RSRC2:USER_SGPR: 2
; COMPUTE_PGM_RSRC2:TRAP_HANDLER: 0
; COMPUTE_PGM_RSRC2:TGID_X_EN: 1
; COMPUTE_PGM_RSRC2:TGID_Y_EN: 1
; COMPUTE_PGM_RSRC2:TGID_Z_EN: 1
; COMPUTE_PGM_RSRC2:TIDIG_COMP_CNT: 1
	.section	.text._ZN2at6native20bitonicSortKVInPlaceILin1ELin1ELi16ELi16EhlNS0_4GTOpIhLb1EEEmEEvNS_4cuda6detail10TensorInfoIT3_T6_EES8_S8_S8_NS6_IT4_S8_EES8_T5_,"axG",@progbits,_ZN2at6native20bitonicSortKVInPlaceILin1ELin1ELi16ELi16EhlNS0_4GTOpIhLb1EEEmEEvNS_4cuda6detail10TensorInfoIT3_T6_EES8_S8_S8_NS6_IT4_S8_EES8_T5_,comdat
	.protected	_ZN2at6native20bitonicSortKVInPlaceILin1ELin1ELi16ELi16EhlNS0_4GTOpIhLb1EEEmEEvNS_4cuda6detail10TensorInfoIT3_T6_EES8_S8_S8_NS6_IT4_S8_EES8_T5_ ; -- Begin function _ZN2at6native20bitonicSortKVInPlaceILin1ELin1ELi16ELi16EhlNS0_4GTOpIhLb1EEEmEEvNS_4cuda6detail10TensorInfoIT3_T6_EES8_S8_S8_NS6_IT4_S8_EES8_T5_
	.globl	_ZN2at6native20bitonicSortKVInPlaceILin1ELin1ELi16ELi16EhlNS0_4GTOpIhLb1EEEmEEvNS_4cuda6detail10TensorInfoIT3_T6_EES8_S8_S8_NS6_IT4_S8_EES8_T5_
	.p2align	8
	.type	_ZN2at6native20bitonicSortKVInPlaceILin1ELin1ELi16ELi16EhlNS0_4GTOpIhLb1EEEmEEvNS_4cuda6detail10TensorInfoIT3_T6_EES8_S8_S8_NS6_IT4_S8_EES8_T5_,@function
_ZN2at6native20bitonicSortKVInPlaceILin1ELin1ELi16ELi16EhlNS0_4GTOpIhLb1EEEmEEvNS_4cuda6detail10TensorInfoIT3_T6_EES8_S8_S8_NS6_IT4_S8_EES8_T5_: ; @_ZN2at6native20bitonicSortKVInPlaceILin1ELin1ELi16ELi16EhlNS0_4GTOpIhLb1EEEmEEvNS_4cuda6detail10TensorInfoIT3_T6_EES8_S8_S8_NS6_IT4_S8_EES8_T5_
; %bb.0:
	v_mov_b32_e32 v1, 0
	s_lshr_b32 s8, ttmp7, 16
	s_and_b32 s9, ttmp7, 0xffff
	global_load_u16 v1, v1, s[0:1] offset:886
	s_clause 0x1
	s_load_b64 s[2:3], s[0:1], 0x368
	s_load_b128 s[4:7], s[0:1], 0x1a0
	s_wait_kmcnt 0x0
	s_mul_i32 s3, s3, s8
	s_delay_alu instid0(SALU_CYCLE_1) | instskip(NEXT) | instid1(SALU_CYCLE_1)
	s_add_co_i32 s3, s3, s9
	s_mul_i32 s2, s3, s2
	s_delay_alu instid0(SALU_CYCLE_1) | instskip(SKIP_2) | instid1(VALU_DEP_1)
	s_add_co_i32 s2, s2, ttmp9
	s_wait_loadcnt 0x0
	v_and_b32_e32 v1, 0xffff, v1
	v_mul_hi_u32 v2, v1, s2
	v_mul_lo_u32 v1, v1, s2
	s_delay_alu instid0(VALU_DEP_1)
	v_cmp_le_u64_e32 vcc_lo, s[4:5], v[1:2]
	s_cbranch_vccnz .LBB7_56
; %bb.1:
	s_clause 0x1
	s_load_b32 s10, s[0:1], 0x198
	s_load_b64 s[8:9], s[0:1], 0x1b0
	v_bfe_u32 v16, v0, 10, 10
	s_delay_alu instid0(VALU_DEP_1) | instskip(NEXT) | instid1(VALU_DEP_1)
	v_add_co_u32 v4, vcc_lo, v1, v16
	v_add_co_ci_u32_e64 v5, null, 0, v2, vcc_lo
	v_mov_b32_e32 v2, 0
	v_mov_b32_e32 v3, 0
	s_delay_alu instid0(VALU_DEP_3)
	v_dual_mov_b32 v7, v5 :: v_dual_mov_b32 v6, v4
	s_wait_kmcnt 0x0
	s_cmp_lt_i32 s10, 2
	s_cbranch_scc1 .LBB7_9
; %bb.2:
	s_add_co_i32 s2, s10, -1
	s_mov_b32 s3, 0
	v_dual_mov_b32 v2, 0 :: v_dual_mov_b32 v11, v5
	s_wait_alu 0xfffe
	s_lshl_b64 s[12:13], s[2:3], 3
	v_dual_mov_b32 v3, 0 :: v_dual_mov_b32 v8, 0
	v_mov_b32_e32 v10, v4
	s_add_nc_u64 s[12:13], s[0:1], s[12:13]
	s_add_co_i32 s14, s10, 1
	s_add_nc_u64 s[10:11], s[12:13], 8
.LBB7_3:                                ; =>This Inner Loop Header: Depth=1
	s_load_b64 s[12:13], s[10:11], 0x0
                                        ; implicit-def: $vgpr6_vgpr7
	s_mov_b32 s2, exec_lo
	s_wait_kmcnt 0x0
	v_or_b32_e32 v9, s13, v11
	s_delay_alu instid0(VALU_DEP_1)
	v_cmpx_ne_u64_e32 0, v[8:9]
	s_wait_alu 0xfffe
	s_xor_b32 s15, exec_lo, s2
	s_cbranch_execz .LBB7_5
; %bb.4:                                ;   in Loop: Header=BB7_3 Depth=1
	s_cvt_f32_u32 s2, s12
	s_cvt_f32_u32 s16, s13
	s_sub_nc_u64 s[18:19], 0, s[12:13]
	s_wait_alu 0xfffe
	s_delay_alu instid0(SALU_CYCLE_1) | instskip(SKIP_1) | instid1(SALU_CYCLE_2)
	s_fmamk_f32 s2, s16, 0x4f800000, s2
	s_wait_alu 0xfffe
	v_s_rcp_f32 s2, s2
	s_delay_alu instid0(TRANS32_DEP_1) | instskip(SKIP_1) | instid1(SALU_CYCLE_2)
	s_mul_f32 s2, s2, 0x5f7ffffc
	s_wait_alu 0xfffe
	s_mul_f32 s16, s2, 0x2f800000
	s_wait_alu 0xfffe
	s_delay_alu instid0(SALU_CYCLE_2) | instskip(SKIP_1) | instid1(SALU_CYCLE_2)
	s_trunc_f32 s16, s16
	s_wait_alu 0xfffe
	s_fmamk_f32 s2, s16, 0xcf800000, s2
	s_cvt_u32_f32 s17, s16
	s_wait_alu 0xfffe
	s_delay_alu instid0(SALU_CYCLE_1) | instskip(SKIP_1) | instid1(SALU_CYCLE_2)
	s_cvt_u32_f32 s16, s2
	s_wait_alu 0xfffe
	s_mul_u64 s[20:21], s[18:19], s[16:17]
	s_delay_alu instid0(SALU_CYCLE_1)
	s_mul_hi_u32 s23, s16, s21
	s_mul_i32 s22, s16, s21
	s_mul_hi_u32 s2, s16, s20
	s_mul_i32 s25, s17, s20
	s_wait_alu 0xfffe
	s_add_nc_u64 s[22:23], s[2:3], s[22:23]
	s_mul_hi_u32 s24, s17, s20
	s_mul_hi_u32 s26, s17, s21
	s_add_co_u32 s2, s22, s25
	s_add_co_ci_u32 s2, s23, s24
	s_mul_i32 s20, s17, s21
	s_add_co_ci_u32 s21, s26, 0
	s_wait_alu 0xfffe
	s_add_nc_u64 s[20:21], s[2:3], s[20:21]
	s_delay_alu instid0(SALU_CYCLE_1)
	s_add_co_u32 s16, s16, s20
	s_cselect_b32 s2, -1, 0
	s_wait_alu 0xfffe
	s_cmp_lg_u32 s2, 0
	s_add_co_ci_u32 s17, s17, s21
	s_wait_alu 0xfffe
	s_mul_u64 s[18:19], s[18:19], s[16:17]
	s_delay_alu instid0(SALU_CYCLE_1)
	s_mul_hi_u32 s21, s16, s19
	s_mul_i32 s20, s16, s19
	s_mul_hi_u32 s2, s16, s18
	s_mul_i32 s23, s17, s18
	s_wait_alu 0xfffe
	s_add_nc_u64 s[20:21], s[2:3], s[20:21]
	s_mul_hi_u32 s22, s17, s18
	s_mul_hi_u32 s24, s17, s19
	s_add_co_u32 s2, s20, s23
	s_add_co_ci_u32 s2, s21, s22
	s_mul_i32 s18, s17, s19
	s_add_co_ci_u32 s19, s24, 0
	s_wait_alu 0xfffe
	s_add_nc_u64 s[18:19], s[2:3], s[18:19]
	s_delay_alu instid0(SALU_CYCLE_1)
	s_add_co_u32 s2, s16, s18
	s_cselect_b32 s16, -1, 0
	s_wait_alu 0xfffe
	v_mul_hi_u32 v1, v10, s2
	s_cmp_lg_u32 s16, 0
	v_mad_co_u64_u32 v[12:13], null, v11, s2, 0
	s_add_co_ci_u32 s16, s17, s19
	s_wait_alu 0xfffe
	v_mad_co_u64_u32 v[6:7], null, v10, s16, 0
	v_mad_co_u64_u32 v[14:15], null, v11, s16, 0
	s_delay_alu instid0(VALU_DEP_2) | instskip(SKIP_1) | instid1(VALU_DEP_3)
	v_add_co_u32 v1, vcc_lo, v1, v6
	s_wait_alu 0xfffd
	v_add_co_ci_u32_e64 v6, null, 0, v7, vcc_lo
	s_delay_alu instid0(VALU_DEP_2) | instskip(SKIP_1) | instid1(VALU_DEP_2)
	v_add_co_u32 v1, vcc_lo, v1, v12
	s_wait_alu 0xfffd
	v_add_co_ci_u32_e32 v1, vcc_lo, v6, v13, vcc_lo
	s_wait_alu 0xfffd
	v_add_co_ci_u32_e32 v6, vcc_lo, 0, v15, vcc_lo
	s_delay_alu instid0(VALU_DEP_2) | instskip(SKIP_1) | instid1(VALU_DEP_2)
	v_add_co_u32 v1, vcc_lo, v1, v14
	s_wait_alu 0xfffd
	v_add_co_ci_u32_e64 v9, null, 0, v6, vcc_lo
	s_delay_alu instid0(VALU_DEP_2) | instskip(SKIP_1) | instid1(VALU_DEP_3)
	v_mul_lo_u32 v12, s13, v1
	v_mad_co_u64_u32 v[6:7], null, s12, v1, 0
	v_mul_lo_u32 v13, s12, v9
	s_delay_alu instid0(VALU_DEP_2) | instskip(NEXT) | instid1(VALU_DEP_2)
	v_sub_co_u32 v6, vcc_lo, v10, v6
	v_add3_u32 v7, v7, v13, v12
	v_add_co_u32 v13, s2, v1, 2
	s_wait_alu 0xf1ff
	v_add_co_ci_u32_e64 v14, null, 0, v9, s2
	s_delay_alu instid0(VALU_DEP_3) | instskip(SKIP_3) | instid1(VALU_DEP_3)
	v_sub_nc_u32_e32 v12, v11, v7
	v_sub_co_u32 v15, s2, v6, s12
	s_wait_alu 0xfffd
	v_sub_co_ci_u32_e64 v7, null, v11, v7, vcc_lo
	v_subrev_co_ci_u32_e64 v12, null, s13, v12, vcc_lo
	s_delay_alu instid0(VALU_DEP_3) | instskip(SKIP_1) | instid1(VALU_DEP_2)
	v_cmp_le_u32_e32 vcc_lo, s12, v15
	s_wait_alu 0xf1ff
	v_subrev_co_ci_u32_e64 v12, null, 0, v12, s2
	s_wait_alu 0xfffd
	v_cndmask_b32_e64 v15, 0, -1, vcc_lo
	v_cmp_eq_u32_e64 s2, s13, v7
	s_delay_alu instid0(VALU_DEP_3)
	v_cmp_le_u32_e32 vcc_lo, s13, v12
	s_wait_alu 0xfffd
	v_cndmask_b32_e64 v17, 0, -1, vcc_lo
	v_cmp_le_u32_e32 vcc_lo, s12, v6
	s_wait_alu 0xfffd
	v_cndmask_b32_e64 v6, 0, -1, vcc_lo
	;; [unrolled: 3-line block ×3, first 2 shown]
	v_cmp_eq_u32_e32 vcc_lo, s13, v12
	s_wait_alu 0xf1ff
	s_delay_alu instid0(VALU_DEP_2)
	v_cndmask_b32_e64 v6, v18, v6, s2
	s_wait_alu 0xfffd
	v_cndmask_b32_e32 v12, v17, v15, vcc_lo
	v_add_co_u32 v15, vcc_lo, v1, 1
	s_wait_alu 0xfffd
	v_add_co_ci_u32_e64 v17, null, 0, v9, vcc_lo
	s_delay_alu instid0(VALU_DEP_3) | instskip(SKIP_1) | instid1(VALU_DEP_2)
	v_cmp_ne_u32_e32 vcc_lo, 0, v12
	s_wait_alu 0xfffd
	v_dual_cndmask_b32 v7, v17, v14 :: v_dual_cndmask_b32 v12, v15, v13
	v_cmp_ne_u32_e32 vcc_lo, 0, v6
	s_wait_alu 0xfffd
	s_delay_alu instid0(VALU_DEP_2) | instskip(NEXT) | instid1(VALU_DEP_3)
	v_cndmask_b32_e32 v7, v9, v7, vcc_lo
	v_cndmask_b32_e32 v6, v1, v12, vcc_lo
.LBB7_5:                                ;   in Loop: Header=BB7_3 Depth=1
	s_wait_alu 0xfffe
	s_and_not1_saveexec_b32 s2, s15
	s_cbranch_execz .LBB7_7
; %bb.6:                                ;   in Loop: Header=BB7_3 Depth=1
	v_cvt_f32_u32_e32 v1, s12
	s_sub_co_i32 s15, 0, s12
	s_delay_alu instid0(VALU_DEP_1) | instskip(NEXT) | instid1(TRANS32_DEP_1)
	v_rcp_iflag_f32_e32 v1, v1
	v_mul_f32_e32 v1, 0x4f7ffffe, v1
	s_delay_alu instid0(VALU_DEP_1) | instskip(SKIP_1) | instid1(VALU_DEP_1)
	v_cvt_u32_f32_e32 v1, v1
	s_wait_alu 0xfffe
	v_mul_lo_u32 v6, s15, v1
	s_delay_alu instid0(VALU_DEP_1) | instskip(NEXT) | instid1(VALU_DEP_1)
	v_mul_hi_u32 v6, v1, v6
	v_add_nc_u32_e32 v1, v1, v6
	s_delay_alu instid0(VALU_DEP_1) | instskip(NEXT) | instid1(VALU_DEP_1)
	v_mul_hi_u32 v1, v10, v1
	v_mul_lo_u32 v6, v1, s12
	v_add_nc_u32_e32 v7, 1, v1
	s_delay_alu instid0(VALU_DEP_2) | instskip(NEXT) | instid1(VALU_DEP_1)
	v_sub_nc_u32_e32 v6, v10, v6
	v_subrev_nc_u32_e32 v9, s12, v6
	v_cmp_le_u32_e32 vcc_lo, s12, v6
	s_wait_alu 0xfffd
	s_delay_alu instid0(VALU_DEP_2) | instskip(NEXT) | instid1(VALU_DEP_1)
	v_dual_cndmask_b32 v6, v6, v9 :: v_dual_cndmask_b32 v1, v1, v7
	v_cmp_le_u32_e32 vcc_lo, s12, v6
	s_delay_alu instid0(VALU_DEP_2) | instskip(SKIP_1) | instid1(VALU_DEP_1)
	v_add_nc_u32_e32 v7, 1, v1
	s_wait_alu 0xfffd
	v_dual_cndmask_b32 v6, v1, v7 :: v_dual_mov_b32 v7, v8
.LBB7_7:                                ;   in Loop: Header=BB7_3 Depth=1
	s_wait_alu 0xfffe
	s_or_b32 exec_lo, exec_lo, s2
	s_load_b64 s[16:17], s[10:11], 0xc8
	s_delay_alu instid0(VALU_DEP_1)
	v_mul_lo_u32 v1, v7, s12
	v_mul_lo_u32 v9, v6, s13
	v_mad_co_u64_u32 v[12:13], null, v6, s12, 0
	s_add_co_i32 s14, s14, -1
	s_add_nc_u64 s[10:11], s[10:11], -8
	s_wait_alu 0xfffe
	s_cmp_gt_u32 s14, 2
	v_add3_u32 v1, v13, v9, v1
	v_sub_co_u32 v9, vcc_lo, v10, v12
	s_wait_alu 0xfffd
	s_delay_alu instid0(VALU_DEP_2) | instskip(SKIP_1) | instid1(VALU_DEP_2)
	v_sub_co_ci_u32_e64 v1, null, v11, v1, vcc_lo
	s_wait_kmcnt 0x0
	v_mul_lo_u32 v10, s17, v9
	s_delay_alu instid0(VALU_DEP_2) | instskip(SKIP_1) | instid1(VALU_DEP_1)
	v_mul_lo_u32 v1, s16, v1
	v_mad_co_u64_u32 v[2:3], null, s16, v9, v[2:3]
	v_add3_u32 v3, v10, v3, v1
	s_cbranch_scc0 .LBB7_9
; %bb.8:                                ;   in Loop: Header=BB7_3 Depth=1
	v_dual_mov_b32 v11, v7 :: v_dual_mov_b32 v10, v6
	s_branch .LBB7_3
.LBB7_9:
	s_clause 0x1
	s_load_b32 s10, s[0:1], 0x350
	s_load_b64 s[12:13], s[0:1], 0xd0
	v_dual_mov_b32 v8, 0 :: v_dual_mov_b32 v15, v5
	v_dual_mov_b32 v9, 0 :: v_dual_mov_b32 v14, v4
	s_add_nc_u64 s[14:15], s[0:1], 0x368
	s_wait_kmcnt 0x0
	s_cmp_lt_i32 s10, 2
	s_cbranch_scc1 .LBB7_17
; %bb.10:
	s_add_co_i32 s2, s10, -1
	s_mov_b32 s3, 0
	v_dual_mov_b32 v8, 0 :: v_dual_mov_b32 v13, v5
	s_wait_alu 0xfffe
	s_lshl_b64 s[16:17], s[2:3], 3
	v_dual_mov_b32 v9, 0 :: v_dual_mov_b32 v10, 0
	v_mov_b32_e32 v12, v4
	s_wait_alu 0xfffe
	s_add_nc_u64 s[16:17], s[0:1], s[16:17]
	s_add_co_i32 s18, s10, 1
	s_wait_alu 0xfffe
	s_add_nc_u64 s[10:11], s[16:17], 0x1c0
.LBB7_11:                               ; =>This Inner Loop Header: Depth=1
	s_load_b64 s[16:17], s[10:11], 0x0
                                        ; implicit-def: $vgpr14_vgpr15
	s_mov_b32 s2, exec_lo
	s_wait_kmcnt 0x0
	v_or_b32_e32 v11, s17, v13
	s_delay_alu instid0(VALU_DEP_1)
	v_cmpx_ne_u64_e32 0, v[10:11]
	s_wait_alu 0xfffe
	s_xor_b32 s19, exec_lo, s2
	s_cbranch_execz .LBB7_13
; %bb.12:                               ;   in Loop: Header=BB7_11 Depth=1
	s_cvt_f32_u32 s2, s16
	s_cvt_f32_u32 s20, s17
	s_sub_nc_u64 s[22:23], 0, s[16:17]
	s_wait_alu 0xfffe
	s_delay_alu instid0(SALU_CYCLE_1) | instskip(SKIP_1) | instid1(SALU_CYCLE_2)
	s_fmamk_f32 s2, s20, 0x4f800000, s2
	s_wait_alu 0xfffe
	v_s_rcp_f32 s2, s2
	s_delay_alu instid0(TRANS32_DEP_1) | instskip(SKIP_1) | instid1(SALU_CYCLE_2)
	s_mul_f32 s2, s2, 0x5f7ffffc
	s_wait_alu 0xfffe
	s_mul_f32 s20, s2, 0x2f800000
	s_wait_alu 0xfffe
	s_delay_alu instid0(SALU_CYCLE_2) | instskip(SKIP_1) | instid1(SALU_CYCLE_2)
	s_trunc_f32 s20, s20
	s_wait_alu 0xfffe
	s_fmamk_f32 s2, s20, 0xcf800000, s2
	s_cvt_u32_f32 s21, s20
	s_wait_alu 0xfffe
	s_delay_alu instid0(SALU_CYCLE_1) | instskip(SKIP_1) | instid1(SALU_CYCLE_2)
	s_cvt_u32_f32 s20, s2
	s_wait_alu 0xfffe
	s_mul_u64 s[24:25], s[22:23], s[20:21]
	s_delay_alu instid0(SALU_CYCLE_1)
	s_mul_hi_u32 s27, s20, s25
	s_mul_i32 s26, s20, s25
	s_mul_hi_u32 s2, s20, s24
	s_mul_i32 s29, s21, s24
	s_wait_alu 0xfffe
	s_add_nc_u64 s[26:27], s[2:3], s[26:27]
	s_mul_hi_u32 s28, s21, s24
	s_mul_hi_u32 s30, s21, s25
	s_add_co_u32 s2, s26, s29
	s_add_co_ci_u32 s2, s27, s28
	s_mul_i32 s24, s21, s25
	s_add_co_ci_u32 s25, s30, 0
	s_wait_alu 0xfffe
	s_add_nc_u64 s[24:25], s[2:3], s[24:25]
	s_delay_alu instid0(SALU_CYCLE_1)
	s_add_co_u32 s20, s20, s24
	s_cselect_b32 s2, -1, 0
	s_wait_alu 0xfffe
	s_cmp_lg_u32 s2, 0
	s_add_co_ci_u32 s21, s21, s25
	s_wait_alu 0xfffe
	s_mul_u64 s[22:23], s[22:23], s[20:21]
	s_delay_alu instid0(SALU_CYCLE_1)
	s_mul_hi_u32 s25, s20, s23
	s_mul_i32 s24, s20, s23
	s_mul_hi_u32 s2, s20, s22
	s_mul_i32 s27, s21, s22
	s_wait_alu 0xfffe
	s_add_nc_u64 s[24:25], s[2:3], s[24:25]
	s_mul_hi_u32 s26, s21, s22
	s_mul_hi_u32 s28, s21, s23
	s_add_co_u32 s2, s24, s27
	s_add_co_ci_u32 s2, s25, s26
	s_mul_i32 s22, s21, s23
	s_add_co_ci_u32 s23, s28, 0
	s_wait_alu 0xfffe
	s_add_nc_u64 s[22:23], s[2:3], s[22:23]
	s_delay_alu instid0(SALU_CYCLE_1)
	s_add_co_u32 s2, s20, s22
	s_cselect_b32 s20, -1, 0
	s_wait_alu 0xfffe
	v_mul_hi_u32 v1, v12, s2
	s_cmp_lg_u32 s20, 0
	v_mad_co_u64_u32 v[17:18], null, v13, s2, 0
	s_add_co_ci_u32 s20, s21, s23
	s_wait_alu 0xfffe
	v_mad_co_u64_u32 v[14:15], null, v12, s20, 0
	v_mad_co_u64_u32 v[19:20], null, v13, s20, 0
	s_delay_alu instid0(VALU_DEP_2) | instskip(SKIP_1) | instid1(VALU_DEP_3)
	v_add_co_u32 v1, vcc_lo, v1, v14
	s_wait_alu 0xfffd
	v_add_co_ci_u32_e64 v11, null, 0, v15, vcc_lo
	s_delay_alu instid0(VALU_DEP_2) | instskip(SKIP_1) | instid1(VALU_DEP_2)
	v_add_co_u32 v1, vcc_lo, v1, v17
	s_wait_alu 0xfffd
	v_add_co_ci_u32_e32 v1, vcc_lo, v11, v18, vcc_lo
	s_wait_alu 0xfffd
	v_add_co_ci_u32_e32 v11, vcc_lo, 0, v20, vcc_lo
	s_delay_alu instid0(VALU_DEP_2) | instskip(SKIP_1) | instid1(VALU_DEP_2)
	v_add_co_u32 v1, vcc_lo, v1, v19
	s_wait_alu 0xfffd
	v_add_co_ci_u32_e64 v11, null, 0, v11, vcc_lo
	s_delay_alu instid0(VALU_DEP_2) | instskip(SKIP_1) | instid1(VALU_DEP_3)
	v_mul_lo_u32 v17, s17, v1
	v_mad_co_u64_u32 v[14:15], null, s16, v1, 0
	v_mul_lo_u32 v18, s16, v11
	s_delay_alu instid0(VALU_DEP_2) | instskip(NEXT) | instid1(VALU_DEP_2)
	v_sub_co_u32 v14, vcc_lo, v12, v14
	v_add3_u32 v15, v15, v18, v17
	v_add_co_u32 v18, s2, v1, 2
	s_wait_alu 0xf1ff
	v_add_co_ci_u32_e64 v19, null, 0, v11, s2
	s_delay_alu instid0(VALU_DEP_3) | instskip(SKIP_3) | instid1(VALU_DEP_3)
	v_sub_nc_u32_e32 v17, v13, v15
	v_sub_co_u32 v20, s2, v14, s16
	s_wait_alu 0xfffd
	v_sub_co_ci_u32_e64 v15, null, v13, v15, vcc_lo
	v_subrev_co_ci_u32_e64 v17, null, s17, v17, vcc_lo
	s_delay_alu instid0(VALU_DEP_3) | instskip(SKIP_1) | instid1(VALU_DEP_2)
	v_cmp_le_u32_e32 vcc_lo, s16, v20
	s_wait_alu 0xf1ff
	v_subrev_co_ci_u32_e64 v17, null, 0, v17, s2
	s_wait_alu 0xfffd
	v_cndmask_b32_e64 v20, 0, -1, vcc_lo
	v_cmp_eq_u32_e64 s2, s17, v15
	s_delay_alu instid0(VALU_DEP_3)
	v_cmp_le_u32_e32 vcc_lo, s17, v17
	s_wait_alu 0xfffd
	v_cndmask_b32_e64 v21, 0, -1, vcc_lo
	v_cmp_le_u32_e32 vcc_lo, s16, v14
	s_wait_alu 0xfffd
	v_cndmask_b32_e64 v14, 0, -1, vcc_lo
	;; [unrolled: 3-line block ×3, first 2 shown]
	v_cmp_eq_u32_e32 vcc_lo, s17, v17
	s_wait_alu 0xf1ff
	s_delay_alu instid0(VALU_DEP_2)
	v_cndmask_b32_e64 v14, v22, v14, s2
	s_wait_alu 0xfffd
	v_cndmask_b32_e32 v17, v21, v20, vcc_lo
	v_add_co_u32 v20, vcc_lo, v1, 1
	s_wait_alu 0xfffd
	v_add_co_ci_u32_e64 v21, null, 0, v11, vcc_lo
	s_delay_alu instid0(VALU_DEP_3) | instskip(SKIP_1) | instid1(VALU_DEP_2)
	v_cmp_ne_u32_e32 vcc_lo, 0, v17
	s_wait_alu 0xfffd
	v_cndmask_b32_e32 v15, v21, v19, vcc_lo
	v_cndmask_b32_e32 v17, v20, v18, vcc_lo
	v_cmp_ne_u32_e32 vcc_lo, 0, v14
	s_wait_alu 0xfffd
	s_delay_alu instid0(VALU_DEP_2)
	v_dual_cndmask_b32 v15, v11, v15 :: v_dual_cndmask_b32 v14, v1, v17
.LBB7_13:                               ;   in Loop: Header=BB7_11 Depth=1
	s_wait_alu 0xfffe
	s_and_not1_saveexec_b32 s2, s19
	s_cbranch_execz .LBB7_15
; %bb.14:                               ;   in Loop: Header=BB7_11 Depth=1
	v_cvt_f32_u32_e32 v1, s16
	s_sub_co_i32 s19, 0, s16
	s_delay_alu instid0(VALU_DEP_1) | instskip(NEXT) | instid1(TRANS32_DEP_1)
	v_rcp_iflag_f32_e32 v1, v1
	v_mul_f32_e32 v1, 0x4f7ffffe, v1
	s_delay_alu instid0(VALU_DEP_1) | instskip(SKIP_1) | instid1(VALU_DEP_1)
	v_cvt_u32_f32_e32 v1, v1
	s_wait_alu 0xfffe
	v_mul_lo_u32 v11, s19, v1
	s_delay_alu instid0(VALU_DEP_1) | instskip(NEXT) | instid1(VALU_DEP_1)
	v_mul_hi_u32 v11, v1, v11
	v_add_nc_u32_e32 v1, v1, v11
	s_delay_alu instid0(VALU_DEP_1) | instskip(NEXT) | instid1(VALU_DEP_1)
	v_mul_hi_u32 v1, v12, v1
	v_mul_lo_u32 v11, v1, s16
	s_delay_alu instid0(VALU_DEP_1) | instskip(NEXT) | instid1(VALU_DEP_1)
	v_sub_nc_u32_e32 v11, v12, v11
	v_subrev_nc_u32_e32 v15, s16, v11
	v_cmp_le_u32_e32 vcc_lo, s16, v11
	s_wait_alu 0xfffd
	s_delay_alu instid0(VALU_DEP_2) | instskip(NEXT) | instid1(VALU_DEP_1)
	v_dual_cndmask_b32 v11, v11, v15 :: v_dual_add_nc_u32 v14, 1, v1
	v_cndmask_b32_e32 v1, v1, v14, vcc_lo
	v_mov_b32_e32 v15, v10
	s_delay_alu instid0(VALU_DEP_3) | instskip(NEXT) | instid1(VALU_DEP_3)
	v_cmp_le_u32_e32 vcc_lo, s16, v11
	v_add_nc_u32_e32 v14, 1, v1
	s_wait_alu 0xfffd
	s_delay_alu instid0(VALU_DEP_1)
	v_cndmask_b32_e32 v14, v1, v14, vcc_lo
.LBB7_15:                               ;   in Loop: Header=BB7_11 Depth=1
	s_wait_alu 0xfffe
	s_or_b32 exec_lo, exec_lo, s2
	s_load_b64 s[20:21], s[10:11], 0xc8
	v_mul_lo_u32 v1, v15, s16
	v_mul_lo_u32 v11, v14, s17
	v_mad_co_u64_u32 v[17:18], null, v14, s16, 0
	s_add_co_i32 s18, s18, -1
	s_add_nc_u64 s[10:11], s[10:11], -8
	s_wait_alu 0xfffe
	s_cmp_gt_u32 s18, 2
	v_add3_u32 v1, v18, v11, v1
	v_sub_co_u32 v11, vcc_lo, v12, v17
	s_wait_alu 0xfffd
	s_delay_alu instid0(VALU_DEP_2) | instskip(SKIP_1) | instid1(VALU_DEP_2)
	v_sub_co_ci_u32_e64 v1, null, v13, v1, vcc_lo
	s_wait_kmcnt 0x0
	v_mul_lo_u32 v12, s21, v11
	s_delay_alu instid0(VALU_DEP_2) | instskip(SKIP_1) | instid1(VALU_DEP_1)
	v_mul_lo_u32 v1, s20, v1
	v_mad_co_u64_u32 v[8:9], null, s20, v11, v[8:9]
	v_add3_u32 v9, v12, v9, v1
	s_cbranch_scc0 .LBB7_17
; %bb.16:                               ;   in Loop: Header=BB7_11 Depth=1
	v_dual_mov_b32 v12, v14 :: v_dual_mov_b32 v13, v15
	s_branch .LBB7_11
.LBB7_17:
	s_clause 0x2
	s_load_b64 s[2:3], s[0:1], 0x288
	s_load_b64 s[16:17], s[0:1], 0x0
	;; [unrolled: 1-line block ×3, first 2 shown]
	v_mov_b32_e32 v1, 0
	s_load_b64 s[10:11], s[0:1], 0x358
	v_mul_lo_u32 v17, s12, v7
	v_mul_lo_u32 v18, s13, v6
	v_cmp_gt_u64_e32 vcc_lo, s[4:5], v[4:5]
	v_dual_mov_b32 v5, v1 :: v_dual_and_b32 v4, 0x3ff, v0
	s_wait_kmcnt 0x0
	v_mul_lo_u32 v12, s3, v14
	v_mul_lo_u32 v13, s2, v15
	v_mad_co_u64_u32 v[10:11], null, s2, v14, 0
	s_load_b32 s2, s[14:15], 0xc
	v_lshlrev_b64_e32 v[14:15], 3, v[8:9]
	v_mov_b32_e32 v8, 0
	v_mov_b32_e32 v9, 0
	v_add3_u32 v11, v11, v13, v12
	v_mad_co_u64_u32 v[12:13], null, s12, v6, s[16:17]
	v_mov_b32_e32 v6, 0
	v_cmp_gt_u64_e64 s0, s[6:7], v[4:5]
	s_delay_alu instid0(VALU_DEP_4) | instskip(SKIP_3) | instid1(VALU_DEP_3)
	v_lshlrev_b64_e32 v[10:11], 3, v[10:11]
	v_mov_b32_e32 v7, 0
	v_add3_u32 v0, v18, v13, v17
	s_and_b32 s4, vcc_lo, s0
	v_add_co_u32 v5, s1, s18, v10
	s_delay_alu instid0(VALU_DEP_1)
	v_add_co_ci_u32_e64 v10, null, s19, v11, s1
	v_add_co_u32 v2, s1, v12, v2
	s_wait_alu 0xf1ff
	v_add_co_ci_u32_e64 v3, null, v0, v3, s1
	v_add_co_u32 v5, s1, v5, v14
	s_wait_alu 0xf1ff
	v_add_co_ci_u32_e64 v10, null, v10, v15, s1
	v_mov_b32_e32 v14, 0
	s_wait_alu 0xfffe
	s_and_saveexec_b32 s3, s4
	s_cbranch_execz .LBB7_19
; %bb.18:
	v_mad_co_u64_u32 v[8:9], null, s10, v4, 0
	v_mad_co_u64_u32 v[11:12], null, s8, v4, v[2:3]
	s_delay_alu instid0(VALU_DEP_2) | instskip(NEXT) | instid1(VALU_DEP_1)
	v_mov_b32_e32 v0, v9
	v_mad_co_u64_u32 v[13:14], null, s11, v4, v[0:1]
	s_delay_alu instid0(VALU_DEP_1) | instskip(NEXT) | instid1(VALU_DEP_1)
	v_dual_mov_b32 v0, v12 :: v_dual_mov_b32 v9, v13
	v_mad_co_u64_u32 v[12:13], null, s9, v4, v[0:1]
	s_delay_alu instid0(VALU_DEP_2) | instskip(NEXT) | instid1(VALU_DEP_1)
	v_lshlrev_b64_e32 v[8:9], 3, v[8:9]
	v_add_co_u32 v8, s1, v5, v8
	s_wait_alu 0xf1ff
	s_delay_alu instid0(VALU_DEP_2)
	v_add_co_ci_u32_e64 v9, null, v10, v9, s1
	global_load_u8 v14, v[11:12], off
	global_load_b64 v[8:9], v[8:9], off
.LBB7_19:
	s_wait_alu 0xfffe
	s_or_b32 exec_lo, exec_lo, s3
	v_lshlrev_b32_e32 v11, 5, v16
	s_wait_kmcnt 0x0
	s_and_b32 s3, 0xffff, s2
	v_lshlrev_b32_e32 v13, 8, v16
	s_wait_alu 0xfffe
	v_add_nc_u32_e32 v0, s3, v4
	v_cndmask_b32_e64 v16, 0, 1, s4
	v_add_nc_u32_e32 v15, 0x1000, v11
	v_add_nc_u32_e32 v17, 0x1200, v11
	v_lshl_add_u32 v11, v4, 3, v13
	v_cmp_gt_u64_e64 s1, s[6:7], v[0:1]
	s_delay_alu instid0(VALU_DEP_4) | instskip(NEXT) | instid1(VALU_DEP_4)
	v_add_nc_u32_e32 v12, v15, v4
	v_add_nc_u32_e32 v18, v17, v4
	s_wait_loadcnt 0x1
	ds_store_b8 v12, v14
	s_wait_loadcnt 0x0
	ds_store_b64 v11, v[8:9]
	ds_store_b8 v18, v16
	s_and_b32 s4, vcc_lo, s1
	s_wait_alu 0xfffe
	s_and_saveexec_b32 s5, s4
	s_cbranch_execz .LBB7_21
; %bb.20:
	v_mad_co_u64_u32 v[6:7], null, s10, v0, 0
	v_mad_co_u64_u32 v[8:9], null, s8, v0, v[2:3]
	s_delay_alu instid0(VALU_DEP_2) | instskip(NEXT) | instid1(VALU_DEP_1)
	v_mov_b32_e32 v1, v7
	v_mad_co_u64_u32 v[18:19], null, s11, v0, v[1:2]
	s_delay_alu instid0(VALU_DEP_3) | instskip(NEXT) | instid1(VALU_DEP_2)
	v_mov_b32_e32 v1, v9
	v_mov_b32_e32 v7, v18
	s_delay_alu instid0(VALU_DEP_2) | instskip(NEXT) | instid1(VALU_DEP_2)
	v_mad_co_u64_u32 v[18:19], null, s9, v0, v[1:2]
	v_lshlrev_b64_e32 v[6:7], 3, v[6:7]
	s_delay_alu instid0(VALU_DEP_2) | instskip(NEXT) | instid1(VALU_DEP_2)
	v_mov_b32_e32 v9, v18
	v_add_co_u32 v6, s2, v5, v6
	s_wait_alu 0xf1ff
	s_delay_alu instid0(VALU_DEP_3)
	v_add_co_ci_u32_e64 v7, null, v10, v7, s2
	global_load_u8 v1, v[8:9], off
	global_load_b64 v[6:7], v[6:7], off
.LBB7_21:
	s_wait_alu 0xfffe
	s_or_b32 exec_lo, exec_lo, s5
	v_add_nc_u32_e32 v8, v15, v0
	v_lshlrev_b32_e32 v18, 1, v4
	v_lshl_add_u32 v9, s3, 3, v11
	v_cndmask_b32_e64 v14, 0, 1, s4
	v_add_nc_u32_e32 v16, v17, v0
	s_wait_loadcnt 0x1
	ds_store_b8 v8, v1
	s_wait_loadcnt 0x0
	ds_store_b64 v9, v[6:7]
	ds_store_b8 v16, v14
	v_add_nc_u32_e32 v1, v15, v18
	v_add_nc_u32_e32 v6, v17, v18
	s_wait_dscnt 0x0
	s_barrier_signal -1
	s_barrier_wait -1
	global_inv scope:SCOPE_SE
	ds_load_u16 v20, v1
	ds_load_u16 v16, v6
	v_and_b32_e32 v7, 1, v4
	s_wait_dscnt 0x1
	v_and_b32_e32 v19, 0xff, v20
	s_wait_dscnt 0x0
	v_lshrrev_b16 v14, 8, v16
	v_lshrrev_b16 v21, 8, v20
	v_and_b32_e32 v22, 1, v16
	s_delay_alu instid0(VALU_DEP_3) | instskip(NEXT) | instid1(VALU_DEP_3)
	v_cmp_ne_u16_e64 s4, v14, v7
	v_cmp_gt_u16_e64 s2, v19, v21
	s_delay_alu instid0(VALU_DEP_3) | instskip(SKIP_1) | instid1(VALU_DEP_3)
	v_cmp_eq_u32_e64 s3, 1, v22
	s_wait_alu 0xf1ff
	v_cndmask_b32_e64 v19, 0, 1, s4
	s_and_b32 s2, s2, s3
	s_wait_alu 0xfffe
	s_delay_alu instid0(VALU_DEP_1) | instskip(NEXT) | instid1(VALU_DEP_1)
	v_cndmask_b32_e64 v19, v19, v4, s2
	v_and_b32_e32 v19, 1, v19
	s_delay_alu instid0(VALU_DEP_1)
	v_cmp_eq_u32_e64 s2, 1, v19
	v_lshl_add_u32 v19, v4, 3, v11
	s_and_saveexec_b32 s3, s2
	s_wait_alu 0xfffe
	s_xor_b32 s2, exec_lo, s3
	s_cbranch_execz .LBB7_23
; %bb.22:
	ds_load_b128 v[22:25], v19
	v_lshlrev_b16 v20, 8, v20
	v_lshlrev_b16 v16, 8, v16
	s_delay_alu instid0(VALU_DEP_2) | instskip(NEXT) | instid1(VALU_DEP_2)
	v_or_b32_e32 v26, v21, v20
	v_or_b32_e32 v14, v14, v16
	s_wait_dscnt 0x0
	v_dual_mov_b32 v20, v24 :: v_dual_mov_b32 v21, v25
	ds_store_b16 v1, v26
	ds_store_b128 v19, v[20:23]
	ds_store_b16 v6, v14
.LBB7_23:
	s_wait_alu 0xfffe
	s_or_b32 exec_lo, exec_lo, s2
	v_sub_nc_u32_e32 v16, v18, v7
	s_wait_loadcnt_dscnt 0x0
	s_barrier_signal -1
	s_barrier_wait -1
	global_inv scope:SCOPE_SE
	v_add_nc_u32_e32 v7, v17, v16
	v_add_nc_u32_e32 v14, v15, v16
	v_bfe_u32 v25, v4, 1, 1
	v_lshl_add_u32 v16, v16, 3, v13
	ds_load_u8 v21, v7
	ds_load_u8 v22, v14
	ds_load_u8 v24, v14 offset:2
	ds_load_u8 v23, v7 offset:2
	s_wait_dscnt 0x3
	v_and_b32_e32 v20, 1, v21
	s_wait_dscnt 0x1
	v_cmp_gt_u16_e64 s2, v22, v24
	s_wait_dscnt 0x0
	v_cmp_ne_u16_e64 s4, v23, v25
	v_cmp_eq_u32_e64 s3, 1, v20
	s_wait_alu 0xf1ff
	s_delay_alu instid0(VALU_DEP_2) | instskip(SKIP_2) | instid1(VALU_DEP_1)
	v_cndmask_b32_e64 v20, 0, 1, s4
	s_and_b32 s2, s2, s3
	s_wait_alu 0xfffe
	v_cndmask_b32_e64 v25, v20, v25, s2
	v_and_b32_e32 v20, 2, v4
	s_delay_alu instid0(VALU_DEP_2) | instskip(NEXT) | instid1(VALU_DEP_2)
	v_and_b32_e32 v25, 1, v25
	v_cmp_ne_u32_e64 s2, 0, v20
	s_delay_alu instid0(VALU_DEP_2)
	v_cmp_eq_u32_e64 s3, 1, v25
	s_and_saveexec_b32 s4, s3
	s_wait_alu 0xfffe
	s_xor_b32 s3, exec_lo, s4
	s_cbranch_execz .LBB7_25
; %bb.24:
	ds_load_2addr_b64 v[25:28], v16 offset1:2
	s_wait_dscnt 0x0
	ds_store_2addr_b64 v16, v[27:28], v[25:26] offset1:2
	ds_store_b8 v14, v24
	ds_store_b8 v14, v22 offset:2
	ds_store_b8 v7, v23
	ds_store_b8 v7, v21 offset:2
.LBB7_25:
	s_wait_alu 0xfffe
	s_or_b32 exec_lo, exec_lo, s3
	s_wait_loadcnt_dscnt 0x0
	s_barrier_signal -1
	s_barrier_wait -1
	global_inv scope:SCOPE_SE
	ds_load_u16 v22, v1
	ds_load_u16 v21, v6
	v_lshrrev_b32_e32 v24, 1, v20
	v_cndmask_b32_e64 v27, 0, 1, s2
	s_wait_dscnt 0x1
	v_and_b32_e32 v25, 0xff, v22
	s_wait_dscnt 0x0
	v_lshrrev_b16 v20, 8, v21
	v_lshrrev_b16 v23, 8, v22
	v_and_b32_e32 v26, 1, v21
	s_delay_alu instid0(VALU_DEP_3) | instskip(NEXT) | instid1(VALU_DEP_3)
	v_cmp_ne_u16_e64 s4, v20, v24
	v_cmp_gt_u16_e64 s2, v25, v23
	s_delay_alu instid0(VALU_DEP_3) | instskip(SKIP_1) | instid1(VALU_DEP_3)
	v_cmp_eq_u32_e64 s3, 1, v26
	s_wait_alu 0xf1ff
	v_cndmask_b32_e64 v24, 0, 1, s4
	s_and_b32 s2, s2, s3
	s_mov_b32 s3, exec_lo
	s_wait_alu 0xfffe
	s_delay_alu instid0(VALU_DEP_1) | instskip(NEXT) | instid1(VALU_DEP_1)
	v_cndmask_b32_e64 v24, v24, v27, s2
	v_and_b32_e32 v24, 1, v24
	s_delay_alu instid0(VALU_DEP_1)
	v_cmpx_eq_u32_e32 1, v24
	s_cbranch_execz .LBB7_27
; %bb.26:
	ds_load_b128 v[24:27], v19
	v_lshlrev_b16 v22, 8, v22
	v_lshlrev_b16 v28, 8, v21
	s_delay_alu instid0(VALU_DEP_2) | instskip(NEXT) | instid1(VALU_DEP_2)
	v_or_b32_e32 v29, v23, v22
	v_or_b32_e32 v20, v20, v28
	s_wait_dscnt 0x0
	v_dual_mov_b32 v21, v26 :: v_dual_mov_b32 v22, v27
	v_dual_mov_b32 v23, v24 :: v_dual_mov_b32 v24, v25
	ds_store_b16 v1, v29
	ds_store_b128 v19, v[21:24]
	ds_store_b16 v6, v20
.LBB7_27:
	s_or_b32 exec_lo, exec_lo, s3
	v_and_b32_e32 v19, 3, v4
	s_wait_loadcnt_dscnt 0x0
	s_barrier_signal -1
	s_barrier_wait -1
	global_inv scope:SCOPE_SE
	v_sub_nc_u32_e32 v22, v18, v19
	v_bfe_u32 v27, v4, 2, 1
	s_delay_alu instid0(VALU_DEP_2)
	v_add_nc_u32_e32 v19, v17, v22
	v_add_nc_u32_e32 v20, v15, v22
	v_lshl_add_u32 v22, v22, 3, v13
	ds_load_u8 v23, v19
	ds_load_u8 v24, v20
	ds_load_u8 v26, v20 offset:4
	ds_load_u8 v25, v19 offset:4
	s_wait_dscnt 0x3
	v_and_b32_e32 v21, 1, v23
	s_wait_dscnt 0x1
	v_cmp_gt_u16_e64 s2, v24, v26
	s_wait_dscnt 0x0
	v_cmp_ne_u16_e64 s4, v25, v27
	v_cmp_eq_u32_e64 s3, 1, v21
	s_wait_alu 0xf1ff
	s_delay_alu instid0(VALU_DEP_2) | instskip(SKIP_3) | instid1(VALU_DEP_1)
	v_cndmask_b32_e64 v21, 0, 1, s4
	s_mov_b32 s4, exec_lo
	s_and_b32 s2, s2, s3
	s_wait_alu 0xfffe
	v_cndmask_b32_e64 v27, v21, v27, s2
	v_and_b32_e32 v21, 4, v4
	s_delay_alu instid0(VALU_DEP_2) | instskip(NEXT) | instid1(VALU_DEP_2)
	v_and_b32_e32 v27, 1, v27
	v_cmp_ne_u32_e64 s2, 0, v21
	s_delay_alu instid0(VALU_DEP_2)
	v_cmpx_eq_u32_e32 1, v27
	s_cbranch_execz .LBB7_29
; %bb.28:
	ds_load_2addr_b64 v[27:30], v22 offset1:4
	s_wait_dscnt 0x0
	ds_store_2addr_b64 v22, v[29:30], v[27:28] offset1:4
	ds_store_b8 v20, v26
	ds_store_b8 v20, v24 offset:4
	ds_store_b8 v19, v25
	ds_store_b8 v19, v23 offset:4
.LBB7_29:
	s_or_b32 exec_lo, exec_lo, s4
	s_wait_loadcnt_dscnt 0x0
	s_barrier_signal -1
	s_barrier_wait -1
	global_inv scope:SCOPE_SE
	ds_load_u8 v24, v7
	ds_load_u8 v25, v14
	ds_load_u8 v27, v14 offset:2
	ds_load_u8 v26, v7 offset:2
	v_lshrrev_b32_e32 v21, 2, v21
	v_cndmask_b32_e64 v23, 0, 1, s2
	s_wait_dscnt 0x3
	v_and_b32_e32 v28, 1, v24
	s_wait_dscnt 0x1
	v_cmp_gt_u16_e64 s2, v25, v27
	s_wait_dscnt 0x0
	v_cmp_ne_u16_e64 s4, v26, v21
	v_cmp_eq_u32_e64 s3, 1, v28
	s_wait_alu 0xf1ff
	s_delay_alu instid0(VALU_DEP_2) | instskip(SKIP_3) | instid1(VALU_DEP_1)
	v_cndmask_b32_e64 v28, 0, 1, s4
	s_and_b32 s2, s2, s3
	s_mov_b32 s3, exec_lo
	s_wait_alu 0xfffe
	v_cndmask_b32_e64 v28, v28, v23, s2
	s_delay_alu instid0(VALU_DEP_1) | instskip(NEXT) | instid1(VALU_DEP_1)
	v_and_b32_e32 v28, 1, v28
	v_cmpx_eq_u32_e32 1, v28
	s_cbranch_execz .LBB7_31
; %bb.30:
	ds_load_2addr_b64 v[28:31], v16 offset1:2
	s_wait_dscnt 0x0
	ds_store_2addr_b64 v16, v[30:31], v[28:29] offset1:2
	ds_store_b8 v14, v27
	ds_store_b8 v14, v25 offset:2
	ds_store_b8 v7, v26
	ds_store_b8 v7, v24 offset:2
.LBB7_31:
	s_or_b32 exec_lo, exec_lo, s3
	s_wait_loadcnt_dscnt 0x0
	s_barrier_signal -1
	s_barrier_wait -1
	global_inv scope:SCOPE_SE
	ds_load_u16 v27, v1
	ds_load_u16 v25, v6
	s_wait_dscnt 0x1
	v_and_b32_e32 v28, 0xff, v27
	s_wait_dscnt 0x0
	v_lshrrev_b16 v24, 8, v25
	v_lshrrev_b16 v26, 8, v27
	v_and_b32_e32 v29, 1, v25
	s_delay_alu instid0(VALU_DEP_3) | instskip(NEXT) | instid1(VALU_DEP_3)
	v_cmp_ne_u16_e64 s4, v24, v21
	v_cmp_gt_u16_e64 s2, v28, v26
	s_delay_alu instid0(VALU_DEP_3) | instskip(SKIP_1) | instid1(VALU_DEP_3)
	v_cmp_eq_u32_e64 s3, 1, v29
	s_wait_alu 0xf1ff
	v_cndmask_b32_e64 v21, 0, 1, s4
	s_and_b32 s2, s2, s3
	s_wait_alu 0xfffe
	s_delay_alu instid0(VALU_DEP_1) | instskip(NEXT) | instid1(VALU_DEP_1)
	v_cndmask_b32_e64 v21, v21, v23, s2
	v_and_b32_e32 v21, 1, v21
	s_delay_alu instid0(VALU_DEP_1)
	v_cmp_eq_u32_e64 s2, 1, v21
	v_lshl_add_u32 v21, v18, 3, v13
	s_and_saveexec_b32 s3, s2
	s_cbranch_execz .LBB7_33
; %bb.32:
	ds_load_b128 v[28:31], v21
	v_lshlrev_b16 v23, 8, v27
	v_lshlrev_b16 v32, 8, v25
	s_delay_alu instid0(VALU_DEP_2) | instskip(NEXT) | instid1(VALU_DEP_2)
	v_or_b32_e32 v23, v26, v23
	v_or_b32_e32 v24, v24, v32
	s_wait_dscnt 0x0
	v_dual_mov_b32 v25, v30 :: v_dual_mov_b32 v26, v31
	v_dual_mov_b32 v27, v28 :: v_dual_mov_b32 v28, v29
	ds_store_b16 v1, v23
	ds_store_b128 v21, v[25:28]
	ds_store_b16 v6, v24
.LBB7_33:
	s_wait_alu 0xfffe
	s_or_b32 exec_lo, exec_lo, s3
	v_and_b32_e32 v23, 7, v4
	s_wait_loadcnt_dscnt 0x0
	s_barrier_signal -1
	s_barrier_wait -1
	global_inv scope:SCOPE_SE
	v_sub_nc_u32_e32 v25, v18, v23
	v_bfe_u32 v31, v4, 3, 1
	s_delay_alu instid0(VALU_DEP_2)
	v_add_nc_u32_e32 v23, v17, v25
	v_add_nc_u32_e32 v24, v15, v25
	v_lshl_add_u32 v25, v25, 3, v13
	ds_load_u8 v27, v23
	ds_load_u8 v28, v24
	ds_load_u8 v30, v24 offset:8
	ds_load_u8 v29, v23 offset:8
	s_wait_dscnt 0x3
	v_and_b32_e32 v26, 1, v27
	s_wait_dscnt 0x1
	v_cmp_gt_u16_e64 s2, v28, v30
	s_wait_dscnt 0x0
	v_cmp_ne_u16_e64 s4, v29, v31
	v_cmp_eq_u32_e64 s3, 1, v26
	s_wait_alu 0xf1ff
	s_delay_alu instid0(VALU_DEP_2) | instskip(SKIP_3) | instid1(VALU_DEP_1)
	v_cndmask_b32_e64 v26, 0, 1, s4
	s_mov_b32 s4, exec_lo
	s_and_b32 s2, s2, s3
	s_wait_alu 0xfffe
	v_cndmask_b32_e64 v31, v26, v31, s2
	v_and_b32_e32 v26, 8, v4
	s_delay_alu instid0(VALU_DEP_2) | instskip(NEXT) | instid1(VALU_DEP_2)
	v_and_b32_e32 v31, 1, v31
	v_cmp_ne_u32_e64 s2, 0, v26
	s_delay_alu instid0(VALU_DEP_2)
	v_cmpx_eq_u32_e32 1, v31
	s_cbranch_execz .LBB7_35
; %bb.34:
	ds_load_2addr_b64 v[31:34], v25 offset1:8
	s_wait_dscnt 0x0
	ds_store_2addr_b64 v25, v[33:34], v[31:32] offset1:8
	ds_store_b8 v24, v30
	ds_store_b8 v24, v28 offset:8
	ds_store_b8 v23, v29
	ds_store_b8 v23, v27 offset:8
.LBB7_35:
	s_or_b32 exec_lo, exec_lo, s4
	s_wait_loadcnt_dscnt 0x0
	s_barrier_signal -1
	s_barrier_wait -1
	global_inv scope:SCOPE_SE
	ds_load_u8 v28, v19
	ds_load_u8 v29, v20
	ds_load_u8 v31, v20 offset:4
	ds_load_u8 v30, v19 offset:4
	v_lshrrev_b32_e32 v26, 3, v26
	v_cndmask_b32_e64 v27, 0, 1, s2
	s_wait_dscnt 0x3
	v_and_b32_e32 v32, 1, v28
	s_wait_dscnt 0x1
	v_cmp_gt_u16_e64 s2, v29, v31
	s_wait_dscnt 0x0
	v_cmp_ne_u16_e64 s4, v30, v26
	v_cmp_eq_u32_e64 s3, 1, v32
	s_wait_alu 0xf1ff
	s_delay_alu instid0(VALU_DEP_2) | instskip(SKIP_3) | instid1(VALU_DEP_1)
	v_cndmask_b32_e64 v32, 0, 1, s4
	s_and_b32 s2, s2, s3
	s_mov_b32 s3, exec_lo
	s_wait_alu 0xfffe
	v_cndmask_b32_e64 v32, v32, v27, s2
	s_delay_alu instid0(VALU_DEP_1) | instskip(NEXT) | instid1(VALU_DEP_1)
	v_and_b32_e32 v32, 1, v32
	v_cmpx_eq_u32_e32 1, v32
	s_cbranch_execz .LBB7_37
; %bb.36:
	ds_load_2addr_b64 v[32:35], v22 offset1:4
	s_wait_dscnt 0x0
	ds_store_2addr_b64 v22, v[34:35], v[32:33] offset1:4
	ds_store_b8 v20, v31
	ds_store_b8 v20, v29 offset:4
	ds_store_b8 v19, v30
	ds_store_b8 v19, v28 offset:4
.LBB7_37:
	s_or_b32 exec_lo, exec_lo, s3
	s_wait_loadcnt_dscnt 0x0
	s_barrier_signal -1
	s_barrier_wait -1
	global_inv scope:SCOPE_SE
	ds_load_u8 v28, v7
	ds_load_u8 v29, v14
	ds_load_u8 v31, v14 offset:2
	ds_load_u8 v30, v7 offset:2
	s_wait_dscnt 0x3
	v_and_b32_e32 v32, 1, v28
	s_wait_dscnt 0x1
	v_cmp_gt_u16_e64 s2, v29, v31
	s_wait_dscnt 0x0
	v_cmp_ne_u16_e64 s4, v30, v26
	v_cmp_eq_u32_e64 s3, 1, v32
	s_wait_alu 0xf1ff
	s_delay_alu instid0(VALU_DEP_2) | instskip(SKIP_3) | instid1(VALU_DEP_1)
	v_cndmask_b32_e64 v32, 0, 1, s4
	s_and_b32 s2, s2, s3
	s_mov_b32 s3, exec_lo
	s_wait_alu 0xfffe
	v_cndmask_b32_e64 v32, v32, v27, s2
	s_delay_alu instid0(VALU_DEP_1) | instskip(NEXT) | instid1(VALU_DEP_1)
	v_and_b32_e32 v32, 1, v32
	v_cmpx_eq_u32_e32 1, v32
	s_cbranch_execz .LBB7_39
; %bb.38:
	ds_load_2addr_b64 v[32:35], v16 offset1:2
	s_wait_dscnt 0x0
	ds_store_2addr_b64 v16, v[34:35], v[32:33] offset1:2
	ds_store_b8 v14, v31
	ds_store_b8 v14, v29 offset:2
	ds_store_b8 v7, v30
	ds_store_b8 v7, v28 offset:2
.LBB7_39:
	s_or_b32 exec_lo, exec_lo, s3
	s_wait_loadcnt_dscnt 0x0
	s_barrier_signal -1
	s_barrier_wait -1
	global_inv scope:SCOPE_SE
	ds_load_u16 v31, v1
	ds_load_u16 v29, v6
	s_wait_dscnt 0x1
	v_and_b32_e32 v32, 0xff, v31
	s_wait_dscnt 0x0
	v_lshrrev_b16 v28, 8, v29
	v_lshrrev_b16 v30, 8, v31
	v_and_b32_e32 v33, 1, v29
	s_delay_alu instid0(VALU_DEP_3) | instskip(NEXT) | instid1(VALU_DEP_3)
	v_cmp_ne_u16_e64 s4, v28, v26
	v_cmp_gt_u16_e64 s2, v32, v30
	s_delay_alu instid0(VALU_DEP_3) | instskip(SKIP_1) | instid1(VALU_DEP_3)
	v_cmp_eq_u32_e64 s3, 1, v33
	s_wait_alu 0xf1ff
	v_cndmask_b32_e64 v26, 0, 1, s4
	s_and_b32 s2, s2, s3
	s_mov_b32 s3, exec_lo
	s_wait_alu 0xfffe
	s_delay_alu instid0(VALU_DEP_1) | instskip(NEXT) | instid1(VALU_DEP_1)
	v_cndmask_b32_e64 v26, v26, v27, s2
	v_and_b32_e32 v26, 1, v26
	s_delay_alu instid0(VALU_DEP_1)
	v_cmpx_eq_u32_e32 1, v26
	s_cbranch_execz .LBB7_41
; %bb.40:
	ds_load_b128 v[32:35], v21
	v_lshlrev_b16 v26, 8, v31
	v_lshlrev_b16 v27, 8, v29
	s_delay_alu instid0(VALU_DEP_2) | instskip(NEXT) | instid1(VALU_DEP_2)
	v_or_b32_e32 v26, v30, v26
	v_or_b32_e32 v27, v28, v27
	s_wait_dscnt 0x0
	v_dual_mov_b32 v29, v34 :: v_dual_mov_b32 v30, v35
	v_dual_mov_b32 v31, v32 :: v_dual_mov_b32 v32, v33
	ds_store_b16 v1, v26
	ds_store_b128 v21, v[29:32]
	ds_store_b16 v6, v27
.LBB7_41:
	s_or_b32 exec_lo, exec_lo, s3
	v_and_b32_e32 v26, 15, v4
	s_wait_loadcnt_dscnt 0x0
	s_barrier_signal -1
	s_barrier_wait -1
	global_inv scope:SCOPE_SE
	v_sub_nc_u32_e32 v18, v18, v26
	s_delay_alu instid0(VALU_DEP_1)
	v_add_nc_u32_e32 v17, v17, v18
	v_add_nc_u32_e32 v15, v15, v18
	ds_load_u8 v26, v17
	ds_load_u8 v29, v17 offset:16
	ds_load_u8 v27, v15
	ds_load_u8 v28, v15 offset:16
	s_wait_dscnt 0x2
	v_and_b32_e32 v29, 0xff, v29
	v_and_b32_e32 v30, 1, v26
	s_wait_dscnt 0x0
	v_cmp_le_u16_e64 s3, v27, v28
	s_delay_alu instid0(VALU_DEP_3) | instskip(NEXT) | instid1(VALU_DEP_3)
	v_cmp_ne_u16_e64 s4, 0, v29
	v_cmp_eq_u32_e64 s2, 1, v30
	s_xor_b32 s2, s2, -1
	s_wait_alu 0xfffe
	s_or_b32 s2, s3, s2
	s_wait_alu 0xfffe
	s_and_b32 s3, s2, s4
	s_wait_alu 0xfffe
	s_and_saveexec_b32 s2, s3
	s_cbranch_execz .LBB7_43
; %bb.42:
	v_lshl_add_u32 v13, v18, 3, v13
	v_mov_b32_e32 v18, 1
	ds_load_2addr_b64 v[29:32], v13 offset1:16
	s_wait_dscnt 0x0
	ds_store_2addr_b64 v13, v[31:32], v[29:30] offset1:16
	ds_store_b8 v15, v28
	ds_store_b8 v15, v27 offset:16
	ds_store_b8 v17, v18
	ds_store_b8 v17, v26 offset:16
.LBB7_43:
	s_wait_alu 0xfffe
	s_or_b32 exec_lo, exec_lo, s2
	s_wait_loadcnt_dscnt 0x0
	s_barrier_signal -1
	s_barrier_wait -1
	global_inv scope:SCOPE_SE
	ds_load_u8 v13, v23
	ds_load_u8 v18, v23 offset:8
	ds_load_u8 v15, v24
	ds_load_u8 v17, v24 offset:8
	s_wait_dscnt 0x3
	v_and_b32_e32 v26, 1, v13
	s_wait_dscnt 0x2
	v_and_b32_e32 v18, 0xff, v18
	s_wait_dscnt 0x0
	v_cmp_le_u16_e64 s3, v15, v17
	v_cmp_eq_u32_e64 s2, 1, v26
	s_delay_alu instid0(VALU_DEP_3)
	v_cmp_ne_u16_e64 s4, 0, v18
	s_xor_b32 s2, s2, -1
	s_wait_alu 0xfffe
	s_or_b32 s2, s3, s2
	s_wait_alu 0xfffe
	s_and_b32 s3, s2, s4
	s_wait_alu 0xfffe
	s_and_saveexec_b32 s2, s3
	s_cbranch_execz .LBB7_45
; %bb.44:
	ds_load_2addr_b64 v[26:29], v25 offset1:8
	v_mov_b32_e32 v18, 1
	s_wait_dscnt 0x0
	ds_store_2addr_b64 v25, v[28:29], v[26:27] offset1:8
	ds_store_b8 v24, v17
	ds_store_b8 v24, v15 offset:8
	ds_store_b8 v23, v18
	ds_store_b8 v23, v13 offset:8
.LBB7_45:
	s_wait_alu 0xfffe
	s_or_b32 exec_lo, exec_lo, s2
	s_wait_loadcnt_dscnt 0x0
	s_barrier_signal -1
	s_barrier_wait -1
	global_inv scope:SCOPE_SE
	ds_load_u8 v13, v19
	ds_load_u8 v18, v19 offset:4
	ds_load_u8 v15, v20
	ds_load_u8 v17, v20 offset:4
	s_wait_dscnt 0x3
	v_and_b32_e32 v23, 1, v13
	s_wait_dscnt 0x2
	v_and_b32_e32 v18, 0xff, v18
	s_wait_dscnt 0x0
	v_cmp_le_u16_e64 s3, v15, v17
	v_cmp_eq_u32_e64 s2, 1, v23
	s_delay_alu instid0(VALU_DEP_3)
	v_cmp_ne_u16_e64 s4, 0, v18
	s_xor_b32 s2, s2, -1
	s_wait_alu 0xfffe
	s_or_b32 s2, s3, s2
	s_wait_alu 0xfffe
	s_and_b32 s3, s2, s4
	s_wait_alu 0xfffe
	s_and_saveexec_b32 s2, s3
	s_cbranch_execz .LBB7_47
; %bb.46:
	ds_load_2addr_b64 v[23:26], v22 offset1:4
	v_mov_b32_e32 v18, 1
	s_wait_dscnt 0x0
	ds_store_2addr_b64 v22, v[25:26], v[23:24] offset1:4
	ds_store_b8 v20, v17
	ds_store_b8 v20, v15 offset:4
	ds_store_b8 v19, v18
	ds_store_b8 v19, v13 offset:4
.LBB7_47:
	;; [unrolled: 37-line block ×3, first 2 shown]
	s_wait_alu 0xfffe
	s_or_b32 exec_lo, exec_lo, s2
	s_wait_loadcnt_dscnt 0x0
	s_barrier_signal -1
	s_barrier_wait -1
	global_inv scope:SCOPE_SE
	ds_load_u16 v7, v6
	ds_load_u16 v14, v1
	s_wait_dscnt 0x1
	v_and_b32_e32 v15, 1, v7
	s_wait_dscnt 0x0
	v_and_b32_e32 v16, 0xff, v14
	v_lshrrev_b16 v13, 8, v14
	v_lshrrev_b16 v17, 8, v7
	v_cmp_eq_u32_e64 s2, 1, v15
	s_delay_alu instid0(VALU_DEP_3) | instskip(NEXT) | instid1(VALU_DEP_3)
	v_cmp_le_u16_e64 s3, v16, v13
	v_cmp_ne_u16_e64 s4, 0, v17
	s_xor_b32 s2, s2, -1
	s_wait_alu 0xfffe
	s_or_b32 s2, s3, s2
	s_wait_alu 0xfffe
	s_and_b32 s3, s2, s4
	s_wait_alu 0xfffe
	s_and_saveexec_b32 s2, s3
	s_cbranch_execz .LBB7_51
; %bb.50:
	ds_load_b128 v[15:18], v21
	v_lshlrev_b16 v14, 8, v14
	v_lshlrev_b16 v7, 8, v7
	s_delay_alu instid0(VALU_DEP_2) | instskip(NEXT) | instid1(VALU_DEP_2)
	v_or_b32_e32 v19, v13, v14
	v_or_b32_e32 v7, 1, v7
	s_wait_dscnt 0x0
	v_dual_mov_b32 v13, v17 :: v_dual_mov_b32 v14, v18
	ds_store_b16 v1, v19
	ds_store_b128 v21, v[13:16]
	ds_store_b16 v6, v7
.LBB7_51:
	s_wait_alu 0xfffe
	s_or_b32 exec_lo, exec_lo, s2
	s_wait_loadcnt_dscnt 0x0
	s_barrier_signal -1
	s_barrier_wait -1
	global_inv scope:SCOPE_SE
	s_and_saveexec_b32 s2, vcc_lo
	s_cbranch_execz .LBB7_56
; %bb.52:
	s_and_saveexec_b32 s2, s0
	s_cbranch_execz .LBB7_54
; %bb.53:
	v_mad_co_u64_u32 v[6:7], null, s10, v4, 0
	v_mad_co_u64_u32 v[13:14], null, s8, v4, v[2:3]
	s_delay_alu instid0(VALU_DEP_2) | instskip(NEXT) | instid1(VALU_DEP_1)
	v_mov_b32_e32 v1, v7
	v_mad_co_u64_u32 v[15:16], null, s11, v4, v[1:2]
	ds_load_u8 v16, v12
	ds_load_b64 v[11:12], v11
	v_mov_b32_e32 v1, v14
	v_mov_b32_e32 v7, v15
	s_delay_alu instid0(VALU_DEP_2) | instskip(NEXT) | instid1(VALU_DEP_2)
	v_mad_co_u64_u32 v[14:15], null, s9, v4, v[1:2]
	v_lshlrev_b64_e32 v[6:7], 3, v[6:7]
	s_delay_alu instid0(VALU_DEP_1) | instskip(SKIP_1) | instid1(VALU_DEP_2)
	v_add_co_u32 v6, vcc_lo, v5, v6
	s_wait_alu 0xfffd
	v_add_co_ci_u32_e64 v7, null, v10, v7, vcc_lo
	s_wait_dscnt 0x1
	global_store_b8 v[13:14], v16, off
	s_wait_dscnt 0x0
	global_store_b64 v[6:7], v[11:12], off
.LBB7_54:
	s_wait_alu 0xfffe
	s_or_b32 exec_lo, exec_lo, s2
	s_delay_alu instid0(SALU_CYCLE_1)
	s_and_b32 exec_lo, exec_lo, s1
	s_cbranch_execz .LBB7_56
; %bb.55:
	v_mad_co_u64_u32 v[6:7], null, s10, v0, 0
	v_mad_co_u64_u32 v[2:3], null, s8, v0, v[2:3]
	ds_load_u8 v4, v8
	ds_load_b64 v[8:9], v9
	v_mov_b32_e32 v1, v7
	s_delay_alu instid0(VALU_DEP_1) | instskip(SKIP_1) | instid1(VALU_DEP_1)
	v_mad_co_u64_u32 v[11:12], null, s11, v0, v[1:2]
	v_mov_b32_e32 v1, v3
	v_mad_co_u64_u32 v[0:1], null, s9, v0, v[1:2]
	s_delay_alu instid0(VALU_DEP_3) | instskip(NEXT) | instid1(VALU_DEP_1)
	v_mov_b32_e32 v7, v11
	v_lshlrev_b64_e32 v[6:7], 3, v[6:7]
	s_delay_alu instid0(VALU_DEP_3) | instskip(NEXT) | instid1(VALU_DEP_2)
	v_mov_b32_e32 v3, v0
	v_add_co_u32 v0, vcc_lo, v5, v6
	s_wait_alu 0xfffd
	s_delay_alu instid0(VALU_DEP_3)
	v_add_co_ci_u32_e64 v1, null, v10, v7, vcc_lo
	s_wait_dscnt 0x1
	global_store_b8 v[2:3], v4, off
	s_wait_dscnt 0x0
	global_store_b64 v[0:1], v[8:9], off
.LBB7_56:
	s_endpgm
	.section	.rodata,"a",@progbits
	.p2align	6, 0x0
	.amdhsa_kernel _ZN2at6native20bitonicSortKVInPlaceILin1ELin1ELi16ELi16EhlNS0_4GTOpIhLb1EEEmEEvNS_4cuda6detail10TensorInfoIT3_T6_EES8_S8_S8_NS6_IT4_S8_EES8_T5_
		.amdhsa_group_segment_fixed_size 5120
		.amdhsa_private_segment_fixed_size 0
		.amdhsa_kernarg_size 1128
		.amdhsa_user_sgpr_count 2
		.amdhsa_user_sgpr_dispatch_ptr 0
		.amdhsa_user_sgpr_queue_ptr 0
		.amdhsa_user_sgpr_kernarg_segment_ptr 1
		.amdhsa_user_sgpr_dispatch_id 0
		.amdhsa_user_sgpr_private_segment_size 0
		.amdhsa_wavefront_size32 1
		.amdhsa_uses_dynamic_stack 0
		.amdhsa_enable_private_segment 0
		.amdhsa_system_sgpr_workgroup_id_x 1
		.amdhsa_system_sgpr_workgroup_id_y 1
		.amdhsa_system_sgpr_workgroup_id_z 1
		.amdhsa_system_sgpr_workgroup_info 0
		.amdhsa_system_vgpr_workitem_id 1
		.amdhsa_next_free_vgpr 36
		.amdhsa_next_free_sgpr 31
		.amdhsa_reserve_vcc 1
		.amdhsa_float_round_mode_32 0
		.amdhsa_float_round_mode_16_64 0
		.amdhsa_float_denorm_mode_32 3
		.amdhsa_float_denorm_mode_16_64 3
		.amdhsa_fp16_overflow 0
		.amdhsa_workgroup_processor_mode 1
		.amdhsa_memory_ordered 1
		.amdhsa_forward_progress 1
		.amdhsa_inst_pref_size 54
		.amdhsa_round_robin_scheduling 0
		.amdhsa_exception_fp_ieee_invalid_op 0
		.amdhsa_exception_fp_denorm_src 0
		.amdhsa_exception_fp_ieee_div_zero 0
		.amdhsa_exception_fp_ieee_overflow 0
		.amdhsa_exception_fp_ieee_underflow 0
		.amdhsa_exception_fp_ieee_inexact 0
		.amdhsa_exception_int_div_zero 0
	.end_amdhsa_kernel
	.section	.text._ZN2at6native20bitonicSortKVInPlaceILin1ELin1ELi16ELi16EhlNS0_4GTOpIhLb1EEEmEEvNS_4cuda6detail10TensorInfoIT3_T6_EES8_S8_S8_NS6_IT4_S8_EES8_T5_,"axG",@progbits,_ZN2at6native20bitonicSortKVInPlaceILin1ELin1ELi16ELi16EhlNS0_4GTOpIhLb1EEEmEEvNS_4cuda6detail10TensorInfoIT3_T6_EES8_S8_S8_NS6_IT4_S8_EES8_T5_,comdat
.Lfunc_end7:
	.size	_ZN2at6native20bitonicSortKVInPlaceILin1ELin1ELi16ELi16EhlNS0_4GTOpIhLb1EEEmEEvNS_4cuda6detail10TensorInfoIT3_T6_EES8_S8_S8_NS6_IT4_S8_EES8_T5_, .Lfunc_end7-_ZN2at6native20bitonicSortKVInPlaceILin1ELin1ELi16ELi16EhlNS0_4GTOpIhLb1EEEmEEvNS_4cuda6detail10TensorInfoIT3_T6_EES8_S8_S8_NS6_IT4_S8_EES8_T5_
                                        ; -- End function
	.set _ZN2at6native20bitonicSortKVInPlaceILin1ELin1ELi16ELi16EhlNS0_4GTOpIhLb1EEEmEEvNS_4cuda6detail10TensorInfoIT3_T6_EES8_S8_S8_NS6_IT4_S8_EES8_T5_.num_vgpr, 36
	.set _ZN2at6native20bitonicSortKVInPlaceILin1ELin1ELi16ELi16EhlNS0_4GTOpIhLb1EEEmEEvNS_4cuda6detail10TensorInfoIT3_T6_EES8_S8_S8_NS6_IT4_S8_EES8_T5_.num_agpr, 0
	.set _ZN2at6native20bitonicSortKVInPlaceILin1ELin1ELi16ELi16EhlNS0_4GTOpIhLb1EEEmEEvNS_4cuda6detail10TensorInfoIT3_T6_EES8_S8_S8_NS6_IT4_S8_EES8_T5_.numbered_sgpr, 31
	.set _ZN2at6native20bitonicSortKVInPlaceILin1ELin1ELi16ELi16EhlNS0_4GTOpIhLb1EEEmEEvNS_4cuda6detail10TensorInfoIT3_T6_EES8_S8_S8_NS6_IT4_S8_EES8_T5_.num_named_barrier, 0
	.set _ZN2at6native20bitonicSortKVInPlaceILin1ELin1ELi16ELi16EhlNS0_4GTOpIhLb1EEEmEEvNS_4cuda6detail10TensorInfoIT3_T6_EES8_S8_S8_NS6_IT4_S8_EES8_T5_.private_seg_size, 0
	.set _ZN2at6native20bitonicSortKVInPlaceILin1ELin1ELi16ELi16EhlNS0_4GTOpIhLb1EEEmEEvNS_4cuda6detail10TensorInfoIT3_T6_EES8_S8_S8_NS6_IT4_S8_EES8_T5_.uses_vcc, 1
	.set _ZN2at6native20bitonicSortKVInPlaceILin1ELin1ELi16ELi16EhlNS0_4GTOpIhLb1EEEmEEvNS_4cuda6detail10TensorInfoIT3_T6_EES8_S8_S8_NS6_IT4_S8_EES8_T5_.uses_flat_scratch, 0
	.set _ZN2at6native20bitonicSortKVInPlaceILin1ELin1ELi16ELi16EhlNS0_4GTOpIhLb1EEEmEEvNS_4cuda6detail10TensorInfoIT3_T6_EES8_S8_S8_NS6_IT4_S8_EES8_T5_.has_dyn_sized_stack, 0
	.set _ZN2at6native20bitonicSortKVInPlaceILin1ELin1ELi16ELi16EhlNS0_4GTOpIhLb1EEEmEEvNS_4cuda6detail10TensorInfoIT3_T6_EES8_S8_S8_NS6_IT4_S8_EES8_T5_.has_recursion, 0
	.set _ZN2at6native20bitonicSortKVInPlaceILin1ELin1ELi16ELi16EhlNS0_4GTOpIhLb1EEEmEEvNS_4cuda6detail10TensorInfoIT3_T6_EES8_S8_S8_NS6_IT4_S8_EES8_T5_.has_indirect_call, 0
	.section	.AMDGPU.csdata,"",@progbits
; Kernel info:
; codeLenInByte = 6912
; TotalNumSgprs: 33
; NumVgprs: 36
; ScratchSize: 0
; MemoryBound: 0
; FloatMode: 240
; IeeeMode: 1
; LDSByteSize: 5120 bytes/workgroup (compile time only)
; SGPRBlocks: 0
; VGPRBlocks: 4
; NumSGPRsForWavesPerEU: 33
; NumVGPRsForWavesPerEU: 36
; Occupancy: 16
; WaveLimiterHint : 1
; COMPUTE_PGM_RSRC2:SCRATCH_EN: 0
; COMPUTE_PGM_RSRC2:USER_SGPR: 2
; COMPUTE_PGM_RSRC2:TRAP_HANDLER: 0
; COMPUTE_PGM_RSRC2:TGID_X_EN: 1
; COMPUTE_PGM_RSRC2:TGID_Y_EN: 1
; COMPUTE_PGM_RSRC2:TGID_Z_EN: 1
; COMPUTE_PGM_RSRC2:TIDIG_COMP_CNT: 1
	.section	.text._ZN2at6native20bitonicSortKVInPlaceILin2ELin1ELi16ELi16EalNS0_4LTOpIaLb1EEEjEEvNS_4cuda6detail10TensorInfoIT3_T6_EES8_S8_S8_NS6_IT4_S8_EES8_T5_,"axG",@progbits,_ZN2at6native20bitonicSortKVInPlaceILin2ELin1ELi16ELi16EalNS0_4LTOpIaLb1EEEjEEvNS_4cuda6detail10TensorInfoIT3_T6_EES8_S8_S8_NS6_IT4_S8_EES8_T5_,comdat
	.protected	_ZN2at6native20bitonicSortKVInPlaceILin2ELin1ELi16ELi16EalNS0_4LTOpIaLb1EEEjEEvNS_4cuda6detail10TensorInfoIT3_T6_EES8_S8_S8_NS6_IT4_S8_EES8_T5_ ; -- Begin function _ZN2at6native20bitonicSortKVInPlaceILin2ELin1ELi16ELi16EalNS0_4LTOpIaLb1EEEjEEvNS_4cuda6detail10TensorInfoIT3_T6_EES8_S8_S8_NS6_IT4_S8_EES8_T5_
	.globl	_ZN2at6native20bitonicSortKVInPlaceILin2ELin1ELi16ELi16EalNS0_4LTOpIaLb1EEEjEEvNS_4cuda6detail10TensorInfoIT3_T6_EES8_S8_S8_NS6_IT4_S8_EES8_T5_
	.p2align	8
	.type	_ZN2at6native20bitonicSortKVInPlaceILin2ELin1ELi16ELi16EalNS0_4LTOpIaLb1EEEjEEvNS_4cuda6detail10TensorInfoIT3_T6_EES8_S8_S8_NS6_IT4_S8_EES8_T5_,@function
_ZN2at6native20bitonicSortKVInPlaceILin2ELin1ELi16ELi16EalNS0_4LTOpIaLb1EEEjEEvNS_4cuda6detail10TensorInfoIT3_T6_EES8_S8_S8_NS6_IT4_S8_EES8_T5_: ; @_ZN2at6native20bitonicSortKVInPlaceILin2ELin1ELi16ELi16EalNS0_4LTOpIaLb1EEEjEEvNS_4cuda6detail10TensorInfoIT3_T6_EES8_S8_S8_NS6_IT4_S8_EES8_T5_
; %bb.0:
	s_clause 0x2
	s_load_b64 s[2:3], s[0:1], 0x1c8
	s_load_u16 s7, s[0:1], 0x1d6
	s_load_b96 s[4:6], s[0:1], 0xd8
	s_lshr_b32 s8, ttmp7, 16
	s_wait_kmcnt 0x0
	s_mul_i32 s3, s3, s8
	s_and_b32 s8, ttmp7, 0xffff
	s_delay_alu instid0(SALU_CYCLE_1) | instskip(NEXT) | instid1(SALU_CYCLE_1)
	s_add_co_i32 s3, s3, s8
	s_mul_i32 s2, s3, s2
	s_delay_alu instid0(SALU_CYCLE_1) | instskip(NEXT) | instid1(SALU_CYCLE_1)
	s_add_co_i32 s2, s2, ttmp9
	s_mul_i32 s2, s2, s7
	s_delay_alu instid0(SALU_CYCLE_1)
	s_cmp_ge_u32 s2, s4
	s_cbranch_scc1 .LBB8_43
; %bb.1:
	s_clause 0x1
	s_load_b32 s7, s[0:1], 0x1b8
	s_load_b64 s[8:9], s[0:1], 0x0
	v_bfe_u32 v8, v0, 10, 10
	s_delay_alu instid0(VALU_DEP_1) | instskip(SKIP_2) | instid1(VALU_DEP_2)
	v_add_nc_u32_e32 v3, s2, v8
	v_mov_b32_e32 v1, 0
	s_add_nc_u64 s[2:3], s[0:1], 0xe8
	v_mov_b32_e32 v4, v3
	s_wait_kmcnt 0x0
	s_cmp_lt_i32 s7, 2
	s_cbranch_scc1 .LBB8_4
; %bb.2:
	s_add_co_i32 s10, s7, -1
	s_mov_b32 s11, 0
	v_dual_mov_b32 v1, 0 :: v_dual_mov_b32 v4, v3
	s_lshl_b64 s[10:11], s[10:11], 2
	s_add_co_i32 s7, s7, 1
	s_wait_alu 0xfffe
	s_add_nc_u64 s[10:11], s[2:3], s[10:11]
	s_delay_alu instid0(SALU_CYCLE_1)
	s_add_nc_u64 s[10:11], s[10:11], 8
.LBB8_3:                                ; =>This Inner Loop Header: Depth=1
	s_clause 0x1
	s_load_b32 s12, s[10:11], 0x0
	s_load_b32 s13, s[10:11], 0x64
	s_add_co_i32 s7, s7, -1
	s_add_nc_u64 s[10:11], s[10:11], -4
	s_wait_kmcnt 0x0
	s_cvt_f32_u32 s14, s12
	s_sub_co_i32 s15, 0, s12
	s_wait_alu 0xfffe
	s_delay_alu instid0(SALU_CYCLE_1) | instskip(NEXT) | instid1(TRANS32_DEP_1)
	v_rcp_iflag_f32_e32 v2, s14
	v_readfirstlane_b32 s14, v2
	v_mov_b32_e32 v2, v4
	s_mul_f32 s14, s14, 0x4f7ffffe
	s_wait_alu 0xfffe
	s_delay_alu instid0(SALU_CYCLE_2) | instskip(SKIP_1) | instid1(SALU_CYCLE_2)
	s_cvt_u32_f32 s14, s14
	s_wait_alu 0xfffe
	s_mul_i32 s15, s15, s14
	s_wait_alu 0xfffe
	s_mul_hi_u32 s15, s14, s15
	s_wait_alu 0xfffe
	s_add_co_i32 s14, s14, s15
	s_cmp_gt_u32 s7, 2
	s_wait_alu 0xfffe
	v_mul_hi_u32 v4, v2, s14
	s_delay_alu instid0(VALU_DEP_1) | instskip(SKIP_1) | instid1(VALU_DEP_2)
	v_mul_lo_u32 v5, v4, s12
	v_add_nc_u32_e32 v6, 1, v4
	v_sub_nc_u32_e32 v5, v2, v5
	s_delay_alu instid0(VALU_DEP_1) | instskip(SKIP_2) | instid1(VALU_DEP_2)
	v_subrev_nc_u32_e32 v7, s12, v5
	v_cmp_le_u32_e32 vcc_lo, s12, v5
	s_wait_alu 0xfffd
	v_dual_cndmask_b32 v4, v4, v6 :: v_dual_cndmask_b32 v5, v5, v7
	s_delay_alu instid0(VALU_DEP_1) | instskip(NEXT) | instid1(VALU_DEP_2)
	v_add_nc_u32_e32 v6, 1, v4
	v_cmp_le_u32_e32 vcc_lo, s12, v5
	s_wait_alu 0xfffd
	s_delay_alu instid0(VALU_DEP_2) | instskip(NEXT) | instid1(VALU_DEP_1)
	v_cndmask_b32_e32 v4, v4, v6, vcc_lo
	v_mul_lo_u32 v5, v4, s12
	s_delay_alu instid0(VALU_DEP_1) | instskip(NEXT) | instid1(VALU_DEP_1)
	v_sub_nc_u32_e32 v2, v2, v5
	v_mad_co_u64_u32 v[1:2], null, s13, v2, v[1:2]
	s_cbranch_scc1 .LBB8_3
.LBB8_4:
	s_load_b32 s13, s[0:1], 0x6c
	s_add_nc_u64 s[10:11], s[0:1], 0x1c8
	s_load_b32 s14, s[2:3], 0x6c
	s_load_b32 s12, s[10:11], 0xc
	s_clause 0x1
	s_load_b32 s7, s[0:1], 0x1c0
	s_load_b64 s[10:11], s[2:3], 0x0
	v_and_b32_e32 v6, 0x3ff, v0
	v_cmp_gt_u32_e64 s0, s4, v3
	v_dual_mov_b32 v10, 0 :: v_dual_mov_b32 v11, 0
	s_wait_kmcnt 0x0
	v_mad_co_u64_u32 v[1:2], null, s14, v4, v[1:2]
	v_mul_lo_u32 v0, s13, v3
	v_mov_b32_e32 v2, 0
	v_mov_b32_e32 v3, 0
	v_cmp_gt_u32_e32 vcc_lo, s5, v6
	v_mov_b32_e32 v4, 0
	v_mov_b32_e32 v5, 0
	s_and_b32 s2, s0, vcc_lo
	s_wait_alu 0xfffe
	s_and_saveexec_b32 s3, s2
	s_cbranch_execz .LBB8_6
; %bb.5:
	v_mad_co_u64_u32 v[4:5], null, v6, s7, v[1:2]
	v_mov_b32_e32 v5, 0
	v_mad_co_u64_u32 v[11:12], null, v6, s6, v[0:1]
	s_delay_alu instid0(VALU_DEP_2) | instskip(NEXT) | instid1(VALU_DEP_1)
	v_lshlrev_b64_e32 v[4:5], 3, v[4:5]
	v_add_co_u32 v4, s1, s10, v4
	s_delay_alu instid0(VALU_DEP_1)
	v_add_co_ci_u32_e64 v5, null, s11, v5, s1
	global_load_u8 v11, v11, s[8:9]
	global_load_b64 v[4:5], v[4:5], off
.LBB8_6:
	s_wait_alu 0xfffe
	s_or_b32 exec_lo, exec_lo, s3
	v_lshlrev_b32_e32 v9, 5, v8
	s_and_b32 s3, 0xffff, s12
	v_lshlrev_b32_e32 v12, 8, v8
	s_wait_alu 0xfffe
	v_add_nc_u32_e32 v7, s3, v6
	v_cndmask_b32_e64 v14, 0, 1, s2
	v_add_nc_u32_e32 v13, 0x1000, v9
	v_add_nc_u32_e32 v15, 0x1200, v9
	v_lshl_add_u32 v8, v6, 3, v12
	v_cmp_gt_u32_e64 s1, s5, v7
	s_delay_alu instid0(VALU_DEP_4) | instskip(NEXT) | instid1(VALU_DEP_4)
	v_add_nc_u32_e32 v9, v13, v6
	v_add_nc_u32_e32 v16, v15, v6
	s_wait_loadcnt 0x1
	ds_store_b8 v9, v11
	s_wait_loadcnt 0x0
	ds_store_b64 v8, v[4:5]
	ds_store_b8 v16, v14
	s_and_b32 s4, s0, s1
	s_wait_alu 0xfffe
	s_and_saveexec_b32 s5, s4
	s_cbranch_execz .LBB8_8
; %bb.7:
	v_mad_co_u64_u32 v[2:3], null, v7, s7, v[1:2]
	v_mov_b32_e32 v3, 0
	v_mad_co_u64_u32 v[4:5], null, v7, s6, v[0:1]
	s_delay_alu instid0(VALU_DEP_2) | instskip(NEXT) | instid1(VALU_DEP_1)
	v_lshlrev_b64_e32 v[2:3], 3, v[2:3]
	v_add_co_u32 v2, s2, s10, v2
	s_wait_alu 0xf1ff
	s_delay_alu instid0(VALU_DEP_2)
	v_add_co_ci_u32_e64 v3, null, s11, v3, s2
	global_load_u8 v10, v4, s[8:9]
	global_load_b64 v[2:3], v[2:3], off
.LBB8_8:
	s_wait_alu 0xfffe
	s_or_b32 exec_lo, exec_lo, s5
	v_add_nc_u32_e32 v4, v13, v7
	v_lshlrev_b32_e32 v16, 1, v6
	v_lshl_add_u32 v5, s3, 3, v8
	v_cndmask_b32_e64 v11, 0, 1, s4
	v_add_nc_u32_e32 v14, v15, v7
	s_wait_loadcnt 0x1
	ds_store_b8 v4, v10
	s_wait_loadcnt 0x0
	ds_store_b64 v5, v[2:3]
	ds_store_b8 v14, v11
	v_add_nc_u32_e32 v2, v13, v16
	v_add_nc_u32_e32 v3, v15, v16
	s_wait_dscnt 0x0
	s_barrier_signal -1
	s_barrier_wait -1
	global_inv scope:SCOPE_SE
	ds_load_u16 v11, v2
	ds_load_u16 v14, v3
	v_and_b32_e32 v10, 1, v6
	s_wait_dscnt 0x1
	v_bfe_i32 v18, v11, 0, 8
	v_ashrrev_i16 v19, 8, v11
	s_wait_dscnt 0x0
	v_lshrrev_b16 v11, 8, v14
	v_and_b32_e32 v17, 1, v14
	s_delay_alu instid0(VALU_DEP_3) | instskip(NEXT) | instid1(VALU_DEP_3)
	v_cmp_lt_i16_e64 s2, v18, v19
	v_cmp_ne_u16_e64 s4, v11, v10
	s_delay_alu instid0(VALU_DEP_3) | instskip(SKIP_1) | instid1(VALU_DEP_2)
	v_cmp_eq_u32_e64 s3, 1, v17
	s_wait_alu 0xf1ff
	v_cndmask_b32_e64 v17, 0, 1, s4
	s_and_b32 s2, s2, s3
	s_wait_alu 0xfffe
	s_delay_alu instid0(VALU_DEP_1) | instskip(NEXT) | instid1(VALU_DEP_1)
	v_cndmask_b32_e64 v17, v17, v6, s2
	v_and_b32_e32 v17, 1, v17
	s_delay_alu instid0(VALU_DEP_1)
	v_cmp_eq_u32_e64 s2, 1, v17
	v_lshl_add_u32 v17, v6, 3, v8
	s_and_saveexec_b32 s3, s2
	s_wait_alu 0xfffe
	s_xor_b32 s2, exec_lo, s3
	s_cbranch_execz .LBB8_10
; %bb.9:
	ds_load_b128 v[20:23], v17
	v_lshlrev_b16 v18, 8, v18
	v_and_b32_e32 v19, 0xff, v19
	v_lshlrev_b16 v14, 8, v14
	s_delay_alu instid0(VALU_DEP_2) | instskip(NEXT) | instid1(VALU_DEP_2)
	v_or_b32_e32 v24, v19, v18
	v_or_b32_e32 v11, v11, v14
	s_wait_dscnt 0x0
	v_dual_mov_b32 v18, v22 :: v_dual_mov_b32 v19, v23
	ds_store_b16 v2, v24
	ds_store_b128 v17, v[18:21]
	ds_store_b16 v3, v11
.LBB8_10:
	s_wait_alu 0xfffe
	s_or_b32 exec_lo, exec_lo, s2
	v_sub_nc_u32_e32 v14, v16, v10
	s_wait_loadcnt_dscnt 0x0
	s_barrier_signal -1
	s_barrier_wait -1
	global_inv scope:SCOPE_SE
	v_add_nc_u32_e32 v10, v15, v14
	v_add_nc_u32_e32 v11, v13, v14
	v_bfe_u32 v23, v6, 1, 1
	v_lshl_add_u32 v14, v14, 3, v12
	ds_load_u8 v19, v10
	ds_load_i8 v20, v11
	ds_load_i8 v22, v11 offset:2
	ds_load_u8 v21, v10 offset:2
	s_wait_dscnt 0x3
	v_and_b32_e32 v18, 1, v19
	s_wait_dscnt 0x1
	v_cmp_lt_i16_e64 s2, v20, v22
	s_wait_dscnt 0x0
	v_cmp_ne_u16_e64 s4, v21, v23
	v_cmp_eq_u32_e64 s3, 1, v18
	s_wait_alu 0xf1ff
	s_delay_alu instid0(VALU_DEP_2) | instskip(SKIP_2) | instid1(VALU_DEP_1)
	v_cndmask_b32_e64 v18, 0, 1, s4
	s_and_b32 s2, s2, s3
	s_wait_alu 0xfffe
	v_cndmask_b32_e64 v23, v18, v23, s2
	v_and_b32_e32 v18, 2, v6
	s_delay_alu instid0(VALU_DEP_2) | instskip(NEXT) | instid1(VALU_DEP_2)
	v_and_b32_e32 v23, 1, v23
	v_cmp_ne_u32_e64 s2, 0, v18
	s_delay_alu instid0(VALU_DEP_2)
	v_cmp_eq_u32_e64 s3, 1, v23
	s_and_saveexec_b32 s4, s3
	s_wait_alu 0xfffe
	s_xor_b32 s3, exec_lo, s4
	s_cbranch_execz .LBB8_12
; %bb.11:
	ds_load_2addr_b64 v[23:26], v14 offset1:2
	s_wait_dscnt 0x0
	ds_store_2addr_b64 v14, v[25:26], v[23:24] offset1:2
	ds_store_b8 v11, v22
	ds_store_b8 v11, v20 offset:2
	ds_store_b8 v10, v21
	ds_store_b8 v10, v19 offset:2
.LBB8_12:
	s_wait_alu 0xfffe
	s_or_b32 exec_lo, exec_lo, s3
	s_wait_loadcnt_dscnt 0x0
	s_barrier_signal -1
	s_barrier_wait -1
	global_inv scope:SCOPE_SE
	ds_load_u16 v21, v2
	ds_load_u16 v19, v3
	v_lshrrev_b32_e32 v22, 1, v18
	v_cndmask_b32_e64 v24, 0, 1, s2
	s_wait_dscnt 0x1
	v_bfe_i32 v20, v21, 0, 8
	s_wait_dscnt 0x0
	v_lshrrev_b16 v18, 8, v19
	v_ashrrev_i16 v21, 8, v21
	v_and_b32_e32 v23, 1, v19
	s_delay_alu instid0(VALU_DEP_3) | instskip(NEXT) | instid1(VALU_DEP_3)
	v_cmp_ne_u16_e64 s4, v18, v22
	v_cmp_lt_i16_e64 s2, v20, v21
	s_delay_alu instid0(VALU_DEP_3) | instskip(SKIP_1) | instid1(VALU_DEP_3)
	v_cmp_eq_u32_e64 s3, 1, v23
	s_wait_alu 0xf1ff
	v_cndmask_b32_e64 v22, 0, 1, s4
	s_and_b32 s2, s2, s3
	s_mov_b32 s3, exec_lo
	s_wait_alu 0xfffe
	s_delay_alu instid0(VALU_DEP_1) | instskip(NEXT) | instid1(VALU_DEP_1)
	v_cndmask_b32_e64 v22, v22, v24, s2
	v_and_b32_e32 v22, 1, v22
	s_delay_alu instid0(VALU_DEP_1)
	v_cmpx_eq_u32_e32 1, v22
	s_cbranch_execz .LBB8_14
; %bb.13:
	ds_load_b128 v[22:25], v17
	v_lshlrev_b16 v20, 8, v20
	v_and_b32_e32 v21, 0xff, v21
	v_lshlrev_b16 v26, 8, v19
	s_delay_alu instid0(VALU_DEP_2) | instskip(NEXT) | instid1(VALU_DEP_2)
	v_or_b32_e32 v27, v21, v20
	v_or_b32_e32 v18, v18, v26
	s_wait_dscnt 0x0
	v_dual_mov_b32 v19, v24 :: v_dual_mov_b32 v20, v25
	v_dual_mov_b32 v21, v22 :: v_dual_mov_b32 v22, v23
	ds_store_b16 v2, v27
	ds_store_b128 v17, v[19:22]
	ds_store_b16 v3, v18
.LBB8_14:
	s_or_b32 exec_lo, exec_lo, s3
	v_and_b32_e32 v17, 3, v6
	s_wait_loadcnt_dscnt 0x0
	s_barrier_signal -1
	s_barrier_wait -1
	global_inv scope:SCOPE_SE
	v_sub_nc_u32_e32 v20, v16, v17
	v_bfe_u32 v25, v6, 2, 1
	s_delay_alu instid0(VALU_DEP_2)
	v_add_nc_u32_e32 v17, v15, v20
	v_add_nc_u32_e32 v18, v13, v20
	v_lshl_add_u32 v20, v20, 3, v12
	ds_load_u8 v21, v17
	ds_load_i8 v22, v18
	ds_load_i8 v24, v18 offset:4
	ds_load_u8 v23, v17 offset:4
	s_wait_dscnt 0x3
	v_and_b32_e32 v19, 1, v21
	s_wait_dscnt 0x1
	v_cmp_lt_i16_e64 s2, v22, v24
	s_wait_dscnt 0x0
	v_cmp_ne_u16_e64 s4, v23, v25
	v_cmp_eq_u32_e64 s3, 1, v19
	s_wait_alu 0xf1ff
	s_delay_alu instid0(VALU_DEP_2) | instskip(SKIP_3) | instid1(VALU_DEP_1)
	v_cndmask_b32_e64 v19, 0, 1, s4
	s_mov_b32 s4, exec_lo
	s_and_b32 s2, s2, s3
	s_wait_alu 0xfffe
	v_cndmask_b32_e64 v25, v19, v25, s2
	v_and_b32_e32 v19, 4, v6
	s_delay_alu instid0(VALU_DEP_2) | instskip(NEXT) | instid1(VALU_DEP_2)
	v_and_b32_e32 v25, 1, v25
	v_cmp_ne_u32_e64 s2, 0, v19
	s_delay_alu instid0(VALU_DEP_2)
	v_cmpx_eq_u32_e32 1, v25
	s_cbranch_execz .LBB8_16
; %bb.15:
	ds_load_2addr_b64 v[25:28], v20 offset1:4
	s_wait_dscnt 0x0
	ds_store_2addr_b64 v20, v[27:28], v[25:26] offset1:4
	ds_store_b8 v18, v24
	ds_store_b8 v18, v22 offset:4
	ds_store_b8 v17, v23
	ds_store_b8 v17, v21 offset:4
.LBB8_16:
	s_or_b32 exec_lo, exec_lo, s4
	s_wait_loadcnt_dscnt 0x0
	s_barrier_signal -1
	s_barrier_wait -1
	global_inv scope:SCOPE_SE
	ds_load_u8 v22, v10
	ds_load_i8 v23, v11
	ds_load_i8 v25, v11 offset:2
	ds_load_u8 v24, v10 offset:2
	v_lshrrev_b32_e32 v19, 2, v19
	v_cndmask_b32_e64 v21, 0, 1, s2
	s_wait_dscnt 0x3
	v_and_b32_e32 v26, 1, v22
	s_wait_dscnt 0x1
	v_cmp_lt_i16_e64 s2, v23, v25
	s_wait_dscnt 0x0
	v_cmp_ne_u16_e64 s4, v24, v19
	v_cmp_eq_u32_e64 s3, 1, v26
	s_wait_alu 0xf1ff
	s_delay_alu instid0(VALU_DEP_2) | instskip(SKIP_3) | instid1(VALU_DEP_1)
	v_cndmask_b32_e64 v26, 0, 1, s4
	s_and_b32 s2, s2, s3
	s_mov_b32 s3, exec_lo
	s_wait_alu 0xfffe
	v_cndmask_b32_e64 v26, v26, v21, s2
	s_delay_alu instid0(VALU_DEP_1) | instskip(NEXT) | instid1(VALU_DEP_1)
	v_and_b32_e32 v26, 1, v26
	v_cmpx_eq_u32_e32 1, v26
	s_cbranch_execz .LBB8_18
; %bb.17:
	ds_load_2addr_b64 v[26:29], v14 offset1:2
	s_wait_dscnt 0x0
	ds_store_2addr_b64 v14, v[28:29], v[26:27] offset1:2
	ds_store_b8 v11, v25
	ds_store_b8 v11, v23 offset:2
	ds_store_b8 v10, v24
	ds_store_b8 v10, v22 offset:2
.LBB8_18:
	s_or_b32 exec_lo, exec_lo, s3
	s_wait_loadcnt_dscnt 0x0
	s_barrier_signal -1
	s_barrier_wait -1
	global_inv scope:SCOPE_SE
	ds_load_u16 v22, v2
	ds_load_u16 v23, v3
	s_wait_dscnt 0x1
	v_bfe_i32 v24, v22, 0, 8
	v_ashrrev_i16 v25, 8, v22
	s_wait_dscnt 0x0
	v_lshrrev_b16 v22, 8, v23
	v_and_b32_e32 v26, 1, v23
	s_delay_alu instid0(VALU_DEP_3) | instskip(NEXT) | instid1(VALU_DEP_3)
	v_cmp_lt_i16_e64 s2, v24, v25
	v_cmp_ne_u16_e64 s4, v22, v19
	s_delay_alu instid0(VALU_DEP_3) | instskip(SKIP_1) | instid1(VALU_DEP_2)
	v_cmp_eq_u32_e64 s3, 1, v26
	s_wait_alu 0xf1ff
	v_cndmask_b32_e64 v19, 0, 1, s4
	s_and_b32 s2, s2, s3
	s_wait_alu 0xfffe
	s_delay_alu instid0(VALU_DEP_1) | instskip(NEXT) | instid1(VALU_DEP_1)
	v_cndmask_b32_e64 v19, v19, v21, s2
	v_and_b32_e32 v19, 1, v19
	s_delay_alu instid0(VALU_DEP_1)
	v_cmp_eq_u32_e64 s2, 1, v19
	v_lshl_add_u32 v19, v16, 3, v12
	s_and_saveexec_b32 s3, s2
	s_cbranch_execz .LBB8_20
; %bb.19:
	ds_load_b128 v[26:29], v19
	v_lshlrev_b16 v21, 8, v24
	v_and_b32_e32 v24, 0xff, v25
	v_lshlrev_b16 v30, 8, v23
	s_delay_alu instid0(VALU_DEP_1)
	v_or_b32_e32 v22, v22, v30
	s_wait_dscnt 0x0
	v_mov_b32_e32 v23, v28
	v_or_b32_e32 v21, v24, v21
	v_dual_mov_b32 v24, v29 :: v_dual_mov_b32 v25, v26
	v_mov_b32_e32 v26, v27
	ds_store_b16 v2, v21
	ds_store_b128 v19, v[23:26]
	ds_store_b16 v3, v22
.LBB8_20:
	s_wait_alu 0xfffe
	s_or_b32 exec_lo, exec_lo, s3
	v_and_b32_e32 v21, 7, v6
	s_wait_loadcnt_dscnt 0x0
	s_barrier_signal -1
	s_barrier_wait -1
	global_inv scope:SCOPE_SE
	v_sub_nc_u32_e32 v23, v16, v21
	v_bfe_u32 v29, v6, 3, 1
	s_delay_alu instid0(VALU_DEP_2)
	v_add_nc_u32_e32 v21, v15, v23
	v_add_nc_u32_e32 v22, v13, v23
	v_lshl_add_u32 v23, v23, 3, v12
	ds_load_u8 v25, v21
	ds_load_i8 v26, v22
	ds_load_i8 v28, v22 offset:8
	ds_load_u8 v27, v21 offset:8
	s_wait_dscnt 0x3
	v_and_b32_e32 v24, 1, v25
	s_wait_dscnt 0x1
	v_cmp_lt_i16_e64 s2, v26, v28
	s_wait_dscnt 0x0
	v_cmp_ne_u16_e64 s4, v27, v29
	v_cmp_eq_u32_e64 s3, 1, v24
	s_wait_alu 0xf1ff
	s_delay_alu instid0(VALU_DEP_2) | instskip(SKIP_3) | instid1(VALU_DEP_1)
	v_cndmask_b32_e64 v24, 0, 1, s4
	s_mov_b32 s4, exec_lo
	s_and_b32 s2, s2, s3
	s_wait_alu 0xfffe
	v_cndmask_b32_e64 v29, v24, v29, s2
	v_and_b32_e32 v24, 8, v6
	s_delay_alu instid0(VALU_DEP_2) | instskip(NEXT) | instid1(VALU_DEP_2)
	v_and_b32_e32 v29, 1, v29
	v_cmp_ne_u32_e64 s2, 0, v24
	s_delay_alu instid0(VALU_DEP_2)
	v_cmpx_eq_u32_e32 1, v29
	s_cbranch_execz .LBB8_22
; %bb.21:
	ds_load_2addr_b64 v[29:32], v23 offset1:8
	s_wait_dscnt 0x0
	ds_store_2addr_b64 v23, v[31:32], v[29:30] offset1:8
	ds_store_b8 v22, v28
	ds_store_b8 v22, v26 offset:8
	ds_store_b8 v21, v27
	ds_store_b8 v21, v25 offset:8
.LBB8_22:
	s_or_b32 exec_lo, exec_lo, s4
	s_wait_loadcnt_dscnt 0x0
	s_barrier_signal -1
	s_barrier_wait -1
	global_inv scope:SCOPE_SE
	ds_load_u8 v26, v17
	ds_load_i8 v27, v18
	ds_load_i8 v29, v18 offset:4
	ds_load_u8 v28, v17 offset:4
	v_lshrrev_b32_e32 v24, 3, v24
	v_cndmask_b32_e64 v25, 0, 1, s2
	s_wait_dscnt 0x3
	v_and_b32_e32 v30, 1, v26
	s_wait_dscnt 0x1
	v_cmp_lt_i16_e64 s2, v27, v29
	s_wait_dscnt 0x0
	v_cmp_ne_u16_e64 s4, v28, v24
	v_cmp_eq_u32_e64 s3, 1, v30
	s_wait_alu 0xf1ff
	s_delay_alu instid0(VALU_DEP_2) | instskip(SKIP_3) | instid1(VALU_DEP_1)
	v_cndmask_b32_e64 v30, 0, 1, s4
	s_and_b32 s2, s2, s3
	s_mov_b32 s3, exec_lo
	s_wait_alu 0xfffe
	v_cndmask_b32_e64 v30, v30, v25, s2
	s_delay_alu instid0(VALU_DEP_1) | instskip(NEXT) | instid1(VALU_DEP_1)
	v_and_b32_e32 v30, 1, v30
	v_cmpx_eq_u32_e32 1, v30
	s_cbranch_execz .LBB8_24
; %bb.23:
	ds_load_2addr_b64 v[30:33], v20 offset1:4
	s_wait_dscnt 0x0
	ds_store_2addr_b64 v20, v[32:33], v[30:31] offset1:4
	ds_store_b8 v18, v29
	ds_store_b8 v18, v27 offset:4
	ds_store_b8 v17, v28
	ds_store_b8 v17, v26 offset:4
.LBB8_24:
	s_or_b32 exec_lo, exec_lo, s3
	s_wait_loadcnt_dscnt 0x0
	s_barrier_signal -1
	s_barrier_wait -1
	global_inv scope:SCOPE_SE
	ds_load_u8 v26, v10
	ds_load_i8 v27, v11
	ds_load_i8 v29, v11 offset:2
	ds_load_u8 v28, v10 offset:2
	s_wait_dscnt 0x3
	v_and_b32_e32 v30, 1, v26
	s_wait_dscnt 0x1
	v_cmp_lt_i16_e64 s2, v27, v29
	s_wait_dscnt 0x0
	v_cmp_ne_u16_e64 s4, v28, v24
	v_cmp_eq_u32_e64 s3, 1, v30
	s_wait_alu 0xf1ff
	s_delay_alu instid0(VALU_DEP_2) | instskip(SKIP_3) | instid1(VALU_DEP_1)
	v_cndmask_b32_e64 v30, 0, 1, s4
	s_and_b32 s2, s2, s3
	s_mov_b32 s3, exec_lo
	s_wait_alu 0xfffe
	v_cndmask_b32_e64 v30, v30, v25, s2
	s_delay_alu instid0(VALU_DEP_1) | instskip(NEXT) | instid1(VALU_DEP_1)
	v_and_b32_e32 v30, 1, v30
	v_cmpx_eq_u32_e32 1, v30
	s_cbranch_execz .LBB8_26
; %bb.25:
	ds_load_2addr_b64 v[30:33], v14 offset1:2
	s_wait_dscnt 0x0
	ds_store_2addr_b64 v14, v[32:33], v[30:31] offset1:2
	ds_store_b8 v11, v29
	ds_store_b8 v11, v27 offset:2
	ds_store_b8 v10, v28
	ds_store_b8 v10, v26 offset:2
.LBB8_26:
	s_or_b32 exec_lo, exec_lo, s3
	s_wait_loadcnt_dscnt 0x0
	s_barrier_signal -1
	s_barrier_wait -1
	global_inv scope:SCOPE_SE
	ds_load_u16 v26, v2
	ds_load_u16 v27, v3
	s_wait_dscnt 0x1
	v_bfe_i32 v28, v26, 0, 8
	v_ashrrev_i16 v29, 8, v26
	s_wait_dscnt 0x0
	v_lshrrev_b16 v26, 8, v27
	v_and_b32_e32 v30, 1, v27
	s_delay_alu instid0(VALU_DEP_3) | instskip(NEXT) | instid1(VALU_DEP_3)
	v_cmp_lt_i16_e64 s2, v28, v29
	v_cmp_ne_u16_e64 s4, v26, v24
	s_delay_alu instid0(VALU_DEP_3) | instskip(SKIP_1) | instid1(VALU_DEP_2)
	v_cmp_eq_u32_e64 s3, 1, v30
	s_wait_alu 0xf1ff
	v_cndmask_b32_e64 v24, 0, 1, s4
	s_and_b32 s2, s2, s3
	s_mov_b32 s3, exec_lo
	s_wait_alu 0xfffe
	s_delay_alu instid0(VALU_DEP_1) | instskip(NEXT) | instid1(VALU_DEP_1)
	v_cndmask_b32_e64 v24, v24, v25, s2
	v_and_b32_e32 v24, 1, v24
	s_delay_alu instid0(VALU_DEP_1)
	v_cmpx_eq_u32_e32 1, v24
	s_cbranch_execz .LBB8_28
; %bb.27:
	ds_load_b128 v[30:33], v19
	v_lshlrev_b16 v24, 8, v28
	v_and_b32_e32 v25, 0xff, v29
	v_lshlrev_b16 v34, 8, v27
	s_wait_dscnt 0x0
	v_mov_b32_e32 v28, v33
	s_delay_alu instid0(VALU_DEP_3)
	v_or_b32_e32 v24, v25, v24
	v_mov_b32_e32 v27, v32
	v_dual_mov_b32 v29, v30 :: v_dual_mov_b32 v30, v31
	v_or_b32_e32 v25, v26, v34
	ds_store_b16 v2, v24
	ds_store_b128 v19, v[27:30]
	ds_store_b16 v3, v25
.LBB8_28:
	s_or_b32 exec_lo, exec_lo, s3
	v_and_b32_e32 v24, 15, v6
	s_wait_loadcnt_dscnt 0x0
	s_barrier_signal -1
	s_barrier_wait -1
	global_inv scope:SCOPE_SE
	v_sub_nc_u32_e32 v16, v16, v24
	s_delay_alu instid0(VALU_DEP_1)
	v_add_nc_u32_e32 v15, v15, v16
	v_add_nc_u32_e32 v13, v13, v16
	ds_load_u8 v24, v15
	ds_load_u8 v27, v15 offset:16
	ds_load_i8 v25, v13
	ds_load_i8 v26, v13 offset:16
	s_wait_dscnt 0x2
	v_and_b32_e32 v27, 0xff, v27
	v_and_b32_e32 v28, 1, v24
	s_wait_dscnt 0x0
	v_cmp_ge_i16_e64 s3, v25, v26
	s_delay_alu instid0(VALU_DEP_3) | instskip(NEXT) | instid1(VALU_DEP_3)
	v_cmp_ne_u16_e64 s4, 0, v27
	v_cmp_eq_u32_e64 s2, 1, v28
	s_xor_b32 s2, s2, -1
	s_wait_alu 0xfffe
	s_or_b32 s2, s3, s2
	s_wait_alu 0xfffe
	s_and_b32 s3, s2, s4
	s_wait_alu 0xfffe
	s_and_saveexec_b32 s2, s3
	s_cbranch_execz .LBB8_30
; %bb.29:
	v_lshl_add_u32 v12, v16, 3, v12
	v_mov_b32_e32 v16, 1
	ds_load_2addr_b64 v[27:30], v12 offset1:16
	s_wait_dscnt 0x0
	ds_store_2addr_b64 v12, v[29:30], v[27:28] offset1:16
	ds_store_b8 v13, v26
	ds_store_b8 v13, v25 offset:16
	ds_store_b8 v15, v16
	ds_store_b8 v15, v24 offset:16
.LBB8_30:
	s_wait_alu 0xfffe
	s_or_b32 exec_lo, exec_lo, s2
	s_wait_loadcnt_dscnt 0x0
	s_barrier_signal -1
	s_barrier_wait -1
	global_inv scope:SCOPE_SE
	ds_load_u8 v12, v21
	ds_load_u8 v16, v21 offset:8
	ds_load_i8 v13, v22
	ds_load_i8 v15, v22 offset:8
	s_wait_dscnt 0x3
	v_and_b32_e32 v24, 1, v12
	s_wait_dscnt 0x2
	v_and_b32_e32 v16, 0xff, v16
	s_wait_dscnt 0x0
	v_cmp_ge_i16_e64 s3, v13, v15
	v_cmp_eq_u32_e64 s2, 1, v24
	s_delay_alu instid0(VALU_DEP_3)
	v_cmp_ne_u16_e64 s4, 0, v16
	s_xor_b32 s2, s2, -1
	s_wait_alu 0xfffe
	s_or_b32 s2, s3, s2
	s_wait_alu 0xfffe
	s_and_b32 s3, s2, s4
	s_wait_alu 0xfffe
	s_and_saveexec_b32 s2, s3
	s_cbranch_execz .LBB8_32
; %bb.31:
	ds_load_2addr_b64 v[24:27], v23 offset1:8
	v_mov_b32_e32 v16, 1
	s_wait_dscnt 0x0
	ds_store_2addr_b64 v23, v[26:27], v[24:25] offset1:8
	ds_store_b8 v22, v15
	ds_store_b8 v22, v13 offset:8
	ds_store_b8 v21, v16
	ds_store_b8 v21, v12 offset:8
.LBB8_32:
	s_wait_alu 0xfffe
	s_or_b32 exec_lo, exec_lo, s2
	s_wait_loadcnt_dscnt 0x0
	s_barrier_signal -1
	s_barrier_wait -1
	global_inv scope:SCOPE_SE
	ds_load_u8 v12, v17
	ds_load_u8 v16, v17 offset:4
	ds_load_i8 v13, v18
	ds_load_i8 v15, v18 offset:4
	s_wait_dscnt 0x3
	v_and_b32_e32 v21, 1, v12
	s_wait_dscnt 0x2
	v_and_b32_e32 v16, 0xff, v16
	s_wait_dscnt 0x0
	v_cmp_ge_i16_e64 s3, v13, v15
	v_cmp_eq_u32_e64 s2, 1, v21
	s_delay_alu instid0(VALU_DEP_3)
	v_cmp_ne_u16_e64 s4, 0, v16
	s_xor_b32 s2, s2, -1
	s_wait_alu 0xfffe
	s_or_b32 s2, s3, s2
	s_wait_alu 0xfffe
	s_and_b32 s3, s2, s4
	s_wait_alu 0xfffe
	s_and_saveexec_b32 s2, s3
	s_cbranch_execz .LBB8_34
; %bb.33:
	ds_load_2addr_b64 v[21:24], v20 offset1:4
	v_mov_b32_e32 v16, 1
	s_wait_dscnt 0x0
	ds_store_2addr_b64 v20, v[23:24], v[21:22] offset1:4
	ds_store_b8 v18, v15
	ds_store_b8 v18, v13 offset:4
	ds_store_b8 v17, v16
	ds_store_b8 v17, v12 offset:4
.LBB8_34:
	;; [unrolled: 37-line block ×3, first 2 shown]
	s_wait_alu 0xfffe
	s_or_b32 exec_lo, exec_lo, s2
	s_wait_loadcnt_dscnt 0x0
	s_barrier_signal -1
	s_barrier_wait -1
	global_inv scope:SCOPE_SE
	ds_load_u16 v10, v3
	ds_load_u16 v12, v2
	s_wait_dscnt 0x1
	v_and_b32_e32 v13, 1, v10
	s_wait_dscnt 0x0
	v_bfe_i32 v11, v12, 0, 8
	v_ashrrev_i16 v12, 8, v12
	v_lshrrev_b16 v14, 8, v10
	v_cmp_eq_u32_e64 s2, 1, v13
	s_delay_alu instid0(VALU_DEP_3) | instskip(NEXT) | instid1(VALU_DEP_3)
	v_cmp_ge_i16_e64 s3, v11, v12
	v_cmp_ne_u16_e64 s4, 0, v14
	s_xor_b32 s2, s2, -1
	s_wait_alu 0xfffe
	s_or_b32 s2, s3, s2
	s_wait_alu 0xfffe
	s_and_b32 s3, s2, s4
	s_wait_alu 0xfffe
	s_and_saveexec_b32 s2, s3
	s_cbranch_execz .LBB8_38
; %bb.37:
	ds_load_b128 v[13:16], v19
	v_lshlrev_b16 v11, 8, v11
	v_and_b32_e32 v12, 0xff, v12
	v_lshlrev_b16 v17, 8, v10
	s_delay_alu instid0(VALU_DEP_2)
	v_or_b32_e32 v18, v12, v11
	s_wait_dscnt 0x0
	v_dual_mov_b32 v10, v15 :: v_dual_mov_b32 v11, v16
	v_dual_mov_b32 v12, v13 :: v_dual_mov_b32 v13, v14
	v_or_b32_e32 v14, 1, v17
	ds_store_b16 v2, v18
	ds_store_b128 v19, v[10:13]
	ds_store_b16 v3, v14
.LBB8_38:
	s_wait_alu 0xfffe
	s_or_b32 exec_lo, exec_lo, s2
	s_wait_loadcnt_dscnt 0x0
	s_barrier_signal -1
	s_barrier_wait -1
	global_inv scope:SCOPE_SE
	s_and_saveexec_b32 s2, s0
	s_cbranch_execz .LBB8_43
; %bb.39:
	s_and_saveexec_b32 s0, vcc_lo
	s_cbranch_execz .LBB8_41
; %bb.40:
	v_mad_co_u64_u32 v[2:3], null, v6, s7, v[1:2]
	ds_load_u8 v12, v9
	ds_load_b64 v[8:9], v8
	v_mov_b32_e32 v3, 0
	v_mad_co_u64_u32 v[10:11], null, v6, s6, v[0:1]
	s_delay_alu instid0(VALU_DEP_2) | instskip(NEXT) | instid1(VALU_DEP_1)
	v_lshlrev_b64_e32 v[2:3], 3, v[2:3]
	v_add_co_u32 v2, vcc_lo, s10, v2
	s_wait_alu 0xfffd
	s_delay_alu instid0(VALU_DEP_2)
	v_add_co_ci_u32_e64 v3, null, s11, v3, vcc_lo
	s_wait_dscnt 0x1
	global_store_b8 v10, v12, s[8:9]
	s_wait_dscnt 0x0
	global_store_b64 v[2:3], v[8:9], off
.LBB8_41:
	s_wait_alu 0xfffe
	s_or_b32 exec_lo, exec_lo, s0
	s_delay_alu instid0(SALU_CYCLE_1)
	s_and_b32 exec_lo, exec_lo, s1
	s_cbranch_execz .LBB8_43
; %bb.42:
	v_mad_co_u64_u32 v[1:2], null, v7, s7, v[1:2]
	ds_load_u8 v8, v4
	ds_load_b64 v[3:4], v5
	v_mov_b32_e32 v2, 0
	s_delay_alu instid0(VALU_DEP_1) | instskip(NEXT) | instid1(VALU_DEP_1)
	v_lshlrev_b64_e32 v[1:2], 3, v[1:2]
	v_mad_co_u64_u32 v[5:6], null, v7, s6, v[0:1]
	v_add_co_u32 v0, vcc_lo, s10, v1
	s_wait_alu 0xfffd
	s_delay_alu instid0(VALU_DEP_3)
	v_add_co_ci_u32_e64 v1, null, s11, v2, vcc_lo
	s_wait_dscnt 0x1
	global_store_b8 v5, v8, s[8:9]
	s_wait_dscnt 0x0
	global_store_b64 v[0:1], v[3:4], off
.LBB8_43:
	s_endpgm
	.section	.rodata,"a",@progbits
	.p2align	6, 0x0
	.amdhsa_kernel _ZN2at6native20bitonicSortKVInPlaceILin2ELin1ELi16ELi16EalNS0_4LTOpIaLb1EEEjEEvNS_4cuda6detail10TensorInfoIT3_T6_EES8_S8_S8_NS6_IT4_S8_EES8_T5_
		.amdhsa_group_segment_fixed_size 5120
		.amdhsa_private_segment_fixed_size 0
		.amdhsa_kernarg_size 712
		.amdhsa_user_sgpr_count 2
		.amdhsa_user_sgpr_dispatch_ptr 0
		.amdhsa_user_sgpr_queue_ptr 0
		.amdhsa_user_sgpr_kernarg_segment_ptr 1
		.amdhsa_user_sgpr_dispatch_id 0
		.amdhsa_user_sgpr_private_segment_size 0
		.amdhsa_wavefront_size32 1
		.amdhsa_uses_dynamic_stack 0
		.amdhsa_enable_private_segment 0
		.amdhsa_system_sgpr_workgroup_id_x 1
		.amdhsa_system_sgpr_workgroup_id_y 1
		.amdhsa_system_sgpr_workgroup_id_z 1
		.amdhsa_system_sgpr_workgroup_info 0
		.amdhsa_system_vgpr_workitem_id 1
		.amdhsa_next_free_vgpr 35
		.amdhsa_next_free_sgpr 16
		.amdhsa_reserve_vcc 1
		.amdhsa_float_round_mode_32 0
		.amdhsa_float_round_mode_16_64 0
		.amdhsa_float_denorm_mode_32 3
		.amdhsa_float_denorm_mode_16_64 3
		.amdhsa_fp16_overflow 0
		.amdhsa_workgroup_processor_mode 1
		.amdhsa_memory_ordered 1
		.amdhsa_forward_progress 1
		.amdhsa_inst_pref_size 37
		.amdhsa_round_robin_scheduling 0
		.amdhsa_exception_fp_ieee_invalid_op 0
		.amdhsa_exception_fp_denorm_src 0
		.amdhsa_exception_fp_ieee_div_zero 0
		.amdhsa_exception_fp_ieee_overflow 0
		.amdhsa_exception_fp_ieee_underflow 0
		.amdhsa_exception_fp_ieee_inexact 0
		.amdhsa_exception_int_div_zero 0
	.end_amdhsa_kernel
	.section	.text._ZN2at6native20bitonicSortKVInPlaceILin2ELin1ELi16ELi16EalNS0_4LTOpIaLb1EEEjEEvNS_4cuda6detail10TensorInfoIT3_T6_EES8_S8_S8_NS6_IT4_S8_EES8_T5_,"axG",@progbits,_ZN2at6native20bitonicSortKVInPlaceILin2ELin1ELi16ELi16EalNS0_4LTOpIaLb1EEEjEEvNS_4cuda6detail10TensorInfoIT3_T6_EES8_S8_S8_NS6_IT4_S8_EES8_T5_,comdat
.Lfunc_end8:
	.size	_ZN2at6native20bitonicSortKVInPlaceILin2ELin1ELi16ELi16EalNS0_4LTOpIaLb1EEEjEEvNS_4cuda6detail10TensorInfoIT3_T6_EES8_S8_S8_NS6_IT4_S8_EES8_T5_, .Lfunc_end8-_ZN2at6native20bitonicSortKVInPlaceILin2ELin1ELi16ELi16EalNS0_4LTOpIaLb1EEEjEEvNS_4cuda6detail10TensorInfoIT3_T6_EES8_S8_S8_NS6_IT4_S8_EES8_T5_
                                        ; -- End function
	.set _ZN2at6native20bitonicSortKVInPlaceILin2ELin1ELi16ELi16EalNS0_4LTOpIaLb1EEEjEEvNS_4cuda6detail10TensorInfoIT3_T6_EES8_S8_S8_NS6_IT4_S8_EES8_T5_.num_vgpr, 35
	.set _ZN2at6native20bitonicSortKVInPlaceILin2ELin1ELi16ELi16EalNS0_4LTOpIaLb1EEEjEEvNS_4cuda6detail10TensorInfoIT3_T6_EES8_S8_S8_NS6_IT4_S8_EES8_T5_.num_agpr, 0
	.set _ZN2at6native20bitonicSortKVInPlaceILin2ELin1ELi16ELi16EalNS0_4LTOpIaLb1EEEjEEvNS_4cuda6detail10TensorInfoIT3_T6_EES8_S8_S8_NS6_IT4_S8_EES8_T5_.numbered_sgpr, 16
	.set _ZN2at6native20bitonicSortKVInPlaceILin2ELin1ELi16ELi16EalNS0_4LTOpIaLb1EEEjEEvNS_4cuda6detail10TensorInfoIT3_T6_EES8_S8_S8_NS6_IT4_S8_EES8_T5_.num_named_barrier, 0
	.set _ZN2at6native20bitonicSortKVInPlaceILin2ELin1ELi16ELi16EalNS0_4LTOpIaLb1EEEjEEvNS_4cuda6detail10TensorInfoIT3_T6_EES8_S8_S8_NS6_IT4_S8_EES8_T5_.private_seg_size, 0
	.set _ZN2at6native20bitonicSortKVInPlaceILin2ELin1ELi16ELi16EalNS0_4LTOpIaLb1EEEjEEvNS_4cuda6detail10TensorInfoIT3_T6_EES8_S8_S8_NS6_IT4_S8_EES8_T5_.uses_vcc, 1
	.set _ZN2at6native20bitonicSortKVInPlaceILin2ELin1ELi16ELi16EalNS0_4LTOpIaLb1EEEjEEvNS_4cuda6detail10TensorInfoIT3_T6_EES8_S8_S8_NS6_IT4_S8_EES8_T5_.uses_flat_scratch, 0
	.set _ZN2at6native20bitonicSortKVInPlaceILin2ELin1ELi16ELi16EalNS0_4LTOpIaLb1EEEjEEvNS_4cuda6detail10TensorInfoIT3_T6_EES8_S8_S8_NS6_IT4_S8_EES8_T5_.has_dyn_sized_stack, 0
	.set _ZN2at6native20bitonicSortKVInPlaceILin2ELin1ELi16ELi16EalNS0_4LTOpIaLb1EEEjEEvNS_4cuda6detail10TensorInfoIT3_T6_EES8_S8_S8_NS6_IT4_S8_EES8_T5_.has_recursion, 0
	.set _ZN2at6native20bitonicSortKVInPlaceILin2ELin1ELi16ELi16EalNS0_4LTOpIaLb1EEEjEEvNS_4cuda6detail10TensorInfoIT3_T6_EES8_S8_S8_NS6_IT4_S8_EES8_T5_.has_indirect_call, 0
	.section	.AMDGPU.csdata,"",@progbits
; Kernel info:
; codeLenInByte = 4696
; TotalNumSgprs: 18
; NumVgprs: 35
; ScratchSize: 0
; MemoryBound: 0
; FloatMode: 240
; IeeeMode: 1
; LDSByteSize: 5120 bytes/workgroup (compile time only)
; SGPRBlocks: 0
; VGPRBlocks: 4
; NumSGPRsForWavesPerEU: 18
; NumVGPRsForWavesPerEU: 35
; Occupancy: 16
; WaveLimiterHint : 1
; COMPUTE_PGM_RSRC2:SCRATCH_EN: 0
; COMPUTE_PGM_RSRC2:USER_SGPR: 2
; COMPUTE_PGM_RSRC2:TRAP_HANDLER: 0
; COMPUTE_PGM_RSRC2:TGID_X_EN: 1
; COMPUTE_PGM_RSRC2:TGID_Y_EN: 1
; COMPUTE_PGM_RSRC2:TGID_Z_EN: 1
; COMPUTE_PGM_RSRC2:TIDIG_COMP_CNT: 1
	.section	.text._ZN2at6native20bitonicSortKVInPlaceILin2ELin1ELi16ELi16EalNS0_4GTOpIaLb1EEEjEEvNS_4cuda6detail10TensorInfoIT3_T6_EES8_S8_S8_NS6_IT4_S8_EES8_T5_,"axG",@progbits,_ZN2at6native20bitonicSortKVInPlaceILin2ELin1ELi16ELi16EalNS0_4GTOpIaLb1EEEjEEvNS_4cuda6detail10TensorInfoIT3_T6_EES8_S8_S8_NS6_IT4_S8_EES8_T5_,comdat
	.protected	_ZN2at6native20bitonicSortKVInPlaceILin2ELin1ELi16ELi16EalNS0_4GTOpIaLb1EEEjEEvNS_4cuda6detail10TensorInfoIT3_T6_EES8_S8_S8_NS6_IT4_S8_EES8_T5_ ; -- Begin function _ZN2at6native20bitonicSortKVInPlaceILin2ELin1ELi16ELi16EalNS0_4GTOpIaLb1EEEjEEvNS_4cuda6detail10TensorInfoIT3_T6_EES8_S8_S8_NS6_IT4_S8_EES8_T5_
	.globl	_ZN2at6native20bitonicSortKVInPlaceILin2ELin1ELi16ELi16EalNS0_4GTOpIaLb1EEEjEEvNS_4cuda6detail10TensorInfoIT3_T6_EES8_S8_S8_NS6_IT4_S8_EES8_T5_
	.p2align	8
	.type	_ZN2at6native20bitonicSortKVInPlaceILin2ELin1ELi16ELi16EalNS0_4GTOpIaLb1EEEjEEvNS_4cuda6detail10TensorInfoIT3_T6_EES8_S8_S8_NS6_IT4_S8_EES8_T5_,@function
_ZN2at6native20bitonicSortKVInPlaceILin2ELin1ELi16ELi16EalNS0_4GTOpIaLb1EEEjEEvNS_4cuda6detail10TensorInfoIT3_T6_EES8_S8_S8_NS6_IT4_S8_EES8_T5_: ; @_ZN2at6native20bitonicSortKVInPlaceILin2ELin1ELi16ELi16EalNS0_4GTOpIaLb1EEEjEEvNS_4cuda6detail10TensorInfoIT3_T6_EES8_S8_S8_NS6_IT4_S8_EES8_T5_
; %bb.0:
	s_clause 0x2
	s_load_b64 s[2:3], s[0:1], 0x1c8
	s_load_u16 s7, s[0:1], 0x1d6
	s_load_b96 s[4:6], s[0:1], 0xd8
	s_lshr_b32 s8, ttmp7, 16
	s_wait_kmcnt 0x0
	s_mul_i32 s3, s3, s8
	s_and_b32 s8, ttmp7, 0xffff
	s_delay_alu instid0(SALU_CYCLE_1) | instskip(NEXT) | instid1(SALU_CYCLE_1)
	s_add_co_i32 s3, s3, s8
	s_mul_i32 s2, s3, s2
	s_delay_alu instid0(SALU_CYCLE_1) | instskip(NEXT) | instid1(SALU_CYCLE_1)
	s_add_co_i32 s2, s2, ttmp9
	s_mul_i32 s2, s2, s7
	s_delay_alu instid0(SALU_CYCLE_1)
	s_cmp_ge_u32 s2, s4
	s_cbranch_scc1 .LBB9_43
; %bb.1:
	s_clause 0x1
	s_load_b32 s7, s[0:1], 0x1b8
	s_load_b64 s[8:9], s[0:1], 0x0
	v_bfe_u32 v8, v0, 10, 10
	s_delay_alu instid0(VALU_DEP_1) | instskip(SKIP_2) | instid1(VALU_DEP_2)
	v_add_nc_u32_e32 v3, s2, v8
	v_mov_b32_e32 v1, 0
	s_add_nc_u64 s[2:3], s[0:1], 0xe8
	v_mov_b32_e32 v4, v3
	s_wait_kmcnt 0x0
	s_cmp_lt_i32 s7, 2
	s_cbranch_scc1 .LBB9_4
; %bb.2:
	s_add_co_i32 s10, s7, -1
	s_mov_b32 s11, 0
	v_dual_mov_b32 v1, 0 :: v_dual_mov_b32 v4, v3
	s_lshl_b64 s[10:11], s[10:11], 2
	s_add_co_i32 s7, s7, 1
	s_wait_alu 0xfffe
	s_add_nc_u64 s[10:11], s[2:3], s[10:11]
	s_delay_alu instid0(SALU_CYCLE_1)
	s_add_nc_u64 s[10:11], s[10:11], 8
.LBB9_3:                                ; =>This Inner Loop Header: Depth=1
	s_clause 0x1
	s_load_b32 s12, s[10:11], 0x0
	s_load_b32 s13, s[10:11], 0x64
	s_add_co_i32 s7, s7, -1
	s_add_nc_u64 s[10:11], s[10:11], -4
	s_wait_kmcnt 0x0
	s_cvt_f32_u32 s14, s12
	s_sub_co_i32 s15, 0, s12
	s_wait_alu 0xfffe
	s_delay_alu instid0(SALU_CYCLE_1) | instskip(NEXT) | instid1(TRANS32_DEP_1)
	v_rcp_iflag_f32_e32 v2, s14
	v_readfirstlane_b32 s14, v2
	v_mov_b32_e32 v2, v4
	s_mul_f32 s14, s14, 0x4f7ffffe
	s_wait_alu 0xfffe
	s_delay_alu instid0(SALU_CYCLE_2) | instskip(SKIP_1) | instid1(SALU_CYCLE_2)
	s_cvt_u32_f32 s14, s14
	s_wait_alu 0xfffe
	s_mul_i32 s15, s15, s14
	s_wait_alu 0xfffe
	s_mul_hi_u32 s15, s14, s15
	s_wait_alu 0xfffe
	s_add_co_i32 s14, s14, s15
	s_cmp_gt_u32 s7, 2
	s_wait_alu 0xfffe
	v_mul_hi_u32 v4, v2, s14
	s_delay_alu instid0(VALU_DEP_1) | instskip(SKIP_1) | instid1(VALU_DEP_2)
	v_mul_lo_u32 v5, v4, s12
	v_add_nc_u32_e32 v6, 1, v4
	v_sub_nc_u32_e32 v5, v2, v5
	s_delay_alu instid0(VALU_DEP_1) | instskip(SKIP_2) | instid1(VALU_DEP_2)
	v_subrev_nc_u32_e32 v7, s12, v5
	v_cmp_le_u32_e32 vcc_lo, s12, v5
	s_wait_alu 0xfffd
	v_dual_cndmask_b32 v4, v4, v6 :: v_dual_cndmask_b32 v5, v5, v7
	s_delay_alu instid0(VALU_DEP_1) | instskip(NEXT) | instid1(VALU_DEP_2)
	v_add_nc_u32_e32 v6, 1, v4
	v_cmp_le_u32_e32 vcc_lo, s12, v5
	s_wait_alu 0xfffd
	s_delay_alu instid0(VALU_DEP_2) | instskip(NEXT) | instid1(VALU_DEP_1)
	v_cndmask_b32_e32 v4, v4, v6, vcc_lo
	v_mul_lo_u32 v5, v4, s12
	s_delay_alu instid0(VALU_DEP_1) | instskip(NEXT) | instid1(VALU_DEP_1)
	v_sub_nc_u32_e32 v2, v2, v5
	v_mad_co_u64_u32 v[1:2], null, s13, v2, v[1:2]
	s_cbranch_scc1 .LBB9_3
.LBB9_4:
	s_load_b32 s13, s[0:1], 0x6c
	s_add_nc_u64 s[10:11], s[0:1], 0x1c8
	s_load_b32 s14, s[2:3], 0x6c
	s_load_b32 s12, s[10:11], 0xc
	s_clause 0x1
	s_load_b32 s7, s[0:1], 0x1c0
	s_load_b64 s[10:11], s[2:3], 0x0
	v_and_b32_e32 v6, 0x3ff, v0
	v_cmp_gt_u32_e64 s0, s4, v3
	v_dual_mov_b32 v10, 0 :: v_dual_mov_b32 v11, 0
	s_wait_kmcnt 0x0
	v_mad_co_u64_u32 v[1:2], null, s14, v4, v[1:2]
	v_mul_lo_u32 v0, s13, v3
	v_mov_b32_e32 v2, 0
	v_mov_b32_e32 v3, 0
	v_cmp_gt_u32_e32 vcc_lo, s5, v6
	v_mov_b32_e32 v4, 0
	v_mov_b32_e32 v5, 0
	s_and_b32 s2, s0, vcc_lo
	s_wait_alu 0xfffe
	s_and_saveexec_b32 s3, s2
	s_cbranch_execz .LBB9_6
; %bb.5:
	v_mad_co_u64_u32 v[4:5], null, v6, s7, v[1:2]
	v_mov_b32_e32 v5, 0
	v_mad_co_u64_u32 v[11:12], null, v6, s6, v[0:1]
	s_delay_alu instid0(VALU_DEP_2) | instskip(NEXT) | instid1(VALU_DEP_1)
	v_lshlrev_b64_e32 v[4:5], 3, v[4:5]
	v_add_co_u32 v4, s1, s10, v4
	s_delay_alu instid0(VALU_DEP_1)
	v_add_co_ci_u32_e64 v5, null, s11, v5, s1
	global_load_u8 v11, v11, s[8:9]
	global_load_b64 v[4:5], v[4:5], off
.LBB9_6:
	s_wait_alu 0xfffe
	s_or_b32 exec_lo, exec_lo, s3
	v_lshlrev_b32_e32 v9, 5, v8
	s_and_b32 s3, 0xffff, s12
	v_lshlrev_b32_e32 v12, 8, v8
	s_wait_alu 0xfffe
	v_add_nc_u32_e32 v7, s3, v6
	v_cndmask_b32_e64 v14, 0, 1, s2
	v_add_nc_u32_e32 v13, 0x1000, v9
	v_add_nc_u32_e32 v15, 0x1200, v9
	v_lshl_add_u32 v8, v6, 3, v12
	v_cmp_gt_u32_e64 s1, s5, v7
	s_delay_alu instid0(VALU_DEP_4) | instskip(NEXT) | instid1(VALU_DEP_4)
	v_add_nc_u32_e32 v9, v13, v6
	v_add_nc_u32_e32 v16, v15, v6
	s_wait_loadcnt 0x1
	ds_store_b8 v9, v11
	s_wait_loadcnt 0x0
	ds_store_b64 v8, v[4:5]
	ds_store_b8 v16, v14
	s_and_b32 s4, s0, s1
	s_wait_alu 0xfffe
	s_and_saveexec_b32 s5, s4
	s_cbranch_execz .LBB9_8
; %bb.7:
	v_mad_co_u64_u32 v[2:3], null, v7, s7, v[1:2]
	v_mov_b32_e32 v3, 0
	v_mad_co_u64_u32 v[4:5], null, v7, s6, v[0:1]
	s_delay_alu instid0(VALU_DEP_2) | instskip(NEXT) | instid1(VALU_DEP_1)
	v_lshlrev_b64_e32 v[2:3], 3, v[2:3]
	v_add_co_u32 v2, s2, s10, v2
	s_wait_alu 0xf1ff
	s_delay_alu instid0(VALU_DEP_2)
	v_add_co_ci_u32_e64 v3, null, s11, v3, s2
	global_load_u8 v10, v4, s[8:9]
	global_load_b64 v[2:3], v[2:3], off
.LBB9_8:
	s_wait_alu 0xfffe
	s_or_b32 exec_lo, exec_lo, s5
	v_add_nc_u32_e32 v4, v13, v7
	v_lshlrev_b32_e32 v16, 1, v6
	v_lshl_add_u32 v5, s3, 3, v8
	v_cndmask_b32_e64 v11, 0, 1, s4
	v_add_nc_u32_e32 v14, v15, v7
	s_wait_loadcnt 0x1
	ds_store_b8 v4, v10
	s_wait_loadcnt 0x0
	ds_store_b64 v5, v[2:3]
	ds_store_b8 v14, v11
	v_add_nc_u32_e32 v2, v13, v16
	v_add_nc_u32_e32 v3, v15, v16
	s_wait_dscnt 0x0
	s_barrier_signal -1
	s_barrier_wait -1
	global_inv scope:SCOPE_SE
	ds_load_u16 v11, v2
	ds_load_u16 v14, v3
	v_and_b32_e32 v10, 1, v6
	s_wait_dscnt 0x1
	v_bfe_i32 v18, v11, 0, 8
	v_ashrrev_i16 v19, 8, v11
	s_wait_dscnt 0x0
	v_lshrrev_b16 v11, 8, v14
	v_and_b32_e32 v17, 1, v14
	s_delay_alu instid0(VALU_DEP_3) | instskip(NEXT) | instid1(VALU_DEP_3)
	v_cmp_gt_i16_e64 s2, v18, v19
	v_cmp_ne_u16_e64 s4, v11, v10
	s_delay_alu instid0(VALU_DEP_3) | instskip(SKIP_1) | instid1(VALU_DEP_2)
	v_cmp_eq_u32_e64 s3, 1, v17
	s_wait_alu 0xf1ff
	v_cndmask_b32_e64 v17, 0, 1, s4
	s_and_b32 s2, s2, s3
	s_wait_alu 0xfffe
	s_delay_alu instid0(VALU_DEP_1) | instskip(NEXT) | instid1(VALU_DEP_1)
	v_cndmask_b32_e64 v17, v17, v6, s2
	v_and_b32_e32 v17, 1, v17
	s_delay_alu instid0(VALU_DEP_1)
	v_cmp_eq_u32_e64 s2, 1, v17
	v_lshl_add_u32 v17, v6, 3, v8
	s_and_saveexec_b32 s3, s2
	s_wait_alu 0xfffe
	s_xor_b32 s2, exec_lo, s3
	s_cbranch_execz .LBB9_10
; %bb.9:
	ds_load_b128 v[20:23], v17
	v_lshlrev_b16 v18, 8, v18
	v_and_b32_e32 v19, 0xff, v19
	v_lshlrev_b16 v14, 8, v14
	s_delay_alu instid0(VALU_DEP_2) | instskip(NEXT) | instid1(VALU_DEP_2)
	v_or_b32_e32 v24, v19, v18
	v_or_b32_e32 v11, v11, v14
	s_wait_dscnt 0x0
	v_dual_mov_b32 v18, v22 :: v_dual_mov_b32 v19, v23
	ds_store_b16 v2, v24
	ds_store_b128 v17, v[18:21]
	ds_store_b16 v3, v11
.LBB9_10:
	s_wait_alu 0xfffe
	s_or_b32 exec_lo, exec_lo, s2
	v_sub_nc_u32_e32 v14, v16, v10
	s_wait_loadcnt_dscnt 0x0
	s_barrier_signal -1
	s_barrier_wait -1
	global_inv scope:SCOPE_SE
	v_add_nc_u32_e32 v10, v15, v14
	v_add_nc_u32_e32 v11, v13, v14
	v_bfe_u32 v23, v6, 1, 1
	v_lshl_add_u32 v14, v14, 3, v12
	ds_load_u8 v19, v10
	ds_load_i8 v20, v11
	ds_load_i8 v22, v11 offset:2
	ds_load_u8 v21, v10 offset:2
	s_wait_dscnt 0x3
	v_and_b32_e32 v18, 1, v19
	s_wait_dscnt 0x1
	v_cmp_gt_i16_e64 s2, v20, v22
	s_wait_dscnt 0x0
	v_cmp_ne_u16_e64 s4, v21, v23
	v_cmp_eq_u32_e64 s3, 1, v18
	s_wait_alu 0xf1ff
	s_delay_alu instid0(VALU_DEP_2) | instskip(SKIP_2) | instid1(VALU_DEP_1)
	v_cndmask_b32_e64 v18, 0, 1, s4
	s_and_b32 s2, s2, s3
	s_wait_alu 0xfffe
	v_cndmask_b32_e64 v23, v18, v23, s2
	v_and_b32_e32 v18, 2, v6
	s_delay_alu instid0(VALU_DEP_2) | instskip(NEXT) | instid1(VALU_DEP_2)
	v_and_b32_e32 v23, 1, v23
	v_cmp_ne_u32_e64 s2, 0, v18
	s_delay_alu instid0(VALU_DEP_2)
	v_cmp_eq_u32_e64 s3, 1, v23
	s_and_saveexec_b32 s4, s3
	s_wait_alu 0xfffe
	s_xor_b32 s3, exec_lo, s4
	s_cbranch_execz .LBB9_12
; %bb.11:
	ds_load_2addr_b64 v[23:26], v14 offset1:2
	s_wait_dscnt 0x0
	ds_store_2addr_b64 v14, v[25:26], v[23:24] offset1:2
	ds_store_b8 v11, v22
	ds_store_b8 v11, v20 offset:2
	ds_store_b8 v10, v21
	ds_store_b8 v10, v19 offset:2
.LBB9_12:
	s_wait_alu 0xfffe
	s_or_b32 exec_lo, exec_lo, s3
	s_wait_loadcnt_dscnt 0x0
	s_barrier_signal -1
	s_barrier_wait -1
	global_inv scope:SCOPE_SE
	ds_load_u16 v21, v2
	ds_load_u16 v19, v3
	v_lshrrev_b32_e32 v22, 1, v18
	v_cndmask_b32_e64 v24, 0, 1, s2
	s_wait_dscnt 0x1
	v_bfe_i32 v20, v21, 0, 8
	s_wait_dscnt 0x0
	v_lshrrev_b16 v18, 8, v19
	v_ashrrev_i16 v21, 8, v21
	v_and_b32_e32 v23, 1, v19
	s_delay_alu instid0(VALU_DEP_3) | instskip(NEXT) | instid1(VALU_DEP_3)
	v_cmp_ne_u16_e64 s4, v18, v22
	v_cmp_gt_i16_e64 s2, v20, v21
	s_delay_alu instid0(VALU_DEP_3) | instskip(SKIP_1) | instid1(VALU_DEP_3)
	v_cmp_eq_u32_e64 s3, 1, v23
	s_wait_alu 0xf1ff
	v_cndmask_b32_e64 v22, 0, 1, s4
	s_and_b32 s2, s2, s3
	s_mov_b32 s3, exec_lo
	s_wait_alu 0xfffe
	s_delay_alu instid0(VALU_DEP_1) | instskip(NEXT) | instid1(VALU_DEP_1)
	v_cndmask_b32_e64 v22, v22, v24, s2
	v_and_b32_e32 v22, 1, v22
	s_delay_alu instid0(VALU_DEP_1)
	v_cmpx_eq_u32_e32 1, v22
	s_cbranch_execz .LBB9_14
; %bb.13:
	ds_load_b128 v[22:25], v17
	v_lshlrev_b16 v20, 8, v20
	v_and_b32_e32 v21, 0xff, v21
	v_lshlrev_b16 v26, 8, v19
	s_delay_alu instid0(VALU_DEP_2) | instskip(NEXT) | instid1(VALU_DEP_2)
	v_or_b32_e32 v27, v21, v20
	v_or_b32_e32 v18, v18, v26
	s_wait_dscnt 0x0
	v_dual_mov_b32 v19, v24 :: v_dual_mov_b32 v20, v25
	v_dual_mov_b32 v21, v22 :: v_dual_mov_b32 v22, v23
	ds_store_b16 v2, v27
	ds_store_b128 v17, v[19:22]
	ds_store_b16 v3, v18
.LBB9_14:
	s_or_b32 exec_lo, exec_lo, s3
	v_and_b32_e32 v17, 3, v6
	s_wait_loadcnt_dscnt 0x0
	s_barrier_signal -1
	s_barrier_wait -1
	global_inv scope:SCOPE_SE
	v_sub_nc_u32_e32 v20, v16, v17
	v_bfe_u32 v25, v6, 2, 1
	s_delay_alu instid0(VALU_DEP_2)
	v_add_nc_u32_e32 v17, v15, v20
	v_add_nc_u32_e32 v18, v13, v20
	v_lshl_add_u32 v20, v20, 3, v12
	ds_load_u8 v21, v17
	ds_load_i8 v22, v18
	ds_load_i8 v24, v18 offset:4
	ds_load_u8 v23, v17 offset:4
	s_wait_dscnt 0x3
	v_and_b32_e32 v19, 1, v21
	s_wait_dscnt 0x1
	v_cmp_gt_i16_e64 s2, v22, v24
	s_wait_dscnt 0x0
	v_cmp_ne_u16_e64 s4, v23, v25
	v_cmp_eq_u32_e64 s3, 1, v19
	s_wait_alu 0xf1ff
	s_delay_alu instid0(VALU_DEP_2) | instskip(SKIP_3) | instid1(VALU_DEP_1)
	v_cndmask_b32_e64 v19, 0, 1, s4
	s_mov_b32 s4, exec_lo
	s_and_b32 s2, s2, s3
	s_wait_alu 0xfffe
	v_cndmask_b32_e64 v25, v19, v25, s2
	v_and_b32_e32 v19, 4, v6
	s_delay_alu instid0(VALU_DEP_2) | instskip(NEXT) | instid1(VALU_DEP_2)
	v_and_b32_e32 v25, 1, v25
	v_cmp_ne_u32_e64 s2, 0, v19
	s_delay_alu instid0(VALU_DEP_2)
	v_cmpx_eq_u32_e32 1, v25
	s_cbranch_execz .LBB9_16
; %bb.15:
	ds_load_2addr_b64 v[25:28], v20 offset1:4
	s_wait_dscnt 0x0
	ds_store_2addr_b64 v20, v[27:28], v[25:26] offset1:4
	ds_store_b8 v18, v24
	ds_store_b8 v18, v22 offset:4
	ds_store_b8 v17, v23
	ds_store_b8 v17, v21 offset:4
.LBB9_16:
	s_or_b32 exec_lo, exec_lo, s4
	s_wait_loadcnt_dscnt 0x0
	s_barrier_signal -1
	s_barrier_wait -1
	global_inv scope:SCOPE_SE
	ds_load_u8 v22, v10
	ds_load_i8 v23, v11
	ds_load_i8 v25, v11 offset:2
	ds_load_u8 v24, v10 offset:2
	v_lshrrev_b32_e32 v19, 2, v19
	v_cndmask_b32_e64 v21, 0, 1, s2
	s_wait_dscnt 0x3
	v_and_b32_e32 v26, 1, v22
	s_wait_dscnt 0x1
	v_cmp_gt_i16_e64 s2, v23, v25
	s_wait_dscnt 0x0
	v_cmp_ne_u16_e64 s4, v24, v19
	v_cmp_eq_u32_e64 s3, 1, v26
	s_wait_alu 0xf1ff
	s_delay_alu instid0(VALU_DEP_2) | instskip(SKIP_3) | instid1(VALU_DEP_1)
	v_cndmask_b32_e64 v26, 0, 1, s4
	s_and_b32 s2, s2, s3
	s_mov_b32 s3, exec_lo
	s_wait_alu 0xfffe
	v_cndmask_b32_e64 v26, v26, v21, s2
	s_delay_alu instid0(VALU_DEP_1) | instskip(NEXT) | instid1(VALU_DEP_1)
	v_and_b32_e32 v26, 1, v26
	v_cmpx_eq_u32_e32 1, v26
	s_cbranch_execz .LBB9_18
; %bb.17:
	ds_load_2addr_b64 v[26:29], v14 offset1:2
	s_wait_dscnt 0x0
	ds_store_2addr_b64 v14, v[28:29], v[26:27] offset1:2
	ds_store_b8 v11, v25
	ds_store_b8 v11, v23 offset:2
	ds_store_b8 v10, v24
	ds_store_b8 v10, v22 offset:2
.LBB9_18:
	s_or_b32 exec_lo, exec_lo, s3
	s_wait_loadcnt_dscnt 0x0
	s_barrier_signal -1
	s_barrier_wait -1
	global_inv scope:SCOPE_SE
	ds_load_u16 v22, v2
	ds_load_u16 v23, v3
	s_wait_dscnt 0x1
	v_bfe_i32 v24, v22, 0, 8
	v_ashrrev_i16 v25, 8, v22
	s_wait_dscnt 0x0
	v_lshrrev_b16 v22, 8, v23
	v_and_b32_e32 v26, 1, v23
	s_delay_alu instid0(VALU_DEP_3) | instskip(NEXT) | instid1(VALU_DEP_3)
	v_cmp_gt_i16_e64 s2, v24, v25
	v_cmp_ne_u16_e64 s4, v22, v19
	s_delay_alu instid0(VALU_DEP_3) | instskip(SKIP_1) | instid1(VALU_DEP_2)
	v_cmp_eq_u32_e64 s3, 1, v26
	s_wait_alu 0xf1ff
	v_cndmask_b32_e64 v19, 0, 1, s4
	s_and_b32 s2, s2, s3
	s_wait_alu 0xfffe
	s_delay_alu instid0(VALU_DEP_1) | instskip(NEXT) | instid1(VALU_DEP_1)
	v_cndmask_b32_e64 v19, v19, v21, s2
	v_and_b32_e32 v19, 1, v19
	s_delay_alu instid0(VALU_DEP_1)
	v_cmp_eq_u32_e64 s2, 1, v19
	v_lshl_add_u32 v19, v16, 3, v12
	s_and_saveexec_b32 s3, s2
	s_cbranch_execz .LBB9_20
; %bb.19:
	ds_load_b128 v[26:29], v19
	v_lshlrev_b16 v21, 8, v24
	v_and_b32_e32 v24, 0xff, v25
	v_lshlrev_b16 v30, 8, v23
	s_delay_alu instid0(VALU_DEP_1)
	v_or_b32_e32 v22, v22, v30
	s_wait_dscnt 0x0
	v_mov_b32_e32 v23, v28
	v_or_b32_e32 v21, v24, v21
	v_dual_mov_b32 v24, v29 :: v_dual_mov_b32 v25, v26
	v_mov_b32_e32 v26, v27
	ds_store_b16 v2, v21
	ds_store_b128 v19, v[23:26]
	ds_store_b16 v3, v22
.LBB9_20:
	s_wait_alu 0xfffe
	s_or_b32 exec_lo, exec_lo, s3
	v_and_b32_e32 v21, 7, v6
	s_wait_loadcnt_dscnt 0x0
	s_barrier_signal -1
	s_barrier_wait -1
	global_inv scope:SCOPE_SE
	v_sub_nc_u32_e32 v23, v16, v21
	v_bfe_u32 v29, v6, 3, 1
	s_delay_alu instid0(VALU_DEP_2)
	v_add_nc_u32_e32 v21, v15, v23
	v_add_nc_u32_e32 v22, v13, v23
	v_lshl_add_u32 v23, v23, 3, v12
	ds_load_u8 v25, v21
	ds_load_i8 v26, v22
	ds_load_i8 v28, v22 offset:8
	ds_load_u8 v27, v21 offset:8
	s_wait_dscnt 0x3
	v_and_b32_e32 v24, 1, v25
	s_wait_dscnt 0x1
	v_cmp_gt_i16_e64 s2, v26, v28
	s_wait_dscnt 0x0
	v_cmp_ne_u16_e64 s4, v27, v29
	v_cmp_eq_u32_e64 s3, 1, v24
	s_wait_alu 0xf1ff
	s_delay_alu instid0(VALU_DEP_2) | instskip(SKIP_3) | instid1(VALU_DEP_1)
	v_cndmask_b32_e64 v24, 0, 1, s4
	s_mov_b32 s4, exec_lo
	s_and_b32 s2, s2, s3
	s_wait_alu 0xfffe
	v_cndmask_b32_e64 v29, v24, v29, s2
	v_and_b32_e32 v24, 8, v6
	s_delay_alu instid0(VALU_DEP_2) | instskip(NEXT) | instid1(VALU_DEP_2)
	v_and_b32_e32 v29, 1, v29
	v_cmp_ne_u32_e64 s2, 0, v24
	s_delay_alu instid0(VALU_DEP_2)
	v_cmpx_eq_u32_e32 1, v29
	s_cbranch_execz .LBB9_22
; %bb.21:
	ds_load_2addr_b64 v[29:32], v23 offset1:8
	s_wait_dscnt 0x0
	ds_store_2addr_b64 v23, v[31:32], v[29:30] offset1:8
	ds_store_b8 v22, v28
	ds_store_b8 v22, v26 offset:8
	ds_store_b8 v21, v27
	ds_store_b8 v21, v25 offset:8
.LBB9_22:
	s_or_b32 exec_lo, exec_lo, s4
	s_wait_loadcnt_dscnt 0x0
	s_barrier_signal -1
	s_barrier_wait -1
	global_inv scope:SCOPE_SE
	ds_load_u8 v26, v17
	ds_load_i8 v27, v18
	ds_load_i8 v29, v18 offset:4
	ds_load_u8 v28, v17 offset:4
	v_lshrrev_b32_e32 v24, 3, v24
	v_cndmask_b32_e64 v25, 0, 1, s2
	s_wait_dscnt 0x3
	v_and_b32_e32 v30, 1, v26
	s_wait_dscnt 0x1
	v_cmp_gt_i16_e64 s2, v27, v29
	s_wait_dscnt 0x0
	v_cmp_ne_u16_e64 s4, v28, v24
	v_cmp_eq_u32_e64 s3, 1, v30
	s_wait_alu 0xf1ff
	s_delay_alu instid0(VALU_DEP_2) | instskip(SKIP_3) | instid1(VALU_DEP_1)
	v_cndmask_b32_e64 v30, 0, 1, s4
	s_and_b32 s2, s2, s3
	s_mov_b32 s3, exec_lo
	s_wait_alu 0xfffe
	v_cndmask_b32_e64 v30, v30, v25, s2
	s_delay_alu instid0(VALU_DEP_1) | instskip(NEXT) | instid1(VALU_DEP_1)
	v_and_b32_e32 v30, 1, v30
	v_cmpx_eq_u32_e32 1, v30
	s_cbranch_execz .LBB9_24
; %bb.23:
	ds_load_2addr_b64 v[30:33], v20 offset1:4
	s_wait_dscnt 0x0
	ds_store_2addr_b64 v20, v[32:33], v[30:31] offset1:4
	ds_store_b8 v18, v29
	ds_store_b8 v18, v27 offset:4
	ds_store_b8 v17, v28
	ds_store_b8 v17, v26 offset:4
.LBB9_24:
	s_or_b32 exec_lo, exec_lo, s3
	s_wait_loadcnt_dscnt 0x0
	s_barrier_signal -1
	s_barrier_wait -1
	global_inv scope:SCOPE_SE
	ds_load_u8 v26, v10
	ds_load_i8 v27, v11
	ds_load_i8 v29, v11 offset:2
	ds_load_u8 v28, v10 offset:2
	s_wait_dscnt 0x3
	v_and_b32_e32 v30, 1, v26
	s_wait_dscnt 0x1
	v_cmp_gt_i16_e64 s2, v27, v29
	s_wait_dscnt 0x0
	v_cmp_ne_u16_e64 s4, v28, v24
	v_cmp_eq_u32_e64 s3, 1, v30
	s_wait_alu 0xf1ff
	s_delay_alu instid0(VALU_DEP_2) | instskip(SKIP_3) | instid1(VALU_DEP_1)
	v_cndmask_b32_e64 v30, 0, 1, s4
	s_and_b32 s2, s2, s3
	s_mov_b32 s3, exec_lo
	s_wait_alu 0xfffe
	v_cndmask_b32_e64 v30, v30, v25, s2
	s_delay_alu instid0(VALU_DEP_1) | instskip(NEXT) | instid1(VALU_DEP_1)
	v_and_b32_e32 v30, 1, v30
	v_cmpx_eq_u32_e32 1, v30
	s_cbranch_execz .LBB9_26
; %bb.25:
	ds_load_2addr_b64 v[30:33], v14 offset1:2
	s_wait_dscnt 0x0
	ds_store_2addr_b64 v14, v[32:33], v[30:31] offset1:2
	ds_store_b8 v11, v29
	ds_store_b8 v11, v27 offset:2
	ds_store_b8 v10, v28
	ds_store_b8 v10, v26 offset:2
.LBB9_26:
	s_or_b32 exec_lo, exec_lo, s3
	s_wait_loadcnt_dscnt 0x0
	s_barrier_signal -1
	s_barrier_wait -1
	global_inv scope:SCOPE_SE
	ds_load_u16 v26, v2
	ds_load_u16 v27, v3
	s_wait_dscnt 0x1
	v_bfe_i32 v28, v26, 0, 8
	v_ashrrev_i16 v29, 8, v26
	s_wait_dscnt 0x0
	v_lshrrev_b16 v26, 8, v27
	v_and_b32_e32 v30, 1, v27
	s_delay_alu instid0(VALU_DEP_3) | instskip(NEXT) | instid1(VALU_DEP_3)
	v_cmp_gt_i16_e64 s2, v28, v29
	v_cmp_ne_u16_e64 s4, v26, v24
	s_delay_alu instid0(VALU_DEP_3) | instskip(SKIP_1) | instid1(VALU_DEP_2)
	v_cmp_eq_u32_e64 s3, 1, v30
	s_wait_alu 0xf1ff
	v_cndmask_b32_e64 v24, 0, 1, s4
	s_and_b32 s2, s2, s3
	s_mov_b32 s3, exec_lo
	s_wait_alu 0xfffe
	s_delay_alu instid0(VALU_DEP_1) | instskip(NEXT) | instid1(VALU_DEP_1)
	v_cndmask_b32_e64 v24, v24, v25, s2
	v_and_b32_e32 v24, 1, v24
	s_delay_alu instid0(VALU_DEP_1)
	v_cmpx_eq_u32_e32 1, v24
	s_cbranch_execz .LBB9_28
; %bb.27:
	ds_load_b128 v[30:33], v19
	v_lshlrev_b16 v24, 8, v28
	v_and_b32_e32 v25, 0xff, v29
	v_lshlrev_b16 v34, 8, v27
	s_wait_dscnt 0x0
	v_mov_b32_e32 v28, v33
	s_delay_alu instid0(VALU_DEP_3)
	v_or_b32_e32 v24, v25, v24
	v_mov_b32_e32 v27, v32
	v_dual_mov_b32 v29, v30 :: v_dual_mov_b32 v30, v31
	v_or_b32_e32 v25, v26, v34
	ds_store_b16 v2, v24
	ds_store_b128 v19, v[27:30]
	ds_store_b16 v3, v25
.LBB9_28:
	s_or_b32 exec_lo, exec_lo, s3
	v_and_b32_e32 v24, 15, v6
	s_wait_loadcnt_dscnt 0x0
	s_barrier_signal -1
	s_barrier_wait -1
	global_inv scope:SCOPE_SE
	v_sub_nc_u32_e32 v16, v16, v24
	s_delay_alu instid0(VALU_DEP_1)
	v_add_nc_u32_e32 v15, v15, v16
	v_add_nc_u32_e32 v13, v13, v16
	ds_load_u8 v24, v15
	ds_load_u8 v27, v15 offset:16
	ds_load_i8 v25, v13
	ds_load_i8 v26, v13 offset:16
	s_wait_dscnt 0x2
	v_and_b32_e32 v27, 0xff, v27
	v_and_b32_e32 v28, 1, v24
	s_wait_dscnt 0x0
	v_cmp_le_i16_e64 s3, v25, v26
	s_delay_alu instid0(VALU_DEP_3) | instskip(NEXT) | instid1(VALU_DEP_3)
	v_cmp_ne_u16_e64 s4, 0, v27
	v_cmp_eq_u32_e64 s2, 1, v28
	s_xor_b32 s2, s2, -1
	s_wait_alu 0xfffe
	s_or_b32 s2, s3, s2
	s_wait_alu 0xfffe
	s_and_b32 s3, s2, s4
	s_wait_alu 0xfffe
	s_and_saveexec_b32 s2, s3
	s_cbranch_execz .LBB9_30
; %bb.29:
	v_lshl_add_u32 v12, v16, 3, v12
	v_mov_b32_e32 v16, 1
	ds_load_2addr_b64 v[27:30], v12 offset1:16
	s_wait_dscnt 0x0
	ds_store_2addr_b64 v12, v[29:30], v[27:28] offset1:16
	ds_store_b8 v13, v26
	ds_store_b8 v13, v25 offset:16
	ds_store_b8 v15, v16
	ds_store_b8 v15, v24 offset:16
.LBB9_30:
	s_wait_alu 0xfffe
	s_or_b32 exec_lo, exec_lo, s2
	s_wait_loadcnt_dscnt 0x0
	s_barrier_signal -1
	s_barrier_wait -1
	global_inv scope:SCOPE_SE
	ds_load_u8 v12, v21
	ds_load_u8 v16, v21 offset:8
	ds_load_i8 v13, v22
	ds_load_i8 v15, v22 offset:8
	s_wait_dscnt 0x3
	v_and_b32_e32 v24, 1, v12
	s_wait_dscnt 0x2
	v_and_b32_e32 v16, 0xff, v16
	s_wait_dscnt 0x0
	v_cmp_le_i16_e64 s3, v13, v15
	v_cmp_eq_u32_e64 s2, 1, v24
	s_delay_alu instid0(VALU_DEP_3)
	v_cmp_ne_u16_e64 s4, 0, v16
	s_xor_b32 s2, s2, -1
	s_wait_alu 0xfffe
	s_or_b32 s2, s3, s2
	s_wait_alu 0xfffe
	s_and_b32 s3, s2, s4
	s_wait_alu 0xfffe
	s_and_saveexec_b32 s2, s3
	s_cbranch_execz .LBB9_32
; %bb.31:
	ds_load_2addr_b64 v[24:27], v23 offset1:8
	v_mov_b32_e32 v16, 1
	s_wait_dscnt 0x0
	ds_store_2addr_b64 v23, v[26:27], v[24:25] offset1:8
	ds_store_b8 v22, v15
	ds_store_b8 v22, v13 offset:8
	ds_store_b8 v21, v16
	ds_store_b8 v21, v12 offset:8
.LBB9_32:
	s_wait_alu 0xfffe
	s_or_b32 exec_lo, exec_lo, s2
	s_wait_loadcnt_dscnt 0x0
	s_barrier_signal -1
	s_barrier_wait -1
	global_inv scope:SCOPE_SE
	ds_load_u8 v12, v17
	ds_load_u8 v16, v17 offset:4
	ds_load_i8 v13, v18
	ds_load_i8 v15, v18 offset:4
	s_wait_dscnt 0x3
	v_and_b32_e32 v21, 1, v12
	s_wait_dscnt 0x2
	v_and_b32_e32 v16, 0xff, v16
	s_wait_dscnt 0x0
	v_cmp_le_i16_e64 s3, v13, v15
	v_cmp_eq_u32_e64 s2, 1, v21
	s_delay_alu instid0(VALU_DEP_3)
	v_cmp_ne_u16_e64 s4, 0, v16
	s_xor_b32 s2, s2, -1
	s_wait_alu 0xfffe
	s_or_b32 s2, s3, s2
	s_wait_alu 0xfffe
	s_and_b32 s3, s2, s4
	s_wait_alu 0xfffe
	s_and_saveexec_b32 s2, s3
	s_cbranch_execz .LBB9_34
; %bb.33:
	ds_load_2addr_b64 v[21:24], v20 offset1:4
	v_mov_b32_e32 v16, 1
	s_wait_dscnt 0x0
	ds_store_2addr_b64 v20, v[23:24], v[21:22] offset1:4
	ds_store_b8 v18, v15
	ds_store_b8 v18, v13 offset:4
	ds_store_b8 v17, v16
	ds_store_b8 v17, v12 offset:4
.LBB9_34:
	;; [unrolled: 37-line block ×3, first 2 shown]
	s_wait_alu 0xfffe
	s_or_b32 exec_lo, exec_lo, s2
	s_wait_loadcnt_dscnt 0x0
	s_barrier_signal -1
	s_barrier_wait -1
	global_inv scope:SCOPE_SE
	ds_load_u16 v10, v3
	ds_load_u16 v12, v2
	s_wait_dscnt 0x1
	v_and_b32_e32 v13, 1, v10
	s_wait_dscnt 0x0
	v_bfe_i32 v11, v12, 0, 8
	v_ashrrev_i16 v12, 8, v12
	v_lshrrev_b16 v14, 8, v10
	v_cmp_eq_u32_e64 s2, 1, v13
	s_delay_alu instid0(VALU_DEP_3) | instskip(NEXT) | instid1(VALU_DEP_3)
	v_cmp_le_i16_e64 s3, v11, v12
	v_cmp_ne_u16_e64 s4, 0, v14
	s_xor_b32 s2, s2, -1
	s_wait_alu 0xfffe
	s_or_b32 s2, s3, s2
	s_wait_alu 0xfffe
	s_and_b32 s3, s2, s4
	s_wait_alu 0xfffe
	s_and_saveexec_b32 s2, s3
	s_cbranch_execz .LBB9_38
; %bb.37:
	ds_load_b128 v[13:16], v19
	v_lshlrev_b16 v11, 8, v11
	v_and_b32_e32 v12, 0xff, v12
	v_lshlrev_b16 v17, 8, v10
	s_delay_alu instid0(VALU_DEP_2)
	v_or_b32_e32 v18, v12, v11
	s_wait_dscnt 0x0
	v_dual_mov_b32 v10, v15 :: v_dual_mov_b32 v11, v16
	v_dual_mov_b32 v12, v13 :: v_dual_mov_b32 v13, v14
	v_or_b32_e32 v14, 1, v17
	ds_store_b16 v2, v18
	ds_store_b128 v19, v[10:13]
	ds_store_b16 v3, v14
.LBB9_38:
	s_wait_alu 0xfffe
	s_or_b32 exec_lo, exec_lo, s2
	s_wait_loadcnt_dscnt 0x0
	s_barrier_signal -1
	s_barrier_wait -1
	global_inv scope:SCOPE_SE
	s_and_saveexec_b32 s2, s0
	s_cbranch_execz .LBB9_43
; %bb.39:
	s_and_saveexec_b32 s0, vcc_lo
	s_cbranch_execz .LBB9_41
; %bb.40:
	v_mad_co_u64_u32 v[2:3], null, v6, s7, v[1:2]
	ds_load_u8 v12, v9
	ds_load_b64 v[8:9], v8
	v_mov_b32_e32 v3, 0
	v_mad_co_u64_u32 v[10:11], null, v6, s6, v[0:1]
	s_delay_alu instid0(VALU_DEP_2) | instskip(NEXT) | instid1(VALU_DEP_1)
	v_lshlrev_b64_e32 v[2:3], 3, v[2:3]
	v_add_co_u32 v2, vcc_lo, s10, v2
	s_wait_alu 0xfffd
	s_delay_alu instid0(VALU_DEP_2)
	v_add_co_ci_u32_e64 v3, null, s11, v3, vcc_lo
	s_wait_dscnt 0x1
	global_store_b8 v10, v12, s[8:9]
	s_wait_dscnt 0x0
	global_store_b64 v[2:3], v[8:9], off
.LBB9_41:
	s_wait_alu 0xfffe
	s_or_b32 exec_lo, exec_lo, s0
	s_delay_alu instid0(SALU_CYCLE_1)
	s_and_b32 exec_lo, exec_lo, s1
	s_cbranch_execz .LBB9_43
; %bb.42:
	v_mad_co_u64_u32 v[1:2], null, v7, s7, v[1:2]
	ds_load_u8 v8, v4
	ds_load_b64 v[3:4], v5
	v_mov_b32_e32 v2, 0
	s_delay_alu instid0(VALU_DEP_1) | instskip(NEXT) | instid1(VALU_DEP_1)
	v_lshlrev_b64_e32 v[1:2], 3, v[1:2]
	v_mad_co_u64_u32 v[5:6], null, v7, s6, v[0:1]
	v_add_co_u32 v0, vcc_lo, s10, v1
	s_wait_alu 0xfffd
	s_delay_alu instid0(VALU_DEP_3)
	v_add_co_ci_u32_e64 v1, null, s11, v2, vcc_lo
	s_wait_dscnt 0x1
	global_store_b8 v5, v8, s[8:9]
	s_wait_dscnt 0x0
	global_store_b64 v[0:1], v[3:4], off
.LBB9_43:
	s_endpgm
	.section	.rodata,"a",@progbits
	.p2align	6, 0x0
	.amdhsa_kernel _ZN2at6native20bitonicSortKVInPlaceILin2ELin1ELi16ELi16EalNS0_4GTOpIaLb1EEEjEEvNS_4cuda6detail10TensorInfoIT3_T6_EES8_S8_S8_NS6_IT4_S8_EES8_T5_
		.amdhsa_group_segment_fixed_size 5120
		.amdhsa_private_segment_fixed_size 0
		.amdhsa_kernarg_size 712
		.amdhsa_user_sgpr_count 2
		.amdhsa_user_sgpr_dispatch_ptr 0
		.amdhsa_user_sgpr_queue_ptr 0
		.amdhsa_user_sgpr_kernarg_segment_ptr 1
		.amdhsa_user_sgpr_dispatch_id 0
		.amdhsa_user_sgpr_private_segment_size 0
		.amdhsa_wavefront_size32 1
		.amdhsa_uses_dynamic_stack 0
		.amdhsa_enable_private_segment 0
		.amdhsa_system_sgpr_workgroup_id_x 1
		.amdhsa_system_sgpr_workgroup_id_y 1
		.amdhsa_system_sgpr_workgroup_id_z 1
		.amdhsa_system_sgpr_workgroup_info 0
		.amdhsa_system_vgpr_workitem_id 1
		.amdhsa_next_free_vgpr 35
		.amdhsa_next_free_sgpr 16
		.amdhsa_reserve_vcc 1
		.amdhsa_float_round_mode_32 0
		.amdhsa_float_round_mode_16_64 0
		.amdhsa_float_denorm_mode_32 3
		.amdhsa_float_denorm_mode_16_64 3
		.amdhsa_fp16_overflow 0
		.amdhsa_workgroup_processor_mode 1
		.amdhsa_memory_ordered 1
		.amdhsa_forward_progress 1
		.amdhsa_inst_pref_size 37
		.amdhsa_round_robin_scheduling 0
		.amdhsa_exception_fp_ieee_invalid_op 0
		.amdhsa_exception_fp_denorm_src 0
		.amdhsa_exception_fp_ieee_div_zero 0
		.amdhsa_exception_fp_ieee_overflow 0
		.amdhsa_exception_fp_ieee_underflow 0
		.amdhsa_exception_fp_ieee_inexact 0
		.amdhsa_exception_int_div_zero 0
	.end_amdhsa_kernel
	.section	.text._ZN2at6native20bitonicSortKVInPlaceILin2ELin1ELi16ELi16EalNS0_4GTOpIaLb1EEEjEEvNS_4cuda6detail10TensorInfoIT3_T6_EES8_S8_S8_NS6_IT4_S8_EES8_T5_,"axG",@progbits,_ZN2at6native20bitonicSortKVInPlaceILin2ELin1ELi16ELi16EalNS0_4GTOpIaLb1EEEjEEvNS_4cuda6detail10TensorInfoIT3_T6_EES8_S8_S8_NS6_IT4_S8_EES8_T5_,comdat
.Lfunc_end9:
	.size	_ZN2at6native20bitonicSortKVInPlaceILin2ELin1ELi16ELi16EalNS0_4GTOpIaLb1EEEjEEvNS_4cuda6detail10TensorInfoIT3_T6_EES8_S8_S8_NS6_IT4_S8_EES8_T5_, .Lfunc_end9-_ZN2at6native20bitonicSortKVInPlaceILin2ELin1ELi16ELi16EalNS0_4GTOpIaLb1EEEjEEvNS_4cuda6detail10TensorInfoIT3_T6_EES8_S8_S8_NS6_IT4_S8_EES8_T5_
                                        ; -- End function
	.set _ZN2at6native20bitonicSortKVInPlaceILin2ELin1ELi16ELi16EalNS0_4GTOpIaLb1EEEjEEvNS_4cuda6detail10TensorInfoIT3_T6_EES8_S8_S8_NS6_IT4_S8_EES8_T5_.num_vgpr, 35
	.set _ZN2at6native20bitonicSortKVInPlaceILin2ELin1ELi16ELi16EalNS0_4GTOpIaLb1EEEjEEvNS_4cuda6detail10TensorInfoIT3_T6_EES8_S8_S8_NS6_IT4_S8_EES8_T5_.num_agpr, 0
	.set _ZN2at6native20bitonicSortKVInPlaceILin2ELin1ELi16ELi16EalNS0_4GTOpIaLb1EEEjEEvNS_4cuda6detail10TensorInfoIT3_T6_EES8_S8_S8_NS6_IT4_S8_EES8_T5_.numbered_sgpr, 16
	.set _ZN2at6native20bitonicSortKVInPlaceILin2ELin1ELi16ELi16EalNS0_4GTOpIaLb1EEEjEEvNS_4cuda6detail10TensorInfoIT3_T6_EES8_S8_S8_NS6_IT4_S8_EES8_T5_.num_named_barrier, 0
	.set _ZN2at6native20bitonicSortKVInPlaceILin2ELin1ELi16ELi16EalNS0_4GTOpIaLb1EEEjEEvNS_4cuda6detail10TensorInfoIT3_T6_EES8_S8_S8_NS6_IT4_S8_EES8_T5_.private_seg_size, 0
	.set _ZN2at6native20bitonicSortKVInPlaceILin2ELin1ELi16ELi16EalNS0_4GTOpIaLb1EEEjEEvNS_4cuda6detail10TensorInfoIT3_T6_EES8_S8_S8_NS6_IT4_S8_EES8_T5_.uses_vcc, 1
	.set _ZN2at6native20bitonicSortKVInPlaceILin2ELin1ELi16ELi16EalNS0_4GTOpIaLb1EEEjEEvNS_4cuda6detail10TensorInfoIT3_T6_EES8_S8_S8_NS6_IT4_S8_EES8_T5_.uses_flat_scratch, 0
	.set _ZN2at6native20bitonicSortKVInPlaceILin2ELin1ELi16ELi16EalNS0_4GTOpIaLb1EEEjEEvNS_4cuda6detail10TensorInfoIT3_T6_EES8_S8_S8_NS6_IT4_S8_EES8_T5_.has_dyn_sized_stack, 0
	.set _ZN2at6native20bitonicSortKVInPlaceILin2ELin1ELi16ELi16EalNS0_4GTOpIaLb1EEEjEEvNS_4cuda6detail10TensorInfoIT3_T6_EES8_S8_S8_NS6_IT4_S8_EES8_T5_.has_recursion, 0
	.set _ZN2at6native20bitonicSortKVInPlaceILin2ELin1ELi16ELi16EalNS0_4GTOpIaLb1EEEjEEvNS_4cuda6detail10TensorInfoIT3_T6_EES8_S8_S8_NS6_IT4_S8_EES8_T5_.has_indirect_call, 0
	.section	.AMDGPU.csdata,"",@progbits
; Kernel info:
; codeLenInByte = 4696
; TotalNumSgprs: 18
; NumVgprs: 35
; ScratchSize: 0
; MemoryBound: 0
; FloatMode: 240
; IeeeMode: 1
; LDSByteSize: 5120 bytes/workgroup (compile time only)
; SGPRBlocks: 0
; VGPRBlocks: 4
; NumSGPRsForWavesPerEU: 18
; NumVGPRsForWavesPerEU: 35
; Occupancy: 16
; WaveLimiterHint : 1
; COMPUTE_PGM_RSRC2:SCRATCH_EN: 0
; COMPUTE_PGM_RSRC2:USER_SGPR: 2
; COMPUTE_PGM_RSRC2:TRAP_HANDLER: 0
; COMPUTE_PGM_RSRC2:TGID_X_EN: 1
; COMPUTE_PGM_RSRC2:TGID_Y_EN: 1
; COMPUTE_PGM_RSRC2:TGID_Z_EN: 1
; COMPUTE_PGM_RSRC2:TIDIG_COMP_CNT: 1
	.section	.text._ZN2at6native20bitonicSortKVInPlaceILi2ELin1ELi16ELi16EalNS0_4LTOpIaLb1EEEjEEvNS_4cuda6detail10TensorInfoIT3_T6_EES8_S8_S8_NS6_IT4_S8_EES8_T5_,"axG",@progbits,_ZN2at6native20bitonicSortKVInPlaceILi2ELin1ELi16ELi16EalNS0_4LTOpIaLb1EEEjEEvNS_4cuda6detail10TensorInfoIT3_T6_EES8_S8_S8_NS6_IT4_S8_EES8_T5_,comdat
	.protected	_ZN2at6native20bitonicSortKVInPlaceILi2ELin1ELi16ELi16EalNS0_4LTOpIaLb1EEEjEEvNS_4cuda6detail10TensorInfoIT3_T6_EES8_S8_S8_NS6_IT4_S8_EES8_T5_ ; -- Begin function _ZN2at6native20bitonicSortKVInPlaceILi2ELin1ELi16ELi16EalNS0_4LTOpIaLb1EEEjEEvNS_4cuda6detail10TensorInfoIT3_T6_EES8_S8_S8_NS6_IT4_S8_EES8_T5_
	.globl	_ZN2at6native20bitonicSortKVInPlaceILi2ELin1ELi16ELi16EalNS0_4LTOpIaLb1EEEjEEvNS_4cuda6detail10TensorInfoIT3_T6_EES8_S8_S8_NS6_IT4_S8_EES8_T5_
	.p2align	8
	.type	_ZN2at6native20bitonicSortKVInPlaceILi2ELin1ELi16ELi16EalNS0_4LTOpIaLb1EEEjEEvNS_4cuda6detail10TensorInfoIT3_T6_EES8_S8_S8_NS6_IT4_S8_EES8_T5_,@function
_ZN2at6native20bitonicSortKVInPlaceILi2ELin1ELi16ELi16EalNS0_4LTOpIaLb1EEEjEEvNS_4cuda6detail10TensorInfoIT3_T6_EES8_S8_S8_NS6_IT4_S8_EES8_T5_: ; @_ZN2at6native20bitonicSortKVInPlaceILi2ELin1ELi16ELi16EalNS0_4LTOpIaLb1EEEjEEvNS_4cuda6detail10TensorInfoIT3_T6_EES8_S8_S8_NS6_IT4_S8_EES8_T5_
; %bb.0:
	s_clause 0x2
	s_load_b64 s[2:3], s[0:1], 0x1c8
	s_load_u16 s7, s[0:1], 0x1d6
	s_load_b96 s[4:6], s[0:1], 0xd8
	s_lshr_b32 s8, ttmp7, 16
	s_wait_kmcnt 0x0
	s_mul_i32 s3, s3, s8
	s_and_b32 s8, ttmp7, 0xffff
	s_delay_alu instid0(SALU_CYCLE_1) | instskip(NEXT) | instid1(SALU_CYCLE_1)
	s_add_co_i32 s3, s3, s8
	s_mul_i32 s2, s3, s2
	s_delay_alu instid0(SALU_CYCLE_1) | instskip(NEXT) | instid1(SALU_CYCLE_1)
	s_add_co_i32 s10, s2, ttmp9
	s_mul_i32 s10, s10, s7
	s_delay_alu instid0(SALU_CYCLE_1)
	s_cmp_ge_u32 s10, s4
	s_cbranch_scc1 .LBB10_44
; %bb.1:
	s_clause 0x2
	s_load_b32 s7, s[0:1], 0xc
	s_load_b64 s[2:3], s[0:1], 0x6c
	s_load_b32 s14, s[0:1], 0x1b8
	v_bfe_u32 v8, v0, 10, 10
	s_mov_b32 s13, 0
	s_delay_alu instid0(VALU_DEP_1) | instskip(SKIP_3) | instid1(SALU_CYCLE_2)
	v_add_nc_u32_e32 v4, s10, v8
	s_wait_kmcnt 0x0
	s_cvt_f32_u32 s8, s7
	s_sub_co_i32 s12, 0, s7
	v_rcp_iflag_f32_e32 v1, s8
	s_delay_alu instid0(TRANS32_DEP_1) | instskip(SKIP_3) | instid1(SALU_CYCLE_2)
	v_readfirstlane_b32 s8, v1
	v_mov_b32_e32 v1, 0
	s_mul_f32 s11, s8, 0x4f7ffffe
	s_load_b64 s[8:9], s[0:1], 0x0
	s_cvt_u32_f32 s11, s11
	s_wait_alu 0xfffe
	s_delay_alu instid0(SALU_CYCLE_2) | instskip(NEXT) | instid1(SALU_CYCLE_1)
	s_mul_i32 s12, s12, s11
	s_mul_hi_u32 s10, s11, s12
	s_wait_alu 0xfffe
	s_add_co_i32 s11, s11, s10
	s_cmp_lt_i32 s14, 2
	s_wait_alu 0xfffe
	v_mad_co_u64_u32 v[2:3], null, v4, s11, 0
	s_add_nc_u64 s[10:11], s[0:1], 0xe8
	s_cbranch_scc1 .LBB10_4
; %bb.2:
	s_add_co_i32 s12, s14, -1
	v_mov_b32_e32 v1, 0
	s_lshl_b64 s[12:13], s[12:13], 2
	v_mov_b32_e32 v5, v4
	s_wait_alu 0xfffe
	s_add_nc_u64 s[12:13], s[10:11], s[12:13]
	s_add_co_i32 s14, s14, 1
	s_add_nc_u64 s[12:13], s[12:13], 8
.LBB10_3:                               ; =>This Inner Loop Header: Depth=1
	s_clause 0x1
	s_load_b32 s15, s[12:13], 0x0
	s_load_b32 s16, s[12:13], 0x64
	s_add_co_i32 s14, s14, -1
	s_add_nc_u64 s[12:13], s[12:13], -4
	s_wait_kmcnt 0x0
	s_cvt_f32_u32 s17, s15
	s_sub_co_i32 s18, 0, s15
	s_wait_alu 0xfffe
	s_delay_alu instid0(SALU_CYCLE_1) | instskip(NEXT) | instid1(TRANS32_DEP_1)
	v_rcp_iflag_f32_e32 v2, s17
	v_readfirstlane_b32 s17, v2
	v_mov_b32_e32 v2, v5
	s_mul_f32 s17, s17, 0x4f7ffffe
	s_wait_alu 0xfffe
	s_delay_alu instid0(SALU_CYCLE_2) | instskip(SKIP_1) | instid1(SALU_CYCLE_2)
	s_cvt_u32_f32 s17, s17
	s_wait_alu 0xfffe
	s_mul_i32 s18, s18, s17
	s_delay_alu instid0(SALU_CYCLE_1) | instskip(NEXT) | instid1(SALU_CYCLE_1)
	s_mul_hi_u32 s18, s17, s18
	s_add_co_i32 s17, s17, s18
	s_cmp_gt_u32 s14, 2
	s_wait_alu 0xfffe
	v_mul_hi_u32 v5, v2, s17
	s_delay_alu instid0(VALU_DEP_1) | instskip(SKIP_1) | instid1(VALU_DEP_2)
	v_mul_lo_u32 v6, v5, s15
	v_add_nc_u32_e32 v7, 1, v5
	v_sub_nc_u32_e32 v6, v2, v6
	s_delay_alu instid0(VALU_DEP_1) | instskip(SKIP_2) | instid1(VALU_DEP_2)
	v_subrev_nc_u32_e32 v9, s15, v6
	v_cmp_le_u32_e32 vcc_lo, s15, v6
	s_wait_alu 0xfffd
	v_dual_cndmask_b32 v5, v5, v7 :: v_dual_cndmask_b32 v6, v6, v9
	s_delay_alu instid0(VALU_DEP_1) | instskip(NEXT) | instid1(VALU_DEP_2)
	v_add_nc_u32_e32 v7, 1, v5
	v_cmp_le_u32_e32 vcc_lo, s15, v6
	s_wait_alu 0xfffd
	s_delay_alu instid0(VALU_DEP_2) | instskip(NEXT) | instid1(VALU_DEP_1)
	v_cndmask_b32_e32 v5, v5, v7, vcc_lo
	v_mul_lo_u32 v6, v5, s15
	s_delay_alu instid0(VALU_DEP_1) | instskip(NEXT) | instid1(VALU_DEP_1)
	v_sub_nc_u32_e32 v2, v2, v6
	v_mad_co_u64_u32 v[1:2], null, s16, v2, v[1:2]
	s_cbranch_scc1 .LBB10_3
	s_branch .LBB10_5
.LBB10_4:
	v_mov_b32_e32 v5, v4
.LBB10_5:
	v_mul_lo_u32 v2, v3, s7
	v_add_nc_u32_e32 v6, 1, v3
	s_load_b32 s14, s[10:11], 0x6c
	s_add_nc_u64 s[12:13], s[0:1], 0x1c8
	v_mov_b32_e32 v10, 0
	s_load_b32 s12, s[12:13], 0xc
	v_mov_b32_e32 v11, 0
	s_delay_alu instid0(VALU_DEP_4) | instskip(NEXT) | instid1(VALU_DEP_1)
	v_sub_nc_u32_e32 v2, v4, v2
	v_subrev_nc_u32_e32 v7, s7, v2
	v_cmp_le_u32_e32 vcc_lo, s7, v2
	s_wait_alu 0xfffd
	s_delay_alu instid0(VALU_DEP_2) | instskip(SKIP_1) | instid1(VALU_DEP_2)
	v_dual_cndmask_b32 v3, v3, v6 :: v_dual_cndmask_b32 v2, v2, v7
	v_and_b32_e32 v7, 0x3ff, v0
	v_add_nc_u32_e32 v6, 1, v3
	s_delay_alu instid0(VALU_DEP_3) | instskip(SKIP_1) | instid1(VALU_DEP_2)
	v_cmp_le_u32_e32 vcc_lo, s7, v2
	s_wait_alu 0xfffd
	v_cndmask_b32_e32 v6, v3, v6, vcc_lo
	v_cmp_gt_u32_e32 vcc_lo, s5, v7
	s_delay_alu instid0(VALU_DEP_2) | instskip(SKIP_4) | instid1(VALU_DEP_2)
	v_mul_lo_u32 v2, v6, s7
	s_clause 0x1
	s_load_b32 s7, s[0:1], 0x1c0
	s_load_b64 s[10:11], s[10:11], 0x0
	v_cmp_gt_u32_e64 s0, s4, v4
	v_sub_nc_u32_e32 v2, v4, v2
	s_delay_alu instid0(VALU_DEP_1) | instskip(SKIP_4) | instid1(VALU_DEP_4)
	v_mul_lo_u32 v0, v2, s3
	s_wait_kmcnt 0x0
	v_mad_co_u64_u32 v[2:3], null, s14, v5, v[1:2]
	v_mov_b32_e32 v3, 0
	v_mov_b32_e32 v4, 0
	v_mad_co_u64_u32 v[0:1], null, v6, s2, v[0:1]
	v_mov_b32_e32 v5, 0
	v_mov_b32_e32 v6, 0
	s_and_b32 s2, s0, vcc_lo
	s_wait_alu 0xfffe
	s_and_saveexec_b32 s3, s2
	s_cbranch_execz .LBB10_7
; %bb.6:
	v_mad_co_u64_u32 v[5:6], null, v7, s7, v[2:3]
	v_mov_b32_e32 v6, 0
	v_mad_co_u64_u32 v[11:12], null, v7, s6, v[0:1]
	s_delay_alu instid0(VALU_DEP_2) | instskip(NEXT) | instid1(VALU_DEP_1)
	v_lshlrev_b64_e32 v[5:6], 3, v[5:6]
	v_add_co_u32 v5, s1, s10, v5
	s_delay_alu instid0(VALU_DEP_1)
	v_add_co_ci_u32_e64 v6, null, s11, v6, s1
	global_load_u8 v11, v11, s[8:9]
	global_load_b64 v[5:6], v[5:6], off
.LBB10_7:
	s_wait_alu 0xfffe
	s_or_b32 exec_lo, exec_lo, s3
	v_lshlrev_b32_e32 v9, 5, v8
	s_and_b32 s3, 0xffff, s12
	v_lshlrev_b32_e32 v12, 8, v8
	s_wait_alu 0xfffe
	v_add_nc_u32_e32 v1, s3, v7
	v_cndmask_b32_e64 v14, 0, 1, s2
	v_add_nc_u32_e32 v13, 0x1000, v9
	v_add_nc_u32_e32 v15, 0x1200, v9
	v_lshl_add_u32 v8, v7, 3, v12
	v_cmp_gt_u32_e64 s1, s5, v1
	s_delay_alu instid0(VALU_DEP_4) | instskip(NEXT) | instid1(VALU_DEP_4)
	v_add_nc_u32_e32 v9, v13, v7
	v_add_nc_u32_e32 v16, v15, v7
	s_wait_loadcnt 0x1
	ds_store_b8 v9, v11
	s_wait_loadcnt 0x0
	ds_store_b64 v8, v[5:6]
	ds_store_b8 v16, v14
	s_and_b32 s4, s0, s1
	s_wait_alu 0xfffe
	s_and_saveexec_b32 s5, s4
	s_cbranch_execz .LBB10_9
; %bb.8:
	v_mad_co_u64_u32 v[3:4], null, v1, s7, v[2:3]
	v_mov_b32_e32 v4, 0
	v_mad_co_u64_u32 v[5:6], null, v1, s6, v[0:1]
	s_delay_alu instid0(VALU_DEP_2) | instskip(NEXT) | instid1(VALU_DEP_1)
	v_lshlrev_b64_e32 v[3:4], 3, v[3:4]
	v_add_co_u32 v3, s2, s10, v3
	s_wait_alu 0xf1ff
	s_delay_alu instid0(VALU_DEP_2)
	v_add_co_ci_u32_e64 v4, null, s11, v4, s2
	global_load_u8 v10, v5, s[8:9]
	global_load_b64 v[3:4], v[3:4], off
.LBB10_9:
	s_wait_alu 0xfffe
	s_or_b32 exec_lo, exec_lo, s5
	v_add_nc_u32_e32 v5, v13, v1
	v_lshlrev_b32_e32 v16, 1, v7
	v_lshl_add_u32 v6, s3, 3, v8
	v_cndmask_b32_e64 v11, 0, 1, s4
	v_add_nc_u32_e32 v14, v15, v1
	s_wait_loadcnt 0x1
	ds_store_b8 v5, v10
	s_wait_loadcnt 0x0
	ds_store_b64 v6, v[3:4]
	ds_store_b8 v14, v11
	v_add_nc_u32_e32 v3, v13, v16
	v_add_nc_u32_e32 v4, v15, v16
	s_wait_dscnt 0x0
	s_barrier_signal -1
	s_barrier_wait -1
	global_inv scope:SCOPE_SE
	ds_load_u16 v11, v3
	ds_load_u16 v14, v4
	v_and_b32_e32 v10, 1, v7
	s_wait_dscnt 0x1
	v_bfe_i32 v18, v11, 0, 8
	v_ashrrev_i16 v19, 8, v11
	s_wait_dscnt 0x0
	v_lshrrev_b16 v11, 8, v14
	v_and_b32_e32 v17, 1, v14
	s_delay_alu instid0(VALU_DEP_3) | instskip(NEXT) | instid1(VALU_DEP_3)
	v_cmp_lt_i16_e64 s2, v18, v19
	v_cmp_ne_u16_e64 s4, v11, v10
	s_delay_alu instid0(VALU_DEP_3) | instskip(SKIP_1) | instid1(VALU_DEP_2)
	v_cmp_eq_u32_e64 s3, 1, v17
	s_wait_alu 0xf1ff
	v_cndmask_b32_e64 v17, 0, 1, s4
	s_and_b32 s2, s2, s3
	s_wait_alu 0xfffe
	s_delay_alu instid0(VALU_DEP_1) | instskip(NEXT) | instid1(VALU_DEP_1)
	v_cndmask_b32_e64 v17, v17, v7, s2
	v_and_b32_e32 v17, 1, v17
	s_delay_alu instid0(VALU_DEP_1)
	v_cmp_eq_u32_e64 s2, 1, v17
	v_lshl_add_u32 v17, v7, 3, v8
	s_and_saveexec_b32 s3, s2
	s_wait_alu 0xfffe
	s_xor_b32 s2, exec_lo, s3
	s_cbranch_execz .LBB10_11
; %bb.10:
	ds_load_b128 v[20:23], v17
	v_lshlrev_b16 v18, 8, v18
	v_and_b32_e32 v19, 0xff, v19
	v_lshlrev_b16 v14, 8, v14
	s_delay_alu instid0(VALU_DEP_2) | instskip(NEXT) | instid1(VALU_DEP_2)
	v_or_b32_e32 v24, v19, v18
	v_or_b32_e32 v11, v11, v14
	s_wait_dscnt 0x0
	v_dual_mov_b32 v18, v22 :: v_dual_mov_b32 v19, v23
	ds_store_b16 v3, v24
	ds_store_b128 v17, v[18:21]
	ds_store_b16 v4, v11
.LBB10_11:
	s_wait_alu 0xfffe
	s_or_b32 exec_lo, exec_lo, s2
	v_sub_nc_u32_e32 v14, v16, v10
	s_wait_loadcnt_dscnt 0x0
	s_barrier_signal -1
	s_barrier_wait -1
	global_inv scope:SCOPE_SE
	v_add_nc_u32_e32 v10, v15, v14
	v_add_nc_u32_e32 v11, v13, v14
	v_bfe_u32 v23, v7, 1, 1
	v_lshl_add_u32 v14, v14, 3, v12
	ds_load_u8 v19, v10
	ds_load_i8 v20, v11
	ds_load_i8 v22, v11 offset:2
	ds_load_u8 v21, v10 offset:2
	s_wait_dscnt 0x3
	v_and_b32_e32 v18, 1, v19
	s_wait_dscnt 0x1
	v_cmp_lt_i16_e64 s2, v20, v22
	s_wait_dscnt 0x0
	v_cmp_ne_u16_e64 s4, v21, v23
	v_cmp_eq_u32_e64 s3, 1, v18
	s_wait_alu 0xf1ff
	s_delay_alu instid0(VALU_DEP_2) | instskip(SKIP_2) | instid1(VALU_DEP_1)
	v_cndmask_b32_e64 v18, 0, 1, s4
	s_and_b32 s2, s2, s3
	s_wait_alu 0xfffe
	v_cndmask_b32_e64 v23, v18, v23, s2
	v_and_b32_e32 v18, 2, v7
	s_delay_alu instid0(VALU_DEP_2) | instskip(NEXT) | instid1(VALU_DEP_2)
	v_and_b32_e32 v23, 1, v23
	v_cmp_ne_u32_e64 s2, 0, v18
	s_delay_alu instid0(VALU_DEP_2)
	v_cmp_eq_u32_e64 s3, 1, v23
	s_and_saveexec_b32 s4, s3
	s_wait_alu 0xfffe
	s_xor_b32 s3, exec_lo, s4
	s_cbranch_execz .LBB10_13
; %bb.12:
	ds_load_2addr_b64 v[23:26], v14 offset1:2
	s_wait_dscnt 0x0
	ds_store_2addr_b64 v14, v[25:26], v[23:24] offset1:2
	ds_store_b8 v11, v22
	ds_store_b8 v11, v20 offset:2
	ds_store_b8 v10, v21
	ds_store_b8 v10, v19 offset:2
.LBB10_13:
	s_wait_alu 0xfffe
	s_or_b32 exec_lo, exec_lo, s3
	s_wait_loadcnt_dscnt 0x0
	s_barrier_signal -1
	s_barrier_wait -1
	global_inv scope:SCOPE_SE
	ds_load_u16 v21, v3
	ds_load_u16 v19, v4
	v_lshrrev_b32_e32 v22, 1, v18
	v_cndmask_b32_e64 v24, 0, 1, s2
	s_wait_dscnt 0x1
	v_bfe_i32 v20, v21, 0, 8
	s_wait_dscnt 0x0
	v_lshrrev_b16 v18, 8, v19
	v_ashrrev_i16 v21, 8, v21
	v_and_b32_e32 v23, 1, v19
	s_delay_alu instid0(VALU_DEP_3) | instskip(NEXT) | instid1(VALU_DEP_3)
	v_cmp_ne_u16_e64 s4, v18, v22
	v_cmp_lt_i16_e64 s2, v20, v21
	s_delay_alu instid0(VALU_DEP_3) | instskip(SKIP_1) | instid1(VALU_DEP_3)
	v_cmp_eq_u32_e64 s3, 1, v23
	s_wait_alu 0xf1ff
	v_cndmask_b32_e64 v22, 0, 1, s4
	s_and_b32 s2, s2, s3
	s_mov_b32 s3, exec_lo
	s_wait_alu 0xfffe
	s_delay_alu instid0(VALU_DEP_1) | instskip(NEXT) | instid1(VALU_DEP_1)
	v_cndmask_b32_e64 v22, v22, v24, s2
	v_and_b32_e32 v22, 1, v22
	s_delay_alu instid0(VALU_DEP_1)
	v_cmpx_eq_u32_e32 1, v22
	s_cbranch_execz .LBB10_15
; %bb.14:
	ds_load_b128 v[22:25], v17
	v_lshlrev_b16 v20, 8, v20
	v_and_b32_e32 v21, 0xff, v21
	v_lshlrev_b16 v26, 8, v19
	s_delay_alu instid0(VALU_DEP_2) | instskip(NEXT) | instid1(VALU_DEP_2)
	v_or_b32_e32 v27, v21, v20
	v_or_b32_e32 v18, v18, v26
	s_wait_dscnt 0x0
	v_dual_mov_b32 v19, v24 :: v_dual_mov_b32 v20, v25
	v_dual_mov_b32 v21, v22 :: v_dual_mov_b32 v22, v23
	ds_store_b16 v3, v27
	ds_store_b128 v17, v[19:22]
	ds_store_b16 v4, v18
.LBB10_15:
	s_or_b32 exec_lo, exec_lo, s3
	v_and_b32_e32 v17, 3, v7
	s_wait_loadcnt_dscnt 0x0
	s_barrier_signal -1
	s_barrier_wait -1
	global_inv scope:SCOPE_SE
	v_sub_nc_u32_e32 v20, v16, v17
	v_bfe_u32 v25, v7, 2, 1
	s_delay_alu instid0(VALU_DEP_2)
	v_add_nc_u32_e32 v17, v15, v20
	v_add_nc_u32_e32 v18, v13, v20
	v_lshl_add_u32 v20, v20, 3, v12
	ds_load_u8 v21, v17
	ds_load_i8 v22, v18
	ds_load_i8 v24, v18 offset:4
	ds_load_u8 v23, v17 offset:4
	s_wait_dscnt 0x3
	v_and_b32_e32 v19, 1, v21
	s_wait_dscnt 0x1
	v_cmp_lt_i16_e64 s2, v22, v24
	s_wait_dscnt 0x0
	v_cmp_ne_u16_e64 s4, v23, v25
	v_cmp_eq_u32_e64 s3, 1, v19
	s_wait_alu 0xf1ff
	s_delay_alu instid0(VALU_DEP_2) | instskip(SKIP_3) | instid1(VALU_DEP_1)
	v_cndmask_b32_e64 v19, 0, 1, s4
	s_mov_b32 s4, exec_lo
	s_and_b32 s2, s2, s3
	s_wait_alu 0xfffe
	v_cndmask_b32_e64 v25, v19, v25, s2
	v_and_b32_e32 v19, 4, v7
	s_delay_alu instid0(VALU_DEP_2) | instskip(NEXT) | instid1(VALU_DEP_2)
	v_and_b32_e32 v25, 1, v25
	v_cmp_ne_u32_e64 s2, 0, v19
	s_delay_alu instid0(VALU_DEP_2)
	v_cmpx_eq_u32_e32 1, v25
	s_cbranch_execz .LBB10_17
; %bb.16:
	ds_load_2addr_b64 v[25:28], v20 offset1:4
	s_wait_dscnt 0x0
	ds_store_2addr_b64 v20, v[27:28], v[25:26] offset1:4
	ds_store_b8 v18, v24
	ds_store_b8 v18, v22 offset:4
	ds_store_b8 v17, v23
	ds_store_b8 v17, v21 offset:4
.LBB10_17:
	s_or_b32 exec_lo, exec_lo, s4
	s_wait_loadcnt_dscnt 0x0
	s_barrier_signal -1
	s_barrier_wait -1
	global_inv scope:SCOPE_SE
	ds_load_u8 v22, v10
	ds_load_i8 v23, v11
	ds_load_i8 v25, v11 offset:2
	ds_load_u8 v24, v10 offset:2
	v_lshrrev_b32_e32 v19, 2, v19
	v_cndmask_b32_e64 v21, 0, 1, s2
	s_wait_dscnt 0x3
	v_and_b32_e32 v26, 1, v22
	s_wait_dscnt 0x1
	v_cmp_lt_i16_e64 s2, v23, v25
	s_wait_dscnt 0x0
	v_cmp_ne_u16_e64 s4, v24, v19
	v_cmp_eq_u32_e64 s3, 1, v26
	s_wait_alu 0xf1ff
	s_delay_alu instid0(VALU_DEP_2) | instskip(SKIP_3) | instid1(VALU_DEP_1)
	v_cndmask_b32_e64 v26, 0, 1, s4
	s_and_b32 s2, s2, s3
	s_mov_b32 s3, exec_lo
	s_wait_alu 0xfffe
	v_cndmask_b32_e64 v26, v26, v21, s2
	s_delay_alu instid0(VALU_DEP_1) | instskip(NEXT) | instid1(VALU_DEP_1)
	v_and_b32_e32 v26, 1, v26
	v_cmpx_eq_u32_e32 1, v26
	s_cbranch_execz .LBB10_19
; %bb.18:
	ds_load_2addr_b64 v[26:29], v14 offset1:2
	s_wait_dscnt 0x0
	ds_store_2addr_b64 v14, v[28:29], v[26:27] offset1:2
	ds_store_b8 v11, v25
	ds_store_b8 v11, v23 offset:2
	ds_store_b8 v10, v24
	ds_store_b8 v10, v22 offset:2
.LBB10_19:
	s_or_b32 exec_lo, exec_lo, s3
	s_wait_loadcnt_dscnt 0x0
	s_barrier_signal -1
	s_barrier_wait -1
	global_inv scope:SCOPE_SE
	ds_load_u16 v22, v3
	ds_load_u16 v23, v4
	s_wait_dscnt 0x1
	v_bfe_i32 v24, v22, 0, 8
	v_ashrrev_i16 v25, 8, v22
	s_wait_dscnt 0x0
	v_lshrrev_b16 v22, 8, v23
	v_and_b32_e32 v26, 1, v23
	s_delay_alu instid0(VALU_DEP_3) | instskip(NEXT) | instid1(VALU_DEP_3)
	v_cmp_lt_i16_e64 s2, v24, v25
	v_cmp_ne_u16_e64 s4, v22, v19
	s_delay_alu instid0(VALU_DEP_3) | instskip(SKIP_1) | instid1(VALU_DEP_2)
	v_cmp_eq_u32_e64 s3, 1, v26
	s_wait_alu 0xf1ff
	v_cndmask_b32_e64 v19, 0, 1, s4
	s_and_b32 s2, s2, s3
	s_wait_alu 0xfffe
	s_delay_alu instid0(VALU_DEP_1) | instskip(NEXT) | instid1(VALU_DEP_1)
	v_cndmask_b32_e64 v19, v19, v21, s2
	v_and_b32_e32 v19, 1, v19
	s_delay_alu instid0(VALU_DEP_1)
	v_cmp_eq_u32_e64 s2, 1, v19
	v_lshl_add_u32 v19, v16, 3, v12
	s_and_saveexec_b32 s3, s2
	s_cbranch_execz .LBB10_21
; %bb.20:
	ds_load_b128 v[26:29], v19
	v_lshlrev_b16 v21, 8, v24
	v_and_b32_e32 v24, 0xff, v25
	v_lshlrev_b16 v30, 8, v23
	s_delay_alu instid0(VALU_DEP_1)
	v_or_b32_e32 v22, v22, v30
	s_wait_dscnt 0x0
	v_mov_b32_e32 v23, v28
	v_or_b32_e32 v21, v24, v21
	v_dual_mov_b32 v24, v29 :: v_dual_mov_b32 v25, v26
	v_mov_b32_e32 v26, v27
	ds_store_b16 v3, v21
	ds_store_b128 v19, v[23:26]
	ds_store_b16 v4, v22
.LBB10_21:
	s_wait_alu 0xfffe
	s_or_b32 exec_lo, exec_lo, s3
	v_and_b32_e32 v21, 7, v7
	s_wait_loadcnt_dscnt 0x0
	s_barrier_signal -1
	s_barrier_wait -1
	global_inv scope:SCOPE_SE
	v_sub_nc_u32_e32 v23, v16, v21
	v_bfe_u32 v29, v7, 3, 1
	s_delay_alu instid0(VALU_DEP_2)
	v_add_nc_u32_e32 v21, v15, v23
	v_add_nc_u32_e32 v22, v13, v23
	v_lshl_add_u32 v23, v23, 3, v12
	ds_load_u8 v25, v21
	ds_load_i8 v26, v22
	ds_load_i8 v28, v22 offset:8
	ds_load_u8 v27, v21 offset:8
	s_wait_dscnt 0x3
	v_and_b32_e32 v24, 1, v25
	s_wait_dscnt 0x1
	v_cmp_lt_i16_e64 s2, v26, v28
	s_wait_dscnt 0x0
	v_cmp_ne_u16_e64 s4, v27, v29
	v_cmp_eq_u32_e64 s3, 1, v24
	s_wait_alu 0xf1ff
	s_delay_alu instid0(VALU_DEP_2) | instskip(SKIP_3) | instid1(VALU_DEP_1)
	v_cndmask_b32_e64 v24, 0, 1, s4
	s_mov_b32 s4, exec_lo
	s_and_b32 s2, s2, s3
	s_wait_alu 0xfffe
	v_cndmask_b32_e64 v29, v24, v29, s2
	v_and_b32_e32 v24, 8, v7
	s_delay_alu instid0(VALU_DEP_2) | instskip(NEXT) | instid1(VALU_DEP_2)
	v_and_b32_e32 v29, 1, v29
	v_cmp_ne_u32_e64 s2, 0, v24
	s_delay_alu instid0(VALU_DEP_2)
	v_cmpx_eq_u32_e32 1, v29
	s_cbranch_execz .LBB10_23
; %bb.22:
	ds_load_2addr_b64 v[29:32], v23 offset1:8
	s_wait_dscnt 0x0
	ds_store_2addr_b64 v23, v[31:32], v[29:30] offset1:8
	ds_store_b8 v22, v28
	ds_store_b8 v22, v26 offset:8
	ds_store_b8 v21, v27
	ds_store_b8 v21, v25 offset:8
.LBB10_23:
	s_or_b32 exec_lo, exec_lo, s4
	s_wait_loadcnt_dscnt 0x0
	s_barrier_signal -1
	s_barrier_wait -1
	global_inv scope:SCOPE_SE
	ds_load_u8 v26, v17
	ds_load_i8 v27, v18
	ds_load_i8 v29, v18 offset:4
	ds_load_u8 v28, v17 offset:4
	v_lshrrev_b32_e32 v24, 3, v24
	v_cndmask_b32_e64 v25, 0, 1, s2
	s_wait_dscnt 0x3
	v_and_b32_e32 v30, 1, v26
	s_wait_dscnt 0x1
	v_cmp_lt_i16_e64 s2, v27, v29
	s_wait_dscnt 0x0
	v_cmp_ne_u16_e64 s4, v28, v24
	v_cmp_eq_u32_e64 s3, 1, v30
	s_wait_alu 0xf1ff
	s_delay_alu instid0(VALU_DEP_2) | instskip(SKIP_3) | instid1(VALU_DEP_1)
	v_cndmask_b32_e64 v30, 0, 1, s4
	s_and_b32 s2, s2, s3
	s_mov_b32 s3, exec_lo
	s_wait_alu 0xfffe
	v_cndmask_b32_e64 v30, v30, v25, s2
	s_delay_alu instid0(VALU_DEP_1) | instskip(NEXT) | instid1(VALU_DEP_1)
	v_and_b32_e32 v30, 1, v30
	v_cmpx_eq_u32_e32 1, v30
	s_cbranch_execz .LBB10_25
; %bb.24:
	ds_load_2addr_b64 v[30:33], v20 offset1:4
	s_wait_dscnt 0x0
	ds_store_2addr_b64 v20, v[32:33], v[30:31] offset1:4
	ds_store_b8 v18, v29
	ds_store_b8 v18, v27 offset:4
	ds_store_b8 v17, v28
	ds_store_b8 v17, v26 offset:4
.LBB10_25:
	s_or_b32 exec_lo, exec_lo, s3
	s_wait_loadcnt_dscnt 0x0
	s_barrier_signal -1
	s_barrier_wait -1
	global_inv scope:SCOPE_SE
	ds_load_u8 v26, v10
	ds_load_i8 v27, v11
	ds_load_i8 v29, v11 offset:2
	ds_load_u8 v28, v10 offset:2
	s_wait_dscnt 0x3
	v_and_b32_e32 v30, 1, v26
	s_wait_dscnt 0x1
	v_cmp_lt_i16_e64 s2, v27, v29
	s_wait_dscnt 0x0
	v_cmp_ne_u16_e64 s4, v28, v24
	v_cmp_eq_u32_e64 s3, 1, v30
	s_wait_alu 0xf1ff
	s_delay_alu instid0(VALU_DEP_2) | instskip(SKIP_3) | instid1(VALU_DEP_1)
	v_cndmask_b32_e64 v30, 0, 1, s4
	s_and_b32 s2, s2, s3
	s_mov_b32 s3, exec_lo
	s_wait_alu 0xfffe
	v_cndmask_b32_e64 v30, v30, v25, s2
	s_delay_alu instid0(VALU_DEP_1) | instskip(NEXT) | instid1(VALU_DEP_1)
	v_and_b32_e32 v30, 1, v30
	v_cmpx_eq_u32_e32 1, v30
	s_cbranch_execz .LBB10_27
; %bb.26:
	ds_load_2addr_b64 v[30:33], v14 offset1:2
	s_wait_dscnt 0x0
	ds_store_2addr_b64 v14, v[32:33], v[30:31] offset1:2
	ds_store_b8 v11, v29
	ds_store_b8 v11, v27 offset:2
	ds_store_b8 v10, v28
	ds_store_b8 v10, v26 offset:2
.LBB10_27:
	s_or_b32 exec_lo, exec_lo, s3
	s_wait_loadcnt_dscnt 0x0
	s_barrier_signal -1
	s_barrier_wait -1
	global_inv scope:SCOPE_SE
	ds_load_u16 v26, v3
	ds_load_u16 v27, v4
	s_wait_dscnt 0x1
	v_bfe_i32 v28, v26, 0, 8
	v_ashrrev_i16 v29, 8, v26
	s_wait_dscnt 0x0
	v_lshrrev_b16 v26, 8, v27
	v_and_b32_e32 v30, 1, v27
	s_delay_alu instid0(VALU_DEP_3) | instskip(NEXT) | instid1(VALU_DEP_3)
	v_cmp_lt_i16_e64 s2, v28, v29
	v_cmp_ne_u16_e64 s4, v26, v24
	s_delay_alu instid0(VALU_DEP_3) | instskip(SKIP_1) | instid1(VALU_DEP_2)
	v_cmp_eq_u32_e64 s3, 1, v30
	s_wait_alu 0xf1ff
	v_cndmask_b32_e64 v24, 0, 1, s4
	s_and_b32 s2, s2, s3
	s_mov_b32 s3, exec_lo
	s_wait_alu 0xfffe
	s_delay_alu instid0(VALU_DEP_1) | instskip(NEXT) | instid1(VALU_DEP_1)
	v_cndmask_b32_e64 v24, v24, v25, s2
	v_and_b32_e32 v24, 1, v24
	s_delay_alu instid0(VALU_DEP_1)
	v_cmpx_eq_u32_e32 1, v24
	s_cbranch_execz .LBB10_29
; %bb.28:
	ds_load_b128 v[30:33], v19
	v_lshlrev_b16 v24, 8, v28
	v_and_b32_e32 v25, 0xff, v29
	v_lshlrev_b16 v34, 8, v27
	s_wait_dscnt 0x0
	v_mov_b32_e32 v28, v33
	s_delay_alu instid0(VALU_DEP_3)
	v_or_b32_e32 v24, v25, v24
	v_mov_b32_e32 v27, v32
	v_dual_mov_b32 v29, v30 :: v_dual_mov_b32 v30, v31
	v_or_b32_e32 v25, v26, v34
	ds_store_b16 v3, v24
	ds_store_b128 v19, v[27:30]
	ds_store_b16 v4, v25
.LBB10_29:
	s_or_b32 exec_lo, exec_lo, s3
	v_and_b32_e32 v24, 15, v7
	s_wait_loadcnt_dscnt 0x0
	s_barrier_signal -1
	s_barrier_wait -1
	global_inv scope:SCOPE_SE
	v_sub_nc_u32_e32 v16, v16, v24
	s_delay_alu instid0(VALU_DEP_1)
	v_add_nc_u32_e32 v15, v15, v16
	v_add_nc_u32_e32 v13, v13, v16
	ds_load_u8 v24, v15
	ds_load_u8 v27, v15 offset:16
	ds_load_i8 v25, v13
	ds_load_i8 v26, v13 offset:16
	s_wait_dscnt 0x2
	v_and_b32_e32 v27, 0xff, v27
	v_and_b32_e32 v28, 1, v24
	s_wait_dscnt 0x0
	v_cmp_ge_i16_e64 s3, v25, v26
	s_delay_alu instid0(VALU_DEP_3) | instskip(NEXT) | instid1(VALU_DEP_3)
	v_cmp_ne_u16_e64 s4, 0, v27
	v_cmp_eq_u32_e64 s2, 1, v28
	s_xor_b32 s2, s2, -1
	s_wait_alu 0xfffe
	s_or_b32 s2, s3, s2
	s_wait_alu 0xfffe
	s_and_b32 s3, s2, s4
	s_wait_alu 0xfffe
	s_and_saveexec_b32 s2, s3
	s_cbranch_execz .LBB10_31
; %bb.30:
	v_lshl_add_u32 v12, v16, 3, v12
	v_mov_b32_e32 v16, 1
	ds_load_2addr_b64 v[27:30], v12 offset1:16
	s_wait_dscnt 0x0
	ds_store_2addr_b64 v12, v[29:30], v[27:28] offset1:16
	ds_store_b8 v13, v26
	ds_store_b8 v13, v25 offset:16
	ds_store_b8 v15, v16
	ds_store_b8 v15, v24 offset:16
.LBB10_31:
	s_wait_alu 0xfffe
	s_or_b32 exec_lo, exec_lo, s2
	s_wait_loadcnt_dscnt 0x0
	s_barrier_signal -1
	s_barrier_wait -1
	global_inv scope:SCOPE_SE
	ds_load_u8 v12, v21
	ds_load_u8 v16, v21 offset:8
	ds_load_i8 v13, v22
	ds_load_i8 v15, v22 offset:8
	s_wait_dscnt 0x3
	v_and_b32_e32 v24, 1, v12
	s_wait_dscnt 0x2
	v_and_b32_e32 v16, 0xff, v16
	s_wait_dscnt 0x0
	v_cmp_ge_i16_e64 s3, v13, v15
	v_cmp_eq_u32_e64 s2, 1, v24
	s_delay_alu instid0(VALU_DEP_3)
	v_cmp_ne_u16_e64 s4, 0, v16
	s_xor_b32 s2, s2, -1
	s_wait_alu 0xfffe
	s_or_b32 s2, s3, s2
	s_wait_alu 0xfffe
	s_and_b32 s3, s2, s4
	s_wait_alu 0xfffe
	s_and_saveexec_b32 s2, s3
	s_cbranch_execz .LBB10_33
; %bb.32:
	ds_load_2addr_b64 v[24:27], v23 offset1:8
	v_mov_b32_e32 v16, 1
	s_wait_dscnt 0x0
	ds_store_2addr_b64 v23, v[26:27], v[24:25] offset1:8
	ds_store_b8 v22, v15
	ds_store_b8 v22, v13 offset:8
	ds_store_b8 v21, v16
	ds_store_b8 v21, v12 offset:8
.LBB10_33:
	s_wait_alu 0xfffe
	s_or_b32 exec_lo, exec_lo, s2
	s_wait_loadcnt_dscnt 0x0
	s_barrier_signal -1
	s_barrier_wait -1
	global_inv scope:SCOPE_SE
	ds_load_u8 v12, v17
	ds_load_u8 v16, v17 offset:4
	ds_load_i8 v13, v18
	ds_load_i8 v15, v18 offset:4
	s_wait_dscnt 0x3
	v_and_b32_e32 v21, 1, v12
	s_wait_dscnt 0x2
	v_and_b32_e32 v16, 0xff, v16
	s_wait_dscnt 0x0
	v_cmp_ge_i16_e64 s3, v13, v15
	v_cmp_eq_u32_e64 s2, 1, v21
	s_delay_alu instid0(VALU_DEP_3)
	v_cmp_ne_u16_e64 s4, 0, v16
	s_xor_b32 s2, s2, -1
	s_wait_alu 0xfffe
	s_or_b32 s2, s3, s2
	s_wait_alu 0xfffe
	s_and_b32 s3, s2, s4
	s_wait_alu 0xfffe
	s_and_saveexec_b32 s2, s3
	s_cbranch_execz .LBB10_35
; %bb.34:
	ds_load_2addr_b64 v[21:24], v20 offset1:4
	v_mov_b32_e32 v16, 1
	s_wait_dscnt 0x0
	ds_store_2addr_b64 v20, v[23:24], v[21:22] offset1:4
	ds_store_b8 v18, v15
	ds_store_b8 v18, v13 offset:4
	ds_store_b8 v17, v16
	ds_store_b8 v17, v12 offset:4
.LBB10_35:
	;; [unrolled: 37-line block ×3, first 2 shown]
	s_wait_alu 0xfffe
	s_or_b32 exec_lo, exec_lo, s2
	s_wait_loadcnt_dscnt 0x0
	s_barrier_signal -1
	s_barrier_wait -1
	global_inv scope:SCOPE_SE
	ds_load_u16 v10, v4
	ds_load_u16 v12, v3
	s_wait_dscnt 0x1
	v_and_b32_e32 v13, 1, v10
	s_wait_dscnt 0x0
	v_bfe_i32 v11, v12, 0, 8
	v_ashrrev_i16 v12, 8, v12
	v_lshrrev_b16 v14, 8, v10
	v_cmp_eq_u32_e64 s2, 1, v13
	s_delay_alu instid0(VALU_DEP_3) | instskip(NEXT) | instid1(VALU_DEP_3)
	v_cmp_ge_i16_e64 s3, v11, v12
	v_cmp_ne_u16_e64 s4, 0, v14
	s_xor_b32 s2, s2, -1
	s_wait_alu 0xfffe
	s_or_b32 s2, s3, s2
	s_wait_alu 0xfffe
	s_and_b32 s3, s2, s4
	s_wait_alu 0xfffe
	s_and_saveexec_b32 s2, s3
	s_cbranch_execz .LBB10_39
; %bb.38:
	ds_load_b128 v[13:16], v19
	v_lshlrev_b16 v11, 8, v11
	v_and_b32_e32 v12, 0xff, v12
	v_lshlrev_b16 v17, 8, v10
	s_delay_alu instid0(VALU_DEP_2)
	v_or_b32_e32 v18, v12, v11
	s_wait_dscnt 0x0
	v_dual_mov_b32 v10, v15 :: v_dual_mov_b32 v11, v16
	v_dual_mov_b32 v12, v13 :: v_dual_mov_b32 v13, v14
	v_or_b32_e32 v14, 1, v17
	ds_store_b16 v3, v18
	ds_store_b128 v19, v[10:13]
	ds_store_b16 v4, v14
.LBB10_39:
	s_wait_alu 0xfffe
	s_or_b32 exec_lo, exec_lo, s2
	s_wait_loadcnt_dscnt 0x0
	s_barrier_signal -1
	s_barrier_wait -1
	global_inv scope:SCOPE_SE
	s_and_saveexec_b32 s2, s0
	s_cbranch_execz .LBB10_44
; %bb.40:
	s_and_saveexec_b32 s0, vcc_lo
	s_cbranch_execz .LBB10_42
; %bb.41:
	v_mad_co_u64_u32 v[3:4], null, v7, s7, v[2:3]
	ds_load_u8 v12, v9
	ds_load_b64 v[8:9], v8
	v_mov_b32_e32 v4, 0
	v_mad_co_u64_u32 v[10:11], null, v7, s6, v[0:1]
	s_delay_alu instid0(VALU_DEP_2) | instskip(NEXT) | instid1(VALU_DEP_1)
	v_lshlrev_b64_e32 v[3:4], 3, v[3:4]
	v_add_co_u32 v3, vcc_lo, s10, v3
	s_wait_alu 0xfffd
	s_delay_alu instid0(VALU_DEP_2)
	v_add_co_ci_u32_e64 v4, null, s11, v4, vcc_lo
	s_wait_dscnt 0x1
	global_store_b8 v10, v12, s[8:9]
	s_wait_dscnt 0x0
	global_store_b64 v[3:4], v[8:9], off
.LBB10_42:
	s_wait_alu 0xfffe
	s_or_b32 exec_lo, exec_lo, s0
	s_delay_alu instid0(SALU_CYCLE_1)
	s_and_b32 exec_lo, exec_lo, s1
	s_cbranch_execz .LBB10_44
; %bb.43:
	v_mad_co_u64_u32 v[2:3], null, v1, s7, v[2:3]
	ds_load_u8 v7, v5
	ds_load_b64 v[4:5], v6
	v_mov_b32_e32 v3, 0
	v_mad_co_u64_u32 v[0:1], null, v1, s6, v[0:1]
	s_delay_alu instid0(VALU_DEP_2) | instskip(NEXT) | instid1(VALU_DEP_1)
	v_lshlrev_b64_e32 v[2:3], 3, v[2:3]
	v_add_co_u32 v1, vcc_lo, s10, v2
	s_wait_alu 0xfffd
	s_delay_alu instid0(VALU_DEP_2)
	v_add_co_ci_u32_e64 v2, null, s11, v3, vcc_lo
	s_wait_dscnt 0x1
	global_store_b8 v0, v7, s[8:9]
	s_wait_dscnt 0x0
	global_store_b64 v[1:2], v[4:5], off
.LBB10_44:
	s_endpgm
	.section	.rodata,"a",@progbits
	.p2align	6, 0x0
	.amdhsa_kernel _ZN2at6native20bitonicSortKVInPlaceILi2ELin1ELi16ELi16EalNS0_4LTOpIaLb1EEEjEEvNS_4cuda6detail10TensorInfoIT3_T6_EES8_S8_S8_NS6_IT4_S8_EES8_T5_
		.amdhsa_group_segment_fixed_size 5120
		.amdhsa_private_segment_fixed_size 0
		.amdhsa_kernarg_size 712
		.amdhsa_user_sgpr_count 2
		.amdhsa_user_sgpr_dispatch_ptr 0
		.amdhsa_user_sgpr_queue_ptr 0
		.amdhsa_user_sgpr_kernarg_segment_ptr 1
		.amdhsa_user_sgpr_dispatch_id 0
		.amdhsa_user_sgpr_private_segment_size 0
		.amdhsa_wavefront_size32 1
		.amdhsa_uses_dynamic_stack 0
		.amdhsa_enable_private_segment 0
		.amdhsa_system_sgpr_workgroup_id_x 1
		.amdhsa_system_sgpr_workgroup_id_y 1
		.amdhsa_system_sgpr_workgroup_id_z 1
		.amdhsa_system_sgpr_workgroup_info 0
		.amdhsa_system_vgpr_workitem_id 1
		.amdhsa_next_free_vgpr 35
		.amdhsa_next_free_sgpr 19
		.amdhsa_reserve_vcc 1
		.amdhsa_float_round_mode_32 0
		.amdhsa_float_round_mode_16_64 0
		.amdhsa_float_denorm_mode_32 3
		.amdhsa_float_denorm_mode_16_64 3
		.amdhsa_fp16_overflow 0
		.amdhsa_workgroup_processor_mode 1
		.amdhsa_memory_ordered 1
		.amdhsa_forward_progress 1
		.amdhsa_inst_pref_size 38
		.amdhsa_round_robin_scheduling 0
		.amdhsa_exception_fp_ieee_invalid_op 0
		.amdhsa_exception_fp_denorm_src 0
		.amdhsa_exception_fp_ieee_div_zero 0
		.amdhsa_exception_fp_ieee_overflow 0
		.amdhsa_exception_fp_ieee_underflow 0
		.amdhsa_exception_fp_ieee_inexact 0
		.amdhsa_exception_int_div_zero 0
	.end_amdhsa_kernel
	.section	.text._ZN2at6native20bitonicSortKVInPlaceILi2ELin1ELi16ELi16EalNS0_4LTOpIaLb1EEEjEEvNS_4cuda6detail10TensorInfoIT3_T6_EES8_S8_S8_NS6_IT4_S8_EES8_T5_,"axG",@progbits,_ZN2at6native20bitonicSortKVInPlaceILi2ELin1ELi16ELi16EalNS0_4LTOpIaLb1EEEjEEvNS_4cuda6detail10TensorInfoIT3_T6_EES8_S8_S8_NS6_IT4_S8_EES8_T5_,comdat
.Lfunc_end10:
	.size	_ZN2at6native20bitonicSortKVInPlaceILi2ELin1ELi16ELi16EalNS0_4LTOpIaLb1EEEjEEvNS_4cuda6detail10TensorInfoIT3_T6_EES8_S8_S8_NS6_IT4_S8_EES8_T5_, .Lfunc_end10-_ZN2at6native20bitonicSortKVInPlaceILi2ELin1ELi16ELi16EalNS0_4LTOpIaLb1EEEjEEvNS_4cuda6detail10TensorInfoIT3_T6_EES8_S8_S8_NS6_IT4_S8_EES8_T5_
                                        ; -- End function
	.set _ZN2at6native20bitonicSortKVInPlaceILi2ELin1ELi16ELi16EalNS0_4LTOpIaLb1EEEjEEvNS_4cuda6detail10TensorInfoIT3_T6_EES8_S8_S8_NS6_IT4_S8_EES8_T5_.num_vgpr, 35
	.set _ZN2at6native20bitonicSortKVInPlaceILi2ELin1ELi16ELi16EalNS0_4LTOpIaLb1EEEjEEvNS_4cuda6detail10TensorInfoIT3_T6_EES8_S8_S8_NS6_IT4_S8_EES8_T5_.num_agpr, 0
	.set _ZN2at6native20bitonicSortKVInPlaceILi2ELin1ELi16ELi16EalNS0_4LTOpIaLb1EEEjEEvNS_4cuda6detail10TensorInfoIT3_T6_EES8_S8_S8_NS6_IT4_S8_EES8_T5_.numbered_sgpr, 19
	.set _ZN2at6native20bitonicSortKVInPlaceILi2ELin1ELi16ELi16EalNS0_4LTOpIaLb1EEEjEEvNS_4cuda6detail10TensorInfoIT3_T6_EES8_S8_S8_NS6_IT4_S8_EES8_T5_.num_named_barrier, 0
	.set _ZN2at6native20bitonicSortKVInPlaceILi2ELin1ELi16ELi16EalNS0_4LTOpIaLb1EEEjEEvNS_4cuda6detail10TensorInfoIT3_T6_EES8_S8_S8_NS6_IT4_S8_EES8_T5_.private_seg_size, 0
	.set _ZN2at6native20bitonicSortKVInPlaceILi2ELin1ELi16ELi16EalNS0_4LTOpIaLb1EEEjEEvNS_4cuda6detail10TensorInfoIT3_T6_EES8_S8_S8_NS6_IT4_S8_EES8_T5_.uses_vcc, 1
	.set _ZN2at6native20bitonicSortKVInPlaceILi2ELin1ELi16ELi16EalNS0_4LTOpIaLb1EEEjEEvNS_4cuda6detail10TensorInfoIT3_T6_EES8_S8_S8_NS6_IT4_S8_EES8_T5_.uses_flat_scratch, 0
	.set _ZN2at6native20bitonicSortKVInPlaceILi2ELin1ELi16ELi16EalNS0_4LTOpIaLb1EEEjEEvNS_4cuda6detail10TensorInfoIT3_T6_EES8_S8_S8_NS6_IT4_S8_EES8_T5_.has_dyn_sized_stack, 0
	.set _ZN2at6native20bitonicSortKVInPlaceILi2ELin1ELi16ELi16EalNS0_4LTOpIaLb1EEEjEEvNS_4cuda6detail10TensorInfoIT3_T6_EES8_S8_S8_NS6_IT4_S8_EES8_T5_.has_recursion, 0
	.set _ZN2at6native20bitonicSortKVInPlaceILi2ELin1ELi16ELi16EalNS0_4LTOpIaLb1EEEjEEvNS_4cuda6detail10TensorInfoIT3_T6_EES8_S8_S8_NS6_IT4_S8_EES8_T5_.has_indirect_call, 0
	.section	.AMDGPU.csdata,"",@progbits
; Kernel info:
; codeLenInByte = 4860
; TotalNumSgprs: 21
; NumVgprs: 35
; ScratchSize: 0
; MemoryBound: 0
; FloatMode: 240
; IeeeMode: 1
; LDSByteSize: 5120 bytes/workgroup (compile time only)
; SGPRBlocks: 0
; VGPRBlocks: 4
; NumSGPRsForWavesPerEU: 21
; NumVGPRsForWavesPerEU: 35
; Occupancy: 16
; WaveLimiterHint : 1
; COMPUTE_PGM_RSRC2:SCRATCH_EN: 0
; COMPUTE_PGM_RSRC2:USER_SGPR: 2
; COMPUTE_PGM_RSRC2:TRAP_HANDLER: 0
; COMPUTE_PGM_RSRC2:TGID_X_EN: 1
; COMPUTE_PGM_RSRC2:TGID_Y_EN: 1
; COMPUTE_PGM_RSRC2:TGID_Z_EN: 1
; COMPUTE_PGM_RSRC2:TIDIG_COMP_CNT: 1
	.section	.text._ZN2at6native20bitonicSortKVInPlaceILi2ELin1ELi16ELi16EalNS0_4GTOpIaLb1EEEjEEvNS_4cuda6detail10TensorInfoIT3_T6_EES8_S8_S8_NS6_IT4_S8_EES8_T5_,"axG",@progbits,_ZN2at6native20bitonicSortKVInPlaceILi2ELin1ELi16ELi16EalNS0_4GTOpIaLb1EEEjEEvNS_4cuda6detail10TensorInfoIT3_T6_EES8_S8_S8_NS6_IT4_S8_EES8_T5_,comdat
	.protected	_ZN2at6native20bitonicSortKVInPlaceILi2ELin1ELi16ELi16EalNS0_4GTOpIaLb1EEEjEEvNS_4cuda6detail10TensorInfoIT3_T6_EES8_S8_S8_NS6_IT4_S8_EES8_T5_ ; -- Begin function _ZN2at6native20bitonicSortKVInPlaceILi2ELin1ELi16ELi16EalNS0_4GTOpIaLb1EEEjEEvNS_4cuda6detail10TensorInfoIT3_T6_EES8_S8_S8_NS6_IT4_S8_EES8_T5_
	.globl	_ZN2at6native20bitonicSortKVInPlaceILi2ELin1ELi16ELi16EalNS0_4GTOpIaLb1EEEjEEvNS_4cuda6detail10TensorInfoIT3_T6_EES8_S8_S8_NS6_IT4_S8_EES8_T5_
	.p2align	8
	.type	_ZN2at6native20bitonicSortKVInPlaceILi2ELin1ELi16ELi16EalNS0_4GTOpIaLb1EEEjEEvNS_4cuda6detail10TensorInfoIT3_T6_EES8_S8_S8_NS6_IT4_S8_EES8_T5_,@function
_ZN2at6native20bitonicSortKVInPlaceILi2ELin1ELi16ELi16EalNS0_4GTOpIaLb1EEEjEEvNS_4cuda6detail10TensorInfoIT3_T6_EES8_S8_S8_NS6_IT4_S8_EES8_T5_: ; @_ZN2at6native20bitonicSortKVInPlaceILi2ELin1ELi16ELi16EalNS0_4GTOpIaLb1EEEjEEvNS_4cuda6detail10TensorInfoIT3_T6_EES8_S8_S8_NS6_IT4_S8_EES8_T5_
; %bb.0:
	s_clause 0x2
	s_load_b64 s[2:3], s[0:1], 0x1c8
	s_load_u16 s7, s[0:1], 0x1d6
	s_load_b96 s[4:6], s[0:1], 0xd8
	s_lshr_b32 s8, ttmp7, 16
	s_wait_kmcnt 0x0
	s_mul_i32 s3, s3, s8
	s_and_b32 s8, ttmp7, 0xffff
	s_delay_alu instid0(SALU_CYCLE_1) | instskip(NEXT) | instid1(SALU_CYCLE_1)
	s_add_co_i32 s3, s3, s8
	s_mul_i32 s2, s3, s2
	s_delay_alu instid0(SALU_CYCLE_1) | instskip(NEXT) | instid1(SALU_CYCLE_1)
	s_add_co_i32 s10, s2, ttmp9
	s_mul_i32 s10, s10, s7
	s_delay_alu instid0(SALU_CYCLE_1)
	s_cmp_ge_u32 s10, s4
	s_cbranch_scc1 .LBB11_44
; %bb.1:
	s_clause 0x2
	s_load_b32 s7, s[0:1], 0xc
	s_load_b64 s[2:3], s[0:1], 0x6c
	s_load_b32 s14, s[0:1], 0x1b8
	v_bfe_u32 v8, v0, 10, 10
	s_mov_b32 s13, 0
	s_delay_alu instid0(VALU_DEP_1) | instskip(SKIP_3) | instid1(SALU_CYCLE_2)
	v_add_nc_u32_e32 v4, s10, v8
	s_wait_kmcnt 0x0
	s_cvt_f32_u32 s8, s7
	s_sub_co_i32 s12, 0, s7
	v_rcp_iflag_f32_e32 v1, s8
	s_delay_alu instid0(TRANS32_DEP_1) | instskip(SKIP_3) | instid1(SALU_CYCLE_2)
	v_readfirstlane_b32 s8, v1
	v_mov_b32_e32 v1, 0
	s_mul_f32 s11, s8, 0x4f7ffffe
	s_load_b64 s[8:9], s[0:1], 0x0
	s_cvt_u32_f32 s11, s11
	s_wait_alu 0xfffe
	s_delay_alu instid0(SALU_CYCLE_2) | instskip(NEXT) | instid1(SALU_CYCLE_1)
	s_mul_i32 s12, s12, s11
	s_mul_hi_u32 s10, s11, s12
	s_wait_alu 0xfffe
	s_add_co_i32 s11, s11, s10
	s_cmp_lt_i32 s14, 2
	s_wait_alu 0xfffe
	v_mad_co_u64_u32 v[2:3], null, v4, s11, 0
	s_add_nc_u64 s[10:11], s[0:1], 0xe8
	s_cbranch_scc1 .LBB11_4
; %bb.2:
	s_add_co_i32 s12, s14, -1
	v_mov_b32_e32 v1, 0
	s_lshl_b64 s[12:13], s[12:13], 2
	v_mov_b32_e32 v5, v4
	s_wait_alu 0xfffe
	s_add_nc_u64 s[12:13], s[10:11], s[12:13]
	s_add_co_i32 s14, s14, 1
	s_add_nc_u64 s[12:13], s[12:13], 8
.LBB11_3:                               ; =>This Inner Loop Header: Depth=1
	s_clause 0x1
	s_load_b32 s15, s[12:13], 0x0
	s_load_b32 s16, s[12:13], 0x64
	s_add_co_i32 s14, s14, -1
	s_add_nc_u64 s[12:13], s[12:13], -4
	s_wait_kmcnt 0x0
	s_cvt_f32_u32 s17, s15
	s_sub_co_i32 s18, 0, s15
	s_wait_alu 0xfffe
	s_delay_alu instid0(SALU_CYCLE_1) | instskip(NEXT) | instid1(TRANS32_DEP_1)
	v_rcp_iflag_f32_e32 v2, s17
	v_readfirstlane_b32 s17, v2
	v_mov_b32_e32 v2, v5
	s_mul_f32 s17, s17, 0x4f7ffffe
	s_wait_alu 0xfffe
	s_delay_alu instid0(SALU_CYCLE_2) | instskip(SKIP_1) | instid1(SALU_CYCLE_2)
	s_cvt_u32_f32 s17, s17
	s_wait_alu 0xfffe
	s_mul_i32 s18, s18, s17
	s_delay_alu instid0(SALU_CYCLE_1) | instskip(NEXT) | instid1(SALU_CYCLE_1)
	s_mul_hi_u32 s18, s17, s18
	s_add_co_i32 s17, s17, s18
	s_cmp_gt_u32 s14, 2
	s_wait_alu 0xfffe
	v_mul_hi_u32 v5, v2, s17
	s_delay_alu instid0(VALU_DEP_1) | instskip(SKIP_1) | instid1(VALU_DEP_2)
	v_mul_lo_u32 v6, v5, s15
	v_add_nc_u32_e32 v7, 1, v5
	v_sub_nc_u32_e32 v6, v2, v6
	s_delay_alu instid0(VALU_DEP_1) | instskip(SKIP_2) | instid1(VALU_DEP_2)
	v_subrev_nc_u32_e32 v9, s15, v6
	v_cmp_le_u32_e32 vcc_lo, s15, v6
	s_wait_alu 0xfffd
	v_dual_cndmask_b32 v5, v5, v7 :: v_dual_cndmask_b32 v6, v6, v9
	s_delay_alu instid0(VALU_DEP_1) | instskip(NEXT) | instid1(VALU_DEP_2)
	v_add_nc_u32_e32 v7, 1, v5
	v_cmp_le_u32_e32 vcc_lo, s15, v6
	s_wait_alu 0xfffd
	s_delay_alu instid0(VALU_DEP_2) | instskip(NEXT) | instid1(VALU_DEP_1)
	v_cndmask_b32_e32 v5, v5, v7, vcc_lo
	v_mul_lo_u32 v6, v5, s15
	s_delay_alu instid0(VALU_DEP_1) | instskip(NEXT) | instid1(VALU_DEP_1)
	v_sub_nc_u32_e32 v2, v2, v6
	v_mad_co_u64_u32 v[1:2], null, s16, v2, v[1:2]
	s_cbranch_scc1 .LBB11_3
	s_branch .LBB11_5
.LBB11_4:
	v_mov_b32_e32 v5, v4
.LBB11_5:
	v_mul_lo_u32 v2, v3, s7
	v_add_nc_u32_e32 v6, 1, v3
	s_load_b32 s14, s[10:11], 0x6c
	s_add_nc_u64 s[12:13], s[0:1], 0x1c8
	v_mov_b32_e32 v10, 0
	s_load_b32 s12, s[12:13], 0xc
	v_mov_b32_e32 v11, 0
	s_delay_alu instid0(VALU_DEP_4) | instskip(NEXT) | instid1(VALU_DEP_1)
	v_sub_nc_u32_e32 v2, v4, v2
	v_subrev_nc_u32_e32 v7, s7, v2
	v_cmp_le_u32_e32 vcc_lo, s7, v2
	s_wait_alu 0xfffd
	s_delay_alu instid0(VALU_DEP_2) | instskip(SKIP_1) | instid1(VALU_DEP_2)
	v_dual_cndmask_b32 v3, v3, v6 :: v_dual_cndmask_b32 v2, v2, v7
	v_and_b32_e32 v7, 0x3ff, v0
	v_add_nc_u32_e32 v6, 1, v3
	s_delay_alu instid0(VALU_DEP_3) | instskip(SKIP_1) | instid1(VALU_DEP_2)
	v_cmp_le_u32_e32 vcc_lo, s7, v2
	s_wait_alu 0xfffd
	v_cndmask_b32_e32 v6, v3, v6, vcc_lo
	v_cmp_gt_u32_e32 vcc_lo, s5, v7
	s_delay_alu instid0(VALU_DEP_2) | instskip(SKIP_4) | instid1(VALU_DEP_2)
	v_mul_lo_u32 v2, v6, s7
	s_clause 0x1
	s_load_b32 s7, s[0:1], 0x1c0
	s_load_b64 s[10:11], s[10:11], 0x0
	v_cmp_gt_u32_e64 s0, s4, v4
	v_sub_nc_u32_e32 v2, v4, v2
	s_delay_alu instid0(VALU_DEP_1) | instskip(SKIP_4) | instid1(VALU_DEP_4)
	v_mul_lo_u32 v0, v2, s3
	s_wait_kmcnt 0x0
	v_mad_co_u64_u32 v[2:3], null, s14, v5, v[1:2]
	v_mov_b32_e32 v3, 0
	v_mov_b32_e32 v4, 0
	v_mad_co_u64_u32 v[0:1], null, v6, s2, v[0:1]
	v_mov_b32_e32 v5, 0
	v_mov_b32_e32 v6, 0
	s_and_b32 s2, s0, vcc_lo
	s_wait_alu 0xfffe
	s_and_saveexec_b32 s3, s2
	s_cbranch_execz .LBB11_7
; %bb.6:
	v_mad_co_u64_u32 v[5:6], null, v7, s7, v[2:3]
	v_mov_b32_e32 v6, 0
	v_mad_co_u64_u32 v[11:12], null, v7, s6, v[0:1]
	s_delay_alu instid0(VALU_DEP_2) | instskip(NEXT) | instid1(VALU_DEP_1)
	v_lshlrev_b64_e32 v[5:6], 3, v[5:6]
	v_add_co_u32 v5, s1, s10, v5
	s_delay_alu instid0(VALU_DEP_1)
	v_add_co_ci_u32_e64 v6, null, s11, v6, s1
	global_load_u8 v11, v11, s[8:9]
	global_load_b64 v[5:6], v[5:6], off
.LBB11_7:
	s_wait_alu 0xfffe
	s_or_b32 exec_lo, exec_lo, s3
	v_lshlrev_b32_e32 v9, 5, v8
	s_and_b32 s3, 0xffff, s12
	v_lshlrev_b32_e32 v12, 8, v8
	s_wait_alu 0xfffe
	v_add_nc_u32_e32 v1, s3, v7
	v_cndmask_b32_e64 v14, 0, 1, s2
	v_add_nc_u32_e32 v13, 0x1000, v9
	v_add_nc_u32_e32 v15, 0x1200, v9
	v_lshl_add_u32 v8, v7, 3, v12
	v_cmp_gt_u32_e64 s1, s5, v1
	s_delay_alu instid0(VALU_DEP_4) | instskip(NEXT) | instid1(VALU_DEP_4)
	v_add_nc_u32_e32 v9, v13, v7
	v_add_nc_u32_e32 v16, v15, v7
	s_wait_loadcnt 0x1
	ds_store_b8 v9, v11
	s_wait_loadcnt 0x0
	ds_store_b64 v8, v[5:6]
	ds_store_b8 v16, v14
	s_and_b32 s4, s0, s1
	s_wait_alu 0xfffe
	s_and_saveexec_b32 s5, s4
	s_cbranch_execz .LBB11_9
; %bb.8:
	v_mad_co_u64_u32 v[3:4], null, v1, s7, v[2:3]
	v_mov_b32_e32 v4, 0
	v_mad_co_u64_u32 v[5:6], null, v1, s6, v[0:1]
	s_delay_alu instid0(VALU_DEP_2) | instskip(NEXT) | instid1(VALU_DEP_1)
	v_lshlrev_b64_e32 v[3:4], 3, v[3:4]
	v_add_co_u32 v3, s2, s10, v3
	s_wait_alu 0xf1ff
	s_delay_alu instid0(VALU_DEP_2)
	v_add_co_ci_u32_e64 v4, null, s11, v4, s2
	global_load_u8 v10, v5, s[8:9]
	global_load_b64 v[3:4], v[3:4], off
.LBB11_9:
	s_wait_alu 0xfffe
	s_or_b32 exec_lo, exec_lo, s5
	v_add_nc_u32_e32 v5, v13, v1
	v_lshlrev_b32_e32 v16, 1, v7
	v_lshl_add_u32 v6, s3, 3, v8
	v_cndmask_b32_e64 v11, 0, 1, s4
	v_add_nc_u32_e32 v14, v15, v1
	s_wait_loadcnt 0x1
	ds_store_b8 v5, v10
	s_wait_loadcnt 0x0
	ds_store_b64 v6, v[3:4]
	ds_store_b8 v14, v11
	v_add_nc_u32_e32 v3, v13, v16
	v_add_nc_u32_e32 v4, v15, v16
	s_wait_dscnt 0x0
	s_barrier_signal -1
	s_barrier_wait -1
	global_inv scope:SCOPE_SE
	ds_load_u16 v11, v3
	ds_load_u16 v14, v4
	v_and_b32_e32 v10, 1, v7
	s_wait_dscnt 0x1
	v_bfe_i32 v18, v11, 0, 8
	v_ashrrev_i16 v19, 8, v11
	s_wait_dscnt 0x0
	v_lshrrev_b16 v11, 8, v14
	v_and_b32_e32 v17, 1, v14
	s_delay_alu instid0(VALU_DEP_3) | instskip(NEXT) | instid1(VALU_DEP_3)
	v_cmp_gt_i16_e64 s2, v18, v19
	v_cmp_ne_u16_e64 s4, v11, v10
	s_delay_alu instid0(VALU_DEP_3) | instskip(SKIP_1) | instid1(VALU_DEP_2)
	v_cmp_eq_u32_e64 s3, 1, v17
	s_wait_alu 0xf1ff
	v_cndmask_b32_e64 v17, 0, 1, s4
	s_and_b32 s2, s2, s3
	s_wait_alu 0xfffe
	s_delay_alu instid0(VALU_DEP_1) | instskip(NEXT) | instid1(VALU_DEP_1)
	v_cndmask_b32_e64 v17, v17, v7, s2
	v_and_b32_e32 v17, 1, v17
	s_delay_alu instid0(VALU_DEP_1)
	v_cmp_eq_u32_e64 s2, 1, v17
	v_lshl_add_u32 v17, v7, 3, v8
	s_and_saveexec_b32 s3, s2
	s_wait_alu 0xfffe
	s_xor_b32 s2, exec_lo, s3
	s_cbranch_execz .LBB11_11
; %bb.10:
	ds_load_b128 v[20:23], v17
	v_lshlrev_b16 v18, 8, v18
	v_and_b32_e32 v19, 0xff, v19
	v_lshlrev_b16 v14, 8, v14
	s_delay_alu instid0(VALU_DEP_2) | instskip(NEXT) | instid1(VALU_DEP_2)
	v_or_b32_e32 v24, v19, v18
	v_or_b32_e32 v11, v11, v14
	s_wait_dscnt 0x0
	v_dual_mov_b32 v18, v22 :: v_dual_mov_b32 v19, v23
	ds_store_b16 v3, v24
	ds_store_b128 v17, v[18:21]
	ds_store_b16 v4, v11
.LBB11_11:
	s_wait_alu 0xfffe
	s_or_b32 exec_lo, exec_lo, s2
	v_sub_nc_u32_e32 v14, v16, v10
	s_wait_loadcnt_dscnt 0x0
	s_barrier_signal -1
	s_barrier_wait -1
	global_inv scope:SCOPE_SE
	v_add_nc_u32_e32 v10, v15, v14
	v_add_nc_u32_e32 v11, v13, v14
	v_bfe_u32 v23, v7, 1, 1
	v_lshl_add_u32 v14, v14, 3, v12
	ds_load_u8 v19, v10
	ds_load_i8 v20, v11
	ds_load_i8 v22, v11 offset:2
	ds_load_u8 v21, v10 offset:2
	s_wait_dscnt 0x3
	v_and_b32_e32 v18, 1, v19
	s_wait_dscnt 0x1
	v_cmp_gt_i16_e64 s2, v20, v22
	s_wait_dscnt 0x0
	v_cmp_ne_u16_e64 s4, v21, v23
	v_cmp_eq_u32_e64 s3, 1, v18
	s_wait_alu 0xf1ff
	s_delay_alu instid0(VALU_DEP_2) | instskip(SKIP_2) | instid1(VALU_DEP_1)
	v_cndmask_b32_e64 v18, 0, 1, s4
	s_and_b32 s2, s2, s3
	s_wait_alu 0xfffe
	v_cndmask_b32_e64 v23, v18, v23, s2
	v_and_b32_e32 v18, 2, v7
	s_delay_alu instid0(VALU_DEP_2) | instskip(NEXT) | instid1(VALU_DEP_2)
	v_and_b32_e32 v23, 1, v23
	v_cmp_ne_u32_e64 s2, 0, v18
	s_delay_alu instid0(VALU_DEP_2)
	v_cmp_eq_u32_e64 s3, 1, v23
	s_and_saveexec_b32 s4, s3
	s_wait_alu 0xfffe
	s_xor_b32 s3, exec_lo, s4
	s_cbranch_execz .LBB11_13
; %bb.12:
	ds_load_2addr_b64 v[23:26], v14 offset1:2
	s_wait_dscnt 0x0
	ds_store_2addr_b64 v14, v[25:26], v[23:24] offset1:2
	ds_store_b8 v11, v22
	ds_store_b8 v11, v20 offset:2
	ds_store_b8 v10, v21
	ds_store_b8 v10, v19 offset:2
.LBB11_13:
	s_wait_alu 0xfffe
	s_or_b32 exec_lo, exec_lo, s3
	s_wait_loadcnt_dscnt 0x0
	s_barrier_signal -1
	s_barrier_wait -1
	global_inv scope:SCOPE_SE
	ds_load_u16 v21, v3
	ds_load_u16 v19, v4
	v_lshrrev_b32_e32 v22, 1, v18
	v_cndmask_b32_e64 v24, 0, 1, s2
	s_wait_dscnt 0x1
	v_bfe_i32 v20, v21, 0, 8
	s_wait_dscnt 0x0
	v_lshrrev_b16 v18, 8, v19
	v_ashrrev_i16 v21, 8, v21
	v_and_b32_e32 v23, 1, v19
	s_delay_alu instid0(VALU_DEP_3) | instskip(NEXT) | instid1(VALU_DEP_3)
	v_cmp_ne_u16_e64 s4, v18, v22
	v_cmp_gt_i16_e64 s2, v20, v21
	s_delay_alu instid0(VALU_DEP_3) | instskip(SKIP_1) | instid1(VALU_DEP_3)
	v_cmp_eq_u32_e64 s3, 1, v23
	s_wait_alu 0xf1ff
	v_cndmask_b32_e64 v22, 0, 1, s4
	s_and_b32 s2, s2, s3
	s_mov_b32 s3, exec_lo
	s_wait_alu 0xfffe
	s_delay_alu instid0(VALU_DEP_1) | instskip(NEXT) | instid1(VALU_DEP_1)
	v_cndmask_b32_e64 v22, v22, v24, s2
	v_and_b32_e32 v22, 1, v22
	s_delay_alu instid0(VALU_DEP_1)
	v_cmpx_eq_u32_e32 1, v22
	s_cbranch_execz .LBB11_15
; %bb.14:
	ds_load_b128 v[22:25], v17
	v_lshlrev_b16 v20, 8, v20
	v_and_b32_e32 v21, 0xff, v21
	v_lshlrev_b16 v26, 8, v19
	s_delay_alu instid0(VALU_DEP_2) | instskip(NEXT) | instid1(VALU_DEP_2)
	v_or_b32_e32 v27, v21, v20
	v_or_b32_e32 v18, v18, v26
	s_wait_dscnt 0x0
	v_dual_mov_b32 v19, v24 :: v_dual_mov_b32 v20, v25
	v_dual_mov_b32 v21, v22 :: v_dual_mov_b32 v22, v23
	ds_store_b16 v3, v27
	ds_store_b128 v17, v[19:22]
	ds_store_b16 v4, v18
.LBB11_15:
	s_or_b32 exec_lo, exec_lo, s3
	v_and_b32_e32 v17, 3, v7
	s_wait_loadcnt_dscnt 0x0
	s_barrier_signal -1
	s_barrier_wait -1
	global_inv scope:SCOPE_SE
	v_sub_nc_u32_e32 v20, v16, v17
	v_bfe_u32 v25, v7, 2, 1
	s_delay_alu instid0(VALU_DEP_2)
	v_add_nc_u32_e32 v17, v15, v20
	v_add_nc_u32_e32 v18, v13, v20
	v_lshl_add_u32 v20, v20, 3, v12
	ds_load_u8 v21, v17
	ds_load_i8 v22, v18
	ds_load_i8 v24, v18 offset:4
	ds_load_u8 v23, v17 offset:4
	s_wait_dscnt 0x3
	v_and_b32_e32 v19, 1, v21
	s_wait_dscnt 0x1
	v_cmp_gt_i16_e64 s2, v22, v24
	s_wait_dscnt 0x0
	v_cmp_ne_u16_e64 s4, v23, v25
	v_cmp_eq_u32_e64 s3, 1, v19
	s_wait_alu 0xf1ff
	s_delay_alu instid0(VALU_DEP_2) | instskip(SKIP_3) | instid1(VALU_DEP_1)
	v_cndmask_b32_e64 v19, 0, 1, s4
	s_mov_b32 s4, exec_lo
	s_and_b32 s2, s2, s3
	s_wait_alu 0xfffe
	v_cndmask_b32_e64 v25, v19, v25, s2
	v_and_b32_e32 v19, 4, v7
	s_delay_alu instid0(VALU_DEP_2) | instskip(NEXT) | instid1(VALU_DEP_2)
	v_and_b32_e32 v25, 1, v25
	v_cmp_ne_u32_e64 s2, 0, v19
	s_delay_alu instid0(VALU_DEP_2)
	v_cmpx_eq_u32_e32 1, v25
	s_cbranch_execz .LBB11_17
; %bb.16:
	ds_load_2addr_b64 v[25:28], v20 offset1:4
	s_wait_dscnt 0x0
	ds_store_2addr_b64 v20, v[27:28], v[25:26] offset1:4
	ds_store_b8 v18, v24
	ds_store_b8 v18, v22 offset:4
	ds_store_b8 v17, v23
	ds_store_b8 v17, v21 offset:4
.LBB11_17:
	s_or_b32 exec_lo, exec_lo, s4
	s_wait_loadcnt_dscnt 0x0
	s_barrier_signal -1
	s_barrier_wait -1
	global_inv scope:SCOPE_SE
	ds_load_u8 v22, v10
	ds_load_i8 v23, v11
	ds_load_i8 v25, v11 offset:2
	ds_load_u8 v24, v10 offset:2
	v_lshrrev_b32_e32 v19, 2, v19
	v_cndmask_b32_e64 v21, 0, 1, s2
	s_wait_dscnt 0x3
	v_and_b32_e32 v26, 1, v22
	s_wait_dscnt 0x1
	v_cmp_gt_i16_e64 s2, v23, v25
	s_wait_dscnt 0x0
	v_cmp_ne_u16_e64 s4, v24, v19
	v_cmp_eq_u32_e64 s3, 1, v26
	s_wait_alu 0xf1ff
	s_delay_alu instid0(VALU_DEP_2) | instskip(SKIP_3) | instid1(VALU_DEP_1)
	v_cndmask_b32_e64 v26, 0, 1, s4
	s_and_b32 s2, s2, s3
	s_mov_b32 s3, exec_lo
	s_wait_alu 0xfffe
	v_cndmask_b32_e64 v26, v26, v21, s2
	s_delay_alu instid0(VALU_DEP_1) | instskip(NEXT) | instid1(VALU_DEP_1)
	v_and_b32_e32 v26, 1, v26
	v_cmpx_eq_u32_e32 1, v26
	s_cbranch_execz .LBB11_19
; %bb.18:
	ds_load_2addr_b64 v[26:29], v14 offset1:2
	s_wait_dscnt 0x0
	ds_store_2addr_b64 v14, v[28:29], v[26:27] offset1:2
	ds_store_b8 v11, v25
	ds_store_b8 v11, v23 offset:2
	ds_store_b8 v10, v24
	ds_store_b8 v10, v22 offset:2
.LBB11_19:
	s_or_b32 exec_lo, exec_lo, s3
	s_wait_loadcnt_dscnt 0x0
	s_barrier_signal -1
	s_barrier_wait -1
	global_inv scope:SCOPE_SE
	ds_load_u16 v22, v3
	ds_load_u16 v23, v4
	s_wait_dscnt 0x1
	v_bfe_i32 v24, v22, 0, 8
	v_ashrrev_i16 v25, 8, v22
	s_wait_dscnt 0x0
	v_lshrrev_b16 v22, 8, v23
	v_and_b32_e32 v26, 1, v23
	s_delay_alu instid0(VALU_DEP_3) | instskip(NEXT) | instid1(VALU_DEP_3)
	v_cmp_gt_i16_e64 s2, v24, v25
	v_cmp_ne_u16_e64 s4, v22, v19
	s_delay_alu instid0(VALU_DEP_3) | instskip(SKIP_1) | instid1(VALU_DEP_2)
	v_cmp_eq_u32_e64 s3, 1, v26
	s_wait_alu 0xf1ff
	v_cndmask_b32_e64 v19, 0, 1, s4
	s_and_b32 s2, s2, s3
	s_wait_alu 0xfffe
	s_delay_alu instid0(VALU_DEP_1) | instskip(NEXT) | instid1(VALU_DEP_1)
	v_cndmask_b32_e64 v19, v19, v21, s2
	v_and_b32_e32 v19, 1, v19
	s_delay_alu instid0(VALU_DEP_1)
	v_cmp_eq_u32_e64 s2, 1, v19
	v_lshl_add_u32 v19, v16, 3, v12
	s_and_saveexec_b32 s3, s2
	s_cbranch_execz .LBB11_21
; %bb.20:
	ds_load_b128 v[26:29], v19
	v_lshlrev_b16 v21, 8, v24
	v_and_b32_e32 v24, 0xff, v25
	v_lshlrev_b16 v30, 8, v23
	s_delay_alu instid0(VALU_DEP_1)
	v_or_b32_e32 v22, v22, v30
	s_wait_dscnt 0x0
	v_mov_b32_e32 v23, v28
	v_or_b32_e32 v21, v24, v21
	v_dual_mov_b32 v24, v29 :: v_dual_mov_b32 v25, v26
	v_mov_b32_e32 v26, v27
	ds_store_b16 v3, v21
	ds_store_b128 v19, v[23:26]
	ds_store_b16 v4, v22
.LBB11_21:
	s_wait_alu 0xfffe
	s_or_b32 exec_lo, exec_lo, s3
	v_and_b32_e32 v21, 7, v7
	s_wait_loadcnt_dscnt 0x0
	s_barrier_signal -1
	s_barrier_wait -1
	global_inv scope:SCOPE_SE
	v_sub_nc_u32_e32 v23, v16, v21
	v_bfe_u32 v29, v7, 3, 1
	s_delay_alu instid0(VALU_DEP_2)
	v_add_nc_u32_e32 v21, v15, v23
	v_add_nc_u32_e32 v22, v13, v23
	v_lshl_add_u32 v23, v23, 3, v12
	ds_load_u8 v25, v21
	ds_load_i8 v26, v22
	ds_load_i8 v28, v22 offset:8
	ds_load_u8 v27, v21 offset:8
	s_wait_dscnt 0x3
	v_and_b32_e32 v24, 1, v25
	s_wait_dscnt 0x1
	v_cmp_gt_i16_e64 s2, v26, v28
	s_wait_dscnt 0x0
	v_cmp_ne_u16_e64 s4, v27, v29
	v_cmp_eq_u32_e64 s3, 1, v24
	s_wait_alu 0xf1ff
	s_delay_alu instid0(VALU_DEP_2) | instskip(SKIP_3) | instid1(VALU_DEP_1)
	v_cndmask_b32_e64 v24, 0, 1, s4
	s_mov_b32 s4, exec_lo
	s_and_b32 s2, s2, s3
	s_wait_alu 0xfffe
	v_cndmask_b32_e64 v29, v24, v29, s2
	v_and_b32_e32 v24, 8, v7
	s_delay_alu instid0(VALU_DEP_2) | instskip(NEXT) | instid1(VALU_DEP_2)
	v_and_b32_e32 v29, 1, v29
	v_cmp_ne_u32_e64 s2, 0, v24
	s_delay_alu instid0(VALU_DEP_2)
	v_cmpx_eq_u32_e32 1, v29
	s_cbranch_execz .LBB11_23
; %bb.22:
	ds_load_2addr_b64 v[29:32], v23 offset1:8
	s_wait_dscnt 0x0
	ds_store_2addr_b64 v23, v[31:32], v[29:30] offset1:8
	ds_store_b8 v22, v28
	ds_store_b8 v22, v26 offset:8
	ds_store_b8 v21, v27
	ds_store_b8 v21, v25 offset:8
.LBB11_23:
	s_or_b32 exec_lo, exec_lo, s4
	s_wait_loadcnt_dscnt 0x0
	s_barrier_signal -1
	s_barrier_wait -1
	global_inv scope:SCOPE_SE
	ds_load_u8 v26, v17
	ds_load_i8 v27, v18
	ds_load_i8 v29, v18 offset:4
	ds_load_u8 v28, v17 offset:4
	v_lshrrev_b32_e32 v24, 3, v24
	v_cndmask_b32_e64 v25, 0, 1, s2
	s_wait_dscnt 0x3
	v_and_b32_e32 v30, 1, v26
	s_wait_dscnt 0x1
	v_cmp_gt_i16_e64 s2, v27, v29
	s_wait_dscnt 0x0
	v_cmp_ne_u16_e64 s4, v28, v24
	v_cmp_eq_u32_e64 s3, 1, v30
	s_wait_alu 0xf1ff
	s_delay_alu instid0(VALU_DEP_2) | instskip(SKIP_3) | instid1(VALU_DEP_1)
	v_cndmask_b32_e64 v30, 0, 1, s4
	s_and_b32 s2, s2, s3
	s_mov_b32 s3, exec_lo
	s_wait_alu 0xfffe
	v_cndmask_b32_e64 v30, v30, v25, s2
	s_delay_alu instid0(VALU_DEP_1) | instskip(NEXT) | instid1(VALU_DEP_1)
	v_and_b32_e32 v30, 1, v30
	v_cmpx_eq_u32_e32 1, v30
	s_cbranch_execz .LBB11_25
; %bb.24:
	ds_load_2addr_b64 v[30:33], v20 offset1:4
	s_wait_dscnt 0x0
	ds_store_2addr_b64 v20, v[32:33], v[30:31] offset1:4
	ds_store_b8 v18, v29
	ds_store_b8 v18, v27 offset:4
	ds_store_b8 v17, v28
	ds_store_b8 v17, v26 offset:4
.LBB11_25:
	s_or_b32 exec_lo, exec_lo, s3
	s_wait_loadcnt_dscnt 0x0
	s_barrier_signal -1
	s_barrier_wait -1
	global_inv scope:SCOPE_SE
	ds_load_u8 v26, v10
	ds_load_i8 v27, v11
	ds_load_i8 v29, v11 offset:2
	ds_load_u8 v28, v10 offset:2
	s_wait_dscnt 0x3
	v_and_b32_e32 v30, 1, v26
	s_wait_dscnt 0x1
	v_cmp_gt_i16_e64 s2, v27, v29
	s_wait_dscnt 0x0
	v_cmp_ne_u16_e64 s4, v28, v24
	v_cmp_eq_u32_e64 s3, 1, v30
	s_wait_alu 0xf1ff
	s_delay_alu instid0(VALU_DEP_2) | instskip(SKIP_3) | instid1(VALU_DEP_1)
	v_cndmask_b32_e64 v30, 0, 1, s4
	s_and_b32 s2, s2, s3
	s_mov_b32 s3, exec_lo
	s_wait_alu 0xfffe
	v_cndmask_b32_e64 v30, v30, v25, s2
	s_delay_alu instid0(VALU_DEP_1) | instskip(NEXT) | instid1(VALU_DEP_1)
	v_and_b32_e32 v30, 1, v30
	v_cmpx_eq_u32_e32 1, v30
	s_cbranch_execz .LBB11_27
; %bb.26:
	ds_load_2addr_b64 v[30:33], v14 offset1:2
	s_wait_dscnt 0x0
	ds_store_2addr_b64 v14, v[32:33], v[30:31] offset1:2
	ds_store_b8 v11, v29
	ds_store_b8 v11, v27 offset:2
	ds_store_b8 v10, v28
	ds_store_b8 v10, v26 offset:2
.LBB11_27:
	s_or_b32 exec_lo, exec_lo, s3
	s_wait_loadcnt_dscnt 0x0
	s_barrier_signal -1
	s_barrier_wait -1
	global_inv scope:SCOPE_SE
	ds_load_u16 v26, v3
	ds_load_u16 v27, v4
	s_wait_dscnt 0x1
	v_bfe_i32 v28, v26, 0, 8
	v_ashrrev_i16 v29, 8, v26
	s_wait_dscnt 0x0
	v_lshrrev_b16 v26, 8, v27
	v_and_b32_e32 v30, 1, v27
	s_delay_alu instid0(VALU_DEP_3) | instskip(NEXT) | instid1(VALU_DEP_3)
	v_cmp_gt_i16_e64 s2, v28, v29
	v_cmp_ne_u16_e64 s4, v26, v24
	s_delay_alu instid0(VALU_DEP_3) | instskip(SKIP_1) | instid1(VALU_DEP_2)
	v_cmp_eq_u32_e64 s3, 1, v30
	s_wait_alu 0xf1ff
	v_cndmask_b32_e64 v24, 0, 1, s4
	s_and_b32 s2, s2, s3
	s_mov_b32 s3, exec_lo
	s_wait_alu 0xfffe
	s_delay_alu instid0(VALU_DEP_1) | instskip(NEXT) | instid1(VALU_DEP_1)
	v_cndmask_b32_e64 v24, v24, v25, s2
	v_and_b32_e32 v24, 1, v24
	s_delay_alu instid0(VALU_DEP_1)
	v_cmpx_eq_u32_e32 1, v24
	s_cbranch_execz .LBB11_29
; %bb.28:
	ds_load_b128 v[30:33], v19
	v_lshlrev_b16 v24, 8, v28
	v_and_b32_e32 v25, 0xff, v29
	v_lshlrev_b16 v34, 8, v27
	s_wait_dscnt 0x0
	v_mov_b32_e32 v28, v33
	s_delay_alu instid0(VALU_DEP_3)
	v_or_b32_e32 v24, v25, v24
	v_mov_b32_e32 v27, v32
	v_dual_mov_b32 v29, v30 :: v_dual_mov_b32 v30, v31
	v_or_b32_e32 v25, v26, v34
	ds_store_b16 v3, v24
	ds_store_b128 v19, v[27:30]
	ds_store_b16 v4, v25
.LBB11_29:
	s_or_b32 exec_lo, exec_lo, s3
	v_and_b32_e32 v24, 15, v7
	s_wait_loadcnt_dscnt 0x0
	s_barrier_signal -1
	s_barrier_wait -1
	global_inv scope:SCOPE_SE
	v_sub_nc_u32_e32 v16, v16, v24
	s_delay_alu instid0(VALU_DEP_1)
	v_add_nc_u32_e32 v15, v15, v16
	v_add_nc_u32_e32 v13, v13, v16
	ds_load_u8 v24, v15
	ds_load_u8 v27, v15 offset:16
	ds_load_i8 v25, v13
	ds_load_i8 v26, v13 offset:16
	s_wait_dscnt 0x2
	v_and_b32_e32 v27, 0xff, v27
	v_and_b32_e32 v28, 1, v24
	s_wait_dscnt 0x0
	v_cmp_le_i16_e64 s3, v25, v26
	s_delay_alu instid0(VALU_DEP_3) | instskip(NEXT) | instid1(VALU_DEP_3)
	v_cmp_ne_u16_e64 s4, 0, v27
	v_cmp_eq_u32_e64 s2, 1, v28
	s_xor_b32 s2, s2, -1
	s_wait_alu 0xfffe
	s_or_b32 s2, s3, s2
	s_wait_alu 0xfffe
	s_and_b32 s3, s2, s4
	s_wait_alu 0xfffe
	s_and_saveexec_b32 s2, s3
	s_cbranch_execz .LBB11_31
; %bb.30:
	v_lshl_add_u32 v12, v16, 3, v12
	v_mov_b32_e32 v16, 1
	ds_load_2addr_b64 v[27:30], v12 offset1:16
	s_wait_dscnt 0x0
	ds_store_2addr_b64 v12, v[29:30], v[27:28] offset1:16
	ds_store_b8 v13, v26
	ds_store_b8 v13, v25 offset:16
	ds_store_b8 v15, v16
	ds_store_b8 v15, v24 offset:16
.LBB11_31:
	s_wait_alu 0xfffe
	s_or_b32 exec_lo, exec_lo, s2
	s_wait_loadcnt_dscnt 0x0
	s_barrier_signal -1
	s_barrier_wait -1
	global_inv scope:SCOPE_SE
	ds_load_u8 v12, v21
	ds_load_u8 v16, v21 offset:8
	ds_load_i8 v13, v22
	ds_load_i8 v15, v22 offset:8
	s_wait_dscnt 0x3
	v_and_b32_e32 v24, 1, v12
	s_wait_dscnt 0x2
	v_and_b32_e32 v16, 0xff, v16
	s_wait_dscnt 0x0
	v_cmp_le_i16_e64 s3, v13, v15
	v_cmp_eq_u32_e64 s2, 1, v24
	s_delay_alu instid0(VALU_DEP_3)
	v_cmp_ne_u16_e64 s4, 0, v16
	s_xor_b32 s2, s2, -1
	s_wait_alu 0xfffe
	s_or_b32 s2, s3, s2
	s_wait_alu 0xfffe
	s_and_b32 s3, s2, s4
	s_wait_alu 0xfffe
	s_and_saveexec_b32 s2, s3
	s_cbranch_execz .LBB11_33
; %bb.32:
	ds_load_2addr_b64 v[24:27], v23 offset1:8
	v_mov_b32_e32 v16, 1
	s_wait_dscnt 0x0
	ds_store_2addr_b64 v23, v[26:27], v[24:25] offset1:8
	ds_store_b8 v22, v15
	ds_store_b8 v22, v13 offset:8
	ds_store_b8 v21, v16
	ds_store_b8 v21, v12 offset:8
.LBB11_33:
	s_wait_alu 0xfffe
	s_or_b32 exec_lo, exec_lo, s2
	s_wait_loadcnt_dscnt 0x0
	s_barrier_signal -1
	s_barrier_wait -1
	global_inv scope:SCOPE_SE
	ds_load_u8 v12, v17
	ds_load_u8 v16, v17 offset:4
	ds_load_i8 v13, v18
	ds_load_i8 v15, v18 offset:4
	s_wait_dscnt 0x3
	v_and_b32_e32 v21, 1, v12
	s_wait_dscnt 0x2
	v_and_b32_e32 v16, 0xff, v16
	s_wait_dscnt 0x0
	v_cmp_le_i16_e64 s3, v13, v15
	v_cmp_eq_u32_e64 s2, 1, v21
	s_delay_alu instid0(VALU_DEP_3)
	v_cmp_ne_u16_e64 s4, 0, v16
	s_xor_b32 s2, s2, -1
	s_wait_alu 0xfffe
	s_or_b32 s2, s3, s2
	s_wait_alu 0xfffe
	s_and_b32 s3, s2, s4
	s_wait_alu 0xfffe
	s_and_saveexec_b32 s2, s3
	s_cbranch_execz .LBB11_35
; %bb.34:
	ds_load_2addr_b64 v[21:24], v20 offset1:4
	v_mov_b32_e32 v16, 1
	s_wait_dscnt 0x0
	ds_store_2addr_b64 v20, v[23:24], v[21:22] offset1:4
	ds_store_b8 v18, v15
	ds_store_b8 v18, v13 offset:4
	ds_store_b8 v17, v16
	ds_store_b8 v17, v12 offset:4
.LBB11_35:
	;; [unrolled: 37-line block ×3, first 2 shown]
	s_wait_alu 0xfffe
	s_or_b32 exec_lo, exec_lo, s2
	s_wait_loadcnt_dscnt 0x0
	s_barrier_signal -1
	s_barrier_wait -1
	global_inv scope:SCOPE_SE
	ds_load_u16 v10, v4
	ds_load_u16 v12, v3
	s_wait_dscnt 0x1
	v_and_b32_e32 v13, 1, v10
	s_wait_dscnt 0x0
	v_bfe_i32 v11, v12, 0, 8
	v_ashrrev_i16 v12, 8, v12
	v_lshrrev_b16 v14, 8, v10
	v_cmp_eq_u32_e64 s2, 1, v13
	s_delay_alu instid0(VALU_DEP_3) | instskip(NEXT) | instid1(VALU_DEP_3)
	v_cmp_le_i16_e64 s3, v11, v12
	v_cmp_ne_u16_e64 s4, 0, v14
	s_xor_b32 s2, s2, -1
	s_wait_alu 0xfffe
	s_or_b32 s2, s3, s2
	s_wait_alu 0xfffe
	s_and_b32 s3, s2, s4
	s_wait_alu 0xfffe
	s_and_saveexec_b32 s2, s3
	s_cbranch_execz .LBB11_39
; %bb.38:
	ds_load_b128 v[13:16], v19
	v_lshlrev_b16 v11, 8, v11
	v_and_b32_e32 v12, 0xff, v12
	v_lshlrev_b16 v17, 8, v10
	s_delay_alu instid0(VALU_DEP_2)
	v_or_b32_e32 v18, v12, v11
	s_wait_dscnt 0x0
	v_dual_mov_b32 v10, v15 :: v_dual_mov_b32 v11, v16
	v_dual_mov_b32 v12, v13 :: v_dual_mov_b32 v13, v14
	v_or_b32_e32 v14, 1, v17
	ds_store_b16 v3, v18
	ds_store_b128 v19, v[10:13]
	ds_store_b16 v4, v14
.LBB11_39:
	s_wait_alu 0xfffe
	s_or_b32 exec_lo, exec_lo, s2
	s_wait_loadcnt_dscnt 0x0
	s_barrier_signal -1
	s_barrier_wait -1
	global_inv scope:SCOPE_SE
	s_and_saveexec_b32 s2, s0
	s_cbranch_execz .LBB11_44
; %bb.40:
	s_and_saveexec_b32 s0, vcc_lo
	s_cbranch_execz .LBB11_42
; %bb.41:
	v_mad_co_u64_u32 v[3:4], null, v7, s7, v[2:3]
	ds_load_u8 v12, v9
	ds_load_b64 v[8:9], v8
	v_mov_b32_e32 v4, 0
	v_mad_co_u64_u32 v[10:11], null, v7, s6, v[0:1]
	s_delay_alu instid0(VALU_DEP_2) | instskip(NEXT) | instid1(VALU_DEP_1)
	v_lshlrev_b64_e32 v[3:4], 3, v[3:4]
	v_add_co_u32 v3, vcc_lo, s10, v3
	s_wait_alu 0xfffd
	s_delay_alu instid0(VALU_DEP_2)
	v_add_co_ci_u32_e64 v4, null, s11, v4, vcc_lo
	s_wait_dscnt 0x1
	global_store_b8 v10, v12, s[8:9]
	s_wait_dscnt 0x0
	global_store_b64 v[3:4], v[8:9], off
.LBB11_42:
	s_wait_alu 0xfffe
	s_or_b32 exec_lo, exec_lo, s0
	s_delay_alu instid0(SALU_CYCLE_1)
	s_and_b32 exec_lo, exec_lo, s1
	s_cbranch_execz .LBB11_44
; %bb.43:
	v_mad_co_u64_u32 v[2:3], null, v1, s7, v[2:3]
	ds_load_u8 v7, v5
	ds_load_b64 v[4:5], v6
	v_mov_b32_e32 v3, 0
	v_mad_co_u64_u32 v[0:1], null, v1, s6, v[0:1]
	s_delay_alu instid0(VALU_DEP_2) | instskip(NEXT) | instid1(VALU_DEP_1)
	v_lshlrev_b64_e32 v[2:3], 3, v[2:3]
	v_add_co_u32 v1, vcc_lo, s10, v2
	s_wait_alu 0xfffd
	s_delay_alu instid0(VALU_DEP_2)
	v_add_co_ci_u32_e64 v2, null, s11, v3, vcc_lo
	s_wait_dscnt 0x1
	global_store_b8 v0, v7, s[8:9]
	s_wait_dscnt 0x0
	global_store_b64 v[1:2], v[4:5], off
.LBB11_44:
	s_endpgm
	.section	.rodata,"a",@progbits
	.p2align	6, 0x0
	.amdhsa_kernel _ZN2at6native20bitonicSortKVInPlaceILi2ELin1ELi16ELi16EalNS0_4GTOpIaLb1EEEjEEvNS_4cuda6detail10TensorInfoIT3_T6_EES8_S8_S8_NS6_IT4_S8_EES8_T5_
		.amdhsa_group_segment_fixed_size 5120
		.amdhsa_private_segment_fixed_size 0
		.amdhsa_kernarg_size 712
		.amdhsa_user_sgpr_count 2
		.amdhsa_user_sgpr_dispatch_ptr 0
		.amdhsa_user_sgpr_queue_ptr 0
		.amdhsa_user_sgpr_kernarg_segment_ptr 1
		.amdhsa_user_sgpr_dispatch_id 0
		.amdhsa_user_sgpr_private_segment_size 0
		.amdhsa_wavefront_size32 1
		.amdhsa_uses_dynamic_stack 0
		.amdhsa_enable_private_segment 0
		.amdhsa_system_sgpr_workgroup_id_x 1
		.amdhsa_system_sgpr_workgroup_id_y 1
		.amdhsa_system_sgpr_workgroup_id_z 1
		.amdhsa_system_sgpr_workgroup_info 0
		.amdhsa_system_vgpr_workitem_id 1
		.amdhsa_next_free_vgpr 35
		.amdhsa_next_free_sgpr 19
		.amdhsa_reserve_vcc 1
		.amdhsa_float_round_mode_32 0
		.amdhsa_float_round_mode_16_64 0
		.amdhsa_float_denorm_mode_32 3
		.amdhsa_float_denorm_mode_16_64 3
		.amdhsa_fp16_overflow 0
		.amdhsa_workgroup_processor_mode 1
		.amdhsa_memory_ordered 1
		.amdhsa_forward_progress 1
		.amdhsa_inst_pref_size 38
		.amdhsa_round_robin_scheduling 0
		.amdhsa_exception_fp_ieee_invalid_op 0
		.amdhsa_exception_fp_denorm_src 0
		.amdhsa_exception_fp_ieee_div_zero 0
		.amdhsa_exception_fp_ieee_overflow 0
		.amdhsa_exception_fp_ieee_underflow 0
		.amdhsa_exception_fp_ieee_inexact 0
		.amdhsa_exception_int_div_zero 0
	.end_amdhsa_kernel
	.section	.text._ZN2at6native20bitonicSortKVInPlaceILi2ELin1ELi16ELi16EalNS0_4GTOpIaLb1EEEjEEvNS_4cuda6detail10TensorInfoIT3_T6_EES8_S8_S8_NS6_IT4_S8_EES8_T5_,"axG",@progbits,_ZN2at6native20bitonicSortKVInPlaceILi2ELin1ELi16ELi16EalNS0_4GTOpIaLb1EEEjEEvNS_4cuda6detail10TensorInfoIT3_T6_EES8_S8_S8_NS6_IT4_S8_EES8_T5_,comdat
.Lfunc_end11:
	.size	_ZN2at6native20bitonicSortKVInPlaceILi2ELin1ELi16ELi16EalNS0_4GTOpIaLb1EEEjEEvNS_4cuda6detail10TensorInfoIT3_T6_EES8_S8_S8_NS6_IT4_S8_EES8_T5_, .Lfunc_end11-_ZN2at6native20bitonicSortKVInPlaceILi2ELin1ELi16ELi16EalNS0_4GTOpIaLb1EEEjEEvNS_4cuda6detail10TensorInfoIT3_T6_EES8_S8_S8_NS6_IT4_S8_EES8_T5_
                                        ; -- End function
	.set _ZN2at6native20bitonicSortKVInPlaceILi2ELin1ELi16ELi16EalNS0_4GTOpIaLb1EEEjEEvNS_4cuda6detail10TensorInfoIT3_T6_EES8_S8_S8_NS6_IT4_S8_EES8_T5_.num_vgpr, 35
	.set _ZN2at6native20bitonicSortKVInPlaceILi2ELin1ELi16ELi16EalNS0_4GTOpIaLb1EEEjEEvNS_4cuda6detail10TensorInfoIT3_T6_EES8_S8_S8_NS6_IT4_S8_EES8_T5_.num_agpr, 0
	.set _ZN2at6native20bitonicSortKVInPlaceILi2ELin1ELi16ELi16EalNS0_4GTOpIaLb1EEEjEEvNS_4cuda6detail10TensorInfoIT3_T6_EES8_S8_S8_NS6_IT4_S8_EES8_T5_.numbered_sgpr, 19
	.set _ZN2at6native20bitonicSortKVInPlaceILi2ELin1ELi16ELi16EalNS0_4GTOpIaLb1EEEjEEvNS_4cuda6detail10TensorInfoIT3_T6_EES8_S8_S8_NS6_IT4_S8_EES8_T5_.num_named_barrier, 0
	.set _ZN2at6native20bitonicSortKVInPlaceILi2ELin1ELi16ELi16EalNS0_4GTOpIaLb1EEEjEEvNS_4cuda6detail10TensorInfoIT3_T6_EES8_S8_S8_NS6_IT4_S8_EES8_T5_.private_seg_size, 0
	.set _ZN2at6native20bitonicSortKVInPlaceILi2ELin1ELi16ELi16EalNS0_4GTOpIaLb1EEEjEEvNS_4cuda6detail10TensorInfoIT3_T6_EES8_S8_S8_NS6_IT4_S8_EES8_T5_.uses_vcc, 1
	.set _ZN2at6native20bitonicSortKVInPlaceILi2ELin1ELi16ELi16EalNS0_4GTOpIaLb1EEEjEEvNS_4cuda6detail10TensorInfoIT3_T6_EES8_S8_S8_NS6_IT4_S8_EES8_T5_.uses_flat_scratch, 0
	.set _ZN2at6native20bitonicSortKVInPlaceILi2ELin1ELi16ELi16EalNS0_4GTOpIaLb1EEEjEEvNS_4cuda6detail10TensorInfoIT3_T6_EES8_S8_S8_NS6_IT4_S8_EES8_T5_.has_dyn_sized_stack, 0
	.set _ZN2at6native20bitonicSortKVInPlaceILi2ELin1ELi16ELi16EalNS0_4GTOpIaLb1EEEjEEvNS_4cuda6detail10TensorInfoIT3_T6_EES8_S8_S8_NS6_IT4_S8_EES8_T5_.has_recursion, 0
	.set _ZN2at6native20bitonicSortKVInPlaceILi2ELin1ELi16ELi16EalNS0_4GTOpIaLb1EEEjEEvNS_4cuda6detail10TensorInfoIT3_T6_EES8_S8_S8_NS6_IT4_S8_EES8_T5_.has_indirect_call, 0
	.section	.AMDGPU.csdata,"",@progbits
; Kernel info:
; codeLenInByte = 4860
; TotalNumSgprs: 21
; NumVgprs: 35
; ScratchSize: 0
; MemoryBound: 0
; FloatMode: 240
; IeeeMode: 1
; LDSByteSize: 5120 bytes/workgroup (compile time only)
; SGPRBlocks: 0
; VGPRBlocks: 4
; NumSGPRsForWavesPerEU: 21
; NumVGPRsForWavesPerEU: 35
; Occupancy: 16
; WaveLimiterHint : 1
; COMPUTE_PGM_RSRC2:SCRATCH_EN: 0
; COMPUTE_PGM_RSRC2:USER_SGPR: 2
; COMPUTE_PGM_RSRC2:TRAP_HANDLER: 0
; COMPUTE_PGM_RSRC2:TGID_X_EN: 1
; COMPUTE_PGM_RSRC2:TGID_Y_EN: 1
; COMPUTE_PGM_RSRC2:TGID_Z_EN: 1
; COMPUTE_PGM_RSRC2:TIDIG_COMP_CNT: 1
	.section	.text._ZN2at6native20bitonicSortKVInPlaceILin1ELin1ELi16ELi16EalNS0_4LTOpIaLb1EEEjEEvNS_4cuda6detail10TensorInfoIT3_T6_EES8_S8_S8_NS6_IT4_S8_EES8_T5_,"axG",@progbits,_ZN2at6native20bitonicSortKVInPlaceILin1ELin1ELi16ELi16EalNS0_4LTOpIaLb1EEEjEEvNS_4cuda6detail10TensorInfoIT3_T6_EES8_S8_S8_NS6_IT4_S8_EES8_T5_,comdat
	.protected	_ZN2at6native20bitonicSortKVInPlaceILin1ELin1ELi16ELi16EalNS0_4LTOpIaLb1EEEjEEvNS_4cuda6detail10TensorInfoIT3_T6_EES8_S8_S8_NS6_IT4_S8_EES8_T5_ ; -- Begin function _ZN2at6native20bitonicSortKVInPlaceILin1ELin1ELi16ELi16EalNS0_4LTOpIaLb1EEEjEEvNS_4cuda6detail10TensorInfoIT3_T6_EES8_S8_S8_NS6_IT4_S8_EES8_T5_
	.globl	_ZN2at6native20bitonicSortKVInPlaceILin1ELin1ELi16ELi16EalNS0_4LTOpIaLb1EEEjEEvNS_4cuda6detail10TensorInfoIT3_T6_EES8_S8_S8_NS6_IT4_S8_EES8_T5_
	.p2align	8
	.type	_ZN2at6native20bitonicSortKVInPlaceILin1ELin1ELi16ELi16EalNS0_4LTOpIaLb1EEEjEEvNS_4cuda6detail10TensorInfoIT3_T6_EES8_S8_S8_NS6_IT4_S8_EES8_T5_,@function
_ZN2at6native20bitonicSortKVInPlaceILin1ELin1ELi16ELi16EalNS0_4LTOpIaLb1EEEjEEvNS_4cuda6detail10TensorInfoIT3_T6_EES8_S8_S8_NS6_IT4_S8_EES8_T5_: ; @_ZN2at6native20bitonicSortKVInPlaceILin1ELin1ELi16ELi16EalNS0_4LTOpIaLb1EEEjEEvNS_4cuda6detail10TensorInfoIT3_T6_EES8_S8_S8_NS6_IT4_S8_EES8_T5_
; %bb.0:
	s_clause 0x2
	s_load_b64 s[2:3], s[0:1], 0x1c8
	s_load_u16 s7, s[0:1], 0x1d6
	s_load_b96 s[4:6], s[0:1], 0xd8
	s_lshr_b32 s8, ttmp7, 16
	s_wait_kmcnt 0x0
	s_mul_i32 s3, s3, s8
	s_and_b32 s8, ttmp7, 0xffff
	s_delay_alu instid0(SALU_CYCLE_1) | instskip(NEXT) | instid1(SALU_CYCLE_1)
	s_add_co_i32 s3, s3, s8
	s_mul_i32 s2, s3, s2
	s_delay_alu instid0(SALU_CYCLE_1) | instskip(NEXT) | instid1(SALU_CYCLE_1)
	s_add_co_i32 s3, s2, ttmp9
	s_mul_i32 s3, s3, s7
	s_delay_alu instid0(SALU_CYCLE_1)
	s_cmp_ge_u32 s3, s4
	s_cbranch_scc1 .LBB12_46
; %bb.1:
	s_load_b32 s2, s[0:1], 0xd0
	v_bfe_u32 v8, v0, 10, 10
	s_delay_alu instid0(VALU_DEP_1) | instskip(NEXT) | instid1(VALU_DEP_1)
	v_dual_mov_b32 v1, 0 :: v_dual_add_nc_u32 v4, s3, v8
	v_mov_b32_e32 v5, v4
	s_wait_kmcnt 0x0
	s_cmp_lt_i32 s2, 2
	s_cbranch_scc1 .LBB12_4
; %bb.2:
	s_add_co_i32 s8, s2, -1
	s_mov_b32 s9, 0
	v_mov_b32_e32 v1, 0
	s_lshl_b64 s[8:9], s[8:9], 2
	v_mov_b32_e32 v5, v4
	s_add_nc_u64 s[8:9], s[0:1], s[8:9]
	s_add_co_i32 s7, s2, 1
	s_add_nc_u64 s[2:3], s[8:9], 8
.LBB12_3:                               ; =>This Inner Loop Header: Depth=1
	s_clause 0x1
	s_load_b32 s8, s[2:3], 0x0
	s_load_b32 s9, s[2:3], 0x64
	s_add_co_i32 s7, s7, -1
	s_add_nc_u64 s[2:3], s[2:3], -4
	s_wait_kmcnt 0x0
	s_cvt_f32_u32 s10, s8
	s_sub_co_i32 s11, 0, s8
	s_wait_alu 0xfffe
	s_delay_alu instid0(SALU_CYCLE_1) | instskip(NEXT) | instid1(TRANS32_DEP_1)
	v_rcp_iflag_f32_e32 v2, s10
	v_readfirstlane_b32 s10, v2
	v_mov_b32_e32 v2, v5
	s_mul_f32 s10, s10, 0x4f7ffffe
	s_wait_alu 0xfffe
	s_delay_alu instid0(SALU_CYCLE_2) | instskip(SKIP_1) | instid1(SALU_CYCLE_2)
	s_cvt_u32_f32 s10, s10
	s_wait_alu 0xfffe
	s_mul_i32 s11, s11, s10
	s_wait_alu 0xfffe
	s_mul_hi_u32 s11, s10, s11
	s_wait_alu 0xfffe
	s_add_co_i32 s10, s10, s11
	s_cmp_gt_u32 s7, 2
	s_wait_alu 0xfffe
	v_mul_hi_u32 v3, v2, s10
	s_delay_alu instid0(VALU_DEP_1) | instskip(SKIP_1) | instid1(VALU_DEP_2)
	v_mul_lo_u32 v5, v3, s8
	v_add_nc_u32_e32 v6, 1, v3
	v_sub_nc_u32_e32 v5, v2, v5
	s_delay_alu instid0(VALU_DEP_1) | instskip(SKIP_3) | instid1(VALU_DEP_3)
	v_subrev_nc_u32_e32 v7, s8, v5
	v_cmp_le_u32_e32 vcc_lo, s8, v5
	s_wait_alu 0xfffd
	v_cndmask_b32_e32 v3, v3, v6, vcc_lo
	v_cndmask_b32_e32 v5, v5, v7, vcc_lo
	s_delay_alu instid0(VALU_DEP_2) | instskip(NEXT) | instid1(VALU_DEP_2)
	v_add_nc_u32_e32 v6, 1, v3
	v_cmp_le_u32_e32 vcc_lo, s8, v5
	s_wait_alu 0xfffd
	s_delay_alu instid0(VALU_DEP_2) | instskip(NEXT) | instid1(VALU_DEP_1)
	v_cndmask_b32_e32 v5, v3, v6, vcc_lo
	v_mul_lo_u32 v3, v5, s8
	s_delay_alu instid0(VALU_DEP_1) | instskip(NEXT) | instid1(VALU_DEP_1)
	v_sub_nc_u32_e32 v2, v2, v3
	v_mad_co_u64_u32 v[1:2], null, s9, v2, v[1:2]
	s_cbranch_scc1 .LBB12_3
.LBB12_4:
	s_load_b32 s7, s[0:1], 0x1b8
	v_dual_mov_b32 v2, 0 :: v_dual_mov_b32 v7, v4
	s_add_nc_u64 s[2:3], s[0:1], 0x1c8
	s_wait_kmcnt 0x0
	s_cmp_lt_i32 s7, 2
	s_cbranch_scc1 .LBB12_7
; %bb.5:
	s_add_co_i32 s8, s7, -1
	s_mov_b32 s9, 0
	v_dual_mov_b32 v2, 0 :: v_dual_mov_b32 v7, v4
	s_wait_alu 0xfffe
	s_lshl_b64 s[8:9], s[8:9], 2
	s_add_co_i32 s7, s7, 1
	s_wait_alu 0xfffe
	s_add_nc_u64 s[8:9], s[0:1], s[8:9]
	s_wait_alu 0xfffe
	s_add_nc_u64 s[8:9], s[8:9], 0xf0
.LBB12_6:                               ; =>This Inner Loop Header: Depth=1
	s_clause 0x1
	s_load_b32 s10, s[8:9], 0x0
	s_load_b32 s11, s[8:9], 0x64
	s_add_co_i32 s7, s7, -1
	s_add_nc_u64 s[8:9], s[8:9], -4
	s_wait_kmcnt 0x0
	s_cvt_f32_u32 s12, s10
	s_sub_co_i32 s13, 0, s10
	s_wait_alu 0xfffe
	s_delay_alu instid0(SALU_CYCLE_1) | instskip(NEXT) | instid1(TRANS32_DEP_1)
	v_rcp_iflag_f32_e32 v3, s12
	v_readfirstlane_b32 s12, v3
	v_mov_b32_e32 v3, v7
	s_mul_f32 s12, s12, 0x4f7ffffe
	s_wait_alu 0xfffe
	s_delay_alu instid0(SALU_CYCLE_2) | instskip(SKIP_1) | instid1(SALU_CYCLE_2)
	s_cvt_u32_f32 s12, s12
	s_wait_alu 0xfffe
	s_mul_i32 s13, s13, s12
	s_wait_alu 0xfffe
	s_mul_hi_u32 s13, s12, s13
	s_wait_alu 0xfffe
	s_add_co_i32 s12, s12, s13
	s_cmp_gt_u32 s7, 2
	s_wait_alu 0xfffe
	v_mul_hi_u32 v6, v3, s12
	s_delay_alu instid0(VALU_DEP_1) | instskip(SKIP_1) | instid1(VALU_DEP_2)
	v_mul_lo_u32 v7, v6, s10
	v_add_nc_u32_e32 v9, 1, v6
	v_sub_nc_u32_e32 v7, v3, v7
	s_delay_alu instid0(VALU_DEP_1) | instskip(SKIP_2) | instid1(VALU_DEP_2)
	v_subrev_nc_u32_e32 v10, s10, v7
	v_cmp_le_u32_e32 vcc_lo, s10, v7
	s_wait_alu 0xfffd
	v_dual_cndmask_b32 v6, v6, v9 :: v_dual_cndmask_b32 v7, v7, v10
	s_delay_alu instid0(VALU_DEP_1) | instskip(NEXT) | instid1(VALU_DEP_2)
	v_add_nc_u32_e32 v9, 1, v6
	v_cmp_le_u32_e32 vcc_lo, s10, v7
	s_wait_alu 0xfffd
	s_delay_alu instid0(VALU_DEP_2) | instskip(NEXT) | instid1(VALU_DEP_1)
	v_cndmask_b32_e32 v7, v6, v9, vcc_lo
	v_mul_lo_u32 v6, v7, s10
	s_delay_alu instid0(VALU_DEP_1) | instskip(NEXT) | instid1(VALU_DEP_1)
	v_sub_nc_u32_e32 v3, v3, v6
	v_mad_co_u64_u32 v[2:3], null, s11, v3, v[2:3]
	s_cbranch_scc1 .LBB12_6
.LBB12_7:
	s_clause 0x1
	s_load_b32 s12, s[0:1], 0x6c
	s_load_b32 s13, s[0:1], 0x154
	;; [unrolled: 1-line block ×3, first 2 shown]
	s_clause 0x2
	s_load_b32 s7, s[0:1], 0x1c0
	s_load_b64 s[8:9], s[0:1], 0x0
	s_load_b64 s[10:11], s[0:1], 0xe8
	v_and_b32_e32 v6, 0x3ff, v0
	v_cmp_gt_u32_e64 s0, s4, v4
	v_dual_mov_b32 v10, 0 :: v_dual_mov_b32 v11, 0
	s_wait_kmcnt 0x0
	v_mad_co_u64_u32 v[0:1], null, s12, v5, v[1:2]
	v_mad_co_u64_u32 v[1:2], null, s13, v7, v[2:3]
	v_mov_b32_e32 v2, 0
	v_mov_b32_e32 v3, 0
	v_cmp_gt_u32_e32 vcc_lo, s5, v6
	v_mov_b32_e32 v4, 0
	v_mov_b32_e32 v5, 0
	s_and_b32 s4, s0, vcc_lo
	s_wait_alu 0xfffe
	s_and_saveexec_b32 s3, s4
	s_cbranch_execz .LBB12_9
; %bb.8:
	v_mad_co_u64_u32 v[4:5], null, v6, s7, v[1:2]
	v_mov_b32_e32 v5, 0
	v_mad_co_u64_u32 v[11:12], null, v6, s6, v[0:1]
	s_delay_alu instid0(VALU_DEP_2) | instskip(NEXT) | instid1(VALU_DEP_1)
	v_lshlrev_b64_e32 v[4:5], 3, v[4:5]
	v_add_co_u32 v4, s1, s10, v4
	s_delay_alu instid0(VALU_DEP_1)
	v_add_co_ci_u32_e64 v5, null, s11, v5, s1
	global_load_u8 v11, v11, s[8:9]
	global_load_b64 v[4:5], v[4:5], off
.LBB12_9:
	s_wait_alu 0xfffe
	s_or_b32 exec_lo, exec_lo, s3
	v_lshlrev_b32_e32 v9, 5, v8
	s_and_b32 s3, 0xffff, s2
	v_lshlrev_b32_e32 v12, 8, v8
	s_wait_alu 0xfffe
	v_add_nc_u32_e32 v7, s3, v6
	v_cndmask_b32_e64 v14, 0, 1, s4
	v_add_nc_u32_e32 v13, 0x1000, v9
	v_add_nc_u32_e32 v15, 0x1200, v9
	v_lshl_add_u32 v8, v6, 3, v12
	v_cmp_gt_u32_e64 s1, s5, v7
	s_delay_alu instid0(VALU_DEP_4) | instskip(NEXT) | instid1(VALU_DEP_4)
	v_add_nc_u32_e32 v9, v13, v6
	v_add_nc_u32_e32 v16, v15, v6
	s_wait_loadcnt 0x1
	ds_store_b8 v9, v11
	s_wait_loadcnt 0x0
	ds_store_b64 v8, v[4:5]
	ds_store_b8 v16, v14
	s_and_b32 s4, s0, s1
	s_wait_alu 0xfffe
	s_and_saveexec_b32 s5, s4
	s_cbranch_execz .LBB12_11
; %bb.10:
	v_mad_co_u64_u32 v[2:3], null, v7, s7, v[1:2]
	v_mov_b32_e32 v3, 0
	v_mad_co_u64_u32 v[4:5], null, v7, s6, v[0:1]
	s_delay_alu instid0(VALU_DEP_2) | instskip(NEXT) | instid1(VALU_DEP_1)
	v_lshlrev_b64_e32 v[2:3], 3, v[2:3]
	v_add_co_u32 v2, s2, s10, v2
	s_wait_alu 0xf1ff
	s_delay_alu instid0(VALU_DEP_2)
	v_add_co_ci_u32_e64 v3, null, s11, v3, s2
	global_load_u8 v10, v4, s[8:9]
	global_load_b64 v[2:3], v[2:3], off
.LBB12_11:
	s_wait_alu 0xfffe
	s_or_b32 exec_lo, exec_lo, s5
	v_add_nc_u32_e32 v4, v13, v7
	v_lshlrev_b32_e32 v16, 1, v6
	v_lshl_add_u32 v5, s3, 3, v8
	v_cndmask_b32_e64 v11, 0, 1, s4
	v_add_nc_u32_e32 v14, v15, v7
	s_wait_loadcnt 0x1
	ds_store_b8 v4, v10
	s_wait_loadcnt 0x0
	ds_store_b64 v5, v[2:3]
	ds_store_b8 v14, v11
	v_add_nc_u32_e32 v2, v13, v16
	v_add_nc_u32_e32 v3, v15, v16
	s_wait_dscnt 0x0
	s_barrier_signal -1
	s_barrier_wait -1
	global_inv scope:SCOPE_SE
	ds_load_u16 v11, v2
	ds_load_u16 v14, v3
	v_and_b32_e32 v10, 1, v6
	s_wait_dscnt 0x1
	v_bfe_i32 v18, v11, 0, 8
	v_ashrrev_i16 v19, 8, v11
	s_wait_dscnt 0x0
	v_lshrrev_b16 v11, 8, v14
	v_and_b32_e32 v17, 1, v14
	s_delay_alu instid0(VALU_DEP_3) | instskip(NEXT) | instid1(VALU_DEP_3)
	v_cmp_lt_i16_e64 s2, v18, v19
	v_cmp_ne_u16_e64 s4, v11, v10
	s_delay_alu instid0(VALU_DEP_3) | instskip(SKIP_1) | instid1(VALU_DEP_2)
	v_cmp_eq_u32_e64 s3, 1, v17
	s_wait_alu 0xf1ff
	v_cndmask_b32_e64 v17, 0, 1, s4
	s_and_b32 s2, s2, s3
	s_wait_alu 0xfffe
	s_delay_alu instid0(VALU_DEP_1) | instskip(NEXT) | instid1(VALU_DEP_1)
	v_cndmask_b32_e64 v17, v17, v6, s2
	v_and_b32_e32 v17, 1, v17
	s_delay_alu instid0(VALU_DEP_1)
	v_cmp_eq_u32_e64 s2, 1, v17
	v_lshl_add_u32 v17, v6, 3, v8
	s_and_saveexec_b32 s3, s2
	s_wait_alu 0xfffe
	s_xor_b32 s2, exec_lo, s3
	s_cbranch_execz .LBB12_13
; %bb.12:
	ds_load_b128 v[20:23], v17
	v_lshlrev_b16 v18, 8, v18
	v_and_b32_e32 v19, 0xff, v19
	v_lshlrev_b16 v14, 8, v14
	s_delay_alu instid0(VALU_DEP_2) | instskip(NEXT) | instid1(VALU_DEP_2)
	v_or_b32_e32 v24, v19, v18
	v_or_b32_e32 v11, v11, v14
	s_wait_dscnt 0x0
	v_dual_mov_b32 v18, v22 :: v_dual_mov_b32 v19, v23
	ds_store_b16 v2, v24
	ds_store_b128 v17, v[18:21]
	ds_store_b16 v3, v11
.LBB12_13:
	s_wait_alu 0xfffe
	s_or_b32 exec_lo, exec_lo, s2
	v_sub_nc_u32_e32 v14, v16, v10
	s_wait_loadcnt_dscnt 0x0
	s_barrier_signal -1
	s_barrier_wait -1
	global_inv scope:SCOPE_SE
	v_add_nc_u32_e32 v10, v15, v14
	v_add_nc_u32_e32 v11, v13, v14
	v_bfe_u32 v23, v6, 1, 1
	v_lshl_add_u32 v14, v14, 3, v12
	ds_load_u8 v19, v10
	ds_load_i8 v20, v11
	ds_load_i8 v22, v11 offset:2
	ds_load_u8 v21, v10 offset:2
	s_wait_dscnt 0x3
	v_and_b32_e32 v18, 1, v19
	s_wait_dscnt 0x1
	v_cmp_lt_i16_e64 s2, v20, v22
	s_wait_dscnt 0x0
	v_cmp_ne_u16_e64 s4, v21, v23
	v_cmp_eq_u32_e64 s3, 1, v18
	s_wait_alu 0xf1ff
	s_delay_alu instid0(VALU_DEP_2) | instskip(SKIP_2) | instid1(VALU_DEP_1)
	v_cndmask_b32_e64 v18, 0, 1, s4
	s_and_b32 s2, s2, s3
	s_wait_alu 0xfffe
	v_cndmask_b32_e64 v23, v18, v23, s2
	v_and_b32_e32 v18, 2, v6
	s_delay_alu instid0(VALU_DEP_2) | instskip(NEXT) | instid1(VALU_DEP_2)
	v_and_b32_e32 v23, 1, v23
	v_cmp_ne_u32_e64 s2, 0, v18
	s_delay_alu instid0(VALU_DEP_2)
	v_cmp_eq_u32_e64 s3, 1, v23
	s_and_saveexec_b32 s4, s3
	s_wait_alu 0xfffe
	s_xor_b32 s3, exec_lo, s4
	s_cbranch_execz .LBB12_15
; %bb.14:
	ds_load_2addr_b64 v[23:26], v14 offset1:2
	s_wait_dscnt 0x0
	ds_store_2addr_b64 v14, v[25:26], v[23:24] offset1:2
	ds_store_b8 v11, v22
	ds_store_b8 v11, v20 offset:2
	ds_store_b8 v10, v21
	ds_store_b8 v10, v19 offset:2
.LBB12_15:
	s_wait_alu 0xfffe
	s_or_b32 exec_lo, exec_lo, s3
	s_wait_loadcnt_dscnt 0x0
	s_barrier_signal -1
	s_barrier_wait -1
	global_inv scope:SCOPE_SE
	ds_load_u16 v21, v2
	ds_load_u16 v19, v3
	v_lshrrev_b32_e32 v22, 1, v18
	v_cndmask_b32_e64 v24, 0, 1, s2
	s_wait_dscnt 0x1
	v_bfe_i32 v20, v21, 0, 8
	s_wait_dscnt 0x0
	v_lshrrev_b16 v18, 8, v19
	v_ashrrev_i16 v21, 8, v21
	v_and_b32_e32 v23, 1, v19
	s_delay_alu instid0(VALU_DEP_3) | instskip(NEXT) | instid1(VALU_DEP_3)
	v_cmp_ne_u16_e64 s4, v18, v22
	v_cmp_lt_i16_e64 s2, v20, v21
	s_delay_alu instid0(VALU_DEP_3) | instskip(SKIP_1) | instid1(VALU_DEP_3)
	v_cmp_eq_u32_e64 s3, 1, v23
	s_wait_alu 0xf1ff
	v_cndmask_b32_e64 v22, 0, 1, s4
	s_and_b32 s2, s2, s3
	s_mov_b32 s3, exec_lo
	s_wait_alu 0xfffe
	s_delay_alu instid0(VALU_DEP_1) | instskip(NEXT) | instid1(VALU_DEP_1)
	v_cndmask_b32_e64 v22, v22, v24, s2
	v_and_b32_e32 v22, 1, v22
	s_delay_alu instid0(VALU_DEP_1)
	v_cmpx_eq_u32_e32 1, v22
	s_cbranch_execz .LBB12_17
; %bb.16:
	ds_load_b128 v[22:25], v17
	v_lshlrev_b16 v20, 8, v20
	v_and_b32_e32 v21, 0xff, v21
	v_lshlrev_b16 v26, 8, v19
	s_delay_alu instid0(VALU_DEP_2) | instskip(NEXT) | instid1(VALU_DEP_2)
	v_or_b32_e32 v27, v21, v20
	v_or_b32_e32 v18, v18, v26
	s_wait_dscnt 0x0
	v_dual_mov_b32 v19, v24 :: v_dual_mov_b32 v20, v25
	v_dual_mov_b32 v21, v22 :: v_dual_mov_b32 v22, v23
	ds_store_b16 v2, v27
	ds_store_b128 v17, v[19:22]
	ds_store_b16 v3, v18
.LBB12_17:
	s_or_b32 exec_lo, exec_lo, s3
	v_and_b32_e32 v17, 3, v6
	s_wait_loadcnt_dscnt 0x0
	s_barrier_signal -1
	s_barrier_wait -1
	global_inv scope:SCOPE_SE
	v_sub_nc_u32_e32 v20, v16, v17
	v_bfe_u32 v25, v6, 2, 1
	s_delay_alu instid0(VALU_DEP_2)
	v_add_nc_u32_e32 v17, v15, v20
	v_add_nc_u32_e32 v18, v13, v20
	v_lshl_add_u32 v20, v20, 3, v12
	ds_load_u8 v21, v17
	ds_load_i8 v22, v18
	ds_load_i8 v24, v18 offset:4
	ds_load_u8 v23, v17 offset:4
	s_wait_dscnt 0x3
	v_and_b32_e32 v19, 1, v21
	s_wait_dscnt 0x1
	v_cmp_lt_i16_e64 s2, v22, v24
	s_wait_dscnt 0x0
	v_cmp_ne_u16_e64 s4, v23, v25
	v_cmp_eq_u32_e64 s3, 1, v19
	s_wait_alu 0xf1ff
	s_delay_alu instid0(VALU_DEP_2) | instskip(SKIP_3) | instid1(VALU_DEP_1)
	v_cndmask_b32_e64 v19, 0, 1, s4
	s_mov_b32 s4, exec_lo
	s_and_b32 s2, s2, s3
	s_wait_alu 0xfffe
	v_cndmask_b32_e64 v25, v19, v25, s2
	v_and_b32_e32 v19, 4, v6
	s_delay_alu instid0(VALU_DEP_2) | instskip(NEXT) | instid1(VALU_DEP_2)
	v_and_b32_e32 v25, 1, v25
	v_cmp_ne_u32_e64 s2, 0, v19
	s_delay_alu instid0(VALU_DEP_2)
	v_cmpx_eq_u32_e32 1, v25
	s_cbranch_execz .LBB12_19
; %bb.18:
	ds_load_2addr_b64 v[25:28], v20 offset1:4
	s_wait_dscnt 0x0
	ds_store_2addr_b64 v20, v[27:28], v[25:26] offset1:4
	ds_store_b8 v18, v24
	ds_store_b8 v18, v22 offset:4
	ds_store_b8 v17, v23
	ds_store_b8 v17, v21 offset:4
.LBB12_19:
	s_or_b32 exec_lo, exec_lo, s4
	s_wait_loadcnt_dscnt 0x0
	s_barrier_signal -1
	s_barrier_wait -1
	global_inv scope:SCOPE_SE
	ds_load_u8 v22, v10
	ds_load_i8 v23, v11
	ds_load_i8 v25, v11 offset:2
	ds_load_u8 v24, v10 offset:2
	v_lshrrev_b32_e32 v19, 2, v19
	v_cndmask_b32_e64 v21, 0, 1, s2
	s_wait_dscnt 0x3
	v_and_b32_e32 v26, 1, v22
	s_wait_dscnt 0x1
	v_cmp_lt_i16_e64 s2, v23, v25
	s_wait_dscnt 0x0
	v_cmp_ne_u16_e64 s4, v24, v19
	v_cmp_eq_u32_e64 s3, 1, v26
	s_wait_alu 0xf1ff
	s_delay_alu instid0(VALU_DEP_2) | instskip(SKIP_3) | instid1(VALU_DEP_1)
	v_cndmask_b32_e64 v26, 0, 1, s4
	s_and_b32 s2, s2, s3
	s_mov_b32 s3, exec_lo
	s_wait_alu 0xfffe
	v_cndmask_b32_e64 v26, v26, v21, s2
	s_delay_alu instid0(VALU_DEP_1) | instskip(NEXT) | instid1(VALU_DEP_1)
	v_and_b32_e32 v26, 1, v26
	v_cmpx_eq_u32_e32 1, v26
	s_cbranch_execz .LBB12_21
; %bb.20:
	ds_load_2addr_b64 v[26:29], v14 offset1:2
	s_wait_dscnt 0x0
	ds_store_2addr_b64 v14, v[28:29], v[26:27] offset1:2
	ds_store_b8 v11, v25
	ds_store_b8 v11, v23 offset:2
	ds_store_b8 v10, v24
	ds_store_b8 v10, v22 offset:2
.LBB12_21:
	s_or_b32 exec_lo, exec_lo, s3
	s_wait_loadcnt_dscnt 0x0
	s_barrier_signal -1
	s_barrier_wait -1
	global_inv scope:SCOPE_SE
	ds_load_u16 v22, v2
	ds_load_u16 v23, v3
	s_wait_dscnt 0x1
	v_bfe_i32 v24, v22, 0, 8
	v_ashrrev_i16 v25, 8, v22
	s_wait_dscnt 0x0
	v_lshrrev_b16 v22, 8, v23
	v_and_b32_e32 v26, 1, v23
	s_delay_alu instid0(VALU_DEP_3) | instskip(NEXT) | instid1(VALU_DEP_3)
	v_cmp_lt_i16_e64 s2, v24, v25
	v_cmp_ne_u16_e64 s4, v22, v19
	s_delay_alu instid0(VALU_DEP_3) | instskip(SKIP_1) | instid1(VALU_DEP_2)
	v_cmp_eq_u32_e64 s3, 1, v26
	s_wait_alu 0xf1ff
	v_cndmask_b32_e64 v19, 0, 1, s4
	s_and_b32 s2, s2, s3
	s_wait_alu 0xfffe
	s_delay_alu instid0(VALU_DEP_1) | instskip(NEXT) | instid1(VALU_DEP_1)
	v_cndmask_b32_e64 v19, v19, v21, s2
	v_and_b32_e32 v19, 1, v19
	s_delay_alu instid0(VALU_DEP_1)
	v_cmp_eq_u32_e64 s2, 1, v19
	v_lshl_add_u32 v19, v16, 3, v12
	s_and_saveexec_b32 s3, s2
	s_cbranch_execz .LBB12_23
; %bb.22:
	ds_load_b128 v[26:29], v19
	v_lshlrev_b16 v21, 8, v24
	v_and_b32_e32 v24, 0xff, v25
	v_lshlrev_b16 v30, 8, v23
	s_delay_alu instid0(VALU_DEP_1)
	v_or_b32_e32 v22, v22, v30
	s_wait_dscnt 0x0
	v_mov_b32_e32 v23, v28
	v_or_b32_e32 v21, v24, v21
	v_dual_mov_b32 v24, v29 :: v_dual_mov_b32 v25, v26
	v_mov_b32_e32 v26, v27
	ds_store_b16 v2, v21
	ds_store_b128 v19, v[23:26]
	ds_store_b16 v3, v22
.LBB12_23:
	s_wait_alu 0xfffe
	s_or_b32 exec_lo, exec_lo, s3
	v_and_b32_e32 v21, 7, v6
	s_wait_loadcnt_dscnt 0x0
	s_barrier_signal -1
	s_barrier_wait -1
	global_inv scope:SCOPE_SE
	v_sub_nc_u32_e32 v23, v16, v21
	v_bfe_u32 v29, v6, 3, 1
	s_delay_alu instid0(VALU_DEP_2)
	v_add_nc_u32_e32 v21, v15, v23
	v_add_nc_u32_e32 v22, v13, v23
	v_lshl_add_u32 v23, v23, 3, v12
	ds_load_u8 v25, v21
	ds_load_i8 v26, v22
	ds_load_i8 v28, v22 offset:8
	ds_load_u8 v27, v21 offset:8
	s_wait_dscnt 0x3
	v_and_b32_e32 v24, 1, v25
	s_wait_dscnt 0x1
	v_cmp_lt_i16_e64 s2, v26, v28
	s_wait_dscnt 0x0
	v_cmp_ne_u16_e64 s4, v27, v29
	v_cmp_eq_u32_e64 s3, 1, v24
	s_wait_alu 0xf1ff
	s_delay_alu instid0(VALU_DEP_2) | instskip(SKIP_3) | instid1(VALU_DEP_1)
	v_cndmask_b32_e64 v24, 0, 1, s4
	s_mov_b32 s4, exec_lo
	s_and_b32 s2, s2, s3
	s_wait_alu 0xfffe
	v_cndmask_b32_e64 v29, v24, v29, s2
	v_and_b32_e32 v24, 8, v6
	s_delay_alu instid0(VALU_DEP_2) | instskip(NEXT) | instid1(VALU_DEP_2)
	v_and_b32_e32 v29, 1, v29
	v_cmp_ne_u32_e64 s2, 0, v24
	s_delay_alu instid0(VALU_DEP_2)
	v_cmpx_eq_u32_e32 1, v29
	s_cbranch_execz .LBB12_25
; %bb.24:
	ds_load_2addr_b64 v[29:32], v23 offset1:8
	s_wait_dscnt 0x0
	ds_store_2addr_b64 v23, v[31:32], v[29:30] offset1:8
	ds_store_b8 v22, v28
	ds_store_b8 v22, v26 offset:8
	ds_store_b8 v21, v27
	ds_store_b8 v21, v25 offset:8
.LBB12_25:
	s_or_b32 exec_lo, exec_lo, s4
	s_wait_loadcnt_dscnt 0x0
	s_barrier_signal -1
	s_barrier_wait -1
	global_inv scope:SCOPE_SE
	ds_load_u8 v26, v17
	ds_load_i8 v27, v18
	ds_load_i8 v29, v18 offset:4
	ds_load_u8 v28, v17 offset:4
	v_lshrrev_b32_e32 v24, 3, v24
	v_cndmask_b32_e64 v25, 0, 1, s2
	s_wait_dscnt 0x3
	v_and_b32_e32 v30, 1, v26
	s_wait_dscnt 0x1
	v_cmp_lt_i16_e64 s2, v27, v29
	s_wait_dscnt 0x0
	v_cmp_ne_u16_e64 s4, v28, v24
	v_cmp_eq_u32_e64 s3, 1, v30
	s_wait_alu 0xf1ff
	s_delay_alu instid0(VALU_DEP_2) | instskip(SKIP_3) | instid1(VALU_DEP_1)
	v_cndmask_b32_e64 v30, 0, 1, s4
	s_and_b32 s2, s2, s3
	s_mov_b32 s3, exec_lo
	s_wait_alu 0xfffe
	v_cndmask_b32_e64 v30, v30, v25, s2
	s_delay_alu instid0(VALU_DEP_1) | instskip(NEXT) | instid1(VALU_DEP_1)
	v_and_b32_e32 v30, 1, v30
	v_cmpx_eq_u32_e32 1, v30
	s_cbranch_execz .LBB12_27
; %bb.26:
	ds_load_2addr_b64 v[30:33], v20 offset1:4
	s_wait_dscnt 0x0
	ds_store_2addr_b64 v20, v[32:33], v[30:31] offset1:4
	ds_store_b8 v18, v29
	ds_store_b8 v18, v27 offset:4
	ds_store_b8 v17, v28
	ds_store_b8 v17, v26 offset:4
.LBB12_27:
	s_or_b32 exec_lo, exec_lo, s3
	s_wait_loadcnt_dscnt 0x0
	s_barrier_signal -1
	s_barrier_wait -1
	global_inv scope:SCOPE_SE
	ds_load_u8 v26, v10
	ds_load_i8 v27, v11
	ds_load_i8 v29, v11 offset:2
	ds_load_u8 v28, v10 offset:2
	s_wait_dscnt 0x3
	v_and_b32_e32 v30, 1, v26
	s_wait_dscnt 0x1
	v_cmp_lt_i16_e64 s2, v27, v29
	s_wait_dscnt 0x0
	v_cmp_ne_u16_e64 s4, v28, v24
	v_cmp_eq_u32_e64 s3, 1, v30
	s_wait_alu 0xf1ff
	s_delay_alu instid0(VALU_DEP_2) | instskip(SKIP_3) | instid1(VALU_DEP_1)
	v_cndmask_b32_e64 v30, 0, 1, s4
	s_and_b32 s2, s2, s3
	s_mov_b32 s3, exec_lo
	s_wait_alu 0xfffe
	v_cndmask_b32_e64 v30, v30, v25, s2
	s_delay_alu instid0(VALU_DEP_1) | instskip(NEXT) | instid1(VALU_DEP_1)
	v_and_b32_e32 v30, 1, v30
	v_cmpx_eq_u32_e32 1, v30
	s_cbranch_execz .LBB12_29
; %bb.28:
	ds_load_2addr_b64 v[30:33], v14 offset1:2
	s_wait_dscnt 0x0
	ds_store_2addr_b64 v14, v[32:33], v[30:31] offset1:2
	ds_store_b8 v11, v29
	ds_store_b8 v11, v27 offset:2
	ds_store_b8 v10, v28
	ds_store_b8 v10, v26 offset:2
.LBB12_29:
	s_or_b32 exec_lo, exec_lo, s3
	s_wait_loadcnt_dscnt 0x0
	s_barrier_signal -1
	s_barrier_wait -1
	global_inv scope:SCOPE_SE
	ds_load_u16 v26, v2
	ds_load_u16 v27, v3
	s_wait_dscnt 0x1
	v_bfe_i32 v28, v26, 0, 8
	v_ashrrev_i16 v29, 8, v26
	s_wait_dscnt 0x0
	v_lshrrev_b16 v26, 8, v27
	v_and_b32_e32 v30, 1, v27
	s_delay_alu instid0(VALU_DEP_3) | instskip(NEXT) | instid1(VALU_DEP_3)
	v_cmp_lt_i16_e64 s2, v28, v29
	v_cmp_ne_u16_e64 s4, v26, v24
	s_delay_alu instid0(VALU_DEP_3) | instskip(SKIP_1) | instid1(VALU_DEP_2)
	v_cmp_eq_u32_e64 s3, 1, v30
	s_wait_alu 0xf1ff
	v_cndmask_b32_e64 v24, 0, 1, s4
	s_and_b32 s2, s2, s3
	s_mov_b32 s3, exec_lo
	s_wait_alu 0xfffe
	s_delay_alu instid0(VALU_DEP_1) | instskip(NEXT) | instid1(VALU_DEP_1)
	v_cndmask_b32_e64 v24, v24, v25, s2
	v_and_b32_e32 v24, 1, v24
	s_delay_alu instid0(VALU_DEP_1)
	v_cmpx_eq_u32_e32 1, v24
	s_cbranch_execz .LBB12_31
; %bb.30:
	ds_load_b128 v[30:33], v19
	v_lshlrev_b16 v24, 8, v28
	v_and_b32_e32 v25, 0xff, v29
	v_lshlrev_b16 v34, 8, v27
	s_wait_dscnt 0x0
	v_mov_b32_e32 v28, v33
	s_delay_alu instid0(VALU_DEP_3)
	v_or_b32_e32 v24, v25, v24
	v_mov_b32_e32 v27, v32
	v_dual_mov_b32 v29, v30 :: v_dual_mov_b32 v30, v31
	v_or_b32_e32 v25, v26, v34
	ds_store_b16 v2, v24
	ds_store_b128 v19, v[27:30]
	ds_store_b16 v3, v25
.LBB12_31:
	s_or_b32 exec_lo, exec_lo, s3
	v_and_b32_e32 v24, 15, v6
	s_wait_loadcnt_dscnt 0x0
	s_barrier_signal -1
	s_barrier_wait -1
	global_inv scope:SCOPE_SE
	v_sub_nc_u32_e32 v16, v16, v24
	s_delay_alu instid0(VALU_DEP_1)
	v_add_nc_u32_e32 v15, v15, v16
	v_add_nc_u32_e32 v13, v13, v16
	ds_load_u8 v24, v15
	ds_load_u8 v27, v15 offset:16
	ds_load_i8 v25, v13
	ds_load_i8 v26, v13 offset:16
	s_wait_dscnt 0x2
	v_and_b32_e32 v27, 0xff, v27
	v_and_b32_e32 v28, 1, v24
	s_wait_dscnt 0x0
	v_cmp_ge_i16_e64 s3, v25, v26
	s_delay_alu instid0(VALU_DEP_3) | instskip(NEXT) | instid1(VALU_DEP_3)
	v_cmp_ne_u16_e64 s4, 0, v27
	v_cmp_eq_u32_e64 s2, 1, v28
	s_xor_b32 s2, s2, -1
	s_wait_alu 0xfffe
	s_or_b32 s2, s3, s2
	s_wait_alu 0xfffe
	s_and_b32 s3, s2, s4
	s_wait_alu 0xfffe
	s_and_saveexec_b32 s2, s3
	s_cbranch_execz .LBB12_33
; %bb.32:
	v_lshl_add_u32 v12, v16, 3, v12
	v_mov_b32_e32 v16, 1
	ds_load_2addr_b64 v[27:30], v12 offset1:16
	s_wait_dscnt 0x0
	ds_store_2addr_b64 v12, v[29:30], v[27:28] offset1:16
	ds_store_b8 v13, v26
	ds_store_b8 v13, v25 offset:16
	ds_store_b8 v15, v16
	ds_store_b8 v15, v24 offset:16
.LBB12_33:
	s_wait_alu 0xfffe
	s_or_b32 exec_lo, exec_lo, s2
	s_wait_loadcnt_dscnt 0x0
	s_barrier_signal -1
	s_barrier_wait -1
	global_inv scope:SCOPE_SE
	ds_load_u8 v12, v21
	ds_load_u8 v16, v21 offset:8
	ds_load_i8 v13, v22
	ds_load_i8 v15, v22 offset:8
	s_wait_dscnt 0x3
	v_and_b32_e32 v24, 1, v12
	s_wait_dscnt 0x2
	v_and_b32_e32 v16, 0xff, v16
	s_wait_dscnt 0x0
	v_cmp_ge_i16_e64 s3, v13, v15
	v_cmp_eq_u32_e64 s2, 1, v24
	s_delay_alu instid0(VALU_DEP_3)
	v_cmp_ne_u16_e64 s4, 0, v16
	s_xor_b32 s2, s2, -1
	s_wait_alu 0xfffe
	s_or_b32 s2, s3, s2
	s_wait_alu 0xfffe
	s_and_b32 s3, s2, s4
	s_wait_alu 0xfffe
	s_and_saveexec_b32 s2, s3
	s_cbranch_execz .LBB12_35
; %bb.34:
	ds_load_2addr_b64 v[24:27], v23 offset1:8
	v_mov_b32_e32 v16, 1
	s_wait_dscnt 0x0
	ds_store_2addr_b64 v23, v[26:27], v[24:25] offset1:8
	ds_store_b8 v22, v15
	ds_store_b8 v22, v13 offset:8
	ds_store_b8 v21, v16
	ds_store_b8 v21, v12 offset:8
.LBB12_35:
	s_wait_alu 0xfffe
	s_or_b32 exec_lo, exec_lo, s2
	s_wait_loadcnt_dscnt 0x0
	s_barrier_signal -1
	s_barrier_wait -1
	global_inv scope:SCOPE_SE
	ds_load_u8 v12, v17
	ds_load_u8 v16, v17 offset:4
	ds_load_i8 v13, v18
	ds_load_i8 v15, v18 offset:4
	s_wait_dscnt 0x3
	v_and_b32_e32 v21, 1, v12
	s_wait_dscnt 0x2
	v_and_b32_e32 v16, 0xff, v16
	s_wait_dscnt 0x0
	v_cmp_ge_i16_e64 s3, v13, v15
	v_cmp_eq_u32_e64 s2, 1, v21
	s_delay_alu instid0(VALU_DEP_3)
	v_cmp_ne_u16_e64 s4, 0, v16
	s_xor_b32 s2, s2, -1
	s_wait_alu 0xfffe
	s_or_b32 s2, s3, s2
	s_wait_alu 0xfffe
	s_and_b32 s3, s2, s4
	s_wait_alu 0xfffe
	s_and_saveexec_b32 s2, s3
	s_cbranch_execz .LBB12_37
; %bb.36:
	ds_load_2addr_b64 v[21:24], v20 offset1:4
	v_mov_b32_e32 v16, 1
	s_wait_dscnt 0x0
	ds_store_2addr_b64 v20, v[23:24], v[21:22] offset1:4
	ds_store_b8 v18, v15
	ds_store_b8 v18, v13 offset:4
	ds_store_b8 v17, v16
	ds_store_b8 v17, v12 offset:4
.LBB12_37:
	;; [unrolled: 37-line block ×3, first 2 shown]
	s_wait_alu 0xfffe
	s_or_b32 exec_lo, exec_lo, s2
	s_wait_loadcnt_dscnt 0x0
	s_barrier_signal -1
	s_barrier_wait -1
	global_inv scope:SCOPE_SE
	ds_load_u16 v10, v3
	ds_load_u16 v12, v2
	s_wait_dscnt 0x1
	v_and_b32_e32 v13, 1, v10
	s_wait_dscnt 0x0
	v_bfe_i32 v11, v12, 0, 8
	v_ashrrev_i16 v12, 8, v12
	v_lshrrev_b16 v14, 8, v10
	v_cmp_eq_u32_e64 s2, 1, v13
	s_delay_alu instid0(VALU_DEP_3) | instskip(NEXT) | instid1(VALU_DEP_3)
	v_cmp_ge_i16_e64 s3, v11, v12
	v_cmp_ne_u16_e64 s4, 0, v14
	s_xor_b32 s2, s2, -1
	s_wait_alu 0xfffe
	s_or_b32 s2, s3, s2
	s_wait_alu 0xfffe
	s_and_b32 s3, s2, s4
	s_wait_alu 0xfffe
	s_and_saveexec_b32 s2, s3
	s_cbranch_execz .LBB12_41
; %bb.40:
	ds_load_b128 v[13:16], v19
	v_lshlrev_b16 v11, 8, v11
	v_and_b32_e32 v12, 0xff, v12
	v_lshlrev_b16 v17, 8, v10
	s_delay_alu instid0(VALU_DEP_2)
	v_or_b32_e32 v18, v12, v11
	s_wait_dscnt 0x0
	v_dual_mov_b32 v10, v15 :: v_dual_mov_b32 v11, v16
	v_dual_mov_b32 v12, v13 :: v_dual_mov_b32 v13, v14
	v_or_b32_e32 v14, 1, v17
	ds_store_b16 v2, v18
	ds_store_b128 v19, v[10:13]
	ds_store_b16 v3, v14
.LBB12_41:
	s_wait_alu 0xfffe
	s_or_b32 exec_lo, exec_lo, s2
	s_wait_loadcnt_dscnt 0x0
	s_barrier_signal -1
	s_barrier_wait -1
	global_inv scope:SCOPE_SE
	s_and_saveexec_b32 s2, s0
	s_cbranch_execz .LBB12_46
; %bb.42:
	s_and_saveexec_b32 s0, vcc_lo
	s_cbranch_execz .LBB12_44
; %bb.43:
	v_mad_co_u64_u32 v[2:3], null, v6, s7, v[1:2]
	ds_load_u8 v12, v9
	ds_load_b64 v[8:9], v8
	v_mov_b32_e32 v3, 0
	v_mad_co_u64_u32 v[10:11], null, v6, s6, v[0:1]
	s_delay_alu instid0(VALU_DEP_2) | instskip(NEXT) | instid1(VALU_DEP_1)
	v_lshlrev_b64_e32 v[2:3], 3, v[2:3]
	v_add_co_u32 v2, vcc_lo, s10, v2
	s_wait_alu 0xfffd
	s_delay_alu instid0(VALU_DEP_2)
	v_add_co_ci_u32_e64 v3, null, s11, v3, vcc_lo
	s_wait_dscnt 0x1
	global_store_b8 v10, v12, s[8:9]
	s_wait_dscnt 0x0
	global_store_b64 v[2:3], v[8:9], off
.LBB12_44:
	s_wait_alu 0xfffe
	s_or_b32 exec_lo, exec_lo, s0
	s_delay_alu instid0(SALU_CYCLE_1)
	s_and_b32 exec_lo, exec_lo, s1
	s_cbranch_execz .LBB12_46
; %bb.45:
	v_mad_co_u64_u32 v[1:2], null, v7, s7, v[1:2]
	ds_load_u8 v8, v4
	ds_load_b64 v[3:4], v5
	v_mov_b32_e32 v2, 0
	s_delay_alu instid0(VALU_DEP_1) | instskip(NEXT) | instid1(VALU_DEP_1)
	v_lshlrev_b64_e32 v[1:2], 3, v[1:2]
	v_mad_co_u64_u32 v[5:6], null, v7, s6, v[0:1]
	v_add_co_u32 v0, vcc_lo, s10, v1
	s_wait_alu 0xfffd
	s_delay_alu instid0(VALU_DEP_3)
	v_add_co_ci_u32_e64 v1, null, s11, v2, vcc_lo
	s_wait_dscnt 0x1
	global_store_b8 v5, v8, s[8:9]
	s_wait_dscnt 0x0
	global_store_b64 v[0:1], v[3:4], off
.LBB12_46:
	s_endpgm
	.section	.rodata,"a",@progbits
	.p2align	6, 0x0
	.amdhsa_kernel _ZN2at6native20bitonicSortKVInPlaceILin1ELin1ELi16ELi16EalNS0_4LTOpIaLb1EEEjEEvNS_4cuda6detail10TensorInfoIT3_T6_EES8_S8_S8_NS6_IT4_S8_EES8_T5_
		.amdhsa_group_segment_fixed_size 5120
		.amdhsa_private_segment_fixed_size 0
		.amdhsa_kernarg_size 712
		.amdhsa_user_sgpr_count 2
		.amdhsa_user_sgpr_dispatch_ptr 0
		.amdhsa_user_sgpr_queue_ptr 0
		.amdhsa_user_sgpr_kernarg_segment_ptr 1
		.amdhsa_user_sgpr_dispatch_id 0
		.amdhsa_user_sgpr_private_segment_size 0
		.amdhsa_wavefront_size32 1
		.amdhsa_uses_dynamic_stack 0
		.amdhsa_enable_private_segment 0
		.amdhsa_system_sgpr_workgroup_id_x 1
		.amdhsa_system_sgpr_workgroup_id_y 1
		.amdhsa_system_sgpr_workgroup_id_z 1
		.amdhsa_system_sgpr_workgroup_info 0
		.amdhsa_system_vgpr_workitem_id 1
		.amdhsa_next_free_vgpr 35
		.amdhsa_next_free_sgpr 14
		.amdhsa_reserve_vcc 1
		.amdhsa_float_round_mode_32 0
		.amdhsa_float_round_mode_16_64 0
		.amdhsa_float_denorm_mode_32 3
		.amdhsa_float_denorm_mode_16_64 3
		.amdhsa_fp16_overflow 0
		.amdhsa_workgroup_processor_mode 1
		.amdhsa_memory_ordered 1
		.amdhsa_forward_progress 1
		.amdhsa_inst_pref_size 39
		.amdhsa_round_robin_scheduling 0
		.amdhsa_exception_fp_ieee_invalid_op 0
		.amdhsa_exception_fp_denorm_src 0
		.amdhsa_exception_fp_ieee_div_zero 0
		.amdhsa_exception_fp_ieee_overflow 0
		.amdhsa_exception_fp_ieee_underflow 0
		.amdhsa_exception_fp_ieee_inexact 0
		.amdhsa_exception_int_div_zero 0
	.end_amdhsa_kernel
	.section	.text._ZN2at6native20bitonicSortKVInPlaceILin1ELin1ELi16ELi16EalNS0_4LTOpIaLb1EEEjEEvNS_4cuda6detail10TensorInfoIT3_T6_EES8_S8_S8_NS6_IT4_S8_EES8_T5_,"axG",@progbits,_ZN2at6native20bitonicSortKVInPlaceILin1ELin1ELi16ELi16EalNS0_4LTOpIaLb1EEEjEEvNS_4cuda6detail10TensorInfoIT3_T6_EES8_S8_S8_NS6_IT4_S8_EES8_T5_,comdat
.Lfunc_end12:
	.size	_ZN2at6native20bitonicSortKVInPlaceILin1ELin1ELi16ELi16EalNS0_4LTOpIaLb1EEEjEEvNS_4cuda6detail10TensorInfoIT3_T6_EES8_S8_S8_NS6_IT4_S8_EES8_T5_, .Lfunc_end12-_ZN2at6native20bitonicSortKVInPlaceILin1ELin1ELi16ELi16EalNS0_4LTOpIaLb1EEEjEEvNS_4cuda6detail10TensorInfoIT3_T6_EES8_S8_S8_NS6_IT4_S8_EES8_T5_
                                        ; -- End function
	.set _ZN2at6native20bitonicSortKVInPlaceILin1ELin1ELi16ELi16EalNS0_4LTOpIaLb1EEEjEEvNS_4cuda6detail10TensorInfoIT3_T6_EES8_S8_S8_NS6_IT4_S8_EES8_T5_.num_vgpr, 35
	.set _ZN2at6native20bitonicSortKVInPlaceILin1ELin1ELi16ELi16EalNS0_4LTOpIaLb1EEEjEEvNS_4cuda6detail10TensorInfoIT3_T6_EES8_S8_S8_NS6_IT4_S8_EES8_T5_.num_agpr, 0
	.set _ZN2at6native20bitonicSortKVInPlaceILin1ELin1ELi16ELi16EalNS0_4LTOpIaLb1EEEjEEvNS_4cuda6detail10TensorInfoIT3_T6_EES8_S8_S8_NS6_IT4_S8_EES8_T5_.numbered_sgpr, 14
	.set _ZN2at6native20bitonicSortKVInPlaceILin1ELin1ELi16ELi16EalNS0_4LTOpIaLb1EEEjEEvNS_4cuda6detail10TensorInfoIT3_T6_EES8_S8_S8_NS6_IT4_S8_EES8_T5_.num_named_barrier, 0
	.set _ZN2at6native20bitonicSortKVInPlaceILin1ELin1ELi16ELi16EalNS0_4LTOpIaLb1EEEjEEvNS_4cuda6detail10TensorInfoIT3_T6_EES8_S8_S8_NS6_IT4_S8_EES8_T5_.private_seg_size, 0
	.set _ZN2at6native20bitonicSortKVInPlaceILin1ELin1ELi16ELi16EalNS0_4LTOpIaLb1EEEjEEvNS_4cuda6detail10TensorInfoIT3_T6_EES8_S8_S8_NS6_IT4_S8_EES8_T5_.uses_vcc, 1
	.set _ZN2at6native20bitonicSortKVInPlaceILin1ELin1ELi16ELi16EalNS0_4LTOpIaLb1EEEjEEvNS_4cuda6detail10TensorInfoIT3_T6_EES8_S8_S8_NS6_IT4_S8_EES8_T5_.uses_flat_scratch, 0
	.set _ZN2at6native20bitonicSortKVInPlaceILin1ELin1ELi16ELi16EalNS0_4LTOpIaLb1EEEjEEvNS_4cuda6detail10TensorInfoIT3_T6_EES8_S8_S8_NS6_IT4_S8_EES8_T5_.has_dyn_sized_stack, 0
	.set _ZN2at6native20bitonicSortKVInPlaceILin1ELin1ELi16ELi16EalNS0_4LTOpIaLb1EEEjEEvNS_4cuda6detail10TensorInfoIT3_T6_EES8_S8_S8_NS6_IT4_S8_EES8_T5_.has_recursion, 0
	.set _ZN2at6native20bitonicSortKVInPlaceILin1ELin1ELi16ELi16EalNS0_4LTOpIaLb1EEEjEEvNS_4cuda6detail10TensorInfoIT3_T6_EES8_S8_S8_NS6_IT4_S8_EES8_T5_.has_indirect_call, 0
	.section	.AMDGPU.csdata,"",@progbits
; Kernel info:
; codeLenInByte = 4972
; TotalNumSgprs: 16
; NumVgprs: 35
; ScratchSize: 0
; MemoryBound: 0
; FloatMode: 240
; IeeeMode: 1
; LDSByteSize: 5120 bytes/workgroup (compile time only)
; SGPRBlocks: 0
; VGPRBlocks: 4
; NumSGPRsForWavesPerEU: 16
; NumVGPRsForWavesPerEU: 35
; Occupancy: 16
; WaveLimiterHint : 1
; COMPUTE_PGM_RSRC2:SCRATCH_EN: 0
; COMPUTE_PGM_RSRC2:USER_SGPR: 2
; COMPUTE_PGM_RSRC2:TRAP_HANDLER: 0
; COMPUTE_PGM_RSRC2:TGID_X_EN: 1
; COMPUTE_PGM_RSRC2:TGID_Y_EN: 1
; COMPUTE_PGM_RSRC2:TGID_Z_EN: 1
; COMPUTE_PGM_RSRC2:TIDIG_COMP_CNT: 1
	.section	.text._ZN2at6native20bitonicSortKVInPlaceILin1ELin1ELi16ELi16EalNS0_4GTOpIaLb1EEEjEEvNS_4cuda6detail10TensorInfoIT3_T6_EES8_S8_S8_NS6_IT4_S8_EES8_T5_,"axG",@progbits,_ZN2at6native20bitonicSortKVInPlaceILin1ELin1ELi16ELi16EalNS0_4GTOpIaLb1EEEjEEvNS_4cuda6detail10TensorInfoIT3_T6_EES8_S8_S8_NS6_IT4_S8_EES8_T5_,comdat
	.protected	_ZN2at6native20bitonicSortKVInPlaceILin1ELin1ELi16ELi16EalNS0_4GTOpIaLb1EEEjEEvNS_4cuda6detail10TensorInfoIT3_T6_EES8_S8_S8_NS6_IT4_S8_EES8_T5_ ; -- Begin function _ZN2at6native20bitonicSortKVInPlaceILin1ELin1ELi16ELi16EalNS0_4GTOpIaLb1EEEjEEvNS_4cuda6detail10TensorInfoIT3_T6_EES8_S8_S8_NS6_IT4_S8_EES8_T5_
	.globl	_ZN2at6native20bitonicSortKVInPlaceILin1ELin1ELi16ELi16EalNS0_4GTOpIaLb1EEEjEEvNS_4cuda6detail10TensorInfoIT3_T6_EES8_S8_S8_NS6_IT4_S8_EES8_T5_
	.p2align	8
	.type	_ZN2at6native20bitonicSortKVInPlaceILin1ELin1ELi16ELi16EalNS0_4GTOpIaLb1EEEjEEvNS_4cuda6detail10TensorInfoIT3_T6_EES8_S8_S8_NS6_IT4_S8_EES8_T5_,@function
_ZN2at6native20bitonicSortKVInPlaceILin1ELin1ELi16ELi16EalNS0_4GTOpIaLb1EEEjEEvNS_4cuda6detail10TensorInfoIT3_T6_EES8_S8_S8_NS6_IT4_S8_EES8_T5_: ; @_ZN2at6native20bitonicSortKVInPlaceILin1ELin1ELi16ELi16EalNS0_4GTOpIaLb1EEEjEEvNS_4cuda6detail10TensorInfoIT3_T6_EES8_S8_S8_NS6_IT4_S8_EES8_T5_
; %bb.0:
	s_clause 0x2
	s_load_b64 s[2:3], s[0:1], 0x1c8
	s_load_u16 s7, s[0:1], 0x1d6
	s_load_b96 s[4:6], s[0:1], 0xd8
	s_lshr_b32 s8, ttmp7, 16
	s_wait_kmcnt 0x0
	s_mul_i32 s3, s3, s8
	s_and_b32 s8, ttmp7, 0xffff
	s_delay_alu instid0(SALU_CYCLE_1) | instskip(NEXT) | instid1(SALU_CYCLE_1)
	s_add_co_i32 s3, s3, s8
	s_mul_i32 s2, s3, s2
	s_delay_alu instid0(SALU_CYCLE_1) | instskip(NEXT) | instid1(SALU_CYCLE_1)
	s_add_co_i32 s3, s2, ttmp9
	s_mul_i32 s3, s3, s7
	s_delay_alu instid0(SALU_CYCLE_1)
	s_cmp_ge_u32 s3, s4
	s_cbranch_scc1 .LBB13_46
; %bb.1:
	s_load_b32 s2, s[0:1], 0xd0
	v_bfe_u32 v8, v0, 10, 10
	s_delay_alu instid0(VALU_DEP_1) | instskip(NEXT) | instid1(VALU_DEP_1)
	v_dual_mov_b32 v1, 0 :: v_dual_add_nc_u32 v4, s3, v8
	v_mov_b32_e32 v5, v4
	s_wait_kmcnt 0x0
	s_cmp_lt_i32 s2, 2
	s_cbranch_scc1 .LBB13_4
; %bb.2:
	s_add_co_i32 s8, s2, -1
	s_mov_b32 s9, 0
	v_mov_b32_e32 v1, 0
	s_lshl_b64 s[8:9], s[8:9], 2
	v_mov_b32_e32 v5, v4
	s_add_nc_u64 s[8:9], s[0:1], s[8:9]
	s_add_co_i32 s7, s2, 1
	s_add_nc_u64 s[2:3], s[8:9], 8
.LBB13_3:                               ; =>This Inner Loop Header: Depth=1
	s_clause 0x1
	s_load_b32 s8, s[2:3], 0x0
	s_load_b32 s9, s[2:3], 0x64
	s_add_co_i32 s7, s7, -1
	s_add_nc_u64 s[2:3], s[2:3], -4
	s_wait_kmcnt 0x0
	s_cvt_f32_u32 s10, s8
	s_sub_co_i32 s11, 0, s8
	s_wait_alu 0xfffe
	s_delay_alu instid0(SALU_CYCLE_1) | instskip(NEXT) | instid1(TRANS32_DEP_1)
	v_rcp_iflag_f32_e32 v2, s10
	v_readfirstlane_b32 s10, v2
	v_mov_b32_e32 v2, v5
	s_mul_f32 s10, s10, 0x4f7ffffe
	s_wait_alu 0xfffe
	s_delay_alu instid0(SALU_CYCLE_2) | instskip(SKIP_1) | instid1(SALU_CYCLE_2)
	s_cvt_u32_f32 s10, s10
	s_wait_alu 0xfffe
	s_mul_i32 s11, s11, s10
	s_wait_alu 0xfffe
	s_mul_hi_u32 s11, s10, s11
	s_wait_alu 0xfffe
	s_add_co_i32 s10, s10, s11
	s_cmp_gt_u32 s7, 2
	s_wait_alu 0xfffe
	v_mul_hi_u32 v3, v2, s10
	s_delay_alu instid0(VALU_DEP_1) | instskip(SKIP_1) | instid1(VALU_DEP_2)
	v_mul_lo_u32 v5, v3, s8
	v_add_nc_u32_e32 v6, 1, v3
	v_sub_nc_u32_e32 v5, v2, v5
	s_delay_alu instid0(VALU_DEP_1) | instskip(SKIP_3) | instid1(VALU_DEP_3)
	v_subrev_nc_u32_e32 v7, s8, v5
	v_cmp_le_u32_e32 vcc_lo, s8, v5
	s_wait_alu 0xfffd
	v_cndmask_b32_e32 v3, v3, v6, vcc_lo
	v_cndmask_b32_e32 v5, v5, v7, vcc_lo
	s_delay_alu instid0(VALU_DEP_2) | instskip(NEXT) | instid1(VALU_DEP_2)
	v_add_nc_u32_e32 v6, 1, v3
	v_cmp_le_u32_e32 vcc_lo, s8, v5
	s_wait_alu 0xfffd
	s_delay_alu instid0(VALU_DEP_2) | instskip(NEXT) | instid1(VALU_DEP_1)
	v_cndmask_b32_e32 v5, v3, v6, vcc_lo
	v_mul_lo_u32 v3, v5, s8
	s_delay_alu instid0(VALU_DEP_1) | instskip(NEXT) | instid1(VALU_DEP_1)
	v_sub_nc_u32_e32 v2, v2, v3
	v_mad_co_u64_u32 v[1:2], null, s9, v2, v[1:2]
	s_cbranch_scc1 .LBB13_3
.LBB13_4:
	s_load_b32 s7, s[0:1], 0x1b8
	v_dual_mov_b32 v2, 0 :: v_dual_mov_b32 v7, v4
	s_add_nc_u64 s[2:3], s[0:1], 0x1c8
	s_wait_kmcnt 0x0
	s_cmp_lt_i32 s7, 2
	s_cbranch_scc1 .LBB13_7
; %bb.5:
	s_add_co_i32 s8, s7, -1
	s_mov_b32 s9, 0
	v_dual_mov_b32 v2, 0 :: v_dual_mov_b32 v7, v4
	s_wait_alu 0xfffe
	s_lshl_b64 s[8:9], s[8:9], 2
	s_add_co_i32 s7, s7, 1
	s_wait_alu 0xfffe
	s_add_nc_u64 s[8:9], s[0:1], s[8:9]
	s_wait_alu 0xfffe
	s_add_nc_u64 s[8:9], s[8:9], 0xf0
.LBB13_6:                               ; =>This Inner Loop Header: Depth=1
	s_clause 0x1
	s_load_b32 s10, s[8:9], 0x0
	s_load_b32 s11, s[8:9], 0x64
	s_add_co_i32 s7, s7, -1
	s_add_nc_u64 s[8:9], s[8:9], -4
	s_wait_kmcnt 0x0
	s_cvt_f32_u32 s12, s10
	s_sub_co_i32 s13, 0, s10
	s_wait_alu 0xfffe
	s_delay_alu instid0(SALU_CYCLE_1) | instskip(NEXT) | instid1(TRANS32_DEP_1)
	v_rcp_iflag_f32_e32 v3, s12
	v_readfirstlane_b32 s12, v3
	v_mov_b32_e32 v3, v7
	s_mul_f32 s12, s12, 0x4f7ffffe
	s_wait_alu 0xfffe
	s_delay_alu instid0(SALU_CYCLE_2) | instskip(SKIP_1) | instid1(SALU_CYCLE_2)
	s_cvt_u32_f32 s12, s12
	s_wait_alu 0xfffe
	s_mul_i32 s13, s13, s12
	s_wait_alu 0xfffe
	s_mul_hi_u32 s13, s12, s13
	s_wait_alu 0xfffe
	s_add_co_i32 s12, s12, s13
	s_cmp_gt_u32 s7, 2
	s_wait_alu 0xfffe
	v_mul_hi_u32 v6, v3, s12
	s_delay_alu instid0(VALU_DEP_1) | instskip(SKIP_1) | instid1(VALU_DEP_2)
	v_mul_lo_u32 v7, v6, s10
	v_add_nc_u32_e32 v9, 1, v6
	v_sub_nc_u32_e32 v7, v3, v7
	s_delay_alu instid0(VALU_DEP_1) | instskip(SKIP_2) | instid1(VALU_DEP_2)
	v_subrev_nc_u32_e32 v10, s10, v7
	v_cmp_le_u32_e32 vcc_lo, s10, v7
	s_wait_alu 0xfffd
	v_dual_cndmask_b32 v6, v6, v9 :: v_dual_cndmask_b32 v7, v7, v10
	s_delay_alu instid0(VALU_DEP_1) | instskip(NEXT) | instid1(VALU_DEP_2)
	v_add_nc_u32_e32 v9, 1, v6
	v_cmp_le_u32_e32 vcc_lo, s10, v7
	s_wait_alu 0xfffd
	s_delay_alu instid0(VALU_DEP_2) | instskip(NEXT) | instid1(VALU_DEP_1)
	v_cndmask_b32_e32 v7, v6, v9, vcc_lo
	v_mul_lo_u32 v6, v7, s10
	s_delay_alu instid0(VALU_DEP_1) | instskip(NEXT) | instid1(VALU_DEP_1)
	v_sub_nc_u32_e32 v3, v3, v6
	v_mad_co_u64_u32 v[2:3], null, s11, v3, v[2:3]
	s_cbranch_scc1 .LBB13_6
.LBB13_7:
	s_clause 0x1
	s_load_b32 s12, s[0:1], 0x6c
	s_load_b32 s13, s[0:1], 0x154
	;; [unrolled: 1-line block ×3, first 2 shown]
	s_clause 0x2
	s_load_b32 s7, s[0:1], 0x1c0
	s_load_b64 s[8:9], s[0:1], 0x0
	s_load_b64 s[10:11], s[0:1], 0xe8
	v_and_b32_e32 v6, 0x3ff, v0
	v_cmp_gt_u32_e64 s0, s4, v4
	v_dual_mov_b32 v10, 0 :: v_dual_mov_b32 v11, 0
	s_wait_kmcnt 0x0
	v_mad_co_u64_u32 v[0:1], null, s12, v5, v[1:2]
	v_mad_co_u64_u32 v[1:2], null, s13, v7, v[2:3]
	v_mov_b32_e32 v2, 0
	v_mov_b32_e32 v3, 0
	v_cmp_gt_u32_e32 vcc_lo, s5, v6
	v_mov_b32_e32 v4, 0
	v_mov_b32_e32 v5, 0
	s_and_b32 s4, s0, vcc_lo
	s_wait_alu 0xfffe
	s_and_saveexec_b32 s3, s4
	s_cbranch_execz .LBB13_9
; %bb.8:
	v_mad_co_u64_u32 v[4:5], null, v6, s7, v[1:2]
	v_mov_b32_e32 v5, 0
	v_mad_co_u64_u32 v[11:12], null, v6, s6, v[0:1]
	s_delay_alu instid0(VALU_DEP_2) | instskip(NEXT) | instid1(VALU_DEP_1)
	v_lshlrev_b64_e32 v[4:5], 3, v[4:5]
	v_add_co_u32 v4, s1, s10, v4
	s_delay_alu instid0(VALU_DEP_1)
	v_add_co_ci_u32_e64 v5, null, s11, v5, s1
	global_load_u8 v11, v11, s[8:9]
	global_load_b64 v[4:5], v[4:5], off
.LBB13_9:
	s_wait_alu 0xfffe
	s_or_b32 exec_lo, exec_lo, s3
	v_lshlrev_b32_e32 v9, 5, v8
	s_and_b32 s3, 0xffff, s2
	v_lshlrev_b32_e32 v12, 8, v8
	s_wait_alu 0xfffe
	v_add_nc_u32_e32 v7, s3, v6
	v_cndmask_b32_e64 v14, 0, 1, s4
	v_add_nc_u32_e32 v13, 0x1000, v9
	v_add_nc_u32_e32 v15, 0x1200, v9
	v_lshl_add_u32 v8, v6, 3, v12
	v_cmp_gt_u32_e64 s1, s5, v7
	s_delay_alu instid0(VALU_DEP_4) | instskip(NEXT) | instid1(VALU_DEP_4)
	v_add_nc_u32_e32 v9, v13, v6
	v_add_nc_u32_e32 v16, v15, v6
	s_wait_loadcnt 0x1
	ds_store_b8 v9, v11
	s_wait_loadcnt 0x0
	ds_store_b64 v8, v[4:5]
	ds_store_b8 v16, v14
	s_and_b32 s4, s0, s1
	s_wait_alu 0xfffe
	s_and_saveexec_b32 s5, s4
	s_cbranch_execz .LBB13_11
; %bb.10:
	v_mad_co_u64_u32 v[2:3], null, v7, s7, v[1:2]
	v_mov_b32_e32 v3, 0
	v_mad_co_u64_u32 v[4:5], null, v7, s6, v[0:1]
	s_delay_alu instid0(VALU_DEP_2) | instskip(NEXT) | instid1(VALU_DEP_1)
	v_lshlrev_b64_e32 v[2:3], 3, v[2:3]
	v_add_co_u32 v2, s2, s10, v2
	s_wait_alu 0xf1ff
	s_delay_alu instid0(VALU_DEP_2)
	v_add_co_ci_u32_e64 v3, null, s11, v3, s2
	global_load_u8 v10, v4, s[8:9]
	global_load_b64 v[2:3], v[2:3], off
.LBB13_11:
	s_wait_alu 0xfffe
	s_or_b32 exec_lo, exec_lo, s5
	v_add_nc_u32_e32 v4, v13, v7
	v_lshlrev_b32_e32 v16, 1, v6
	v_lshl_add_u32 v5, s3, 3, v8
	v_cndmask_b32_e64 v11, 0, 1, s4
	v_add_nc_u32_e32 v14, v15, v7
	s_wait_loadcnt 0x1
	ds_store_b8 v4, v10
	s_wait_loadcnt 0x0
	ds_store_b64 v5, v[2:3]
	ds_store_b8 v14, v11
	v_add_nc_u32_e32 v2, v13, v16
	v_add_nc_u32_e32 v3, v15, v16
	s_wait_dscnt 0x0
	s_barrier_signal -1
	s_barrier_wait -1
	global_inv scope:SCOPE_SE
	ds_load_u16 v11, v2
	ds_load_u16 v14, v3
	v_and_b32_e32 v10, 1, v6
	s_wait_dscnt 0x1
	v_bfe_i32 v18, v11, 0, 8
	v_ashrrev_i16 v19, 8, v11
	s_wait_dscnt 0x0
	v_lshrrev_b16 v11, 8, v14
	v_and_b32_e32 v17, 1, v14
	s_delay_alu instid0(VALU_DEP_3) | instskip(NEXT) | instid1(VALU_DEP_3)
	v_cmp_gt_i16_e64 s2, v18, v19
	v_cmp_ne_u16_e64 s4, v11, v10
	s_delay_alu instid0(VALU_DEP_3) | instskip(SKIP_1) | instid1(VALU_DEP_2)
	v_cmp_eq_u32_e64 s3, 1, v17
	s_wait_alu 0xf1ff
	v_cndmask_b32_e64 v17, 0, 1, s4
	s_and_b32 s2, s2, s3
	s_wait_alu 0xfffe
	s_delay_alu instid0(VALU_DEP_1) | instskip(NEXT) | instid1(VALU_DEP_1)
	v_cndmask_b32_e64 v17, v17, v6, s2
	v_and_b32_e32 v17, 1, v17
	s_delay_alu instid0(VALU_DEP_1)
	v_cmp_eq_u32_e64 s2, 1, v17
	v_lshl_add_u32 v17, v6, 3, v8
	s_and_saveexec_b32 s3, s2
	s_wait_alu 0xfffe
	s_xor_b32 s2, exec_lo, s3
	s_cbranch_execz .LBB13_13
; %bb.12:
	ds_load_b128 v[20:23], v17
	v_lshlrev_b16 v18, 8, v18
	v_and_b32_e32 v19, 0xff, v19
	v_lshlrev_b16 v14, 8, v14
	s_delay_alu instid0(VALU_DEP_2) | instskip(NEXT) | instid1(VALU_DEP_2)
	v_or_b32_e32 v24, v19, v18
	v_or_b32_e32 v11, v11, v14
	s_wait_dscnt 0x0
	v_dual_mov_b32 v18, v22 :: v_dual_mov_b32 v19, v23
	ds_store_b16 v2, v24
	ds_store_b128 v17, v[18:21]
	ds_store_b16 v3, v11
.LBB13_13:
	s_wait_alu 0xfffe
	s_or_b32 exec_lo, exec_lo, s2
	v_sub_nc_u32_e32 v14, v16, v10
	s_wait_loadcnt_dscnt 0x0
	s_barrier_signal -1
	s_barrier_wait -1
	global_inv scope:SCOPE_SE
	v_add_nc_u32_e32 v10, v15, v14
	v_add_nc_u32_e32 v11, v13, v14
	v_bfe_u32 v23, v6, 1, 1
	v_lshl_add_u32 v14, v14, 3, v12
	ds_load_u8 v19, v10
	ds_load_i8 v20, v11
	ds_load_i8 v22, v11 offset:2
	ds_load_u8 v21, v10 offset:2
	s_wait_dscnt 0x3
	v_and_b32_e32 v18, 1, v19
	s_wait_dscnt 0x1
	v_cmp_gt_i16_e64 s2, v20, v22
	s_wait_dscnt 0x0
	v_cmp_ne_u16_e64 s4, v21, v23
	v_cmp_eq_u32_e64 s3, 1, v18
	s_wait_alu 0xf1ff
	s_delay_alu instid0(VALU_DEP_2) | instskip(SKIP_2) | instid1(VALU_DEP_1)
	v_cndmask_b32_e64 v18, 0, 1, s4
	s_and_b32 s2, s2, s3
	s_wait_alu 0xfffe
	v_cndmask_b32_e64 v23, v18, v23, s2
	v_and_b32_e32 v18, 2, v6
	s_delay_alu instid0(VALU_DEP_2) | instskip(NEXT) | instid1(VALU_DEP_2)
	v_and_b32_e32 v23, 1, v23
	v_cmp_ne_u32_e64 s2, 0, v18
	s_delay_alu instid0(VALU_DEP_2)
	v_cmp_eq_u32_e64 s3, 1, v23
	s_and_saveexec_b32 s4, s3
	s_wait_alu 0xfffe
	s_xor_b32 s3, exec_lo, s4
	s_cbranch_execz .LBB13_15
; %bb.14:
	ds_load_2addr_b64 v[23:26], v14 offset1:2
	s_wait_dscnt 0x0
	ds_store_2addr_b64 v14, v[25:26], v[23:24] offset1:2
	ds_store_b8 v11, v22
	ds_store_b8 v11, v20 offset:2
	ds_store_b8 v10, v21
	ds_store_b8 v10, v19 offset:2
.LBB13_15:
	s_wait_alu 0xfffe
	s_or_b32 exec_lo, exec_lo, s3
	s_wait_loadcnt_dscnt 0x0
	s_barrier_signal -1
	s_barrier_wait -1
	global_inv scope:SCOPE_SE
	ds_load_u16 v21, v2
	ds_load_u16 v19, v3
	v_lshrrev_b32_e32 v22, 1, v18
	v_cndmask_b32_e64 v24, 0, 1, s2
	s_wait_dscnt 0x1
	v_bfe_i32 v20, v21, 0, 8
	s_wait_dscnt 0x0
	v_lshrrev_b16 v18, 8, v19
	v_ashrrev_i16 v21, 8, v21
	v_and_b32_e32 v23, 1, v19
	s_delay_alu instid0(VALU_DEP_3) | instskip(NEXT) | instid1(VALU_DEP_3)
	v_cmp_ne_u16_e64 s4, v18, v22
	v_cmp_gt_i16_e64 s2, v20, v21
	s_delay_alu instid0(VALU_DEP_3) | instskip(SKIP_1) | instid1(VALU_DEP_3)
	v_cmp_eq_u32_e64 s3, 1, v23
	s_wait_alu 0xf1ff
	v_cndmask_b32_e64 v22, 0, 1, s4
	s_and_b32 s2, s2, s3
	s_mov_b32 s3, exec_lo
	s_wait_alu 0xfffe
	s_delay_alu instid0(VALU_DEP_1) | instskip(NEXT) | instid1(VALU_DEP_1)
	v_cndmask_b32_e64 v22, v22, v24, s2
	v_and_b32_e32 v22, 1, v22
	s_delay_alu instid0(VALU_DEP_1)
	v_cmpx_eq_u32_e32 1, v22
	s_cbranch_execz .LBB13_17
; %bb.16:
	ds_load_b128 v[22:25], v17
	v_lshlrev_b16 v20, 8, v20
	v_and_b32_e32 v21, 0xff, v21
	v_lshlrev_b16 v26, 8, v19
	s_delay_alu instid0(VALU_DEP_2) | instskip(NEXT) | instid1(VALU_DEP_2)
	v_or_b32_e32 v27, v21, v20
	v_or_b32_e32 v18, v18, v26
	s_wait_dscnt 0x0
	v_dual_mov_b32 v19, v24 :: v_dual_mov_b32 v20, v25
	v_dual_mov_b32 v21, v22 :: v_dual_mov_b32 v22, v23
	ds_store_b16 v2, v27
	ds_store_b128 v17, v[19:22]
	ds_store_b16 v3, v18
.LBB13_17:
	s_or_b32 exec_lo, exec_lo, s3
	v_and_b32_e32 v17, 3, v6
	s_wait_loadcnt_dscnt 0x0
	s_barrier_signal -1
	s_barrier_wait -1
	global_inv scope:SCOPE_SE
	v_sub_nc_u32_e32 v20, v16, v17
	v_bfe_u32 v25, v6, 2, 1
	s_delay_alu instid0(VALU_DEP_2)
	v_add_nc_u32_e32 v17, v15, v20
	v_add_nc_u32_e32 v18, v13, v20
	v_lshl_add_u32 v20, v20, 3, v12
	ds_load_u8 v21, v17
	ds_load_i8 v22, v18
	ds_load_i8 v24, v18 offset:4
	ds_load_u8 v23, v17 offset:4
	s_wait_dscnt 0x3
	v_and_b32_e32 v19, 1, v21
	s_wait_dscnt 0x1
	v_cmp_gt_i16_e64 s2, v22, v24
	s_wait_dscnt 0x0
	v_cmp_ne_u16_e64 s4, v23, v25
	v_cmp_eq_u32_e64 s3, 1, v19
	s_wait_alu 0xf1ff
	s_delay_alu instid0(VALU_DEP_2) | instskip(SKIP_3) | instid1(VALU_DEP_1)
	v_cndmask_b32_e64 v19, 0, 1, s4
	s_mov_b32 s4, exec_lo
	s_and_b32 s2, s2, s3
	s_wait_alu 0xfffe
	v_cndmask_b32_e64 v25, v19, v25, s2
	v_and_b32_e32 v19, 4, v6
	s_delay_alu instid0(VALU_DEP_2) | instskip(NEXT) | instid1(VALU_DEP_2)
	v_and_b32_e32 v25, 1, v25
	v_cmp_ne_u32_e64 s2, 0, v19
	s_delay_alu instid0(VALU_DEP_2)
	v_cmpx_eq_u32_e32 1, v25
	s_cbranch_execz .LBB13_19
; %bb.18:
	ds_load_2addr_b64 v[25:28], v20 offset1:4
	s_wait_dscnt 0x0
	ds_store_2addr_b64 v20, v[27:28], v[25:26] offset1:4
	ds_store_b8 v18, v24
	ds_store_b8 v18, v22 offset:4
	ds_store_b8 v17, v23
	ds_store_b8 v17, v21 offset:4
.LBB13_19:
	s_or_b32 exec_lo, exec_lo, s4
	s_wait_loadcnt_dscnt 0x0
	s_barrier_signal -1
	s_barrier_wait -1
	global_inv scope:SCOPE_SE
	ds_load_u8 v22, v10
	ds_load_i8 v23, v11
	ds_load_i8 v25, v11 offset:2
	ds_load_u8 v24, v10 offset:2
	v_lshrrev_b32_e32 v19, 2, v19
	v_cndmask_b32_e64 v21, 0, 1, s2
	s_wait_dscnt 0x3
	v_and_b32_e32 v26, 1, v22
	s_wait_dscnt 0x1
	v_cmp_gt_i16_e64 s2, v23, v25
	s_wait_dscnt 0x0
	v_cmp_ne_u16_e64 s4, v24, v19
	v_cmp_eq_u32_e64 s3, 1, v26
	s_wait_alu 0xf1ff
	s_delay_alu instid0(VALU_DEP_2) | instskip(SKIP_3) | instid1(VALU_DEP_1)
	v_cndmask_b32_e64 v26, 0, 1, s4
	s_and_b32 s2, s2, s3
	s_mov_b32 s3, exec_lo
	s_wait_alu 0xfffe
	v_cndmask_b32_e64 v26, v26, v21, s2
	s_delay_alu instid0(VALU_DEP_1) | instskip(NEXT) | instid1(VALU_DEP_1)
	v_and_b32_e32 v26, 1, v26
	v_cmpx_eq_u32_e32 1, v26
	s_cbranch_execz .LBB13_21
; %bb.20:
	ds_load_2addr_b64 v[26:29], v14 offset1:2
	s_wait_dscnt 0x0
	ds_store_2addr_b64 v14, v[28:29], v[26:27] offset1:2
	ds_store_b8 v11, v25
	ds_store_b8 v11, v23 offset:2
	ds_store_b8 v10, v24
	ds_store_b8 v10, v22 offset:2
.LBB13_21:
	s_or_b32 exec_lo, exec_lo, s3
	s_wait_loadcnt_dscnt 0x0
	s_barrier_signal -1
	s_barrier_wait -1
	global_inv scope:SCOPE_SE
	ds_load_u16 v22, v2
	ds_load_u16 v23, v3
	s_wait_dscnt 0x1
	v_bfe_i32 v24, v22, 0, 8
	v_ashrrev_i16 v25, 8, v22
	s_wait_dscnt 0x0
	v_lshrrev_b16 v22, 8, v23
	v_and_b32_e32 v26, 1, v23
	s_delay_alu instid0(VALU_DEP_3) | instskip(NEXT) | instid1(VALU_DEP_3)
	v_cmp_gt_i16_e64 s2, v24, v25
	v_cmp_ne_u16_e64 s4, v22, v19
	s_delay_alu instid0(VALU_DEP_3) | instskip(SKIP_1) | instid1(VALU_DEP_2)
	v_cmp_eq_u32_e64 s3, 1, v26
	s_wait_alu 0xf1ff
	v_cndmask_b32_e64 v19, 0, 1, s4
	s_and_b32 s2, s2, s3
	s_wait_alu 0xfffe
	s_delay_alu instid0(VALU_DEP_1) | instskip(NEXT) | instid1(VALU_DEP_1)
	v_cndmask_b32_e64 v19, v19, v21, s2
	v_and_b32_e32 v19, 1, v19
	s_delay_alu instid0(VALU_DEP_1)
	v_cmp_eq_u32_e64 s2, 1, v19
	v_lshl_add_u32 v19, v16, 3, v12
	s_and_saveexec_b32 s3, s2
	s_cbranch_execz .LBB13_23
; %bb.22:
	ds_load_b128 v[26:29], v19
	v_lshlrev_b16 v21, 8, v24
	v_and_b32_e32 v24, 0xff, v25
	v_lshlrev_b16 v30, 8, v23
	s_delay_alu instid0(VALU_DEP_1)
	v_or_b32_e32 v22, v22, v30
	s_wait_dscnt 0x0
	v_mov_b32_e32 v23, v28
	v_or_b32_e32 v21, v24, v21
	v_dual_mov_b32 v24, v29 :: v_dual_mov_b32 v25, v26
	v_mov_b32_e32 v26, v27
	ds_store_b16 v2, v21
	ds_store_b128 v19, v[23:26]
	ds_store_b16 v3, v22
.LBB13_23:
	s_wait_alu 0xfffe
	s_or_b32 exec_lo, exec_lo, s3
	v_and_b32_e32 v21, 7, v6
	s_wait_loadcnt_dscnt 0x0
	s_barrier_signal -1
	s_barrier_wait -1
	global_inv scope:SCOPE_SE
	v_sub_nc_u32_e32 v23, v16, v21
	v_bfe_u32 v29, v6, 3, 1
	s_delay_alu instid0(VALU_DEP_2)
	v_add_nc_u32_e32 v21, v15, v23
	v_add_nc_u32_e32 v22, v13, v23
	v_lshl_add_u32 v23, v23, 3, v12
	ds_load_u8 v25, v21
	ds_load_i8 v26, v22
	ds_load_i8 v28, v22 offset:8
	ds_load_u8 v27, v21 offset:8
	s_wait_dscnt 0x3
	v_and_b32_e32 v24, 1, v25
	s_wait_dscnt 0x1
	v_cmp_gt_i16_e64 s2, v26, v28
	s_wait_dscnt 0x0
	v_cmp_ne_u16_e64 s4, v27, v29
	v_cmp_eq_u32_e64 s3, 1, v24
	s_wait_alu 0xf1ff
	s_delay_alu instid0(VALU_DEP_2) | instskip(SKIP_3) | instid1(VALU_DEP_1)
	v_cndmask_b32_e64 v24, 0, 1, s4
	s_mov_b32 s4, exec_lo
	s_and_b32 s2, s2, s3
	s_wait_alu 0xfffe
	v_cndmask_b32_e64 v29, v24, v29, s2
	v_and_b32_e32 v24, 8, v6
	s_delay_alu instid0(VALU_DEP_2) | instskip(NEXT) | instid1(VALU_DEP_2)
	v_and_b32_e32 v29, 1, v29
	v_cmp_ne_u32_e64 s2, 0, v24
	s_delay_alu instid0(VALU_DEP_2)
	v_cmpx_eq_u32_e32 1, v29
	s_cbranch_execz .LBB13_25
; %bb.24:
	ds_load_2addr_b64 v[29:32], v23 offset1:8
	s_wait_dscnt 0x0
	ds_store_2addr_b64 v23, v[31:32], v[29:30] offset1:8
	ds_store_b8 v22, v28
	ds_store_b8 v22, v26 offset:8
	ds_store_b8 v21, v27
	ds_store_b8 v21, v25 offset:8
.LBB13_25:
	s_or_b32 exec_lo, exec_lo, s4
	s_wait_loadcnt_dscnt 0x0
	s_barrier_signal -1
	s_barrier_wait -1
	global_inv scope:SCOPE_SE
	ds_load_u8 v26, v17
	ds_load_i8 v27, v18
	ds_load_i8 v29, v18 offset:4
	ds_load_u8 v28, v17 offset:4
	v_lshrrev_b32_e32 v24, 3, v24
	v_cndmask_b32_e64 v25, 0, 1, s2
	s_wait_dscnt 0x3
	v_and_b32_e32 v30, 1, v26
	s_wait_dscnt 0x1
	v_cmp_gt_i16_e64 s2, v27, v29
	s_wait_dscnt 0x0
	v_cmp_ne_u16_e64 s4, v28, v24
	v_cmp_eq_u32_e64 s3, 1, v30
	s_wait_alu 0xf1ff
	s_delay_alu instid0(VALU_DEP_2) | instskip(SKIP_3) | instid1(VALU_DEP_1)
	v_cndmask_b32_e64 v30, 0, 1, s4
	s_and_b32 s2, s2, s3
	s_mov_b32 s3, exec_lo
	s_wait_alu 0xfffe
	v_cndmask_b32_e64 v30, v30, v25, s2
	s_delay_alu instid0(VALU_DEP_1) | instskip(NEXT) | instid1(VALU_DEP_1)
	v_and_b32_e32 v30, 1, v30
	v_cmpx_eq_u32_e32 1, v30
	s_cbranch_execz .LBB13_27
; %bb.26:
	ds_load_2addr_b64 v[30:33], v20 offset1:4
	s_wait_dscnt 0x0
	ds_store_2addr_b64 v20, v[32:33], v[30:31] offset1:4
	ds_store_b8 v18, v29
	ds_store_b8 v18, v27 offset:4
	ds_store_b8 v17, v28
	ds_store_b8 v17, v26 offset:4
.LBB13_27:
	s_or_b32 exec_lo, exec_lo, s3
	s_wait_loadcnt_dscnt 0x0
	s_barrier_signal -1
	s_barrier_wait -1
	global_inv scope:SCOPE_SE
	ds_load_u8 v26, v10
	ds_load_i8 v27, v11
	ds_load_i8 v29, v11 offset:2
	ds_load_u8 v28, v10 offset:2
	s_wait_dscnt 0x3
	v_and_b32_e32 v30, 1, v26
	s_wait_dscnt 0x1
	v_cmp_gt_i16_e64 s2, v27, v29
	s_wait_dscnt 0x0
	v_cmp_ne_u16_e64 s4, v28, v24
	v_cmp_eq_u32_e64 s3, 1, v30
	s_wait_alu 0xf1ff
	s_delay_alu instid0(VALU_DEP_2) | instskip(SKIP_3) | instid1(VALU_DEP_1)
	v_cndmask_b32_e64 v30, 0, 1, s4
	s_and_b32 s2, s2, s3
	s_mov_b32 s3, exec_lo
	s_wait_alu 0xfffe
	v_cndmask_b32_e64 v30, v30, v25, s2
	s_delay_alu instid0(VALU_DEP_1) | instskip(NEXT) | instid1(VALU_DEP_1)
	v_and_b32_e32 v30, 1, v30
	v_cmpx_eq_u32_e32 1, v30
	s_cbranch_execz .LBB13_29
; %bb.28:
	ds_load_2addr_b64 v[30:33], v14 offset1:2
	s_wait_dscnt 0x0
	ds_store_2addr_b64 v14, v[32:33], v[30:31] offset1:2
	ds_store_b8 v11, v29
	ds_store_b8 v11, v27 offset:2
	ds_store_b8 v10, v28
	ds_store_b8 v10, v26 offset:2
.LBB13_29:
	s_or_b32 exec_lo, exec_lo, s3
	s_wait_loadcnt_dscnt 0x0
	s_barrier_signal -1
	s_barrier_wait -1
	global_inv scope:SCOPE_SE
	ds_load_u16 v26, v2
	ds_load_u16 v27, v3
	s_wait_dscnt 0x1
	v_bfe_i32 v28, v26, 0, 8
	v_ashrrev_i16 v29, 8, v26
	s_wait_dscnt 0x0
	v_lshrrev_b16 v26, 8, v27
	v_and_b32_e32 v30, 1, v27
	s_delay_alu instid0(VALU_DEP_3) | instskip(NEXT) | instid1(VALU_DEP_3)
	v_cmp_gt_i16_e64 s2, v28, v29
	v_cmp_ne_u16_e64 s4, v26, v24
	s_delay_alu instid0(VALU_DEP_3) | instskip(SKIP_1) | instid1(VALU_DEP_2)
	v_cmp_eq_u32_e64 s3, 1, v30
	s_wait_alu 0xf1ff
	v_cndmask_b32_e64 v24, 0, 1, s4
	s_and_b32 s2, s2, s3
	s_mov_b32 s3, exec_lo
	s_wait_alu 0xfffe
	s_delay_alu instid0(VALU_DEP_1) | instskip(NEXT) | instid1(VALU_DEP_1)
	v_cndmask_b32_e64 v24, v24, v25, s2
	v_and_b32_e32 v24, 1, v24
	s_delay_alu instid0(VALU_DEP_1)
	v_cmpx_eq_u32_e32 1, v24
	s_cbranch_execz .LBB13_31
; %bb.30:
	ds_load_b128 v[30:33], v19
	v_lshlrev_b16 v24, 8, v28
	v_and_b32_e32 v25, 0xff, v29
	v_lshlrev_b16 v34, 8, v27
	s_wait_dscnt 0x0
	v_mov_b32_e32 v28, v33
	s_delay_alu instid0(VALU_DEP_3)
	v_or_b32_e32 v24, v25, v24
	v_mov_b32_e32 v27, v32
	v_dual_mov_b32 v29, v30 :: v_dual_mov_b32 v30, v31
	v_or_b32_e32 v25, v26, v34
	ds_store_b16 v2, v24
	ds_store_b128 v19, v[27:30]
	ds_store_b16 v3, v25
.LBB13_31:
	s_or_b32 exec_lo, exec_lo, s3
	v_and_b32_e32 v24, 15, v6
	s_wait_loadcnt_dscnt 0x0
	s_barrier_signal -1
	s_barrier_wait -1
	global_inv scope:SCOPE_SE
	v_sub_nc_u32_e32 v16, v16, v24
	s_delay_alu instid0(VALU_DEP_1)
	v_add_nc_u32_e32 v15, v15, v16
	v_add_nc_u32_e32 v13, v13, v16
	ds_load_u8 v24, v15
	ds_load_u8 v27, v15 offset:16
	ds_load_i8 v25, v13
	ds_load_i8 v26, v13 offset:16
	s_wait_dscnt 0x2
	v_and_b32_e32 v27, 0xff, v27
	v_and_b32_e32 v28, 1, v24
	s_wait_dscnt 0x0
	v_cmp_le_i16_e64 s3, v25, v26
	s_delay_alu instid0(VALU_DEP_3) | instskip(NEXT) | instid1(VALU_DEP_3)
	v_cmp_ne_u16_e64 s4, 0, v27
	v_cmp_eq_u32_e64 s2, 1, v28
	s_xor_b32 s2, s2, -1
	s_wait_alu 0xfffe
	s_or_b32 s2, s3, s2
	s_wait_alu 0xfffe
	s_and_b32 s3, s2, s4
	s_wait_alu 0xfffe
	s_and_saveexec_b32 s2, s3
	s_cbranch_execz .LBB13_33
; %bb.32:
	v_lshl_add_u32 v12, v16, 3, v12
	v_mov_b32_e32 v16, 1
	ds_load_2addr_b64 v[27:30], v12 offset1:16
	s_wait_dscnt 0x0
	ds_store_2addr_b64 v12, v[29:30], v[27:28] offset1:16
	ds_store_b8 v13, v26
	ds_store_b8 v13, v25 offset:16
	ds_store_b8 v15, v16
	ds_store_b8 v15, v24 offset:16
.LBB13_33:
	s_wait_alu 0xfffe
	s_or_b32 exec_lo, exec_lo, s2
	s_wait_loadcnt_dscnt 0x0
	s_barrier_signal -1
	s_barrier_wait -1
	global_inv scope:SCOPE_SE
	ds_load_u8 v12, v21
	ds_load_u8 v16, v21 offset:8
	ds_load_i8 v13, v22
	ds_load_i8 v15, v22 offset:8
	s_wait_dscnt 0x3
	v_and_b32_e32 v24, 1, v12
	s_wait_dscnt 0x2
	v_and_b32_e32 v16, 0xff, v16
	s_wait_dscnt 0x0
	v_cmp_le_i16_e64 s3, v13, v15
	v_cmp_eq_u32_e64 s2, 1, v24
	s_delay_alu instid0(VALU_DEP_3)
	v_cmp_ne_u16_e64 s4, 0, v16
	s_xor_b32 s2, s2, -1
	s_wait_alu 0xfffe
	s_or_b32 s2, s3, s2
	s_wait_alu 0xfffe
	s_and_b32 s3, s2, s4
	s_wait_alu 0xfffe
	s_and_saveexec_b32 s2, s3
	s_cbranch_execz .LBB13_35
; %bb.34:
	ds_load_2addr_b64 v[24:27], v23 offset1:8
	v_mov_b32_e32 v16, 1
	s_wait_dscnt 0x0
	ds_store_2addr_b64 v23, v[26:27], v[24:25] offset1:8
	ds_store_b8 v22, v15
	ds_store_b8 v22, v13 offset:8
	ds_store_b8 v21, v16
	ds_store_b8 v21, v12 offset:8
.LBB13_35:
	s_wait_alu 0xfffe
	s_or_b32 exec_lo, exec_lo, s2
	s_wait_loadcnt_dscnt 0x0
	s_barrier_signal -1
	s_barrier_wait -1
	global_inv scope:SCOPE_SE
	ds_load_u8 v12, v17
	ds_load_u8 v16, v17 offset:4
	ds_load_i8 v13, v18
	ds_load_i8 v15, v18 offset:4
	s_wait_dscnt 0x3
	v_and_b32_e32 v21, 1, v12
	s_wait_dscnt 0x2
	v_and_b32_e32 v16, 0xff, v16
	s_wait_dscnt 0x0
	v_cmp_le_i16_e64 s3, v13, v15
	v_cmp_eq_u32_e64 s2, 1, v21
	s_delay_alu instid0(VALU_DEP_3)
	v_cmp_ne_u16_e64 s4, 0, v16
	s_xor_b32 s2, s2, -1
	s_wait_alu 0xfffe
	s_or_b32 s2, s3, s2
	s_wait_alu 0xfffe
	s_and_b32 s3, s2, s4
	s_wait_alu 0xfffe
	s_and_saveexec_b32 s2, s3
	s_cbranch_execz .LBB13_37
; %bb.36:
	ds_load_2addr_b64 v[21:24], v20 offset1:4
	v_mov_b32_e32 v16, 1
	s_wait_dscnt 0x0
	ds_store_2addr_b64 v20, v[23:24], v[21:22] offset1:4
	ds_store_b8 v18, v15
	ds_store_b8 v18, v13 offset:4
	ds_store_b8 v17, v16
	ds_store_b8 v17, v12 offset:4
.LBB13_37:
	;; [unrolled: 37-line block ×3, first 2 shown]
	s_wait_alu 0xfffe
	s_or_b32 exec_lo, exec_lo, s2
	s_wait_loadcnt_dscnt 0x0
	s_barrier_signal -1
	s_barrier_wait -1
	global_inv scope:SCOPE_SE
	ds_load_u16 v10, v3
	ds_load_u16 v12, v2
	s_wait_dscnt 0x1
	v_and_b32_e32 v13, 1, v10
	s_wait_dscnt 0x0
	v_bfe_i32 v11, v12, 0, 8
	v_ashrrev_i16 v12, 8, v12
	v_lshrrev_b16 v14, 8, v10
	v_cmp_eq_u32_e64 s2, 1, v13
	s_delay_alu instid0(VALU_DEP_3) | instskip(NEXT) | instid1(VALU_DEP_3)
	v_cmp_le_i16_e64 s3, v11, v12
	v_cmp_ne_u16_e64 s4, 0, v14
	s_xor_b32 s2, s2, -1
	s_wait_alu 0xfffe
	s_or_b32 s2, s3, s2
	s_wait_alu 0xfffe
	s_and_b32 s3, s2, s4
	s_wait_alu 0xfffe
	s_and_saveexec_b32 s2, s3
	s_cbranch_execz .LBB13_41
; %bb.40:
	ds_load_b128 v[13:16], v19
	v_lshlrev_b16 v11, 8, v11
	v_and_b32_e32 v12, 0xff, v12
	v_lshlrev_b16 v17, 8, v10
	s_delay_alu instid0(VALU_DEP_2)
	v_or_b32_e32 v18, v12, v11
	s_wait_dscnt 0x0
	v_dual_mov_b32 v10, v15 :: v_dual_mov_b32 v11, v16
	v_dual_mov_b32 v12, v13 :: v_dual_mov_b32 v13, v14
	v_or_b32_e32 v14, 1, v17
	ds_store_b16 v2, v18
	ds_store_b128 v19, v[10:13]
	ds_store_b16 v3, v14
.LBB13_41:
	s_wait_alu 0xfffe
	s_or_b32 exec_lo, exec_lo, s2
	s_wait_loadcnt_dscnt 0x0
	s_barrier_signal -1
	s_barrier_wait -1
	global_inv scope:SCOPE_SE
	s_and_saveexec_b32 s2, s0
	s_cbranch_execz .LBB13_46
; %bb.42:
	s_and_saveexec_b32 s0, vcc_lo
	s_cbranch_execz .LBB13_44
; %bb.43:
	v_mad_co_u64_u32 v[2:3], null, v6, s7, v[1:2]
	ds_load_u8 v12, v9
	ds_load_b64 v[8:9], v8
	v_mov_b32_e32 v3, 0
	v_mad_co_u64_u32 v[10:11], null, v6, s6, v[0:1]
	s_delay_alu instid0(VALU_DEP_2) | instskip(NEXT) | instid1(VALU_DEP_1)
	v_lshlrev_b64_e32 v[2:3], 3, v[2:3]
	v_add_co_u32 v2, vcc_lo, s10, v2
	s_wait_alu 0xfffd
	s_delay_alu instid0(VALU_DEP_2)
	v_add_co_ci_u32_e64 v3, null, s11, v3, vcc_lo
	s_wait_dscnt 0x1
	global_store_b8 v10, v12, s[8:9]
	s_wait_dscnt 0x0
	global_store_b64 v[2:3], v[8:9], off
.LBB13_44:
	s_wait_alu 0xfffe
	s_or_b32 exec_lo, exec_lo, s0
	s_delay_alu instid0(SALU_CYCLE_1)
	s_and_b32 exec_lo, exec_lo, s1
	s_cbranch_execz .LBB13_46
; %bb.45:
	v_mad_co_u64_u32 v[1:2], null, v7, s7, v[1:2]
	ds_load_u8 v8, v4
	ds_load_b64 v[3:4], v5
	v_mov_b32_e32 v2, 0
	s_delay_alu instid0(VALU_DEP_1) | instskip(NEXT) | instid1(VALU_DEP_1)
	v_lshlrev_b64_e32 v[1:2], 3, v[1:2]
	v_mad_co_u64_u32 v[5:6], null, v7, s6, v[0:1]
	v_add_co_u32 v0, vcc_lo, s10, v1
	s_wait_alu 0xfffd
	s_delay_alu instid0(VALU_DEP_3)
	v_add_co_ci_u32_e64 v1, null, s11, v2, vcc_lo
	s_wait_dscnt 0x1
	global_store_b8 v5, v8, s[8:9]
	s_wait_dscnt 0x0
	global_store_b64 v[0:1], v[3:4], off
.LBB13_46:
	s_endpgm
	.section	.rodata,"a",@progbits
	.p2align	6, 0x0
	.amdhsa_kernel _ZN2at6native20bitonicSortKVInPlaceILin1ELin1ELi16ELi16EalNS0_4GTOpIaLb1EEEjEEvNS_4cuda6detail10TensorInfoIT3_T6_EES8_S8_S8_NS6_IT4_S8_EES8_T5_
		.amdhsa_group_segment_fixed_size 5120
		.amdhsa_private_segment_fixed_size 0
		.amdhsa_kernarg_size 712
		.amdhsa_user_sgpr_count 2
		.amdhsa_user_sgpr_dispatch_ptr 0
		.amdhsa_user_sgpr_queue_ptr 0
		.amdhsa_user_sgpr_kernarg_segment_ptr 1
		.amdhsa_user_sgpr_dispatch_id 0
		.amdhsa_user_sgpr_private_segment_size 0
		.amdhsa_wavefront_size32 1
		.amdhsa_uses_dynamic_stack 0
		.amdhsa_enable_private_segment 0
		.amdhsa_system_sgpr_workgroup_id_x 1
		.amdhsa_system_sgpr_workgroup_id_y 1
		.amdhsa_system_sgpr_workgroup_id_z 1
		.amdhsa_system_sgpr_workgroup_info 0
		.amdhsa_system_vgpr_workitem_id 1
		.amdhsa_next_free_vgpr 35
		.amdhsa_next_free_sgpr 14
		.amdhsa_reserve_vcc 1
		.amdhsa_float_round_mode_32 0
		.amdhsa_float_round_mode_16_64 0
		.amdhsa_float_denorm_mode_32 3
		.amdhsa_float_denorm_mode_16_64 3
		.amdhsa_fp16_overflow 0
		.amdhsa_workgroup_processor_mode 1
		.amdhsa_memory_ordered 1
		.amdhsa_forward_progress 1
		.amdhsa_inst_pref_size 39
		.amdhsa_round_robin_scheduling 0
		.amdhsa_exception_fp_ieee_invalid_op 0
		.amdhsa_exception_fp_denorm_src 0
		.amdhsa_exception_fp_ieee_div_zero 0
		.amdhsa_exception_fp_ieee_overflow 0
		.amdhsa_exception_fp_ieee_underflow 0
		.amdhsa_exception_fp_ieee_inexact 0
		.amdhsa_exception_int_div_zero 0
	.end_amdhsa_kernel
	.section	.text._ZN2at6native20bitonicSortKVInPlaceILin1ELin1ELi16ELi16EalNS0_4GTOpIaLb1EEEjEEvNS_4cuda6detail10TensorInfoIT3_T6_EES8_S8_S8_NS6_IT4_S8_EES8_T5_,"axG",@progbits,_ZN2at6native20bitonicSortKVInPlaceILin1ELin1ELi16ELi16EalNS0_4GTOpIaLb1EEEjEEvNS_4cuda6detail10TensorInfoIT3_T6_EES8_S8_S8_NS6_IT4_S8_EES8_T5_,comdat
.Lfunc_end13:
	.size	_ZN2at6native20bitonicSortKVInPlaceILin1ELin1ELi16ELi16EalNS0_4GTOpIaLb1EEEjEEvNS_4cuda6detail10TensorInfoIT3_T6_EES8_S8_S8_NS6_IT4_S8_EES8_T5_, .Lfunc_end13-_ZN2at6native20bitonicSortKVInPlaceILin1ELin1ELi16ELi16EalNS0_4GTOpIaLb1EEEjEEvNS_4cuda6detail10TensorInfoIT3_T6_EES8_S8_S8_NS6_IT4_S8_EES8_T5_
                                        ; -- End function
	.set _ZN2at6native20bitonicSortKVInPlaceILin1ELin1ELi16ELi16EalNS0_4GTOpIaLb1EEEjEEvNS_4cuda6detail10TensorInfoIT3_T6_EES8_S8_S8_NS6_IT4_S8_EES8_T5_.num_vgpr, 35
	.set _ZN2at6native20bitonicSortKVInPlaceILin1ELin1ELi16ELi16EalNS0_4GTOpIaLb1EEEjEEvNS_4cuda6detail10TensorInfoIT3_T6_EES8_S8_S8_NS6_IT4_S8_EES8_T5_.num_agpr, 0
	.set _ZN2at6native20bitonicSortKVInPlaceILin1ELin1ELi16ELi16EalNS0_4GTOpIaLb1EEEjEEvNS_4cuda6detail10TensorInfoIT3_T6_EES8_S8_S8_NS6_IT4_S8_EES8_T5_.numbered_sgpr, 14
	.set _ZN2at6native20bitonicSortKVInPlaceILin1ELin1ELi16ELi16EalNS0_4GTOpIaLb1EEEjEEvNS_4cuda6detail10TensorInfoIT3_T6_EES8_S8_S8_NS6_IT4_S8_EES8_T5_.num_named_barrier, 0
	.set _ZN2at6native20bitonicSortKVInPlaceILin1ELin1ELi16ELi16EalNS0_4GTOpIaLb1EEEjEEvNS_4cuda6detail10TensorInfoIT3_T6_EES8_S8_S8_NS6_IT4_S8_EES8_T5_.private_seg_size, 0
	.set _ZN2at6native20bitonicSortKVInPlaceILin1ELin1ELi16ELi16EalNS0_4GTOpIaLb1EEEjEEvNS_4cuda6detail10TensorInfoIT3_T6_EES8_S8_S8_NS6_IT4_S8_EES8_T5_.uses_vcc, 1
	.set _ZN2at6native20bitonicSortKVInPlaceILin1ELin1ELi16ELi16EalNS0_4GTOpIaLb1EEEjEEvNS_4cuda6detail10TensorInfoIT3_T6_EES8_S8_S8_NS6_IT4_S8_EES8_T5_.uses_flat_scratch, 0
	.set _ZN2at6native20bitonicSortKVInPlaceILin1ELin1ELi16ELi16EalNS0_4GTOpIaLb1EEEjEEvNS_4cuda6detail10TensorInfoIT3_T6_EES8_S8_S8_NS6_IT4_S8_EES8_T5_.has_dyn_sized_stack, 0
	.set _ZN2at6native20bitonicSortKVInPlaceILin1ELin1ELi16ELi16EalNS0_4GTOpIaLb1EEEjEEvNS_4cuda6detail10TensorInfoIT3_T6_EES8_S8_S8_NS6_IT4_S8_EES8_T5_.has_recursion, 0
	.set _ZN2at6native20bitonicSortKVInPlaceILin1ELin1ELi16ELi16EalNS0_4GTOpIaLb1EEEjEEvNS_4cuda6detail10TensorInfoIT3_T6_EES8_S8_S8_NS6_IT4_S8_EES8_T5_.has_indirect_call, 0
	.section	.AMDGPU.csdata,"",@progbits
; Kernel info:
; codeLenInByte = 4972
; TotalNumSgprs: 16
; NumVgprs: 35
; ScratchSize: 0
; MemoryBound: 0
; FloatMode: 240
; IeeeMode: 1
; LDSByteSize: 5120 bytes/workgroup (compile time only)
; SGPRBlocks: 0
; VGPRBlocks: 4
; NumSGPRsForWavesPerEU: 16
; NumVGPRsForWavesPerEU: 35
; Occupancy: 16
; WaveLimiterHint : 1
; COMPUTE_PGM_RSRC2:SCRATCH_EN: 0
; COMPUTE_PGM_RSRC2:USER_SGPR: 2
; COMPUTE_PGM_RSRC2:TRAP_HANDLER: 0
; COMPUTE_PGM_RSRC2:TGID_X_EN: 1
; COMPUTE_PGM_RSRC2:TGID_Y_EN: 1
; COMPUTE_PGM_RSRC2:TGID_Z_EN: 1
; COMPUTE_PGM_RSRC2:TIDIG_COMP_CNT: 1
	.section	.text._ZN2at6native20bitonicSortKVInPlaceILin1ELin1ELi16ELi16EalNS0_4LTOpIaLb1EEEmEEvNS_4cuda6detail10TensorInfoIT3_T6_EES8_S8_S8_NS6_IT4_S8_EES8_T5_,"axG",@progbits,_ZN2at6native20bitonicSortKVInPlaceILin1ELin1ELi16ELi16EalNS0_4LTOpIaLb1EEEmEEvNS_4cuda6detail10TensorInfoIT3_T6_EES8_S8_S8_NS6_IT4_S8_EES8_T5_,comdat
	.protected	_ZN2at6native20bitonicSortKVInPlaceILin1ELin1ELi16ELi16EalNS0_4LTOpIaLb1EEEmEEvNS_4cuda6detail10TensorInfoIT3_T6_EES8_S8_S8_NS6_IT4_S8_EES8_T5_ ; -- Begin function _ZN2at6native20bitonicSortKVInPlaceILin1ELin1ELi16ELi16EalNS0_4LTOpIaLb1EEEmEEvNS_4cuda6detail10TensorInfoIT3_T6_EES8_S8_S8_NS6_IT4_S8_EES8_T5_
	.globl	_ZN2at6native20bitonicSortKVInPlaceILin1ELin1ELi16ELi16EalNS0_4LTOpIaLb1EEEmEEvNS_4cuda6detail10TensorInfoIT3_T6_EES8_S8_S8_NS6_IT4_S8_EES8_T5_
	.p2align	8
	.type	_ZN2at6native20bitonicSortKVInPlaceILin1ELin1ELi16ELi16EalNS0_4LTOpIaLb1EEEmEEvNS_4cuda6detail10TensorInfoIT3_T6_EES8_S8_S8_NS6_IT4_S8_EES8_T5_,@function
_ZN2at6native20bitonicSortKVInPlaceILin1ELin1ELi16ELi16EalNS0_4LTOpIaLb1EEEmEEvNS_4cuda6detail10TensorInfoIT3_T6_EES8_S8_S8_NS6_IT4_S8_EES8_T5_: ; @_ZN2at6native20bitonicSortKVInPlaceILin1ELin1ELi16ELi16EalNS0_4LTOpIaLb1EEEmEEvNS_4cuda6detail10TensorInfoIT3_T6_EES8_S8_S8_NS6_IT4_S8_EES8_T5_
; %bb.0:
	v_mov_b32_e32 v1, 0
	s_lshr_b32 s8, ttmp7, 16
	s_and_b32 s9, ttmp7, 0xffff
	global_load_u16 v1, v1, s[0:1] offset:886
	s_clause 0x1
	s_load_b64 s[2:3], s[0:1], 0x368
	s_load_b128 s[4:7], s[0:1], 0x1a0
	s_wait_kmcnt 0x0
	s_mul_i32 s3, s3, s8
	s_delay_alu instid0(SALU_CYCLE_1) | instskip(NEXT) | instid1(SALU_CYCLE_1)
	s_add_co_i32 s3, s3, s9
	s_mul_i32 s2, s3, s2
	s_delay_alu instid0(SALU_CYCLE_1) | instskip(SKIP_2) | instid1(VALU_DEP_1)
	s_add_co_i32 s2, s2, ttmp9
	s_wait_loadcnt 0x0
	v_and_b32_e32 v1, 0xffff, v1
	v_mul_hi_u32 v2, v1, s2
	v_mul_lo_u32 v1, v1, s2
	s_delay_alu instid0(VALU_DEP_1)
	v_cmp_le_u64_e32 vcc_lo, s[4:5], v[1:2]
	s_cbranch_vccnz .LBB14_56
; %bb.1:
	s_clause 0x1
	s_load_b32 s10, s[0:1], 0x198
	s_load_b64 s[8:9], s[0:1], 0x1b0
	v_bfe_u32 v16, v0, 10, 10
	s_delay_alu instid0(VALU_DEP_1) | instskip(NEXT) | instid1(VALU_DEP_1)
	v_add_co_u32 v4, vcc_lo, v1, v16
	v_add_co_ci_u32_e64 v5, null, 0, v2, vcc_lo
	v_mov_b32_e32 v2, 0
	v_mov_b32_e32 v3, 0
	s_delay_alu instid0(VALU_DEP_3)
	v_dual_mov_b32 v7, v5 :: v_dual_mov_b32 v6, v4
	s_wait_kmcnt 0x0
	s_cmp_lt_i32 s10, 2
	s_cbranch_scc1 .LBB14_9
; %bb.2:
	s_add_co_i32 s2, s10, -1
	s_mov_b32 s3, 0
	v_dual_mov_b32 v2, 0 :: v_dual_mov_b32 v11, v5
	s_wait_alu 0xfffe
	s_lshl_b64 s[12:13], s[2:3], 3
	v_dual_mov_b32 v3, 0 :: v_dual_mov_b32 v8, 0
	v_mov_b32_e32 v10, v4
	s_add_nc_u64 s[12:13], s[0:1], s[12:13]
	s_add_co_i32 s14, s10, 1
	s_add_nc_u64 s[10:11], s[12:13], 8
.LBB14_3:                               ; =>This Inner Loop Header: Depth=1
	s_load_b64 s[12:13], s[10:11], 0x0
                                        ; implicit-def: $vgpr6_vgpr7
	s_mov_b32 s2, exec_lo
	s_wait_kmcnt 0x0
	v_or_b32_e32 v9, s13, v11
	s_delay_alu instid0(VALU_DEP_1)
	v_cmpx_ne_u64_e32 0, v[8:9]
	s_wait_alu 0xfffe
	s_xor_b32 s15, exec_lo, s2
	s_cbranch_execz .LBB14_5
; %bb.4:                                ;   in Loop: Header=BB14_3 Depth=1
	s_cvt_f32_u32 s2, s12
	s_cvt_f32_u32 s16, s13
	s_sub_nc_u64 s[18:19], 0, s[12:13]
	s_wait_alu 0xfffe
	s_delay_alu instid0(SALU_CYCLE_1) | instskip(SKIP_1) | instid1(SALU_CYCLE_2)
	s_fmamk_f32 s2, s16, 0x4f800000, s2
	s_wait_alu 0xfffe
	v_s_rcp_f32 s2, s2
	s_delay_alu instid0(TRANS32_DEP_1) | instskip(SKIP_1) | instid1(SALU_CYCLE_2)
	s_mul_f32 s2, s2, 0x5f7ffffc
	s_wait_alu 0xfffe
	s_mul_f32 s16, s2, 0x2f800000
	s_wait_alu 0xfffe
	s_delay_alu instid0(SALU_CYCLE_2) | instskip(SKIP_1) | instid1(SALU_CYCLE_2)
	s_trunc_f32 s16, s16
	s_wait_alu 0xfffe
	s_fmamk_f32 s2, s16, 0xcf800000, s2
	s_cvt_u32_f32 s17, s16
	s_wait_alu 0xfffe
	s_delay_alu instid0(SALU_CYCLE_1) | instskip(SKIP_1) | instid1(SALU_CYCLE_2)
	s_cvt_u32_f32 s16, s2
	s_wait_alu 0xfffe
	s_mul_u64 s[20:21], s[18:19], s[16:17]
	s_delay_alu instid0(SALU_CYCLE_1)
	s_mul_hi_u32 s23, s16, s21
	s_mul_i32 s22, s16, s21
	s_mul_hi_u32 s2, s16, s20
	s_mul_i32 s25, s17, s20
	s_wait_alu 0xfffe
	s_add_nc_u64 s[22:23], s[2:3], s[22:23]
	s_mul_hi_u32 s24, s17, s20
	s_mul_hi_u32 s26, s17, s21
	s_add_co_u32 s2, s22, s25
	s_add_co_ci_u32 s2, s23, s24
	s_mul_i32 s20, s17, s21
	s_add_co_ci_u32 s21, s26, 0
	s_wait_alu 0xfffe
	s_add_nc_u64 s[20:21], s[2:3], s[20:21]
	s_delay_alu instid0(SALU_CYCLE_1)
	s_add_co_u32 s16, s16, s20
	s_cselect_b32 s2, -1, 0
	s_wait_alu 0xfffe
	s_cmp_lg_u32 s2, 0
	s_add_co_ci_u32 s17, s17, s21
	s_wait_alu 0xfffe
	s_mul_u64 s[18:19], s[18:19], s[16:17]
	s_delay_alu instid0(SALU_CYCLE_1)
	s_mul_hi_u32 s21, s16, s19
	s_mul_i32 s20, s16, s19
	s_mul_hi_u32 s2, s16, s18
	s_mul_i32 s23, s17, s18
	s_wait_alu 0xfffe
	s_add_nc_u64 s[20:21], s[2:3], s[20:21]
	s_mul_hi_u32 s22, s17, s18
	s_mul_hi_u32 s24, s17, s19
	s_add_co_u32 s2, s20, s23
	s_add_co_ci_u32 s2, s21, s22
	s_mul_i32 s18, s17, s19
	s_add_co_ci_u32 s19, s24, 0
	s_wait_alu 0xfffe
	s_add_nc_u64 s[18:19], s[2:3], s[18:19]
	s_delay_alu instid0(SALU_CYCLE_1)
	s_add_co_u32 s2, s16, s18
	s_cselect_b32 s16, -1, 0
	s_wait_alu 0xfffe
	v_mul_hi_u32 v1, v10, s2
	s_cmp_lg_u32 s16, 0
	v_mad_co_u64_u32 v[12:13], null, v11, s2, 0
	s_add_co_ci_u32 s16, s17, s19
	s_wait_alu 0xfffe
	v_mad_co_u64_u32 v[6:7], null, v10, s16, 0
	v_mad_co_u64_u32 v[14:15], null, v11, s16, 0
	s_delay_alu instid0(VALU_DEP_2) | instskip(SKIP_1) | instid1(VALU_DEP_3)
	v_add_co_u32 v1, vcc_lo, v1, v6
	s_wait_alu 0xfffd
	v_add_co_ci_u32_e64 v6, null, 0, v7, vcc_lo
	s_delay_alu instid0(VALU_DEP_2) | instskip(SKIP_1) | instid1(VALU_DEP_2)
	v_add_co_u32 v1, vcc_lo, v1, v12
	s_wait_alu 0xfffd
	v_add_co_ci_u32_e32 v1, vcc_lo, v6, v13, vcc_lo
	s_wait_alu 0xfffd
	v_add_co_ci_u32_e32 v6, vcc_lo, 0, v15, vcc_lo
	s_delay_alu instid0(VALU_DEP_2) | instskip(SKIP_1) | instid1(VALU_DEP_2)
	v_add_co_u32 v1, vcc_lo, v1, v14
	s_wait_alu 0xfffd
	v_add_co_ci_u32_e64 v9, null, 0, v6, vcc_lo
	s_delay_alu instid0(VALU_DEP_2) | instskip(SKIP_1) | instid1(VALU_DEP_3)
	v_mul_lo_u32 v12, s13, v1
	v_mad_co_u64_u32 v[6:7], null, s12, v1, 0
	v_mul_lo_u32 v13, s12, v9
	s_delay_alu instid0(VALU_DEP_2) | instskip(NEXT) | instid1(VALU_DEP_2)
	v_sub_co_u32 v6, vcc_lo, v10, v6
	v_add3_u32 v7, v7, v13, v12
	v_add_co_u32 v13, s2, v1, 2
	s_wait_alu 0xf1ff
	v_add_co_ci_u32_e64 v14, null, 0, v9, s2
	s_delay_alu instid0(VALU_DEP_3) | instskip(SKIP_3) | instid1(VALU_DEP_3)
	v_sub_nc_u32_e32 v12, v11, v7
	v_sub_co_u32 v15, s2, v6, s12
	s_wait_alu 0xfffd
	v_sub_co_ci_u32_e64 v7, null, v11, v7, vcc_lo
	v_subrev_co_ci_u32_e64 v12, null, s13, v12, vcc_lo
	s_delay_alu instid0(VALU_DEP_3) | instskip(SKIP_1) | instid1(VALU_DEP_2)
	v_cmp_le_u32_e32 vcc_lo, s12, v15
	s_wait_alu 0xf1ff
	v_subrev_co_ci_u32_e64 v12, null, 0, v12, s2
	s_wait_alu 0xfffd
	v_cndmask_b32_e64 v15, 0, -1, vcc_lo
	v_cmp_eq_u32_e64 s2, s13, v7
	s_delay_alu instid0(VALU_DEP_3)
	v_cmp_le_u32_e32 vcc_lo, s13, v12
	s_wait_alu 0xfffd
	v_cndmask_b32_e64 v17, 0, -1, vcc_lo
	v_cmp_le_u32_e32 vcc_lo, s12, v6
	s_wait_alu 0xfffd
	v_cndmask_b32_e64 v6, 0, -1, vcc_lo
	v_cmp_le_u32_e32 vcc_lo, s13, v7
	s_wait_alu 0xfffd
	v_cndmask_b32_e64 v18, 0, -1, vcc_lo
	v_cmp_eq_u32_e32 vcc_lo, s13, v12
	s_wait_alu 0xf1ff
	s_delay_alu instid0(VALU_DEP_2)
	v_cndmask_b32_e64 v6, v18, v6, s2
	s_wait_alu 0xfffd
	v_cndmask_b32_e32 v12, v17, v15, vcc_lo
	v_add_co_u32 v15, vcc_lo, v1, 1
	s_wait_alu 0xfffd
	v_add_co_ci_u32_e64 v17, null, 0, v9, vcc_lo
	s_delay_alu instid0(VALU_DEP_3) | instskip(SKIP_1) | instid1(VALU_DEP_2)
	v_cmp_ne_u32_e32 vcc_lo, 0, v12
	s_wait_alu 0xfffd
	v_dual_cndmask_b32 v7, v17, v14 :: v_dual_cndmask_b32 v12, v15, v13
	v_cmp_ne_u32_e32 vcc_lo, 0, v6
	s_wait_alu 0xfffd
	s_delay_alu instid0(VALU_DEP_2) | instskip(NEXT) | instid1(VALU_DEP_3)
	v_cndmask_b32_e32 v7, v9, v7, vcc_lo
	v_cndmask_b32_e32 v6, v1, v12, vcc_lo
.LBB14_5:                               ;   in Loop: Header=BB14_3 Depth=1
	s_wait_alu 0xfffe
	s_and_not1_saveexec_b32 s2, s15
	s_cbranch_execz .LBB14_7
; %bb.6:                                ;   in Loop: Header=BB14_3 Depth=1
	v_cvt_f32_u32_e32 v1, s12
	s_sub_co_i32 s15, 0, s12
	s_delay_alu instid0(VALU_DEP_1) | instskip(NEXT) | instid1(TRANS32_DEP_1)
	v_rcp_iflag_f32_e32 v1, v1
	v_mul_f32_e32 v1, 0x4f7ffffe, v1
	s_delay_alu instid0(VALU_DEP_1) | instskip(SKIP_1) | instid1(VALU_DEP_1)
	v_cvt_u32_f32_e32 v1, v1
	s_wait_alu 0xfffe
	v_mul_lo_u32 v6, s15, v1
	s_delay_alu instid0(VALU_DEP_1) | instskip(NEXT) | instid1(VALU_DEP_1)
	v_mul_hi_u32 v6, v1, v6
	v_add_nc_u32_e32 v1, v1, v6
	s_delay_alu instid0(VALU_DEP_1) | instskip(NEXT) | instid1(VALU_DEP_1)
	v_mul_hi_u32 v1, v10, v1
	v_mul_lo_u32 v6, v1, s12
	v_add_nc_u32_e32 v7, 1, v1
	s_delay_alu instid0(VALU_DEP_2) | instskip(NEXT) | instid1(VALU_DEP_1)
	v_sub_nc_u32_e32 v6, v10, v6
	v_subrev_nc_u32_e32 v9, s12, v6
	v_cmp_le_u32_e32 vcc_lo, s12, v6
	s_wait_alu 0xfffd
	s_delay_alu instid0(VALU_DEP_2) | instskip(NEXT) | instid1(VALU_DEP_1)
	v_dual_cndmask_b32 v6, v6, v9 :: v_dual_cndmask_b32 v1, v1, v7
	v_cmp_le_u32_e32 vcc_lo, s12, v6
	s_delay_alu instid0(VALU_DEP_2) | instskip(SKIP_1) | instid1(VALU_DEP_1)
	v_add_nc_u32_e32 v7, 1, v1
	s_wait_alu 0xfffd
	v_dual_cndmask_b32 v6, v1, v7 :: v_dual_mov_b32 v7, v8
.LBB14_7:                               ;   in Loop: Header=BB14_3 Depth=1
	s_wait_alu 0xfffe
	s_or_b32 exec_lo, exec_lo, s2
	s_load_b64 s[16:17], s[10:11], 0xc8
	s_delay_alu instid0(VALU_DEP_1)
	v_mul_lo_u32 v1, v7, s12
	v_mul_lo_u32 v9, v6, s13
	v_mad_co_u64_u32 v[12:13], null, v6, s12, 0
	s_add_co_i32 s14, s14, -1
	s_add_nc_u64 s[10:11], s[10:11], -8
	s_wait_alu 0xfffe
	s_cmp_gt_u32 s14, 2
	v_add3_u32 v1, v13, v9, v1
	v_sub_co_u32 v9, vcc_lo, v10, v12
	s_wait_alu 0xfffd
	s_delay_alu instid0(VALU_DEP_2) | instskip(SKIP_1) | instid1(VALU_DEP_2)
	v_sub_co_ci_u32_e64 v1, null, v11, v1, vcc_lo
	s_wait_kmcnt 0x0
	v_mul_lo_u32 v10, s17, v9
	s_delay_alu instid0(VALU_DEP_2) | instskip(SKIP_1) | instid1(VALU_DEP_1)
	v_mul_lo_u32 v1, s16, v1
	v_mad_co_u64_u32 v[2:3], null, s16, v9, v[2:3]
	v_add3_u32 v3, v10, v3, v1
	s_cbranch_scc0 .LBB14_9
; %bb.8:                                ;   in Loop: Header=BB14_3 Depth=1
	v_dual_mov_b32 v11, v7 :: v_dual_mov_b32 v10, v6
	s_branch .LBB14_3
.LBB14_9:
	s_clause 0x1
	s_load_b32 s10, s[0:1], 0x350
	s_load_b64 s[12:13], s[0:1], 0xd0
	v_dual_mov_b32 v8, 0 :: v_dual_mov_b32 v15, v5
	v_dual_mov_b32 v9, 0 :: v_dual_mov_b32 v14, v4
	s_add_nc_u64 s[14:15], s[0:1], 0x368
	s_wait_kmcnt 0x0
	s_cmp_lt_i32 s10, 2
	s_cbranch_scc1 .LBB14_17
; %bb.10:
	s_add_co_i32 s2, s10, -1
	s_mov_b32 s3, 0
	v_dual_mov_b32 v8, 0 :: v_dual_mov_b32 v13, v5
	s_wait_alu 0xfffe
	s_lshl_b64 s[16:17], s[2:3], 3
	v_dual_mov_b32 v9, 0 :: v_dual_mov_b32 v10, 0
	v_mov_b32_e32 v12, v4
	s_wait_alu 0xfffe
	s_add_nc_u64 s[16:17], s[0:1], s[16:17]
	s_add_co_i32 s18, s10, 1
	s_wait_alu 0xfffe
	s_add_nc_u64 s[10:11], s[16:17], 0x1c0
.LBB14_11:                              ; =>This Inner Loop Header: Depth=1
	s_load_b64 s[16:17], s[10:11], 0x0
                                        ; implicit-def: $vgpr14_vgpr15
	s_mov_b32 s2, exec_lo
	s_wait_kmcnt 0x0
	v_or_b32_e32 v11, s17, v13
	s_delay_alu instid0(VALU_DEP_1)
	v_cmpx_ne_u64_e32 0, v[10:11]
	s_wait_alu 0xfffe
	s_xor_b32 s19, exec_lo, s2
	s_cbranch_execz .LBB14_13
; %bb.12:                               ;   in Loop: Header=BB14_11 Depth=1
	s_cvt_f32_u32 s2, s16
	s_cvt_f32_u32 s20, s17
	s_sub_nc_u64 s[22:23], 0, s[16:17]
	s_wait_alu 0xfffe
	s_delay_alu instid0(SALU_CYCLE_1) | instskip(SKIP_1) | instid1(SALU_CYCLE_2)
	s_fmamk_f32 s2, s20, 0x4f800000, s2
	s_wait_alu 0xfffe
	v_s_rcp_f32 s2, s2
	s_delay_alu instid0(TRANS32_DEP_1) | instskip(SKIP_1) | instid1(SALU_CYCLE_2)
	s_mul_f32 s2, s2, 0x5f7ffffc
	s_wait_alu 0xfffe
	s_mul_f32 s20, s2, 0x2f800000
	s_wait_alu 0xfffe
	s_delay_alu instid0(SALU_CYCLE_2) | instskip(SKIP_1) | instid1(SALU_CYCLE_2)
	s_trunc_f32 s20, s20
	s_wait_alu 0xfffe
	s_fmamk_f32 s2, s20, 0xcf800000, s2
	s_cvt_u32_f32 s21, s20
	s_wait_alu 0xfffe
	s_delay_alu instid0(SALU_CYCLE_1) | instskip(SKIP_1) | instid1(SALU_CYCLE_2)
	s_cvt_u32_f32 s20, s2
	s_wait_alu 0xfffe
	s_mul_u64 s[24:25], s[22:23], s[20:21]
	s_delay_alu instid0(SALU_CYCLE_1)
	s_mul_hi_u32 s27, s20, s25
	s_mul_i32 s26, s20, s25
	s_mul_hi_u32 s2, s20, s24
	s_mul_i32 s29, s21, s24
	s_wait_alu 0xfffe
	s_add_nc_u64 s[26:27], s[2:3], s[26:27]
	s_mul_hi_u32 s28, s21, s24
	s_mul_hi_u32 s30, s21, s25
	s_add_co_u32 s2, s26, s29
	s_add_co_ci_u32 s2, s27, s28
	s_mul_i32 s24, s21, s25
	s_add_co_ci_u32 s25, s30, 0
	s_wait_alu 0xfffe
	s_add_nc_u64 s[24:25], s[2:3], s[24:25]
	s_delay_alu instid0(SALU_CYCLE_1)
	s_add_co_u32 s20, s20, s24
	s_cselect_b32 s2, -1, 0
	s_wait_alu 0xfffe
	s_cmp_lg_u32 s2, 0
	s_add_co_ci_u32 s21, s21, s25
	s_wait_alu 0xfffe
	s_mul_u64 s[22:23], s[22:23], s[20:21]
	s_delay_alu instid0(SALU_CYCLE_1)
	s_mul_hi_u32 s25, s20, s23
	s_mul_i32 s24, s20, s23
	s_mul_hi_u32 s2, s20, s22
	s_mul_i32 s27, s21, s22
	s_wait_alu 0xfffe
	s_add_nc_u64 s[24:25], s[2:3], s[24:25]
	s_mul_hi_u32 s26, s21, s22
	s_mul_hi_u32 s28, s21, s23
	s_add_co_u32 s2, s24, s27
	s_add_co_ci_u32 s2, s25, s26
	s_mul_i32 s22, s21, s23
	s_add_co_ci_u32 s23, s28, 0
	s_wait_alu 0xfffe
	s_add_nc_u64 s[22:23], s[2:3], s[22:23]
	s_delay_alu instid0(SALU_CYCLE_1)
	s_add_co_u32 s2, s20, s22
	s_cselect_b32 s20, -1, 0
	s_wait_alu 0xfffe
	v_mul_hi_u32 v1, v12, s2
	s_cmp_lg_u32 s20, 0
	v_mad_co_u64_u32 v[17:18], null, v13, s2, 0
	s_add_co_ci_u32 s20, s21, s23
	s_wait_alu 0xfffe
	v_mad_co_u64_u32 v[14:15], null, v12, s20, 0
	v_mad_co_u64_u32 v[19:20], null, v13, s20, 0
	s_delay_alu instid0(VALU_DEP_2) | instskip(SKIP_1) | instid1(VALU_DEP_3)
	v_add_co_u32 v1, vcc_lo, v1, v14
	s_wait_alu 0xfffd
	v_add_co_ci_u32_e64 v11, null, 0, v15, vcc_lo
	s_delay_alu instid0(VALU_DEP_2) | instskip(SKIP_1) | instid1(VALU_DEP_2)
	v_add_co_u32 v1, vcc_lo, v1, v17
	s_wait_alu 0xfffd
	v_add_co_ci_u32_e32 v1, vcc_lo, v11, v18, vcc_lo
	s_wait_alu 0xfffd
	v_add_co_ci_u32_e32 v11, vcc_lo, 0, v20, vcc_lo
	s_delay_alu instid0(VALU_DEP_2) | instskip(SKIP_1) | instid1(VALU_DEP_2)
	v_add_co_u32 v1, vcc_lo, v1, v19
	s_wait_alu 0xfffd
	v_add_co_ci_u32_e64 v11, null, 0, v11, vcc_lo
	s_delay_alu instid0(VALU_DEP_2) | instskip(SKIP_1) | instid1(VALU_DEP_3)
	v_mul_lo_u32 v17, s17, v1
	v_mad_co_u64_u32 v[14:15], null, s16, v1, 0
	v_mul_lo_u32 v18, s16, v11
	s_delay_alu instid0(VALU_DEP_2) | instskip(NEXT) | instid1(VALU_DEP_2)
	v_sub_co_u32 v14, vcc_lo, v12, v14
	v_add3_u32 v15, v15, v18, v17
	v_add_co_u32 v18, s2, v1, 2
	s_wait_alu 0xf1ff
	v_add_co_ci_u32_e64 v19, null, 0, v11, s2
	s_delay_alu instid0(VALU_DEP_3) | instskip(SKIP_3) | instid1(VALU_DEP_3)
	v_sub_nc_u32_e32 v17, v13, v15
	v_sub_co_u32 v20, s2, v14, s16
	s_wait_alu 0xfffd
	v_sub_co_ci_u32_e64 v15, null, v13, v15, vcc_lo
	v_subrev_co_ci_u32_e64 v17, null, s17, v17, vcc_lo
	s_delay_alu instid0(VALU_DEP_3) | instskip(SKIP_1) | instid1(VALU_DEP_2)
	v_cmp_le_u32_e32 vcc_lo, s16, v20
	s_wait_alu 0xf1ff
	v_subrev_co_ci_u32_e64 v17, null, 0, v17, s2
	s_wait_alu 0xfffd
	v_cndmask_b32_e64 v20, 0, -1, vcc_lo
	v_cmp_eq_u32_e64 s2, s17, v15
	s_delay_alu instid0(VALU_DEP_3)
	v_cmp_le_u32_e32 vcc_lo, s17, v17
	s_wait_alu 0xfffd
	v_cndmask_b32_e64 v21, 0, -1, vcc_lo
	v_cmp_le_u32_e32 vcc_lo, s16, v14
	s_wait_alu 0xfffd
	v_cndmask_b32_e64 v14, 0, -1, vcc_lo
	;; [unrolled: 3-line block ×3, first 2 shown]
	v_cmp_eq_u32_e32 vcc_lo, s17, v17
	s_wait_alu 0xf1ff
	s_delay_alu instid0(VALU_DEP_2)
	v_cndmask_b32_e64 v14, v22, v14, s2
	s_wait_alu 0xfffd
	v_cndmask_b32_e32 v17, v21, v20, vcc_lo
	v_add_co_u32 v20, vcc_lo, v1, 1
	s_wait_alu 0xfffd
	v_add_co_ci_u32_e64 v21, null, 0, v11, vcc_lo
	s_delay_alu instid0(VALU_DEP_3) | instskip(SKIP_1) | instid1(VALU_DEP_2)
	v_cmp_ne_u32_e32 vcc_lo, 0, v17
	s_wait_alu 0xfffd
	v_cndmask_b32_e32 v15, v21, v19, vcc_lo
	v_cndmask_b32_e32 v17, v20, v18, vcc_lo
	v_cmp_ne_u32_e32 vcc_lo, 0, v14
	s_wait_alu 0xfffd
	s_delay_alu instid0(VALU_DEP_2)
	v_dual_cndmask_b32 v15, v11, v15 :: v_dual_cndmask_b32 v14, v1, v17
.LBB14_13:                              ;   in Loop: Header=BB14_11 Depth=1
	s_wait_alu 0xfffe
	s_and_not1_saveexec_b32 s2, s19
	s_cbranch_execz .LBB14_15
; %bb.14:                               ;   in Loop: Header=BB14_11 Depth=1
	v_cvt_f32_u32_e32 v1, s16
	s_sub_co_i32 s19, 0, s16
	s_delay_alu instid0(VALU_DEP_1) | instskip(NEXT) | instid1(TRANS32_DEP_1)
	v_rcp_iflag_f32_e32 v1, v1
	v_mul_f32_e32 v1, 0x4f7ffffe, v1
	s_delay_alu instid0(VALU_DEP_1) | instskip(SKIP_1) | instid1(VALU_DEP_1)
	v_cvt_u32_f32_e32 v1, v1
	s_wait_alu 0xfffe
	v_mul_lo_u32 v11, s19, v1
	s_delay_alu instid0(VALU_DEP_1) | instskip(NEXT) | instid1(VALU_DEP_1)
	v_mul_hi_u32 v11, v1, v11
	v_add_nc_u32_e32 v1, v1, v11
	s_delay_alu instid0(VALU_DEP_1) | instskip(NEXT) | instid1(VALU_DEP_1)
	v_mul_hi_u32 v1, v12, v1
	v_mul_lo_u32 v11, v1, s16
	s_delay_alu instid0(VALU_DEP_1) | instskip(NEXT) | instid1(VALU_DEP_1)
	v_sub_nc_u32_e32 v11, v12, v11
	v_subrev_nc_u32_e32 v15, s16, v11
	v_cmp_le_u32_e32 vcc_lo, s16, v11
	s_wait_alu 0xfffd
	s_delay_alu instid0(VALU_DEP_2) | instskip(NEXT) | instid1(VALU_DEP_1)
	v_dual_cndmask_b32 v11, v11, v15 :: v_dual_add_nc_u32 v14, 1, v1
	v_cndmask_b32_e32 v1, v1, v14, vcc_lo
	v_mov_b32_e32 v15, v10
	s_delay_alu instid0(VALU_DEP_3) | instskip(NEXT) | instid1(VALU_DEP_3)
	v_cmp_le_u32_e32 vcc_lo, s16, v11
	v_add_nc_u32_e32 v14, 1, v1
	s_wait_alu 0xfffd
	s_delay_alu instid0(VALU_DEP_1)
	v_cndmask_b32_e32 v14, v1, v14, vcc_lo
.LBB14_15:                              ;   in Loop: Header=BB14_11 Depth=1
	s_wait_alu 0xfffe
	s_or_b32 exec_lo, exec_lo, s2
	s_load_b64 s[20:21], s[10:11], 0xc8
	v_mul_lo_u32 v1, v15, s16
	v_mul_lo_u32 v11, v14, s17
	v_mad_co_u64_u32 v[17:18], null, v14, s16, 0
	s_add_co_i32 s18, s18, -1
	s_add_nc_u64 s[10:11], s[10:11], -8
	s_wait_alu 0xfffe
	s_cmp_gt_u32 s18, 2
	v_add3_u32 v1, v18, v11, v1
	v_sub_co_u32 v11, vcc_lo, v12, v17
	s_wait_alu 0xfffd
	s_delay_alu instid0(VALU_DEP_2) | instskip(SKIP_1) | instid1(VALU_DEP_2)
	v_sub_co_ci_u32_e64 v1, null, v13, v1, vcc_lo
	s_wait_kmcnt 0x0
	v_mul_lo_u32 v12, s21, v11
	s_delay_alu instid0(VALU_DEP_2) | instskip(SKIP_1) | instid1(VALU_DEP_1)
	v_mul_lo_u32 v1, s20, v1
	v_mad_co_u64_u32 v[8:9], null, s20, v11, v[8:9]
	v_add3_u32 v9, v12, v9, v1
	s_cbranch_scc0 .LBB14_17
; %bb.16:                               ;   in Loop: Header=BB14_11 Depth=1
	v_dual_mov_b32 v12, v14 :: v_dual_mov_b32 v13, v15
	s_branch .LBB14_11
.LBB14_17:
	s_clause 0x2
	s_load_b64 s[2:3], s[0:1], 0x288
	s_load_b64 s[16:17], s[0:1], 0x0
	;; [unrolled: 1-line block ×3, first 2 shown]
	v_mov_b32_e32 v1, 0
	s_load_b64 s[10:11], s[0:1], 0x358
	v_mul_lo_u32 v17, s12, v7
	v_mul_lo_u32 v18, s13, v6
	v_cmp_gt_u64_e32 vcc_lo, s[4:5], v[4:5]
	v_dual_mov_b32 v5, v1 :: v_dual_and_b32 v4, 0x3ff, v0
	s_wait_kmcnt 0x0
	v_mul_lo_u32 v12, s3, v14
	v_mul_lo_u32 v13, s2, v15
	v_mad_co_u64_u32 v[10:11], null, s2, v14, 0
	s_load_b32 s2, s[14:15], 0xc
	v_lshlrev_b64_e32 v[14:15], 3, v[8:9]
	v_mov_b32_e32 v8, 0
	v_mov_b32_e32 v9, 0
	v_add3_u32 v11, v11, v13, v12
	v_mad_co_u64_u32 v[12:13], null, s12, v6, s[16:17]
	v_mov_b32_e32 v6, 0
	v_cmp_gt_u64_e64 s0, s[6:7], v[4:5]
	s_delay_alu instid0(VALU_DEP_4) | instskip(SKIP_3) | instid1(VALU_DEP_3)
	v_lshlrev_b64_e32 v[10:11], 3, v[10:11]
	v_mov_b32_e32 v7, 0
	v_add3_u32 v0, v18, v13, v17
	s_and_b32 s4, vcc_lo, s0
	v_add_co_u32 v5, s1, s18, v10
	s_delay_alu instid0(VALU_DEP_1)
	v_add_co_ci_u32_e64 v10, null, s19, v11, s1
	v_add_co_u32 v2, s1, v12, v2
	s_wait_alu 0xf1ff
	v_add_co_ci_u32_e64 v3, null, v0, v3, s1
	v_add_co_u32 v5, s1, v5, v14
	s_wait_alu 0xf1ff
	v_add_co_ci_u32_e64 v10, null, v10, v15, s1
	v_mov_b32_e32 v14, 0
	s_wait_alu 0xfffe
	s_and_saveexec_b32 s3, s4
	s_cbranch_execz .LBB14_19
; %bb.18:
	v_mad_co_u64_u32 v[8:9], null, s10, v4, 0
	v_mad_co_u64_u32 v[11:12], null, s8, v4, v[2:3]
	s_delay_alu instid0(VALU_DEP_2) | instskip(NEXT) | instid1(VALU_DEP_1)
	v_mov_b32_e32 v0, v9
	v_mad_co_u64_u32 v[13:14], null, s11, v4, v[0:1]
	s_delay_alu instid0(VALU_DEP_1) | instskip(NEXT) | instid1(VALU_DEP_1)
	v_dual_mov_b32 v0, v12 :: v_dual_mov_b32 v9, v13
	v_mad_co_u64_u32 v[12:13], null, s9, v4, v[0:1]
	s_delay_alu instid0(VALU_DEP_2) | instskip(NEXT) | instid1(VALU_DEP_1)
	v_lshlrev_b64_e32 v[8:9], 3, v[8:9]
	v_add_co_u32 v8, s1, v5, v8
	s_wait_alu 0xf1ff
	s_delay_alu instid0(VALU_DEP_2)
	v_add_co_ci_u32_e64 v9, null, v10, v9, s1
	global_load_u8 v14, v[11:12], off
	global_load_b64 v[8:9], v[8:9], off
.LBB14_19:
	s_wait_alu 0xfffe
	s_or_b32 exec_lo, exec_lo, s3
	v_lshlrev_b32_e32 v11, 5, v16
	s_wait_kmcnt 0x0
	s_and_b32 s3, 0xffff, s2
	v_lshlrev_b32_e32 v13, 8, v16
	s_wait_alu 0xfffe
	v_add_nc_u32_e32 v0, s3, v4
	v_cndmask_b32_e64 v17, 0, 1, s4
	v_add_nc_u32_e32 v15, 0x1000, v11
	v_add_nc_u32_e32 v16, 0x1200, v11
	v_lshl_add_u32 v11, v4, 3, v13
	v_cmp_gt_u64_e64 s1, s[6:7], v[0:1]
	s_delay_alu instid0(VALU_DEP_4) | instskip(NEXT) | instid1(VALU_DEP_4)
	v_add_nc_u32_e32 v12, v15, v4
	v_add_nc_u32_e32 v18, v16, v4
	s_wait_loadcnt 0x1
	ds_store_b8 v12, v14
	s_wait_loadcnt 0x0
	ds_store_b64 v11, v[8:9]
	ds_store_b8 v18, v17
	s_and_b32 s4, vcc_lo, s1
	s_wait_alu 0xfffe
	s_and_saveexec_b32 s5, s4
	s_cbranch_execz .LBB14_21
; %bb.20:
	v_mad_co_u64_u32 v[6:7], null, s10, v0, 0
	v_mad_co_u64_u32 v[8:9], null, s8, v0, v[2:3]
	s_delay_alu instid0(VALU_DEP_2) | instskip(NEXT) | instid1(VALU_DEP_1)
	v_mov_b32_e32 v1, v7
	v_mad_co_u64_u32 v[17:18], null, s11, v0, v[1:2]
	s_delay_alu instid0(VALU_DEP_3) | instskip(NEXT) | instid1(VALU_DEP_2)
	v_mov_b32_e32 v1, v9
	v_mov_b32_e32 v7, v17
	s_delay_alu instid0(VALU_DEP_2) | instskip(NEXT) | instid1(VALU_DEP_2)
	v_mad_co_u64_u32 v[17:18], null, s9, v0, v[1:2]
	v_lshlrev_b64_e32 v[6:7], 3, v[6:7]
	s_delay_alu instid0(VALU_DEP_2) | instskip(NEXT) | instid1(VALU_DEP_2)
	v_mov_b32_e32 v9, v17
	v_add_co_u32 v6, s2, v5, v6
	s_wait_alu 0xf1ff
	s_delay_alu instid0(VALU_DEP_3)
	v_add_co_ci_u32_e64 v7, null, v10, v7, s2
	global_load_u8 v1, v[8:9], off
	global_load_b64 v[6:7], v[6:7], off
.LBB14_21:
	s_wait_alu 0xfffe
	s_or_b32 exec_lo, exec_lo, s5
	v_add_nc_u32_e32 v8, v15, v0
	v_lshlrev_b32_e32 v18, 1, v4
	v_lshl_add_u32 v9, s3, 3, v11
	v_cndmask_b32_e64 v14, 0, 1, s4
	v_add_nc_u32_e32 v17, v16, v0
	s_wait_loadcnt 0x1
	ds_store_b8 v8, v1
	s_wait_loadcnt 0x0
	ds_store_b64 v9, v[6:7]
	ds_store_b8 v17, v14
	v_add_nc_u32_e32 v1, v15, v18
	v_add_nc_u32_e32 v6, v16, v18
	s_wait_dscnt 0x0
	s_barrier_signal -1
	s_barrier_wait -1
	global_inv scope:SCOPE_SE
	ds_load_u16 v14, v1
	ds_load_u16 v17, v6
	v_and_b32_e32 v7, 1, v4
	s_wait_dscnt 0x1
	v_bfe_i32 v20, v14, 0, 8
	v_ashrrev_i16 v21, 8, v14
	s_wait_dscnt 0x0
	v_lshrrev_b16 v14, 8, v17
	v_and_b32_e32 v19, 1, v17
	s_delay_alu instid0(VALU_DEP_3) | instskip(NEXT) | instid1(VALU_DEP_3)
	v_cmp_lt_i16_e64 s2, v20, v21
	v_cmp_ne_u16_e64 s4, v14, v7
	s_delay_alu instid0(VALU_DEP_3) | instskip(SKIP_1) | instid1(VALU_DEP_2)
	v_cmp_eq_u32_e64 s3, 1, v19
	s_wait_alu 0xf1ff
	v_cndmask_b32_e64 v19, 0, 1, s4
	s_and_b32 s2, s2, s3
	s_wait_alu 0xfffe
	s_delay_alu instid0(VALU_DEP_1) | instskip(NEXT) | instid1(VALU_DEP_1)
	v_cndmask_b32_e64 v19, v19, v4, s2
	v_and_b32_e32 v19, 1, v19
	s_delay_alu instid0(VALU_DEP_1)
	v_cmp_eq_u32_e64 s2, 1, v19
	v_lshl_add_u32 v19, v4, 3, v11
	s_and_saveexec_b32 s3, s2
	s_wait_alu 0xfffe
	s_xor_b32 s2, exec_lo, s3
	s_cbranch_execz .LBB14_23
; %bb.22:
	ds_load_b128 v[22:25], v19
	v_lshlrev_b16 v20, 8, v20
	v_and_b32_e32 v21, 0xff, v21
	v_lshlrev_b16 v17, 8, v17
	s_delay_alu instid0(VALU_DEP_2) | instskip(NEXT) | instid1(VALU_DEP_2)
	v_or_b32_e32 v26, v21, v20
	v_or_b32_e32 v14, v14, v17
	s_wait_dscnt 0x0
	v_dual_mov_b32 v20, v24 :: v_dual_mov_b32 v21, v25
	ds_store_b16 v1, v26
	ds_store_b128 v19, v[20:23]
	ds_store_b16 v6, v14
.LBB14_23:
	s_wait_alu 0xfffe
	s_or_b32 exec_lo, exec_lo, s2
	v_sub_nc_u32_e32 v17, v18, v7
	s_wait_loadcnt_dscnt 0x0
	s_barrier_signal -1
	s_barrier_wait -1
	global_inv scope:SCOPE_SE
	v_add_nc_u32_e32 v7, v16, v17
	v_add_nc_u32_e32 v14, v15, v17
	v_bfe_u32 v25, v4, 1, 1
	v_lshl_add_u32 v17, v17, 3, v13
	ds_load_u8 v21, v7
	ds_load_i8 v22, v14
	ds_load_i8 v24, v14 offset:2
	ds_load_u8 v23, v7 offset:2
	s_wait_dscnt 0x3
	v_and_b32_e32 v20, 1, v21
	s_wait_dscnt 0x1
	v_cmp_lt_i16_e64 s2, v22, v24
	s_wait_dscnt 0x0
	v_cmp_ne_u16_e64 s4, v23, v25
	v_cmp_eq_u32_e64 s3, 1, v20
	s_wait_alu 0xf1ff
	s_delay_alu instid0(VALU_DEP_2) | instskip(SKIP_2) | instid1(VALU_DEP_1)
	v_cndmask_b32_e64 v20, 0, 1, s4
	s_and_b32 s2, s2, s3
	s_wait_alu 0xfffe
	v_cndmask_b32_e64 v25, v20, v25, s2
	v_and_b32_e32 v20, 2, v4
	s_delay_alu instid0(VALU_DEP_2) | instskip(NEXT) | instid1(VALU_DEP_2)
	v_and_b32_e32 v25, 1, v25
	v_cmp_ne_u32_e64 s2, 0, v20
	s_delay_alu instid0(VALU_DEP_2)
	v_cmp_eq_u32_e64 s3, 1, v25
	s_and_saveexec_b32 s4, s3
	s_wait_alu 0xfffe
	s_xor_b32 s3, exec_lo, s4
	s_cbranch_execz .LBB14_25
; %bb.24:
	ds_load_2addr_b64 v[25:28], v17 offset1:2
	s_wait_dscnt 0x0
	ds_store_2addr_b64 v17, v[27:28], v[25:26] offset1:2
	ds_store_b8 v14, v24
	ds_store_b8 v14, v22 offset:2
	ds_store_b8 v7, v23
	ds_store_b8 v7, v21 offset:2
.LBB14_25:
	s_wait_alu 0xfffe
	s_or_b32 exec_lo, exec_lo, s3
	s_wait_loadcnt_dscnt 0x0
	s_barrier_signal -1
	s_barrier_wait -1
	global_inv scope:SCOPE_SE
	ds_load_u16 v23, v1
	ds_load_u16 v21, v6
	v_lshrrev_b32_e32 v24, 1, v20
	v_cndmask_b32_e64 v26, 0, 1, s2
	s_wait_dscnt 0x1
	v_bfe_i32 v22, v23, 0, 8
	s_wait_dscnt 0x0
	v_lshrrev_b16 v20, 8, v21
	v_ashrrev_i16 v23, 8, v23
	v_and_b32_e32 v25, 1, v21
	s_delay_alu instid0(VALU_DEP_3) | instskip(NEXT) | instid1(VALU_DEP_3)
	v_cmp_ne_u16_e64 s4, v20, v24
	v_cmp_lt_i16_e64 s2, v22, v23
	s_delay_alu instid0(VALU_DEP_3) | instskip(SKIP_1) | instid1(VALU_DEP_3)
	v_cmp_eq_u32_e64 s3, 1, v25
	s_wait_alu 0xf1ff
	v_cndmask_b32_e64 v24, 0, 1, s4
	s_and_b32 s2, s2, s3
	s_mov_b32 s3, exec_lo
	s_wait_alu 0xfffe
	s_delay_alu instid0(VALU_DEP_1) | instskip(NEXT) | instid1(VALU_DEP_1)
	v_cndmask_b32_e64 v24, v24, v26, s2
	v_and_b32_e32 v24, 1, v24
	s_delay_alu instid0(VALU_DEP_1)
	v_cmpx_eq_u32_e32 1, v24
	s_cbranch_execz .LBB14_27
; %bb.26:
	ds_load_b128 v[24:27], v19
	v_lshlrev_b16 v22, 8, v22
	v_and_b32_e32 v23, 0xff, v23
	v_lshlrev_b16 v28, 8, v21
	s_delay_alu instid0(VALU_DEP_2) | instskip(NEXT) | instid1(VALU_DEP_2)
	v_or_b32_e32 v29, v23, v22
	v_or_b32_e32 v20, v20, v28
	s_wait_dscnt 0x0
	v_dual_mov_b32 v21, v26 :: v_dual_mov_b32 v22, v27
	v_dual_mov_b32 v23, v24 :: v_dual_mov_b32 v24, v25
	ds_store_b16 v1, v29
	ds_store_b128 v19, v[21:24]
	ds_store_b16 v6, v20
.LBB14_27:
	s_or_b32 exec_lo, exec_lo, s3
	v_and_b32_e32 v19, 3, v4
	s_wait_loadcnt_dscnt 0x0
	s_barrier_signal -1
	s_barrier_wait -1
	global_inv scope:SCOPE_SE
	v_sub_nc_u32_e32 v22, v18, v19
	v_bfe_u32 v27, v4, 2, 1
	s_delay_alu instid0(VALU_DEP_2)
	v_add_nc_u32_e32 v19, v16, v22
	v_add_nc_u32_e32 v20, v15, v22
	v_lshl_add_u32 v22, v22, 3, v13
	ds_load_u8 v23, v19
	ds_load_i8 v24, v20
	ds_load_i8 v26, v20 offset:4
	ds_load_u8 v25, v19 offset:4
	s_wait_dscnt 0x3
	v_and_b32_e32 v21, 1, v23
	s_wait_dscnt 0x1
	v_cmp_lt_i16_e64 s2, v24, v26
	s_wait_dscnt 0x0
	v_cmp_ne_u16_e64 s4, v25, v27
	v_cmp_eq_u32_e64 s3, 1, v21
	s_wait_alu 0xf1ff
	s_delay_alu instid0(VALU_DEP_2) | instskip(SKIP_3) | instid1(VALU_DEP_1)
	v_cndmask_b32_e64 v21, 0, 1, s4
	s_mov_b32 s4, exec_lo
	s_and_b32 s2, s2, s3
	s_wait_alu 0xfffe
	v_cndmask_b32_e64 v27, v21, v27, s2
	v_and_b32_e32 v21, 4, v4
	s_delay_alu instid0(VALU_DEP_2) | instskip(NEXT) | instid1(VALU_DEP_2)
	v_and_b32_e32 v27, 1, v27
	v_cmp_ne_u32_e64 s2, 0, v21
	s_delay_alu instid0(VALU_DEP_2)
	v_cmpx_eq_u32_e32 1, v27
	s_cbranch_execz .LBB14_29
; %bb.28:
	ds_load_2addr_b64 v[27:30], v22 offset1:4
	s_wait_dscnt 0x0
	ds_store_2addr_b64 v22, v[29:30], v[27:28] offset1:4
	ds_store_b8 v20, v26
	ds_store_b8 v20, v24 offset:4
	ds_store_b8 v19, v25
	ds_store_b8 v19, v23 offset:4
.LBB14_29:
	s_or_b32 exec_lo, exec_lo, s4
	s_wait_loadcnt_dscnt 0x0
	s_barrier_signal -1
	s_barrier_wait -1
	global_inv scope:SCOPE_SE
	ds_load_u8 v24, v7
	ds_load_i8 v25, v14
	ds_load_i8 v27, v14 offset:2
	ds_load_u8 v26, v7 offset:2
	v_lshrrev_b32_e32 v21, 2, v21
	v_cndmask_b32_e64 v23, 0, 1, s2
	s_wait_dscnt 0x3
	v_and_b32_e32 v28, 1, v24
	s_wait_dscnt 0x1
	v_cmp_lt_i16_e64 s2, v25, v27
	s_wait_dscnt 0x0
	v_cmp_ne_u16_e64 s4, v26, v21
	v_cmp_eq_u32_e64 s3, 1, v28
	s_wait_alu 0xf1ff
	s_delay_alu instid0(VALU_DEP_2) | instskip(SKIP_3) | instid1(VALU_DEP_1)
	v_cndmask_b32_e64 v28, 0, 1, s4
	s_and_b32 s2, s2, s3
	s_mov_b32 s3, exec_lo
	s_wait_alu 0xfffe
	v_cndmask_b32_e64 v28, v28, v23, s2
	s_delay_alu instid0(VALU_DEP_1) | instskip(NEXT) | instid1(VALU_DEP_1)
	v_and_b32_e32 v28, 1, v28
	v_cmpx_eq_u32_e32 1, v28
	s_cbranch_execz .LBB14_31
; %bb.30:
	ds_load_2addr_b64 v[28:31], v17 offset1:2
	s_wait_dscnt 0x0
	ds_store_2addr_b64 v17, v[30:31], v[28:29] offset1:2
	ds_store_b8 v14, v27
	ds_store_b8 v14, v25 offset:2
	ds_store_b8 v7, v26
	ds_store_b8 v7, v24 offset:2
.LBB14_31:
	s_or_b32 exec_lo, exec_lo, s3
	s_wait_loadcnt_dscnt 0x0
	s_barrier_signal -1
	s_barrier_wait -1
	global_inv scope:SCOPE_SE
	ds_load_u16 v24, v1
	ds_load_u16 v25, v6
	s_wait_dscnt 0x1
	v_bfe_i32 v26, v24, 0, 8
	v_ashrrev_i16 v27, 8, v24
	s_wait_dscnt 0x0
	v_lshrrev_b16 v24, 8, v25
	v_and_b32_e32 v28, 1, v25
	s_delay_alu instid0(VALU_DEP_3) | instskip(NEXT) | instid1(VALU_DEP_3)
	v_cmp_lt_i16_e64 s2, v26, v27
	v_cmp_ne_u16_e64 s4, v24, v21
	s_delay_alu instid0(VALU_DEP_3) | instskip(SKIP_1) | instid1(VALU_DEP_2)
	v_cmp_eq_u32_e64 s3, 1, v28
	s_wait_alu 0xf1ff
	v_cndmask_b32_e64 v21, 0, 1, s4
	s_and_b32 s2, s2, s3
	s_wait_alu 0xfffe
	s_delay_alu instid0(VALU_DEP_1) | instskip(NEXT) | instid1(VALU_DEP_1)
	v_cndmask_b32_e64 v21, v21, v23, s2
	v_and_b32_e32 v21, 1, v21
	s_delay_alu instid0(VALU_DEP_1)
	v_cmp_eq_u32_e64 s2, 1, v21
	v_lshl_add_u32 v21, v18, 3, v13
	s_and_saveexec_b32 s3, s2
	s_cbranch_execz .LBB14_33
; %bb.32:
	ds_load_b128 v[28:31], v21
	v_lshlrev_b16 v23, 8, v26
	v_and_b32_e32 v26, 0xff, v27
	v_lshlrev_b16 v32, 8, v25
	s_delay_alu instid0(VALU_DEP_1)
	v_or_b32_e32 v24, v24, v32
	s_wait_dscnt 0x0
	v_mov_b32_e32 v25, v30
	v_or_b32_e32 v23, v26, v23
	v_dual_mov_b32 v26, v31 :: v_dual_mov_b32 v27, v28
	v_mov_b32_e32 v28, v29
	ds_store_b16 v1, v23
	ds_store_b128 v21, v[25:28]
	ds_store_b16 v6, v24
.LBB14_33:
	s_wait_alu 0xfffe
	s_or_b32 exec_lo, exec_lo, s3
	v_and_b32_e32 v23, 7, v4
	s_wait_loadcnt_dscnt 0x0
	s_barrier_signal -1
	s_barrier_wait -1
	global_inv scope:SCOPE_SE
	v_sub_nc_u32_e32 v25, v18, v23
	v_bfe_u32 v31, v4, 3, 1
	s_delay_alu instid0(VALU_DEP_2)
	v_add_nc_u32_e32 v23, v16, v25
	v_add_nc_u32_e32 v24, v15, v25
	v_lshl_add_u32 v25, v25, 3, v13
	ds_load_u8 v27, v23
	ds_load_i8 v28, v24
	ds_load_i8 v30, v24 offset:8
	ds_load_u8 v29, v23 offset:8
	s_wait_dscnt 0x3
	v_and_b32_e32 v26, 1, v27
	s_wait_dscnt 0x1
	v_cmp_lt_i16_e64 s2, v28, v30
	s_wait_dscnt 0x0
	v_cmp_ne_u16_e64 s4, v29, v31
	v_cmp_eq_u32_e64 s3, 1, v26
	s_wait_alu 0xf1ff
	s_delay_alu instid0(VALU_DEP_2) | instskip(SKIP_3) | instid1(VALU_DEP_1)
	v_cndmask_b32_e64 v26, 0, 1, s4
	s_mov_b32 s4, exec_lo
	s_and_b32 s2, s2, s3
	s_wait_alu 0xfffe
	v_cndmask_b32_e64 v31, v26, v31, s2
	v_and_b32_e32 v26, 8, v4
	s_delay_alu instid0(VALU_DEP_2) | instskip(NEXT) | instid1(VALU_DEP_2)
	v_and_b32_e32 v31, 1, v31
	v_cmp_ne_u32_e64 s2, 0, v26
	s_delay_alu instid0(VALU_DEP_2)
	v_cmpx_eq_u32_e32 1, v31
	s_cbranch_execz .LBB14_35
; %bb.34:
	ds_load_2addr_b64 v[31:34], v25 offset1:8
	s_wait_dscnt 0x0
	ds_store_2addr_b64 v25, v[33:34], v[31:32] offset1:8
	ds_store_b8 v24, v30
	ds_store_b8 v24, v28 offset:8
	ds_store_b8 v23, v29
	ds_store_b8 v23, v27 offset:8
.LBB14_35:
	s_or_b32 exec_lo, exec_lo, s4
	s_wait_loadcnt_dscnt 0x0
	s_barrier_signal -1
	s_barrier_wait -1
	global_inv scope:SCOPE_SE
	ds_load_u8 v28, v19
	ds_load_i8 v29, v20
	ds_load_i8 v31, v20 offset:4
	ds_load_u8 v30, v19 offset:4
	v_lshrrev_b32_e32 v26, 3, v26
	v_cndmask_b32_e64 v27, 0, 1, s2
	s_wait_dscnt 0x3
	v_and_b32_e32 v32, 1, v28
	s_wait_dscnt 0x1
	v_cmp_lt_i16_e64 s2, v29, v31
	s_wait_dscnt 0x0
	v_cmp_ne_u16_e64 s4, v30, v26
	v_cmp_eq_u32_e64 s3, 1, v32
	s_wait_alu 0xf1ff
	s_delay_alu instid0(VALU_DEP_2) | instskip(SKIP_3) | instid1(VALU_DEP_1)
	v_cndmask_b32_e64 v32, 0, 1, s4
	s_and_b32 s2, s2, s3
	s_mov_b32 s3, exec_lo
	s_wait_alu 0xfffe
	v_cndmask_b32_e64 v32, v32, v27, s2
	s_delay_alu instid0(VALU_DEP_1) | instskip(NEXT) | instid1(VALU_DEP_1)
	v_and_b32_e32 v32, 1, v32
	v_cmpx_eq_u32_e32 1, v32
	s_cbranch_execz .LBB14_37
; %bb.36:
	ds_load_2addr_b64 v[32:35], v22 offset1:4
	s_wait_dscnt 0x0
	ds_store_2addr_b64 v22, v[34:35], v[32:33] offset1:4
	ds_store_b8 v20, v31
	ds_store_b8 v20, v29 offset:4
	ds_store_b8 v19, v30
	ds_store_b8 v19, v28 offset:4
.LBB14_37:
	s_or_b32 exec_lo, exec_lo, s3
	s_wait_loadcnt_dscnt 0x0
	s_barrier_signal -1
	s_barrier_wait -1
	global_inv scope:SCOPE_SE
	ds_load_u8 v28, v7
	ds_load_i8 v29, v14
	ds_load_i8 v31, v14 offset:2
	ds_load_u8 v30, v7 offset:2
	s_wait_dscnt 0x3
	v_and_b32_e32 v32, 1, v28
	s_wait_dscnt 0x1
	v_cmp_lt_i16_e64 s2, v29, v31
	s_wait_dscnt 0x0
	v_cmp_ne_u16_e64 s4, v30, v26
	v_cmp_eq_u32_e64 s3, 1, v32
	s_wait_alu 0xf1ff
	s_delay_alu instid0(VALU_DEP_2) | instskip(SKIP_3) | instid1(VALU_DEP_1)
	v_cndmask_b32_e64 v32, 0, 1, s4
	s_and_b32 s2, s2, s3
	s_mov_b32 s3, exec_lo
	s_wait_alu 0xfffe
	v_cndmask_b32_e64 v32, v32, v27, s2
	s_delay_alu instid0(VALU_DEP_1) | instskip(NEXT) | instid1(VALU_DEP_1)
	v_and_b32_e32 v32, 1, v32
	v_cmpx_eq_u32_e32 1, v32
	s_cbranch_execz .LBB14_39
; %bb.38:
	ds_load_2addr_b64 v[32:35], v17 offset1:2
	s_wait_dscnt 0x0
	ds_store_2addr_b64 v17, v[34:35], v[32:33] offset1:2
	ds_store_b8 v14, v31
	ds_store_b8 v14, v29 offset:2
	ds_store_b8 v7, v30
	ds_store_b8 v7, v28 offset:2
.LBB14_39:
	s_or_b32 exec_lo, exec_lo, s3
	s_wait_loadcnt_dscnt 0x0
	s_barrier_signal -1
	s_barrier_wait -1
	global_inv scope:SCOPE_SE
	ds_load_u16 v28, v1
	ds_load_u16 v29, v6
	s_wait_dscnt 0x1
	v_bfe_i32 v30, v28, 0, 8
	v_ashrrev_i16 v31, 8, v28
	s_wait_dscnt 0x0
	v_lshrrev_b16 v28, 8, v29
	v_and_b32_e32 v32, 1, v29
	s_delay_alu instid0(VALU_DEP_3) | instskip(NEXT) | instid1(VALU_DEP_3)
	v_cmp_lt_i16_e64 s2, v30, v31
	v_cmp_ne_u16_e64 s4, v28, v26
	s_delay_alu instid0(VALU_DEP_3) | instskip(SKIP_1) | instid1(VALU_DEP_2)
	v_cmp_eq_u32_e64 s3, 1, v32
	s_wait_alu 0xf1ff
	v_cndmask_b32_e64 v26, 0, 1, s4
	s_and_b32 s2, s2, s3
	s_mov_b32 s3, exec_lo
	s_wait_alu 0xfffe
	s_delay_alu instid0(VALU_DEP_1) | instskip(NEXT) | instid1(VALU_DEP_1)
	v_cndmask_b32_e64 v26, v26, v27, s2
	v_and_b32_e32 v26, 1, v26
	s_delay_alu instid0(VALU_DEP_1)
	v_cmpx_eq_u32_e32 1, v26
	s_cbranch_execz .LBB14_41
; %bb.40:
	ds_load_b128 v[32:35], v21
	v_lshlrev_b16 v26, 8, v30
	v_and_b32_e32 v27, 0xff, v31
	v_lshlrev_b16 v36, 8, v29
	s_wait_dscnt 0x0
	v_mov_b32_e32 v30, v35
	s_delay_alu instid0(VALU_DEP_3)
	v_or_b32_e32 v26, v27, v26
	v_mov_b32_e32 v29, v34
	v_dual_mov_b32 v31, v32 :: v_dual_mov_b32 v32, v33
	v_or_b32_e32 v27, v28, v36
	ds_store_b16 v1, v26
	ds_store_b128 v21, v[29:32]
	ds_store_b16 v6, v27
.LBB14_41:
	s_or_b32 exec_lo, exec_lo, s3
	v_and_b32_e32 v26, 15, v4
	s_wait_loadcnt_dscnt 0x0
	s_barrier_signal -1
	s_barrier_wait -1
	global_inv scope:SCOPE_SE
	v_sub_nc_u32_e32 v18, v18, v26
	s_delay_alu instid0(VALU_DEP_1)
	v_add_nc_u32_e32 v16, v16, v18
	v_add_nc_u32_e32 v15, v15, v18
	ds_load_u8 v26, v16
	ds_load_u8 v29, v16 offset:16
	ds_load_i8 v27, v15
	ds_load_i8 v28, v15 offset:16
	s_wait_dscnt 0x2
	v_and_b32_e32 v29, 0xff, v29
	v_and_b32_e32 v30, 1, v26
	s_wait_dscnt 0x0
	v_cmp_ge_i16_e64 s3, v27, v28
	s_delay_alu instid0(VALU_DEP_3) | instskip(NEXT) | instid1(VALU_DEP_3)
	v_cmp_ne_u16_e64 s4, 0, v29
	v_cmp_eq_u32_e64 s2, 1, v30
	s_xor_b32 s2, s2, -1
	s_wait_alu 0xfffe
	s_or_b32 s2, s3, s2
	s_wait_alu 0xfffe
	s_and_b32 s3, s2, s4
	s_wait_alu 0xfffe
	s_and_saveexec_b32 s2, s3
	s_cbranch_execz .LBB14_43
; %bb.42:
	v_lshl_add_u32 v13, v18, 3, v13
	v_mov_b32_e32 v18, 1
	ds_load_2addr_b64 v[29:32], v13 offset1:16
	s_wait_dscnt 0x0
	ds_store_2addr_b64 v13, v[31:32], v[29:30] offset1:16
	ds_store_b8 v15, v28
	ds_store_b8 v15, v27 offset:16
	ds_store_b8 v16, v18
	ds_store_b8 v16, v26 offset:16
.LBB14_43:
	s_wait_alu 0xfffe
	s_or_b32 exec_lo, exec_lo, s2
	s_wait_loadcnt_dscnt 0x0
	s_barrier_signal -1
	s_barrier_wait -1
	global_inv scope:SCOPE_SE
	ds_load_u8 v13, v23
	ds_load_u8 v18, v23 offset:8
	ds_load_i8 v15, v24
	ds_load_i8 v16, v24 offset:8
	s_wait_dscnt 0x3
	v_and_b32_e32 v26, 1, v13
	s_wait_dscnt 0x2
	v_and_b32_e32 v18, 0xff, v18
	s_wait_dscnt 0x0
	v_cmp_ge_i16_e64 s3, v15, v16
	v_cmp_eq_u32_e64 s2, 1, v26
	s_delay_alu instid0(VALU_DEP_3)
	v_cmp_ne_u16_e64 s4, 0, v18
	s_xor_b32 s2, s2, -1
	s_wait_alu 0xfffe
	s_or_b32 s2, s3, s2
	s_wait_alu 0xfffe
	s_and_b32 s3, s2, s4
	s_wait_alu 0xfffe
	s_and_saveexec_b32 s2, s3
	s_cbranch_execz .LBB14_45
; %bb.44:
	ds_load_2addr_b64 v[26:29], v25 offset1:8
	v_mov_b32_e32 v18, 1
	s_wait_dscnt 0x0
	ds_store_2addr_b64 v25, v[28:29], v[26:27] offset1:8
	ds_store_b8 v24, v16
	ds_store_b8 v24, v15 offset:8
	ds_store_b8 v23, v18
	ds_store_b8 v23, v13 offset:8
.LBB14_45:
	s_wait_alu 0xfffe
	s_or_b32 exec_lo, exec_lo, s2
	s_wait_loadcnt_dscnt 0x0
	s_barrier_signal -1
	s_barrier_wait -1
	global_inv scope:SCOPE_SE
	ds_load_u8 v13, v19
	ds_load_u8 v18, v19 offset:4
	ds_load_i8 v15, v20
	ds_load_i8 v16, v20 offset:4
	s_wait_dscnt 0x3
	v_and_b32_e32 v23, 1, v13
	s_wait_dscnt 0x2
	v_and_b32_e32 v18, 0xff, v18
	s_wait_dscnt 0x0
	v_cmp_ge_i16_e64 s3, v15, v16
	v_cmp_eq_u32_e64 s2, 1, v23
	s_delay_alu instid0(VALU_DEP_3)
	v_cmp_ne_u16_e64 s4, 0, v18
	s_xor_b32 s2, s2, -1
	s_wait_alu 0xfffe
	s_or_b32 s2, s3, s2
	s_wait_alu 0xfffe
	s_and_b32 s3, s2, s4
	s_wait_alu 0xfffe
	s_and_saveexec_b32 s2, s3
	s_cbranch_execz .LBB14_47
; %bb.46:
	ds_load_2addr_b64 v[23:26], v22 offset1:4
	v_mov_b32_e32 v18, 1
	s_wait_dscnt 0x0
	ds_store_2addr_b64 v22, v[25:26], v[23:24] offset1:4
	ds_store_b8 v20, v16
	ds_store_b8 v20, v15 offset:4
	ds_store_b8 v19, v18
	ds_store_b8 v19, v13 offset:4
.LBB14_47:
	;; [unrolled: 37-line block ×3, first 2 shown]
	s_wait_alu 0xfffe
	s_or_b32 exec_lo, exec_lo, s2
	s_wait_loadcnt_dscnt 0x0
	s_barrier_signal -1
	s_barrier_wait -1
	global_inv scope:SCOPE_SE
	ds_load_u16 v7, v6
	ds_load_u16 v14, v1
	s_wait_dscnt 0x1
	v_and_b32_e32 v15, 1, v7
	s_wait_dscnt 0x0
	v_bfe_i32 v13, v14, 0, 8
	v_ashrrev_i16 v14, 8, v14
	v_lshrrev_b16 v16, 8, v7
	v_cmp_eq_u32_e64 s2, 1, v15
	s_delay_alu instid0(VALU_DEP_3) | instskip(NEXT) | instid1(VALU_DEP_3)
	v_cmp_ge_i16_e64 s3, v13, v14
	v_cmp_ne_u16_e64 s4, 0, v16
	s_xor_b32 s2, s2, -1
	s_wait_alu 0xfffe
	s_or_b32 s2, s3, s2
	s_wait_alu 0xfffe
	s_and_b32 s3, s2, s4
	s_wait_alu 0xfffe
	s_and_saveexec_b32 s2, s3
	s_cbranch_execz .LBB14_51
; %bb.50:
	ds_load_b128 v[15:18], v21
	v_lshlrev_b16 v13, 8, v13
	v_and_b32_e32 v14, 0xff, v14
	v_lshlrev_b16 v7, 8, v7
	s_delay_alu instid0(VALU_DEP_2) | instskip(NEXT) | instid1(VALU_DEP_2)
	v_or_b32_e32 v19, v14, v13
	v_or_b32_e32 v7, 1, v7
	s_wait_dscnt 0x0
	v_dual_mov_b32 v13, v17 :: v_dual_mov_b32 v14, v18
	ds_store_b16 v1, v19
	ds_store_b128 v21, v[13:16]
	ds_store_b16 v6, v7
.LBB14_51:
	s_wait_alu 0xfffe
	s_or_b32 exec_lo, exec_lo, s2
	s_wait_loadcnt_dscnt 0x0
	s_barrier_signal -1
	s_barrier_wait -1
	global_inv scope:SCOPE_SE
	s_and_saveexec_b32 s2, vcc_lo
	s_cbranch_execz .LBB14_56
; %bb.52:
	s_and_saveexec_b32 s2, s0
	s_cbranch_execz .LBB14_54
; %bb.53:
	v_mad_co_u64_u32 v[6:7], null, s10, v4, 0
	v_mad_co_u64_u32 v[13:14], null, s8, v4, v[2:3]
	s_delay_alu instid0(VALU_DEP_2) | instskip(NEXT) | instid1(VALU_DEP_1)
	v_mov_b32_e32 v1, v7
	v_mad_co_u64_u32 v[15:16], null, s11, v4, v[1:2]
	ds_load_u8 v16, v12
	ds_load_b64 v[11:12], v11
	v_mov_b32_e32 v1, v14
	v_mov_b32_e32 v7, v15
	s_delay_alu instid0(VALU_DEP_2) | instskip(NEXT) | instid1(VALU_DEP_2)
	v_mad_co_u64_u32 v[14:15], null, s9, v4, v[1:2]
	v_lshlrev_b64_e32 v[6:7], 3, v[6:7]
	s_delay_alu instid0(VALU_DEP_1) | instskip(SKIP_1) | instid1(VALU_DEP_2)
	v_add_co_u32 v6, vcc_lo, v5, v6
	s_wait_alu 0xfffd
	v_add_co_ci_u32_e64 v7, null, v10, v7, vcc_lo
	s_wait_dscnt 0x1
	global_store_b8 v[13:14], v16, off
	s_wait_dscnt 0x0
	global_store_b64 v[6:7], v[11:12], off
.LBB14_54:
	s_wait_alu 0xfffe
	s_or_b32 exec_lo, exec_lo, s2
	s_delay_alu instid0(SALU_CYCLE_1)
	s_and_b32 exec_lo, exec_lo, s1
	s_cbranch_execz .LBB14_56
; %bb.55:
	v_mad_co_u64_u32 v[6:7], null, s10, v0, 0
	v_mad_co_u64_u32 v[2:3], null, s8, v0, v[2:3]
	ds_load_u8 v4, v8
	ds_load_b64 v[8:9], v9
	v_mov_b32_e32 v1, v7
	s_delay_alu instid0(VALU_DEP_1) | instskip(SKIP_1) | instid1(VALU_DEP_1)
	v_mad_co_u64_u32 v[11:12], null, s11, v0, v[1:2]
	v_mov_b32_e32 v1, v3
	v_mad_co_u64_u32 v[0:1], null, s9, v0, v[1:2]
	s_delay_alu instid0(VALU_DEP_3) | instskip(NEXT) | instid1(VALU_DEP_1)
	v_mov_b32_e32 v7, v11
	v_lshlrev_b64_e32 v[6:7], 3, v[6:7]
	s_delay_alu instid0(VALU_DEP_3) | instskip(NEXT) | instid1(VALU_DEP_2)
	v_mov_b32_e32 v3, v0
	v_add_co_u32 v0, vcc_lo, v5, v6
	s_wait_alu 0xfffd
	s_delay_alu instid0(VALU_DEP_3)
	v_add_co_ci_u32_e64 v1, null, v10, v7, vcc_lo
	s_wait_dscnt 0x1
	global_store_b8 v[2:3], v4, off
	s_wait_dscnt 0x0
	global_store_b64 v[0:1], v[8:9], off
.LBB14_56:
	s_endpgm
	.section	.rodata,"a",@progbits
	.p2align	6, 0x0
	.amdhsa_kernel _ZN2at6native20bitonicSortKVInPlaceILin1ELin1ELi16ELi16EalNS0_4LTOpIaLb1EEEmEEvNS_4cuda6detail10TensorInfoIT3_T6_EES8_S8_S8_NS6_IT4_S8_EES8_T5_
		.amdhsa_group_segment_fixed_size 5120
		.amdhsa_private_segment_fixed_size 0
		.amdhsa_kernarg_size 1128
		.amdhsa_user_sgpr_count 2
		.amdhsa_user_sgpr_dispatch_ptr 0
		.amdhsa_user_sgpr_queue_ptr 0
		.amdhsa_user_sgpr_kernarg_segment_ptr 1
		.amdhsa_user_sgpr_dispatch_id 0
		.amdhsa_user_sgpr_private_segment_size 0
		.amdhsa_wavefront_size32 1
		.amdhsa_uses_dynamic_stack 0
		.amdhsa_enable_private_segment 0
		.amdhsa_system_sgpr_workgroup_id_x 1
		.amdhsa_system_sgpr_workgroup_id_y 1
		.amdhsa_system_sgpr_workgroup_id_z 1
		.amdhsa_system_sgpr_workgroup_info 0
		.amdhsa_system_vgpr_workitem_id 1
		.amdhsa_next_free_vgpr 37
		.amdhsa_next_free_sgpr 31
		.amdhsa_reserve_vcc 1
		.amdhsa_float_round_mode_32 0
		.amdhsa_float_round_mode_16_64 0
		.amdhsa_float_denorm_mode_32 3
		.amdhsa_float_denorm_mode_16_64 3
		.amdhsa_fp16_overflow 0
		.amdhsa_workgroup_processor_mode 1
		.amdhsa_memory_ordered 1
		.amdhsa_forward_progress 1
		.amdhsa_inst_pref_size 55
		.amdhsa_round_robin_scheduling 0
		.amdhsa_exception_fp_ieee_invalid_op 0
		.amdhsa_exception_fp_denorm_src 0
		.amdhsa_exception_fp_ieee_div_zero 0
		.amdhsa_exception_fp_ieee_overflow 0
		.amdhsa_exception_fp_ieee_underflow 0
		.amdhsa_exception_fp_ieee_inexact 0
		.amdhsa_exception_int_div_zero 0
	.end_amdhsa_kernel
	.section	.text._ZN2at6native20bitonicSortKVInPlaceILin1ELin1ELi16ELi16EalNS0_4LTOpIaLb1EEEmEEvNS_4cuda6detail10TensorInfoIT3_T6_EES8_S8_S8_NS6_IT4_S8_EES8_T5_,"axG",@progbits,_ZN2at6native20bitonicSortKVInPlaceILin1ELin1ELi16ELi16EalNS0_4LTOpIaLb1EEEmEEvNS_4cuda6detail10TensorInfoIT3_T6_EES8_S8_S8_NS6_IT4_S8_EES8_T5_,comdat
.Lfunc_end14:
	.size	_ZN2at6native20bitonicSortKVInPlaceILin1ELin1ELi16ELi16EalNS0_4LTOpIaLb1EEEmEEvNS_4cuda6detail10TensorInfoIT3_T6_EES8_S8_S8_NS6_IT4_S8_EES8_T5_, .Lfunc_end14-_ZN2at6native20bitonicSortKVInPlaceILin1ELin1ELi16ELi16EalNS0_4LTOpIaLb1EEEmEEvNS_4cuda6detail10TensorInfoIT3_T6_EES8_S8_S8_NS6_IT4_S8_EES8_T5_
                                        ; -- End function
	.set _ZN2at6native20bitonicSortKVInPlaceILin1ELin1ELi16ELi16EalNS0_4LTOpIaLb1EEEmEEvNS_4cuda6detail10TensorInfoIT3_T6_EES8_S8_S8_NS6_IT4_S8_EES8_T5_.num_vgpr, 37
	.set _ZN2at6native20bitonicSortKVInPlaceILin1ELin1ELi16ELi16EalNS0_4LTOpIaLb1EEEmEEvNS_4cuda6detail10TensorInfoIT3_T6_EES8_S8_S8_NS6_IT4_S8_EES8_T5_.num_agpr, 0
	.set _ZN2at6native20bitonicSortKVInPlaceILin1ELin1ELi16ELi16EalNS0_4LTOpIaLb1EEEmEEvNS_4cuda6detail10TensorInfoIT3_T6_EES8_S8_S8_NS6_IT4_S8_EES8_T5_.numbered_sgpr, 31
	.set _ZN2at6native20bitonicSortKVInPlaceILin1ELin1ELi16ELi16EalNS0_4LTOpIaLb1EEEmEEvNS_4cuda6detail10TensorInfoIT3_T6_EES8_S8_S8_NS6_IT4_S8_EES8_T5_.num_named_barrier, 0
	.set _ZN2at6native20bitonicSortKVInPlaceILin1ELin1ELi16ELi16EalNS0_4LTOpIaLb1EEEmEEvNS_4cuda6detail10TensorInfoIT3_T6_EES8_S8_S8_NS6_IT4_S8_EES8_T5_.private_seg_size, 0
	.set _ZN2at6native20bitonicSortKVInPlaceILin1ELin1ELi16ELi16EalNS0_4LTOpIaLb1EEEmEEvNS_4cuda6detail10TensorInfoIT3_T6_EES8_S8_S8_NS6_IT4_S8_EES8_T5_.uses_vcc, 1
	.set _ZN2at6native20bitonicSortKVInPlaceILin1ELin1ELi16ELi16EalNS0_4LTOpIaLb1EEEmEEvNS_4cuda6detail10TensorInfoIT3_T6_EES8_S8_S8_NS6_IT4_S8_EES8_T5_.uses_flat_scratch, 0
	.set _ZN2at6native20bitonicSortKVInPlaceILin1ELin1ELi16ELi16EalNS0_4LTOpIaLb1EEEmEEvNS_4cuda6detail10TensorInfoIT3_T6_EES8_S8_S8_NS6_IT4_S8_EES8_T5_.has_dyn_sized_stack, 0
	.set _ZN2at6native20bitonicSortKVInPlaceILin1ELin1ELi16ELi16EalNS0_4LTOpIaLb1EEEmEEvNS_4cuda6detail10TensorInfoIT3_T6_EES8_S8_S8_NS6_IT4_S8_EES8_T5_.has_recursion, 0
	.set _ZN2at6native20bitonicSortKVInPlaceILin1ELin1ELi16ELi16EalNS0_4LTOpIaLb1EEEmEEvNS_4cuda6detail10TensorInfoIT3_T6_EES8_S8_S8_NS6_IT4_S8_EES8_T5_.has_indirect_call, 0
	.section	.AMDGPU.csdata,"",@progbits
; Kernel info:
; codeLenInByte = 6952
; TotalNumSgprs: 33
; NumVgprs: 37
; ScratchSize: 0
; MemoryBound: 0
; FloatMode: 240
; IeeeMode: 1
; LDSByteSize: 5120 bytes/workgroup (compile time only)
; SGPRBlocks: 0
; VGPRBlocks: 4
; NumSGPRsForWavesPerEU: 33
; NumVGPRsForWavesPerEU: 37
; Occupancy: 16
; WaveLimiterHint : 1
; COMPUTE_PGM_RSRC2:SCRATCH_EN: 0
; COMPUTE_PGM_RSRC2:USER_SGPR: 2
; COMPUTE_PGM_RSRC2:TRAP_HANDLER: 0
; COMPUTE_PGM_RSRC2:TGID_X_EN: 1
; COMPUTE_PGM_RSRC2:TGID_Y_EN: 1
; COMPUTE_PGM_RSRC2:TGID_Z_EN: 1
; COMPUTE_PGM_RSRC2:TIDIG_COMP_CNT: 1
	.section	.text._ZN2at6native20bitonicSortKVInPlaceILin1ELin1ELi16ELi16EalNS0_4GTOpIaLb1EEEmEEvNS_4cuda6detail10TensorInfoIT3_T6_EES8_S8_S8_NS6_IT4_S8_EES8_T5_,"axG",@progbits,_ZN2at6native20bitonicSortKVInPlaceILin1ELin1ELi16ELi16EalNS0_4GTOpIaLb1EEEmEEvNS_4cuda6detail10TensorInfoIT3_T6_EES8_S8_S8_NS6_IT4_S8_EES8_T5_,comdat
	.protected	_ZN2at6native20bitonicSortKVInPlaceILin1ELin1ELi16ELi16EalNS0_4GTOpIaLb1EEEmEEvNS_4cuda6detail10TensorInfoIT3_T6_EES8_S8_S8_NS6_IT4_S8_EES8_T5_ ; -- Begin function _ZN2at6native20bitonicSortKVInPlaceILin1ELin1ELi16ELi16EalNS0_4GTOpIaLb1EEEmEEvNS_4cuda6detail10TensorInfoIT3_T6_EES8_S8_S8_NS6_IT4_S8_EES8_T5_
	.globl	_ZN2at6native20bitonicSortKVInPlaceILin1ELin1ELi16ELi16EalNS0_4GTOpIaLb1EEEmEEvNS_4cuda6detail10TensorInfoIT3_T6_EES8_S8_S8_NS6_IT4_S8_EES8_T5_
	.p2align	8
	.type	_ZN2at6native20bitonicSortKVInPlaceILin1ELin1ELi16ELi16EalNS0_4GTOpIaLb1EEEmEEvNS_4cuda6detail10TensorInfoIT3_T6_EES8_S8_S8_NS6_IT4_S8_EES8_T5_,@function
_ZN2at6native20bitonicSortKVInPlaceILin1ELin1ELi16ELi16EalNS0_4GTOpIaLb1EEEmEEvNS_4cuda6detail10TensorInfoIT3_T6_EES8_S8_S8_NS6_IT4_S8_EES8_T5_: ; @_ZN2at6native20bitonicSortKVInPlaceILin1ELin1ELi16ELi16EalNS0_4GTOpIaLb1EEEmEEvNS_4cuda6detail10TensorInfoIT3_T6_EES8_S8_S8_NS6_IT4_S8_EES8_T5_
; %bb.0:
	v_mov_b32_e32 v1, 0
	s_lshr_b32 s8, ttmp7, 16
	s_and_b32 s9, ttmp7, 0xffff
	global_load_u16 v1, v1, s[0:1] offset:886
	s_clause 0x1
	s_load_b64 s[2:3], s[0:1], 0x368
	s_load_b128 s[4:7], s[0:1], 0x1a0
	s_wait_kmcnt 0x0
	s_mul_i32 s3, s3, s8
	s_delay_alu instid0(SALU_CYCLE_1) | instskip(NEXT) | instid1(SALU_CYCLE_1)
	s_add_co_i32 s3, s3, s9
	s_mul_i32 s2, s3, s2
	s_delay_alu instid0(SALU_CYCLE_1) | instskip(SKIP_2) | instid1(VALU_DEP_1)
	s_add_co_i32 s2, s2, ttmp9
	s_wait_loadcnt 0x0
	v_and_b32_e32 v1, 0xffff, v1
	v_mul_hi_u32 v2, v1, s2
	v_mul_lo_u32 v1, v1, s2
	s_delay_alu instid0(VALU_DEP_1)
	v_cmp_le_u64_e32 vcc_lo, s[4:5], v[1:2]
	s_cbranch_vccnz .LBB15_56
; %bb.1:
	s_clause 0x1
	s_load_b32 s10, s[0:1], 0x198
	s_load_b64 s[8:9], s[0:1], 0x1b0
	v_bfe_u32 v16, v0, 10, 10
	s_delay_alu instid0(VALU_DEP_1) | instskip(NEXT) | instid1(VALU_DEP_1)
	v_add_co_u32 v4, vcc_lo, v1, v16
	v_add_co_ci_u32_e64 v5, null, 0, v2, vcc_lo
	v_mov_b32_e32 v2, 0
	v_mov_b32_e32 v3, 0
	s_delay_alu instid0(VALU_DEP_3)
	v_dual_mov_b32 v7, v5 :: v_dual_mov_b32 v6, v4
	s_wait_kmcnt 0x0
	s_cmp_lt_i32 s10, 2
	s_cbranch_scc1 .LBB15_9
; %bb.2:
	s_add_co_i32 s2, s10, -1
	s_mov_b32 s3, 0
	v_dual_mov_b32 v2, 0 :: v_dual_mov_b32 v11, v5
	s_wait_alu 0xfffe
	s_lshl_b64 s[12:13], s[2:3], 3
	v_dual_mov_b32 v3, 0 :: v_dual_mov_b32 v8, 0
	v_mov_b32_e32 v10, v4
	s_add_nc_u64 s[12:13], s[0:1], s[12:13]
	s_add_co_i32 s14, s10, 1
	s_add_nc_u64 s[10:11], s[12:13], 8
.LBB15_3:                               ; =>This Inner Loop Header: Depth=1
	s_load_b64 s[12:13], s[10:11], 0x0
                                        ; implicit-def: $vgpr6_vgpr7
	s_mov_b32 s2, exec_lo
	s_wait_kmcnt 0x0
	v_or_b32_e32 v9, s13, v11
	s_delay_alu instid0(VALU_DEP_1)
	v_cmpx_ne_u64_e32 0, v[8:9]
	s_wait_alu 0xfffe
	s_xor_b32 s15, exec_lo, s2
	s_cbranch_execz .LBB15_5
; %bb.4:                                ;   in Loop: Header=BB15_3 Depth=1
	s_cvt_f32_u32 s2, s12
	s_cvt_f32_u32 s16, s13
	s_sub_nc_u64 s[18:19], 0, s[12:13]
	s_wait_alu 0xfffe
	s_delay_alu instid0(SALU_CYCLE_1) | instskip(SKIP_1) | instid1(SALU_CYCLE_2)
	s_fmamk_f32 s2, s16, 0x4f800000, s2
	s_wait_alu 0xfffe
	v_s_rcp_f32 s2, s2
	s_delay_alu instid0(TRANS32_DEP_1) | instskip(SKIP_1) | instid1(SALU_CYCLE_2)
	s_mul_f32 s2, s2, 0x5f7ffffc
	s_wait_alu 0xfffe
	s_mul_f32 s16, s2, 0x2f800000
	s_wait_alu 0xfffe
	s_delay_alu instid0(SALU_CYCLE_2) | instskip(SKIP_1) | instid1(SALU_CYCLE_2)
	s_trunc_f32 s16, s16
	s_wait_alu 0xfffe
	s_fmamk_f32 s2, s16, 0xcf800000, s2
	s_cvt_u32_f32 s17, s16
	s_wait_alu 0xfffe
	s_delay_alu instid0(SALU_CYCLE_1) | instskip(SKIP_1) | instid1(SALU_CYCLE_2)
	s_cvt_u32_f32 s16, s2
	s_wait_alu 0xfffe
	s_mul_u64 s[20:21], s[18:19], s[16:17]
	s_delay_alu instid0(SALU_CYCLE_1)
	s_mul_hi_u32 s23, s16, s21
	s_mul_i32 s22, s16, s21
	s_mul_hi_u32 s2, s16, s20
	s_mul_i32 s25, s17, s20
	s_wait_alu 0xfffe
	s_add_nc_u64 s[22:23], s[2:3], s[22:23]
	s_mul_hi_u32 s24, s17, s20
	s_mul_hi_u32 s26, s17, s21
	s_add_co_u32 s2, s22, s25
	s_add_co_ci_u32 s2, s23, s24
	s_mul_i32 s20, s17, s21
	s_add_co_ci_u32 s21, s26, 0
	s_wait_alu 0xfffe
	s_add_nc_u64 s[20:21], s[2:3], s[20:21]
	s_delay_alu instid0(SALU_CYCLE_1)
	s_add_co_u32 s16, s16, s20
	s_cselect_b32 s2, -1, 0
	s_wait_alu 0xfffe
	s_cmp_lg_u32 s2, 0
	s_add_co_ci_u32 s17, s17, s21
	s_wait_alu 0xfffe
	s_mul_u64 s[18:19], s[18:19], s[16:17]
	s_delay_alu instid0(SALU_CYCLE_1)
	s_mul_hi_u32 s21, s16, s19
	s_mul_i32 s20, s16, s19
	s_mul_hi_u32 s2, s16, s18
	s_mul_i32 s23, s17, s18
	s_wait_alu 0xfffe
	s_add_nc_u64 s[20:21], s[2:3], s[20:21]
	s_mul_hi_u32 s22, s17, s18
	s_mul_hi_u32 s24, s17, s19
	s_add_co_u32 s2, s20, s23
	s_add_co_ci_u32 s2, s21, s22
	s_mul_i32 s18, s17, s19
	s_add_co_ci_u32 s19, s24, 0
	s_wait_alu 0xfffe
	s_add_nc_u64 s[18:19], s[2:3], s[18:19]
	s_delay_alu instid0(SALU_CYCLE_1)
	s_add_co_u32 s2, s16, s18
	s_cselect_b32 s16, -1, 0
	s_wait_alu 0xfffe
	v_mul_hi_u32 v1, v10, s2
	s_cmp_lg_u32 s16, 0
	v_mad_co_u64_u32 v[12:13], null, v11, s2, 0
	s_add_co_ci_u32 s16, s17, s19
	s_wait_alu 0xfffe
	v_mad_co_u64_u32 v[6:7], null, v10, s16, 0
	v_mad_co_u64_u32 v[14:15], null, v11, s16, 0
	s_delay_alu instid0(VALU_DEP_2) | instskip(SKIP_1) | instid1(VALU_DEP_3)
	v_add_co_u32 v1, vcc_lo, v1, v6
	s_wait_alu 0xfffd
	v_add_co_ci_u32_e64 v6, null, 0, v7, vcc_lo
	s_delay_alu instid0(VALU_DEP_2) | instskip(SKIP_1) | instid1(VALU_DEP_2)
	v_add_co_u32 v1, vcc_lo, v1, v12
	s_wait_alu 0xfffd
	v_add_co_ci_u32_e32 v1, vcc_lo, v6, v13, vcc_lo
	s_wait_alu 0xfffd
	v_add_co_ci_u32_e32 v6, vcc_lo, 0, v15, vcc_lo
	s_delay_alu instid0(VALU_DEP_2) | instskip(SKIP_1) | instid1(VALU_DEP_2)
	v_add_co_u32 v1, vcc_lo, v1, v14
	s_wait_alu 0xfffd
	v_add_co_ci_u32_e64 v9, null, 0, v6, vcc_lo
	s_delay_alu instid0(VALU_DEP_2) | instskip(SKIP_1) | instid1(VALU_DEP_3)
	v_mul_lo_u32 v12, s13, v1
	v_mad_co_u64_u32 v[6:7], null, s12, v1, 0
	v_mul_lo_u32 v13, s12, v9
	s_delay_alu instid0(VALU_DEP_2) | instskip(NEXT) | instid1(VALU_DEP_2)
	v_sub_co_u32 v6, vcc_lo, v10, v6
	v_add3_u32 v7, v7, v13, v12
	v_add_co_u32 v13, s2, v1, 2
	s_wait_alu 0xf1ff
	v_add_co_ci_u32_e64 v14, null, 0, v9, s2
	s_delay_alu instid0(VALU_DEP_3) | instskip(SKIP_3) | instid1(VALU_DEP_3)
	v_sub_nc_u32_e32 v12, v11, v7
	v_sub_co_u32 v15, s2, v6, s12
	s_wait_alu 0xfffd
	v_sub_co_ci_u32_e64 v7, null, v11, v7, vcc_lo
	v_subrev_co_ci_u32_e64 v12, null, s13, v12, vcc_lo
	s_delay_alu instid0(VALU_DEP_3) | instskip(SKIP_1) | instid1(VALU_DEP_2)
	v_cmp_le_u32_e32 vcc_lo, s12, v15
	s_wait_alu 0xf1ff
	v_subrev_co_ci_u32_e64 v12, null, 0, v12, s2
	s_wait_alu 0xfffd
	v_cndmask_b32_e64 v15, 0, -1, vcc_lo
	v_cmp_eq_u32_e64 s2, s13, v7
	s_delay_alu instid0(VALU_DEP_3)
	v_cmp_le_u32_e32 vcc_lo, s13, v12
	s_wait_alu 0xfffd
	v_cndmask_b32_e64 v17, 0, -1, vcc_lo
	v_cmp_le_u32_e32 vcc_lo, s12, v6
	s_wait_alu 0xfffd
	v_cndmask_b32_e64 v6, 0, -1, vcc_lo
	;; [unrolled: 3-line block ×3, first 2 shown]
	v_cmp_eq_u32_e32 vcc_lo, s13, v12
	s_wait_alu 0xf1ff
	s_delay_alu instid0(VALU_DEP_2)
	v_cndmask_b32_e64 v6, v18, v6, s2
	s_wait_alu 0xfffd
	v_cndmask_b32_e32 v12, v17, v15, vcc_lo
	v_add_co_u32 v15, vcc_lo, v1, 1
	s_wait_alu 0xfffd
	v_add_co_ci_u32_e64 v17, null, 0, v9, vcc_lo
	s_delay_alu instid0(VALU_DEP_3) | instskip(SKIP_1) | instid1(VALU_DEP_2)
	v_cmp_ne_u32_e32 vcc_lo, 0, v12
	s_wait_alu 0xfffd
	v_dual_cndmask_b32 v7, v17, v14 :: v_dual_cndmask_b32 v12, v15, v13
	v_cmp_ne_u32_e32 vcc_lo, 0, v6
	s_wait_alu 0xfffd
	s_delay_alu instid0(VALU_DEP_2) | instskip(NEXT) | instid1(VALU_DEP_3)
	v_cndmask_b32_e32 v7, v9, v7, vcc_lo
	v_cndmask_b32_e32 v6, v1, v12, vcc_lo
.LBB15_5:                               ;   in Loop: Header=BB15_3 Depth=1
	s_wait_alu 0xfffe
	s_and_not1_saveexec_b32 s2, s15
	s_cbranch_execz .LBB15_7
; %bb.6:                                ;   in Loop: Header=BB15_3 Depth=1
	v_cvt_f32_u32_e32 v1, s12
	s_sub_co_i32 s15, 0, s12
	s_delay_alu instid0(VALU_DEP_1) | instskip(NEXT) | instid1(TRANS32_DEP_1)
	v_rcp_iflag_f32_e32 v1, v1
	v_mul_f32_e32 v1, 0x4f7ffffe, v1
	s_delay_alu instid0(VALU_DEP_1) | instskip(SKIP_1) | instid1(VALU_DEP_1)
	v_cvt_u32_f32_e32 v1, v1
	s_wait_alu 0xfffe
	v_mul_lo_u32 v6, s15, v1
	s_delay_alu instid0(VALU_DEP_1) | instskip(NEXT) | instid1(VALU_DEP_1)
	v_mul_hi_u32 v6, v1, v6
	v_add_nc_u32_e32 v1, v1, v6
	s_delay_alu instid0(VALU_DEP_1) | instskip(NEXT) | instid1(VALU_DEP_1)
	v_mul_hi_u32 v1, v10, v1
	v_mul_lo_u32 v6, v1, s12
	v_add_nc_u32_e32 v7, 1, v1
	s_delay_alu instid0(VALU_DEP_2) | instskip(NEXT) | instid1(VALU_DEP_1)
	v_sub_nc_u32_e32 v6, v10, v6
	v_subrev_nc_u32_e32 v9, s12, v6
	v_cmp_le_u32_e32 vcc_lo, s12, v6
	s_wait_alu 0xfffd
	s_delay_alu instid0(VALU_DEP_2) | instskip(NEXT) | instid1(VALU_DEP_1)
	v_dual_cndmask_b32 v6, v6, v9 :: v_dual_cndmask_b32 v1, v1, v7
	v_cmp_le_u32_e32 vcc_lo, s12, v6
	s_delay_alu instid0(VALU_DEP_2) | instskip(SKIP_1) | instid1(VALU_DEP_1)
	v_add_nc_u32_e32 v7, 1, v1
	s_wait_alu 0xfffd
	v_dual_cndmask_b32 v6, v1, v7 :: v_dual_mov_b32 v7, v8
.LBB15_7:                               ;   in Loop: Header=BB15_3 Depth=1
	s_wait_alu 0xfffe
	s_or_b32 exec_lo, exec_lo, s2
	s_load_b64 s[16:17], s[10:11], 0xc8
	s_delay_alu instid0(VALU_DEP_1)
	v_mul_lo_u32 v1, v7, s12
	v_mul_lo_u32 v9, v6, s13
	v_mad_co_u64_u32 v[12:13], null, v6, s12, 0
	s_add_co_i32 s14, s14, -1
	s_add_nc_u64 s[10:11], s[10:11], -8
	s_wait_alu 0xfffe
	s_cmp_gt_u32 s14, 2
	v_add3_u32 v1, v13, v9, v1
	v_sub_co_u32 v9, vcc_lo, v10, v12
	s_wait_alu 0xfffd
	s_delay_alu instid0(VALU_DEP_2) | instskip(SKIP_1) | instid1(VALU_DEP_2)
	v_sub_co_ci_u32_e64 v1, null, v11, v1, vcc_lo
	s_wait_kmcnt 0x0
	v_mul_lo_u32 v10, s17, v9
	s_delay_alu instid0(VALU_DEP_2) | instskip(SKIP_1) | instid1(VALU_DEP_1)
	v_mul_lo_u32 v1, s16, v1
	v_mad_co_u64_u32 v[2:3], null, s16, v9, v[2:3]
	v_add3_u32 v3, v10, v3, v1
	s_cbranch_scc0 .LBB15_9
; %bb.8:                                ;   in Loop: Header=BB15_3 Depth=1
	v_dual_mov_b32 v11, v7 :: v_dual_mov_b32 v10, v6
	s_branch .LBB15_3
.LBB15_9:
	s_clause 0x1
	s_load_b32 s10, s[0:1], 0x350
	s_load_b64 s[12:13], s[0:1], 0xd0
	v_dual_mov_b32 v8, 0 :: v_dual_mov_b32 v15, v5
	v_dual_mov_b32 v9, 0 :: v_dual_mov_b32 v14, v4
	s_add_nc_u64 s[14:15], s[0:1], 0x368
	s_wait_kmcnt 0x0
	s_cmp_lt_i32 s10, 2
	s_cbranch_scc1 .LBB15_17
; %bb.10:
	s_add_co_i32 s2, s10, -1
	s_mov_b32 s3, 0
	v_dual_mov_b32 v8, 0 :: v_dual_mov_b32 v13, v5
	s_wait_alu 0xfffe
	s_lshl_b64 s[16:17], s[2:3], 3
	v_dual_mov_b32 v9, 0 :: v_dual_mov_b32 v10, 0
	v_mov_b32_e32 v12, v4
	s_wait_alu 0xfffe
	s_add_nc_u64 s[16:17], s[0:1], s[16:17]
	s_add_co_i32 s18, s10, 1
	s_wait_alu 0xfffe
	s_add_nc_u64 s[10:11], s[16:17], 0x1c0
.LBB15_11:                              ; =>This Inner Loop Header: Depth=1
	s_load_b64 s[16:17], s[10:11], 0x0
                                        ; implicit-def: $vgpr14_vgpr15
	s_mov_b32 s2, exec_lo
	s_wait_kmcnt 0x0
	v_or_b32_e32 v11, s17, v13
	s_delay_alu instid0(VALU_DEP_1)
	v_cmpx_ne_u64_e32 0, v[10:11]
	s_wait_alu 0xfffe
	s_xor_b32 s19, exec_lo, s2
	s_cbranch_execz .LBB15_13
; %bb.12:                               ;   in Loop: Header=BB15_11 Depth=1
	s_cvt_f32_u32 s2, s16
	s_cvt_f32_u32 s20, s17
	s_sub_nc_u64 s[22:23], 0, s[16:17]
	s_wait_alu 0xfffe
	s_delay_alu instid0(SALU_CYCLE_1) | instskip(SKIP_1) | instid1(SALU_CYCLE_2)
	s_fmamk_f32 s2, s20, 0x4f800000, s2
	s_wait_alu 0xfffe
	v_s_rcp_f32 s2, s2
	s_delay_alu instid0(TRANS32_DEP_1) | instskip(SKIP_1) | instid1(SALU_CYCLE_2)
	s_mul_f32 s2, s2, 0x5f7ffffc
	s_wait_alu 0xfffe
	s_mul_f32 s20, s2, 0x2f800000
	s_wait_alu 0xfffe
	s_delay_alu instid0(SALU_CYCLE_2) | instskip(SKIP_1) | instid1(SALU_CYCLE_2)
	s_trunc_f32 s20, s20
	s_wait_alu 0xfffe
	s_fmamk_f32 s2, s20, 0xcf800000, s2
	s_cvt_u32_f32 s21, s20
	s_wait_alu 0xfffe
	s_delay_alu instid0(SALU_CYCLE_1) | instskip(SKIP_1) | instid1(SALU_CYCLE_2)
	s_cvt_u32_f32 s20, s2
	s_wait_alu 0xfffe
	s_mul_u64 s[24:25], s[22:23], s[20:21]
	s_delay_alu instid0(SALU_CYCLE_1)
	s_mul_hi_u32 s27, s20, s25
	s_mul_i32 s26, s20, s25
	s_mul_hi_u32 s2, s20, s24
	s_mul_i32 s29, s21, s24
	s_wait_alu 0xfffe
	s_add_nc_u64 s[26:27], s[2:3], s[26:27]
	s_mul_hi_u32 s28, s21, s24
	s_mul_hi_u32 s30, s21, s25
	s_add_co_u32 s2, s26, s29
	s_add_co_ci_u32 s2, s27, s28
	s_mul_i32 s24, s21, s25
	s_add_co_ci_u32 s25, s30, 0
	s_wait_alu 0xfffe
	s_add_nc_u64 s[24:25], s[2:3], s[24:25]
	s_delay_alu instid0(SALU_CYCLE_1)
	s_add_co_u32 s20, s20, s24
	s_cselect_b32 s2, -1, 0
	s_wait_alu 0xfffe
	s_cmp_lg_u32 s2, 0
	s_add_co_ci_u32 s21, s21, s25
	s_wait_alu 0xfffe
	s_mul_u64 s[22:23], s[22:23], s[20:21]
	s_delay_alu instid0(SALU_CYCLE_1)
	s_mul_hi_u32 s25, s20, s23
	s_mul_i32 s24, s20, s23
	s_mul_hi_u32 s2, s20, s22
	s_mul_i32 s27, s21, s22
	s_wait_alu 0xfffe
	s_add_nc_u64 s[24:25], s[2:3], s[24:25]
	s_mul_hi_u32 s26, s21, s22
	s_mul_hi_u32 s28, s21, s23
	s_add_co_u32 s2, s24, s27
	s_add_co_ci_u32 s2, s25, s26
	s_mul_i32 s22, s21, s23
	s_add_co_ci_u32 s23, s28, 0
	s_wait_alu 0xfffe
	s_add_nc_u64 s[22:23], s[2:3], s[22:23]
	s_delay_alu instid0(SALU_CYCLE_1)
	s_add_co_u32 s2, s20, s22
	s_cselect_b32 s20, -1, 0
	s_wait_alu 0xfffe
	v_mul_hi_u32 v1, v12, s2
	s_cmp_lg_u32 s20, 0
	v_mad_co_u64_u32 v[17:18], null, v13, s2, 0
	s_add_co_ci_u32 s20, s21, s23
	s_wait_alu 0xfffe
	v_mad_co_u64_u32 v[14:15], null, v12, s20, 0
	v_mad_co_u64_u32 v[19:20], null, v13, s20, 0
	s_delay_alu instid0(VALU_DEP_2) | instskip(SKIP_1) | instid1(VALU_DEP_3)
	v_add_co_u32 v1, vcc_lo, v1, v14
	s_wait_alu 0xfffd
	v_add_co_ci_u32_e64 v11, null, 0, v15, vcc_lo
	s_delay_alu instid0(VALU_DEP_2) | instskip(SKIP_1) | instid1(VALU_DEP_2)
	v_add_co_u32 v1, vcc_lo, v1, v17
	s_wait_alu 0xfffd
	v_add_co_ci_u32_e32 v1, vcc_lo, v11, v18, vcc_lo
	s_wait_alu 0xfffd
	v_add_co_ci_u32_e32 v11, vcc_lo, 0, v20, vcc_lo
	s_delay_alu instid0(VALU_DEP_2) | instskip(SKIP_1) | instid1(VALU_DEP_2)
	v_add_co_u32 v1, vcc_lo, v1, v19
	s_wait_alu 0xfffd
	v_add_co_ci_u32_e64 v11, null, 0, v11, vcc_lo
	s_delay_alu instid0(VALU_DEP_2) | instskip(SKIP_1) | instid1(VALU_DEP_3)
	v_mul_lo_u32 v17, s17, v1
	v_mad_co_u64_u32 v[14:15], null, s16, v1, 0
	v_mul_lo_u32 v18, s16, v11
	s_delay_alu instid0(VALU_DEP_2) | instskip(NEXT) | instid1(VALU_DEP_2)
	v_sub_co_u32 v14, vcc_lo, v12, v14
	v_add3_u32 v15, v15, v18, v17
	v_add_co_u32 v18, s2, v1, 2
	s_wait_alu 0xf1ff
	v_add_co_ci_u32_e64 v19, null, 0, v11, s2
	s_delay_alu instid0(VALU_DEP_3) | instskip(SKIP_3) | instid1(VALU_DEP_3)
	v_sub_nc_u32_e32 v17, v13, v15
	v_sub_co_u32 v20, s2, v14, s16
	s_wait_alu 0xfffd
	v_sub_co_ci_u32_e64 v15, null, v13, v15, vcc_lo
	v_subrev_co_ci_u32_e64 v17, null, s17, v17, vcc_lo
	s_delay_alu instid0(VALU_DEP_3) | instskip(SKIP_1) | instid1(VALU_DEP_2)
	v_cmp_le_u32_e32 vcc_lo, s16, v20
	s_wait_alu 0xf1ff
	v_subrev_co_ci_u32_e64 v17, null, 0, v17, s2
	s_wait_alu 0xfffd
	v_cndmask_b32_e64 v20, 0, -1, vcc_lo
	v_cmp_eq_u32_e64 s2, s17, v15
	s_delay_alu instid0(VALU_DEP_3)
	v_cmp_le_u32_e32 vcc_lo, s17, v17
	s_wait_alu 0xfffd
	v_cndmask_b32_e64 v21, 0, -1, vcc_lo
	v_cmp_le_u32_e32 vcc_lo, s16, v14
	s_wait_alu 0xfffd
	v_cndmask_b32_e64 v14, 0, -1, vcc_lo
	;; [unrolled: 3-line block ×3, first 2 shown]
	v_cmp_eq_u32_e32 vcc_lo, s17, v17
	s_wait_alu 0xf1ff
	s_delay_alu instid0(VALU_DEP_2)
	v_cndmask_b32_e64 v14, v22, v14, s2
	s_wait_alu 0xfffd
	v_cndmask_b32_e32 v17, v21, v20, vcc_lo
	v_add_co_u32 v20, vcc_lo, v1, 1
	s_wait_alu 0xfffd
	v_add_co_ci_u32_e64 v21, null, 0, v11, vcc_lo
	s_delay_alu instid0(VALU_DEP_3) | instskip(SKIP_1) | instid1(VALU_DEP_2)
	v_cmp_ne_u32_e32 vcc_lo, 0, v17
	s_wait_alu 0xfffd
	v_cndmask_b32_e32 v15, v21, v19, vcc_lo
	v_cndmask_b32_e32 v17, v20, v18, vcc_lo
	v_cmp_ne_u32_e32 vcc_lo, 0, v14
	s_wait_alu 0xfffd
	s_delay_alu instid0(VALU_DEP_2)
	v_dual_cndmask_b32 v15, v11, v15 :: v_dual_cndmask_b32 v14, v1, v17
.LBB15_13:                              ;   in Loop: Header=BB15_11 Depth=1
	s_wait_alu 0xfffe
	s_and_not1_saveexec_b32 s2, s19
	s_cbranch_execz .LBB15_15
; %bb.14:                               ;   in Loop: Header=BB15_11 Depth=1
	v_cvt_f32_u32_e32 v1, s16
	s_sub_co_i32 s19, 0, s16
	s_delay_alu instid0(VALU_DEP_1) | instskip(NEXT) | instid1(TRANS32_DEP_1)
	v_rcp_iflag_f32_e32 v1, v1
	v_mul_f32_e32 v1, 0x4f7ffffe, v1
	s_delay_alu instid0(VALU_DEP_1) | instskip(SKIP_1) | instid1(VALU_DEP_1)
	v_cvt_u32_f32_e32 v1, v1
	s_wait_alu 0xfffe
	v_mul_lo_u32 v11, s19, v1
	s_delay_alu instid0(VALU_DEP_1) | instskip(NEXT) | instid1(VALU_DEP_1)
	v_mul_hi_u32 v11, v1, v11
	v_add_nc_u32_e32 v1, v1, v11
	s_delay_alu instid0(VALU_DEP_1) | instskip(NEXT) | instid1(VALU_DEP_1)
	v_mul_hi_u32 v1, v12, v1
	v_mul_lo_u32 v11, v1, s16
	s_delay_alu instid0(VALU_DEP_1) | instskip(NEXT) | instid1(VALU_DEP_1)
	v_sub_nc_u32_e32 v11, v12, v11
	v_subrev_nc_u32_e32 v15, s16, v11
	v_cmp_le_u32_e32 vcc_lo, s16, v11
	s_wait_alu 0xfffd
	s_delay_alu instid0(VALU_DEP_2) | instskip(NEXT) | instid1(VALU_DEP_1)
	v_dual_cndmask_b32 v11, v11, v15 :: v_dual_add_nc_u32 v14, 1, v1
	v_cndmask_b32_e32 v1, v1, v14, vcc_lo
	v_mov_b32_e32 v15, v10
	s_delay_alu instid0(VALU_DEP_3) | instskip(NEXT) | instid1(VALU_DEP_3)
	v_cmp_le_u32_e32 vcc_lo, s16, v11
	v_add_nc_u32_e32 v14, 1, v1
	s_wait_alu 0xfffd
	s_delay_alu instid0(VALU_DEP_1)
	v_cndmask_b32_e32 v14, v1, v14, vcc_lo
.LBB15_15:                              ;   in Loop: Header=BB15_11 Depth=1
	s_wait_alu 0xfffe
	s_or_b32 exec_lo, exec_lo, s2
	s_load_b64 s[20:21], s[10:11], 0xc8
	v_mul_lo_u32 v1, v15, s16
	v_mul_lo_u32 v11, v14, s17
	v_mad_co_u64_u32 v[17:18], null, v14, s16, 0
	s_add_co_i32 s18, s18, -1
	s_add_nc_u64 s[10:11], s[10:11], -8
	s_wait_alu 0xfffe
	s_cmp_gt_u32 s18, 2
	v_add3_u32 v1, v18, v11, v1
	v_sub_co_u32 v11, vcc_lo, v12, v17
	s_wait_alu 0xfffd
	s_delay_alu instid0(VALU_DEP_2) | instskip(SKIP_1) | instid1(VALU_DEP_2)
	v_sub_co_ci_u32_e64 v1, null, v13, v1, vcc_lo
	s_wait_kmcnt 0x0
	v_mul_lo_u32 v12, s21, v11
	s_delay_alu instid0(VALU_DEP_2) | instskip(SKIP_1) | instid1(VALU_DEP_1)
	v_mul_lo_u32 v1, s20, v1
	v_mad_co_u64_u32 v[8:9], null, s20, v11, v[8:9]
	v_add3_u32 v9, v12, v9, v1
	s_cbranch_scc0 .LBB15_17
; %bb.16:                               ;   in Loop: Header=BB15_11 Depth=1
	v_dual_mov_b32 v12, v14 :: v_dual_mov_b32 v13, v15
	s_branch .LBB15_11
.LBB15_17:
	s_clause 0x2
	s_load_b64 s[2:3], s[0:1], 0x288
	s_load_b64 s[16:17], s[0:1], 0x0
	;; [unrolled: 1-line block ×3, first 2 shown]
	v_mov_b32_e32 v1, 0
	s_load_b64 s[10:11], s[0:1], 0x358
	v_mul_lo_u32 v17, s12, v7
	v_mul_lo_u32 v18, s13, v6
	v_cmp_gt_u64_e32 vcc_lo, s[4:5], v[4:5]
	v_dual_mov_b32 v5, v1 :: v_dual_and_b32 v4, 0x3ff, v0
	s_wait_kmcnt 0x0
	v_mul_lo_u32 v12, s3, v14
	v_mul_lo_u32 v13, s2, v15
	v_mad_co_u64_u32 v[10:11], null, s2, v14, 0
	s_load_b32 s2, s[14:15], 0xc
	v_lshlrev_b64_e32 v[14:15], 3, v[8:9]
	v_mov_b32_e32 v8, 0
	v_mov_b32_e32 v9, 0
	v_add3_u32 v11, v11, v13, v12
	v_mad_co_u64_u32 v[12:13], null, s12, v6, s[16:17]
	v_mov_b32_e32 v6, 0
	v_cmp_gt_u64_e64 s0, s[6:7], v[4:5]
	s_delay_alu instid0(VALU_DEP_4) | instskip(SKIP_3) | instid1(VALU_DEP_3)
	v_lshlrev_b64_e32 v[10:11], 3, v[10:11]
	v_mov_b32_e32 v7, 0
	v_add3_u32 v0, v18, v13, v17
	s_and_b32 s4, vcc_lo, s0
	v_add_co_u32 v5, s1, s18, v10
	s_delay_alu instid0(VALU_DEP_1)
	v_add_co_ci_u32_e64 v10, null, s19, v11, s1
	v_add_co_u32 v2, s1, v12, v2
	s_wait_alu 0xf1ff
	v_add_co_ci_u32_e64 v3, null, v0, v3, s1
	v_add_co_u32 v5, s1, v5, v14
	s_wait_alu 0xf1ff
	v_add_co_ci_u32_e64 v10, null, v10, v15, s1
	v_mov_b32_e32 v14, 0
	s_wait_alu 0xfffe
	s_and_saveexec_b32 s3, s4
	s_cbranch_execz .LBB15_19
; %bb.18:
	v_mad_co_u64_u32 v[8:9], null, s10, v4, 0
	v_mad_co_u64_u32 v[11:12], null, s8, v4, v[2:3]
	s_delay_alu instid0(VALU_DEP_2) | instskip(NEXT) | instid1(VALU_DEP_1)
	v_mov_b32_e32 v0, v9
	v_mad_co_u64_u32 v[13:14], null, s11, v4, v[0:1]
	s_delay_alu instid0(VALU_DEP_1) | instskip(NEXT) | instid1(VALU_DEP_1)
	v_dual_mov_b32 v0, v12 :: v_dual_mov_b32 v9, v13
	v_mad_co_u64_u32 v[12:13], null, s9, v4, v[0:1]
	s_delay_alu instid0(VALU_DEP_2) | instskip(NEXT) | instid1(VALU_DEP_1)
	v_lshlrev_b64_e32 v[8:9], 3, v[8:9]
	v_add_co_u32 v8, s1, v5, v8
	s_wait_alu 0xf1ff
	s_delay_alu instid0(VALU_DEP_2)
	v_add_co_ci_u32_e64 v9, null, v10, v9, s1
	global_load_u8 v14, v[11:12], off
	global_load_b64 v[8:9], v[8:9], off
.LBB15_19:
	s_wait_alu 0xfffe
	s_or_b32 exec_lo, exec_lo, s3
	v_lshlrev_b32_e32 v11, 5, v16
	s_wait_kmcnt 0x0
	s_and_b32 s3, 0xffff, s2
	v_lshlrev_b32_e32 v13, 8, v16
	s_wait_alu 0xfffe
	v_add_nc_u32_e32 v0, s3, v4
	v_cndmask_b32_e64 v17, 0, 1, s4
	v_add_nc_u32_e32 v15, 0x1000, v11
	v_add_nc_u32_e32 v16, 0x1200, v11
	v_lshl_add_u32 v11, v4, 3, v13
	v_cmp_gt_u64_e64 s1, s[6:7], v[0:1]
	s_delay_alu instid0(VALU_DEP_4) | instskip(NEXT) | instid1(VALU_DEP_4)
	v_add_nc_u32_e32 v12, v15, v4
	v_add_nc_u32_e32 v18, v16, v4
	s_wait_loadcnt 0x1
	ds_store_b8 v12, v14
	s_wait_loadcnt 0x0
	ds_store_b64 v11, v[8:9]
	ds_store_b8 v18, v17
	s_and_b32 s4, vcc_lo, s1
	s_wait_alu 0xfffe
	s_and_saveexec_b32 s5, s4
	s_cbranch_execz .LBB15_21
; %bb.20:
	v_mad_co_u64_u32 v[6:7], null, s10, v0, 0
	v_mad_co_u64_u32 v[8:9], null, s8, v0, v[2:3]
	s_delay_alu instid0(VALU_DEP_2) | instskip(NEXT) | instid1(VALU_DEP_1)
	v_mov_b32_e32 v1, v7
	v_mad_co_u64_u32 v[17:18], null, s11, v0, v[1:2]
	s_delay_alu instid0(VALU_DEP_3) | instskip(NEXT) | instid1(VALU_DEP_2)
	v_mov_b32_e32 v1, v9
	v_mov_b32_e32 v7, v17
	s_delay_alu instid0(VALU_DEP_2) | instskip(NEXT) | instid1(VALU_DEP_2)
	v_mad_co_u64_u32 v[17:18], null, s9, v0, v[1:2]
	v_lshlrev_b64_e32 v[6:7], 3, v[6:7]
	s_delay_alu instid0(VALU_DEP_2) | instskip(NEXT) | instid1(VALU_DEP_2)
	v_mov_b32_e32 v9, v17
	v_add_co_u32 v6, s2, v5, v6
	s_wait_alu 0xf1ff
	s_delay_alu instid0(VALU_DEP_3)
	v_add_co_ci_u32_e64 v7, null, v10, v7, s2
	global_load_u8 v1, v[8:9], off
	global_load_b64 v[6:7], v[6:7], off
.LBB15_21:
	s_wait_alu 0xfffe
	s_or_b32 exec_lo, exec_lo, s5
	v_add_nc_u32_e32 v8, v15, v0
	v_lshlrev_b32_e32 v18, 1, v4
	v_lshl_add_u32 v9, s3, 3, v11
	v_cndmask_b32_e64 v14, 0, 1, s4
	v_add_nc_u32_e32 v17, v16, v0
	s_wait_loadcnt 0x1
	ds_store_b8 v8, v1
	s_wait_loadcnt 0x0
	ds_store_b64 v9, v[6:7]
	ds_store_b8 v17, v14
	v_add_nc_u32_e32 v1, v15, v18
	v_add_nc_u32_e32 v6, v16, v18
	s_wait_dscnt 0x0
	s_barrier_signal -1
	s_barrier_wait -1
	global_inv scope:SCOPE_SE
	ds_load_u16 v14, v1
	ds_load_u16 v17, v6
	v_and_b32_e32 v7, 1, v4
	s_wait_dscnt 0x1
	v_bfe_i32 v20, v14, 0, 8
	v_ashrrev_i16 v21, 8, v14
	s_wait_dscnt 0x0
	v_lshrrev_b16 v14, 8, v17
	v_and_b32_e32 v19, 1, v17
	s_delay_alu instid0(VALU_DEP_3) | instskip(NEXT) | instid1(VALU_DEP_3)
	v_cmp_gt_i16_e64 s2, v20, v21
	v_cmp_ne_u16_e64 s4, v14, v7
	s_delay_alu instid0(VALU_DEP_3) | instskip(SKIP_1) | instid1(VALU_DEP_2)
	v_cmp_eq_u32_e64 s3, 1, v19
	s_wait_alu 0xf1ff
	v_cndmask_b32_e64 v19, 0, 1, s4
	s_and_b32 s2, s2, s3
	s_wait_alu 0xfffe
	s_delay_alu instid0(VALU_DEP_1) | instskip(NEXT) | instid1(VALU_DEP_1)
	v_cndmask_b32_e64 v19, v19, v4, s2
	v_and_b32_e32 v19, 1, v19
	s_delay_alu instid0(VALU_DEP_1)
	v_cmp_eq_u32_e64 s2, 1, v19
	v_lshl_add_u32 v19, v4, 3, v11
	s_and_saveexec_b32 s3, s2
	s_wait_alu 0xfffe
	s_xor_b32 s2, exec_lo, s3
	s_cbranch_execz .LBB15_23
; %bb.22:
	ds_load_b128 v[22:25], v19
	v_lshlrev_b16 v20, 8, v20
	v_and_b32_e32 v21, 0xff, v21
	v_lshlrev_b16 v17, 8, v17
	s_delay_alu instid0(VALU_DEP_2) | instskip(NEXT) | instid1(VALU_DEP_2)
	v_or_b32_e32 v26, v21, v20
	v_or_b32_e32 v14, v14, v17
	s_wait_dscnt 0x0
	v_dual_mov_b32 v20, v24 :: v_dual_mov_b32 v21, v25
	ds_store_b16 v1, v26
	ds_store_b128 v19, v[20:23]
	ds_store_b16 v6, v14
.LBB15_23:
	s_wait_alu 0xfffe
	s_or_b32 exec_lo, exec_lo, s2
	v_sub_nc_u32_e32 v17, v18, v7
	s_wait_loadcnt_dscnt 0x0
	s_barrier_signal -1
	s_barrier_wait -1
	global_inv scope:SCOPE_SE
	v_add_nc_u32_e32 v7, v16, v17
	v_add_nc_u32_e32 v14, v15, v17
	v_bfe_u32 v25, v4, 1, 1
	v_lshl_add_u32 v17, v17, 3, v13
	ds_load_u8 v21, v7
	ds_load_i8 v22, v14
	ds_load_i8 v24, v14 offset:2
	ds_load_u8 v23, v7 offset:2
	s_wait_dscnt 0x3
	v_and_b32_e32 v20, 1, v21
	s_wait_dscnt 0x1
	v_cmp_gt_i16_e64 s2, v22, v24
	s_wait_dscnt 0x0
	v_cmp_ne_u16_e64 s4, v23, v25
	v_cmp_eq_u32_e64 s3, 1, v20
	s_wait_alu 0xf1ff
	s_delay_alu instid0(VALU_DEP_2) | instskip(SKIP_2) | instid1(VALU_DEP_1)
	v_cndmask_b32_e64 v20, 0, 1, s4
	s_and_b32 s2, s2, s3
	s_wait_alu 0xfffe
	v_cndmask_b32_e64 v25, v20, v25, s2
	v_and_b32_e32 v20, 2, v4
	s_delay_alu instid0(VALU_DEP_2) | instskip(NEXT) | instid1(VALU_DEP_2)
	v_and_b32_e32 v25, 1, v25
	v_cmp_ne_u32_e64 s2, 0, v20
	s_delay_alu instid0(VALU_DEP_2)
	v_cmp_eq_u32_e64 s3, 1, v25
	s_and_saveexec_b32 s4, s3
	s_wait_alu 0xfffe
	s_xor_b32 s3, exec_lo, s4
	s_cbranch_execz .LBB15_25
; %bb.24:
	ds_load_2addr_b64 v[25:28], v17 offset1:2
	s_wait_dscnt 0x0
	ds_store_2addr_b64 v17, v[27:28], v[25:26] offset1:2
	ds_store_b8 v14, v24
	ds_store_b8 v14, v22 offset:2
	ds_store_b8 v7, v23
	ds_store_b8 v7, v21 offset:2
.LBB15_25:
	s_wait_alu 0xfffe
	s_or_b32 exec_lo, exec_lo, s3
	s_wait_loadcnt_dscnt 0x0
	s_barrier_signal -1
	s_barrier_wait -1
	global_inv scope:SCOPE_SE
	ds_load_u16 v23, v1
	ds_load_u16 v21, v6
	v_lshrrev_b32_e32 v24, 1, v20
	v_cndmask_b32_e64 v26, 0, 1, s2
	s_wait_dscnt 0x1
	v_bfe_i32 v22, v23, 0, 8
	s_wait_dscnt 0x0
	v_lshrrev_b16 v20, 8, v21
	v_ashrrev_i16 v23, 8, v23
	v_and_b32_e32 v25, 1, v21
	s_delay_alu instid0(VALU_DEP_3) | instskip(NEXT) | instid1(VALU_DEP_3)
	v_cmp_ne_u16_e64 s4, v20, v24
	v_cmp_gt_i16_e64 s2, v22, v23
	s_delay_alu instid0(VALU_DEP_3) | instskip(SKIP_1) | instid1(VALU_DEP_3)
	v_cmp_eq_u32_e64 s3, 1, v25
	s_wait_alu 0xf1ff
	v_cndmask_b32_e64 v24, 0, 1, s4
	s_and_b32 s2, s2, s3
	s_mov_b32 s3, exec_lo
	s_wait_alu 0xfffe
	s_delay_alu instid0(VALU_DEP_1) | instskip(NEXT) | instid1(VALU_DEP_1)
	v_cndmask_b32_e64 v24, v24, v26, s2
	v_and_b32_e32 v24, 1, v24
	s_delay_alu instid0(VALU_DEP_1)
	v_cmpx_eq_u32_e32 1, v24
	s_cbranch_execz .LBB15_27
; %bb.26:
	ds_load_b128 v[24:27], v19
	v_lshlrev_b16 v22, 8, v22
	v_and_b32_e32 v23, 0xff, v23
	v_lshlrev_b16 v28, 8, v21
	s_delay_alu instid0(VALU_DEP_2) | instskip(NEXT) | instid1(VALU_DEP_2)
	v_or_b32_e32 v29, v23, v22
	v_or_b32_e32 v20, v20, v28
	s_wait_dscnt 0x0
	v_dual_mov_b32 v21, v26 :: v_dual_mov_b32 v22, v27
	v_dual_mov_b32 v23, v24 :: v_dual_mov_b32 v24, v25
	ds_store_b16 v1, v29
	ds_store_b128 v19, v[21:24]
	ds_store_b16 v6, v20
.LBB15_27:
	s_or_b32 exec_lo, exec_lo, s3
	v_and_b32_e32 v19, 3, v4
	s_wait_loadcnt_dscnt 0x0
	s_barrier_signal -1
	s_barrier_wait -1
	global_inv scope:SCOPE_SE
	v_sub_nc_u32_e32 v22, v18, v19
	v_bfe_u32 v27, v4, 2, 1
	s_delay_alu instid0(VALU_DEP_2)
	v_add_nc_u32_e32 v19, v16, v22
	v_add_nc_u32_e32 v20, v15, v22
	v_lshl_add_u32 v22, v22, 3, v13
	ds_load_u8 v23, v19
	ds_load_i8 v24, v20
	ds_load_i8 v26, v20 offset:4
	ds_load_u8 v25, v19 offset:4
	s_wait_dscnt 0x3
	v_and_b32_e32 v21, 1, v23
	s_wait_dscnt 0x1
	v_cmp_gt_i16_e64 s2, v24, v26
	s_wait_dscnt 0x0
	v_cmp_ne_u16_e64 s4, v25, v27
	v_cmp_eq_u32_e64 s3, 1, v21
	s_wait_alu 0xf1ff
	s_delay_alu instid0(VALU_DEP_2) | instskip(SKIP_3) | instid1(VALU_DEP_1)
	v_cndmask_b32_e64 v21, 0, 1, s4
	s_mov_b32 s4, exec_lo
	s_and_b32 s2, s2, s3
	s_wait_alu 0xfffe
	v_cndmask_b32_e64 v27, v21, v27, s2
	v_and_b32_e32 v21, 4, v4
	s_delay_alu instid0(VALU_DEP_2) | instskip(NEXT) | instid1(VALU_DEP_2)
	v_and_b32_e32 v27, 1, v27
	v_cmp_ne_u32_e64 s2, 0, v21
	s_delay_alu instid0(VALU_DEP_2)
	v_cmpx_eq_u32_e32 1, v27
	s_cbranch_execz .LBB15_29
; %bb.28:
	ds_load_2addr_b64 v[27:30], v22 offset1:4
	s_wait_dscnt 0x0
	ds_store_2addr_b64 v22, v[29:30], v[27:28] offset1:4
	ds_store_b8 v20, v26
	ds_store_b8 v20, v24 offset:4
	ds_store_b8 v19, v25
	ds_store_b8 v19, v23 offset:4
.LBB15_29:
	s_or_b32 exec_lo, exec_lo, s4
	s_wait_loadcnt_dscnt 0x0
	s_barrier_signal -1
	s_barrier_wait -1
	global_inv scope:SCOPE_SE
	ds_load_u8 v24, v7
	ds_load_i8 v25, v14
	ds_load_i8 v27, v14 offset:2
	ds_load_u8 v26, v7 offset:2
	v_lshrrev_b32_e32 v21, 2, v21
	v_cndmask_b32_e64 v23, 0, 1, s2
	s_wait_dscnt 0x3
	v_and_b32_e32 v28, 1, v24
	s_wait_dscnt 0x1
	v_cmp_gt_i16_e64 s2, v25, v27
	s_wait_dscnt 0x0
	v_cmp_ne_u16_e64 s4, v26, v21
	v_cmp_eq_u32_e64 s3, 1, v28
	s_wait_alu 0xf1ff
	s_delay_alu instid0(VALU_DEP_2) | instskip(SKIP_3) | instid1(VALU_DEP_1)
	v_cndmask_b32_e64 v28, 0, 1, s4
	s_and_b32 s2, s2, s3
	s_mov_b32 s3, exec_lo
	s_wait_alu 0xfffe
	v_cndmask_b32_e64 v28, v28, v23, s2
	s_delay_alu instid0(VALU_DEP_1) | instskip(NEXT) | instid1(VALU_DEP_1)
	v_and_b32_e32 v28, 1, v28
	v_cmpx_eq_u32_e32 1, v28
	s_cbranch_execz .LBB15_31
; %bb.30:
	ds_load_2addr_b64 v[28:31], v17 offset1:2
	s_wait_dscnt 0x0
	ds_store_2addr_b64 v17, v[30:31], v[28:29] offset1:2
	ds_store_b8 v14, v27
	ds_store_b8 v14, v25 offset:2
	ds_store_b8 v7, v26
	ds_store_b8 v7, v24 offset:2
.LBB15_31:
	s_or_b32 exec_lo, exec_lo, s3
	s_wait_loadcnt_dscnt 0x0
	s_barrier_signal -1
	s_barrier_wait -1
	global_inv scope:SCOPE_SE
	ds_load_u16 v24, v1
	ds_load_u16 v25, v6
	s_wait_dscnt 0x1
	v_bfe_i32 v26, v24, 0, 8
	v_ashrrev_i16 v27, 8, v24
	s_wait_dscnt 0x0
	v_lshrrev_b16 v24, 8, v25
	v_and_b32_e32 v28, 1, v25
	s_delay_alu instid0(VALU_DEP_3) | instskip(NEXT) | instid1(VALU_DEP_3)
	v_cmp_gt_i16_e64 s2, v26, v27
	v_cmp_ne_u16_e64 s4, v24, v21
	s_delay_alu instid0(VALU_DEP_3) | instskip(SKIP_1) | instid1(VALU_DEP_2)
	v_cmp_eq_u32_e64 s3, 1, v28
	s_wait_alu 0xf1ff
	v_cndmask_b32_e64 v21, 0, 1, s4
	s_and_b32 s2, s2, s3
	s_wait_alu 0xfffe
	s_delay_alu instid0(VALU_DEP_1) | instskip(NEXT) | instid1(VALU_DEP_1)
	v_cndmask_b32_e64 v21, v21, v23, s2
	v_and_b32_e32 v21, 1, v21
	s_delay_alu instid0(VALU_DEP_1)
	v_cmp_eq_u32_e64 s2, 1, v21
	v_lshl_add_u32 v21, v18, 3, v13
	s_and_saveexec_b32 s3, s2
	s_cbranch_execz .LBB15_33
; %bb.32:
	ds_load_b128 v[28:31], v21
	v_lshlrev_b16 v23, 8, v26
	v_and_b32_e32 v26, 0xff, v27
	v_lshlrev_b16 v32, 8, v25
	s_delay_alu instid0(VALU_DEP_1)
	v_or_b32_e32 v24, v24, v32
	s_wait_dscnt 0x0
	v_mov_b32_e32 v25, v30
	v_or_b32_e32 v23, v26, v23
	v_dual_mov_b32 v26, v31 :: v_dual_mov_b32 v27, v28
	v_mov_b32_e32 v28, v29
	ds_store_b16 v1, v23
	ds_store_b128 v21, v[25:28]
	ds_store_b16 v6, v24
.LBB15_33:
	s_wait_alu 0xfffe
	s_or_b32 exec_lo, exec_lo, s3
	v_and_b32_e32 v23, 7, v4
	s_wait_loadcnt_dscnt 0x0
	s_barrier_signal -1
	s_barrier_wait -1
	global_inv scope:SCOPE_SE
	v_sub_nc_u32_e32 v25, v18, v23
	v_bfe_u32 v31, v4, 3, 1
	s_delay_alu instid0(VALU_DEP_2)
	v_add_nc_u32_e32 v23, v16, v25
	v_add_nc_u32_e32 v24, v15, v25
	v_lshl_add_u32 v25, v25, 3, v13
	ds_load_u8 v27, v23
	ds_load_i8 v28, v24
	ds_load_i8 v30, v24 offset:8
	ds_load_u8 v29, v23 offset:8
	s_wait_dscnt 0x3
	v_and_b32_e32 v26, 1, v27
	s_wait_dscnt 0x1
	v_cmp_gt_i16_e64 s2, v28, v30
	s_wait_dscnt 0x0
	v_cmp_ne_u16_e64 s4, v29, v31
	v_cmp_eq_u32_e64 s3, 1, v26
	s_wait_alu 0xf1ff
	s_delay_alu instid0(VALU_DEP_2) | instskip(SKIP_3) | instid1(VALU_DEP_1)
	v_cndmask_b32_e64 v26, 0, 1, s4
	s_mov_b32 s4, exec_lo
	s_and_b32 s2, s2, s3
	s_wait_alu 0xfffe
	v_cndmask_b32_e64 v31, v26, v31, s2
	v_and_b32_e32 v26, 8, v4
	s_delay_alu instid0(VALU_DEP_2) | instskip(NEXT) | instid1(VALU_DEP_2)
	v_and_b32_e32 v31, 1, v31
	v_cmp_ne_u32_e64 s2, 0, v26
	s_delay_alu instid0(VALU_DEP_2)
	v_cmpx_eq_u32_e32 1, v31
	s_cbranch_execz .LBB15_35
; %bb.34:
	ds_load_2addr_b64 v[31:34], v25 offset1:8
	s_wait_dscnt 0x0
	ds_store_2addr_b64 v25, v[33:34], v[31:32] offset1:8
	ds_store_b8 v24, v30
	ds_store_b8 v24, v28 offset:8
	ds_store_b8 v23, v29
	ds_store_b8 v23, v27 offset:8
.LBB15_35:
	s_or_b32 exec_lo, exec_lo, s4
	s_wait_loadcnt_dscnt 0x0
	s_barrier_signal -1
	s_barrier_wait -1
	global_inv scope:SCOPE_SE
	ds_load_u8 v28, v19
	ds_load_i8 v29, v20
	ds_load_i8 v31, v20 offset:4
	ds_load_u8 v30, v19 offset:4
	v_lshrrev_b32_e32 v26, 3, v26
	v_cndmask_b32_e64 v27, 0, 1, s2
	s_wait_dscnt 0x3
	v_and_b32_e32 v32, 1, v28
	s_wait_dscnt 0x1
	v_cmp_gt_i16_e64 s2, v29, v31
	s_wait_dscnt 0x0
	v_cmp_ne_u16_e64 s4, v30, v26
	v_cmp_eq_u32_e64 s3, 1, v32
	s_wait_alu 0xf1ff
	s_delay_alu instid0(VALU_DEP_2) | instskip(SKIP_3) | instid1(VALU_DEP_1)
	v_cndmask_b32_e64 v32, 0, 1, s4
	s_and_b32 s2, s2, s3
	s_mov_b32 s3, exec_lo
	s_wait_alu 0xfffe
	v_cndmask_b32_e64 v32, v32, v27, s2
	s_delay_alu instid0(VALU_DEP_1) | instskip(NEXT) | instid1(VALU_DEP_1)
	v_and_b32_e32 v32, 1, v32
	v_cmpx_eq_u32_e32 1, v32
	s_cbranch_execz .LBB15_37
; %bb.36:
	ds_load_2addr_b64 v[32:35], v22 offset1:4
	s_wait_dscnt 0x0
	ds_store_2addr_b64 v22, v[34:35], v[32:33] offset1:4
	ds_store_b8 v20, v31
	ds_store_b8 v20, v29 offset:4
	ds_store_b8 v19, v30
	ds_store_b8 v19, v28 offset:4
.LBB15_37:
	s_or_b32 exec_lo, exec_lo, s3
	s_wait_loadcnt_dscnt 0x0
	s_barrier_signal -1
	s_barrier_wait -1
	global_inv scope:SCOPE_SE
	ds_load_u8 v28, v7
	ds_load_i8 v29, v14
	ds_load_i8 v31, v14 offset:2
	ds_load_u8 v30, v7 offset:2
	s_wait_dscnt 0x3
	v_and_b32_e32 v32, 1, v28
	s_wait_dscnt 0x1
	v_cmp_gt_i16_e64 s2, v29, v31
	s_wait_dscnt 0x0
	v_cmp_ne_u16_e64 s4, v30, v26
	v_cmp_eq_u32_e64 s3, 1, v32
	s_wait_alu 0xf1ff
	s_delay_alu instid0(VALU_DEP_2) | instskip(SKIP_3) | instid1(VALU_DEP_1)
	v_cndmask_b32_e64 v32, 0, 1, s4
	s_and_b32 s2, s2, s3
	s_mov_b32 s3, exec_lo
	s_wait_alu 0xfffe
	v_cndmask_b32_e64 v32, v32, v27, s2
	s_delay_alu instid0(VALU_DEP_1) | instskip(NEXT) | instid1(VALU_DEP_1)
	v_and_b32_e32 v32, 1, v32
	v_cmpx_eq_u32_e32 1, v32
	s_cbranch_execz .LBB15_39
; %bb.38:
	ds_load_2addr_b64 v[32:35], v17 offset1:2
	s_wait_dscnt 0x0
	ds_store_2addr_b64 v17, v[34:35], v[32:33] offset1:2
	ds_store_b8 v14, v31
	ds_store_b8 v14, v29 offset:2
	ds_store_b8 v7, v30
	ds_store_b8 v7, v28 offset:2
.LBB15_39:
	s_or_b32 exec_lo, exec_lo, s3
	s_wait_loadcnt_dscnt 0x0
	s_barrier_signal -1
	s_barrier_wait -1
	global_inv scope:SCOPE_SE
	ds_load_u16 v28, v1
	ds_load_u16 v29, v6
	s_wait_dscnt 0x1
	v_bfe_i32 v30, v28, 0, 8
	v_ashrrev_i16 v31, 8, v28
	s_wait_dscnt 0x0
	v_lshrrev_b16 v28, 8, v29
	v_and_b32_e32 v32, 1, v29
	s_delay_alu instid0(VALU_DEP_3) | instskip(NEXT) | instid1(VALU_DEP_3)
	v_cmp_gt_i16_e64 s2, v30, v31
	v_cmp_ne_u16_e64 s4, v28, v26
	s_delay_alu instid0(VALU_DEP_3) | instskip(SKIP_1) | instid1(VALU_DEP_2)
	v_cmp_eq_u32_e64 s3, 1, v32
	s_wait_alu 0xf1ff
	v_cndmask_b32_e64 v26, 0, 1, s4
	s_and_b32 s2, s2, s3
	s_mov_b32 s3, exec_lo
	s_wait_alu 0xfffe
	s_delay_alu instid0(VALU_DEP_1) | instskip(NEXT) | instid1(VALU_DEP_1)
	v_cndmask_b32_e64 v26, v26, v27, s2
	v_and_b32_e32 v26, 1, v26
	s_delay_alu instid0(VALU_DEP_1)
	v_cmpx_eq_u32_e32 1, v26
	s_cbranch_execz .LBB15_41
; %bb.40:
	ds_load_b128 v[32:35], v21
	v_lshlrev_b16 v26, 8, v30
	v_and_b32_e32 v27, 0xff, v31
	v_lshlrev_b16 v36, 8, v29
	s_wait_dscnt 0x0
	v_mov_b32_e32 v30, v35
	s_delay_alu instid0(VALU_DEP_3)
	v_or_b32_e32 v26, v27, v26
	v_mov_b32_e32 v29, v34
	v_dual_mov_b32 v31, v32 :: v_dual_mov_b32 v32, v33
	v_or_b32_e32 v27, v28, v36
	ds_store_b16 v1, v26
	ds_store_b128 v21, v[29:32]
	ds_store_b16 v6, v27
.LBB15_41:
	s_or_b32 exec_lo, exec_lo, s3
	v_and_b32_e32 v26, 15, v4
	s_wait_loadcnt_dscnt 0x0
	s_barrier_signal -1
	s_barrier_wait -1
	global_inv scope:SCOPE_SE
	v_sub_nc_u32_e32 v18, v18, v26
	s_delay_alu instid0(VALU_DEP_1)
	v_add_nc_u32_e32 v16, v16, v18
	v_add_nc_u32_e32 v15, v15, v18
	ds_load_u8 v26, v16
	ds_load_u8 v29, v16 offset:16
	ds_load_i8 v27, v15
	ds_load_i8 v28, v15 offset:16
	s_wait_dscnt 0x2
	v_and_b32_e32 v29, 0xff, v29
	v_and_b32_e32 v30, 1, v26
	s_wait_dscnt 0x0
	v_cmp_le_i16_e64 s3, v27, v28
	s_delay_alu instid0(VALU_DEP_3) | instskip(NEXT) | instid1(VALU_DEP_3)
	v_cmp_ne_u16_e64 s4, 0, v29
	v_cmp_eq_u32_e64 s2, 1, v30
	s_xor_b32 s2, s2, -1
	s_wait_alu 0xfffe
	s_or_b32 s2, s3, s2
	s_wait_alu 0xfffe
	s_and_b32 s3, s2, s4
	s_wait_alu 0xfffe
	s_and_saveexec_b32 s2, s3
	s_cbranch_execz .LBB15_43
; %bb.42:
	v_lshl_add_u32 v13, v18, 3, v13
	v_mov_b32_e32 v18, 1
	ds_load_2addr_b64 v[29:32], v13 offset1:16
	s_wait_dscnt 0x0
	ds_store_2addr_b64 v13, v[31:32], v[29:30] offset1:16
	ds_store_b8 v15, v28
	ds_store_b8 v15, v27 offset:16
	ds_store_b8 v16, v18
	ds_store_b8 v16, v26 offset:16
.LBB15_43:
	s_wait_alu 0xfffe
	s_or_b32 exec_lo, exec_lo, s2
	s_wait_loadcnt_dscnt 0x0
	s_barrier_signal -1
	s_barrier_wait -1
	global_inv scope:SCOPE_SE
	ds_load_u8 v13, v23
	ds_load_u8 v18, v23 offset:8
	ds_load_i8 v15, v24
	ds_load_i8 v16, v24 offset:8
	s_wait_dscnt 0x3
	v_and_b32_e32 v26, 1, v13
	s_wait_dscnt 0x2
	v_and_b32_e32 v18, 0xff, v18
	s_wait_dscnt 0x0
	v_cmp_le_i16_e64 s3, v15, v16
	v_cmp_eq_u32_e64 s2, 1, v26
	s_delay_alu instid0(VALU_DEP_3)
	v_cmp_ne_u16_e64 s4, 0, v18
	s_xor_b32 s2, s2, -1
	s_wait_alu 0xfffe
	s_or_b32 s2, s3, s2
	s_wait_alu 0xfffe
	s_and_b32 s3, s2, s4
	s_wait_alu 0xfffe
	s_and_saveexec_b32 s2, s3
	s_cbranch_execz .LBB15_45
; %bb.44:
	ds_load_2addr_b64 v[26:29], v25 offset1:8
	v_mov_b32_e32 v18, 1
	s_wait_dscnt 0x0
	ds_store_2addr_b64 v25, v[28:29], v[26:27] offset1:8
	ds_store_b8 v24, v16
	ds_store_b8 v24, v15 offset:8
	ds_store_b8 v23, v18
	ds_store_b8 v23, v13 offset:8
.LBB15_45:
	s_wait_alu 0xfffe
	s_or_b32 exec_lo, exec_lo, s2
	s_wait_loadcnt_dscnt 0x0
	s_barrier_signal -1
	s_barrier_wait -1
	global_inv scope:SCOPE_SE
	ds_load_u8 v13, v19
	ds_load_u8 v18, v19 offset:4
	ds_load_i8 v15, v20
	ds_load_i8 v16, v20 offset:4
	s_wait_dscnt 0x3
	v_and_b32_e32 v23, 1, v13
	s_wait_dscnt 0x2
	v_and_b32_e32 v18, 0xff, v18
	s_wait_dscnt 0x0
	v_cmp_le_i16_e64 s3, v15, v16
	v_cmp_eq_u32_e64 s2, 1, v23
	s_delay_alu instid0(VALU_DEP_3)
	v_cmp_ne_u16_e64 s4, 0, v18
	s_xor_b32 s2, s2, -1
	s_wait_alu 0xfffe
	s_or_b32 s2, s3, s2
	s_wait_alu 0xfffe
	s_and_b32 s3, s2, s4
	s_wait_alu 0xfffe
	s_and_saveexec_b32 s2, s3
	s_cbranch_execz .LBB15_47
; %bb.46:
	ds_load_2addr_b64 v[23:26], v22 offset1:4
	v_mov_b32_e32 v18, 1
	s_wait_dscnt 0x0
	ds_store_2addr_b64 v22, v[25:26], v[23:24] offset1:4
	ds_store_b8 v20, v16
	ds_store_b8 v20, v15 offset:4
	ds_store_b8 v19, v18
	ds_store_b8 v19, v13 offset:4
.LBB15_47:
	;; [unrolled: 37-line block ×3, first 2 shown]
	s_wait_alu 0xfffe
	s_or_b32 exec_lo, exec_lo, s2
	s_wait_loadcnt_dscnt 0x0
	s_barrier_signal -1
	s_barrier_wait -1
	global_inv scope:SCOPE_SE
	ds_load_u16 v7, v6
	ds_load_u16 v14, v1
	s_wait_dscnt 0x1
	v_and_b32_e32 v15, 1, v7
	s_wait_dscnt 0x0
	v_bfe_i32 v13, v14, 0, 8
	v_ashrrev_i16 v14, 8, v14
	v_lshrrev_b16 v16, 8, v7
	v_cmp_eq_u32_e64 s2, 1, v15
	s_delay_alu instid0(VALU_DEP_3) | instskip(NEXT) | instid1(VALU_DEP_3)
	v_cmp_le_i16_e64 s3, v13, v14
	v_cmp_ne_u16_e64 s4, 0, v16
	s_xor_b32 s2, s2, -1
	s_wait_alu 0xfffe
	s_or_b32 s2, s3, s2
	s_wait_alu 0xfffe
	s_and_b32 s3, s2, s4
	s_wait_alu 0xfffe
	s_and_saveexec_b32 s2, s3
	s_cbranch_execz .LBB15_51
; %bb.50:
	ds_load_b128 v[15:18], v21
	v_lshlrev_b16 v13, 8, v13
	v_and_b32_e32 v14, 0xff, v14
	v_lshlrev_b16 v7, 8, v7
	s_delay_alu instid0(VALU_DEP_2) | instskip(NEXT) | instid1(VALU_DEP_2)
	v_or_b32_e32 v19, v14, v13
	v_or_b32_e32 v7, 1, v7
	s_wait_dscnt 0x0
	v_dual_mov_b32 v13, v17 :: v_dual_mov_b32 v14, v18
	ds_store_b16 v1, v19
	ds_store_b128 v21, v[13:16]
	ds_store_b16 v6, v7
.LBB15_51:
	s_wait_alu 0xfffe
	s_or_b32 exec_lo, exec_lo, s2
	s_wait_loadcnt_dscnt 0x0
	s_barrier_signal -1
	s_barrier_wait -1
	global_inv scope:SCOPE_SE
	s_and_saveexec_b32 s2, vcc_lo
	s_cbranch_execz .LBB15_56
; %bb.52:
	s_and_saveexec_b32 s2, s0
	s_cbranch_execz .LBB15_54
; %bb.53:
	v_mad_co_u64_u32 v[6:7], null, s10, v4, 0
	v_mad_co_u64_u32 v[13:14], null, s8, v4, v[2:3]
	s_delay_alu instid0(VALU_DEP_2) | instskip(NEXT) | instid1(VALU_DEP_1)
	v_mov_b32_e32 v1, v7
	v_mad_co_u64_u32 v[15:16], null, s11, v4, v[1:2]
	ds_load_u8 v16, v12
	ds_load_b64 v[11:12], v11
	v_mov_b32_e32 v1, v14
	v_mov_b32_e32 v7, v15
	s_delay_alu instid0(VALU_DEP_2) | instskip(NEXT) | instid1(VALU_DEP_2)
	v_mad_co_u64_u32 v[14:15], null, s9, v4, v[1:2]
	v_lshlrev_b64_e32 v[6:7], 3, v[6:7]
	s_delay_alu instid0(VALU_DEP_1) | instskip(SKIP_1) | instid1(VALU_DEP_2)
	v_add_co_u32 v6, vcc_lo, v5, v6
	s_wait_alu 0xfffd
	v_add_co_ci_u32_e64 v7, null, v10, v7, vcc_lo
	s_wait_dscnt 0x1
	global_store_b8 v[13:14], v16, off
	s_wait_dscnt 0x0
	global_store_b64 v[6:7], v[11:12], off
.LBB15_54:
	s_wait_alu 0xfffe
	s_or_b32 exec_lo, exec_lo, s2
	s_delay_alu instid0(SALU_CYCLE_1)
	s_and_b32 exec_lo, exec_lo, s1
	s_cbranch_execz .LBB15_56
; %bb.55:
	v_mad_co_u64_u32 v[6:7], null, s10, v0, 0
	v_mad_co_u64_u32 v[2:3], null, s8, v0, v[2:3]
	ds_load_u8 v4, v8
	ds_load_b64 v[8:9], v9
	v_mov_b32_e32 v1, v7
	s_delay_alu instid0(VALU_DEP_1) | instskip(SKIP_1) | instid1(VALU_DEP_1)
	v_mad_co_u64_u32 v[11:12], null, s11, v0, v[1:2]
	v_mov_b32_e32 v1, v3
	v_mad_co_u64_u32 v[0:1], null, s9, v0, v[1:2]
	s_delay_alu instid0(VALU_DEP_3) | instskip(NEXT) | instid1(VALU_DEP_1)
	v_mov_b32_e32 v7, v11
	v_lshlrev_b64_e32 v[6:7], 3, v[6:7]
	s_delay_alu instid0(VALU_DEP_3) | instskip(NEXT) | instid1(VALU_DEP_2)
	v_mov_b32_e32 v3, v0
	v_add_co_u32 v0, vcc_lo, v5, v6
	s_wait_alu 0xfffd
	s_delay_alu instid0(VALU_DEP_3)
	v_add_co_ci_u32_e64 v1, null, v10, v7, vcc_lo
	s_wait_dscnt 0x1
	global_store_b8 v[2:3], v4, off
	s_wait_dscnt 0x0
	global_store_b64 v[0:1], v[8:9], off
.LBB15_56:
	s_endpgm
	.section	.rodata,"a",@progbits
	.p2align	6, 0x0
	.amdhsa_kernel _ZN2at6native20bitonicSortKVInPlaceILin1ELin1ELi16ELi16EalNS0_4GTOpIaLb1EEEmEEvNS_4cuda6detail10TensorInfoIT3_T6_EES8_S8_S8_NS6_IT4_S8_EES8_T5_
		.amdhsa_group_segment_fixed_size 5120
		.amdhsa_private_segment_fixed_size 0
		.amdhsa_kernarg_size 1128
		.amdhsa_user_sgpr_count 2
		.amdhsa_user_sgpr_dispatch_ptr 0
		.amdhsa_user_sgpr_queue_ptr 0
		.amdhsa_user_sgpr_kernarg_segment_ptr 1
		.amdhsa_user_sgpr_dispatch_id 0
		.amdhsa_user_sgpr_private_segment_size 0
		.amdhsa_wavefront_size32 1
		.amdhsa_uses_dynamic_stack 0
		.amdhsa_enable_private_segment 0
		.amdhsa_system_sgpr_workgroup_id_x 1
		.amdhsa_system_sgpr_workgroup_id_y 1
		.amdhsa_system_sgpr_workgroup_id_z 1
		.amdhsa_system_sgpr_workgroup_info 0
		.amdhsa_system_vgpr_workitem_id 1
		.amdhsa_next_free_vgpr 37
		.amdhsa_next_free_sgpr 31
		.amdhsa_reserve_vcc 1
		.amdhsa_float_round_mode_32 0
		.amdhsa_float_round_mode_16_64 0
		.amdhsa_float_denorm_mode_32 3
		.amdhsa_float_denorm_mode_16_64 3
		.amdhsa_fp16_overflow 0
		.amdhsa_workgroup_processor_mode 1
		.amdhsa_memory_ordered 1
		.amdhsa_forward_progress 1
		.amdhsa_inst_pref_size 55
		.amdhsa_round_robin_scheduling 0
		.amdhsa_exception_fp_ieee_invalid_op 0
		.amdhsa_exception_fp_denorm_src 0
		.amdhsa_exception_fp_ieee_div_zero 0
		.amdhsa_exception_fp_ieee_overflow 0
		.amdhsa_exception_fp_ieee_underflow 0
		.amdhsa_exception_fp_ieee_inexact 0
		.amdhsa_exception_int_div_zero 0
	.end_amdhsa_kernel
	.section	.text._ZN2at6native20bitonicSortKVInPlaceILin1ELin1ELi16ELi16EalNS0_4GTOpIaLb1EEEmEEvNS_4cuda6detail10TensorInfoIT3_T6_EES8_S8_S8_NS6_IT4_S8_EES8_T5_,"axG",@progbits,_ZN2at6native20bitonicSortKVInPlaceILin1ELin1ELi16ELi16EalNS0_4GTOpIaLb1EEEmEEvNS_4cuda6detail10TensorInfoIT3_T6_EES8_S8_S8_NS6_IT4_S8_EES8_T5_,comdat
.Lfunc_end15:
	.size	_ZN2at6native20bitonicSortKVInPlaceILin1ELin1ELi16ELi16EalNS0_4GTOpIaLb1EEEmEEvNS_4cuda6detail10TensorInfoIT3_T6_EES8_S8_S8_NS6_IT4_S8_EES8_T5_, .Lfunc_end15-_ZN2at6native20bitonicSortKVInPlaceILin1ELin1ELi16ELi16EalNS0_4GTOpIaLb1EEEmEEvNS_4cuda6detail10TensorInfoIT3_T6_EES8_S8_S8_NS6_IT4_S8_EES8_T5_
                                        ; -- End function
	.set _ZN2at6native20bitonicSortKVInPlaceILin1ELin1ELi16ELi16EalNS0_4GTOpIaLb1EEEmEEvNS_4cuda6detail10TensorInfoIT3_T6_EES8_S8_S8_NS6_IT4_S8_EES8_T5_.num_vgpr, 37
	.set _ZN2at6native20bitonicSortKVInPlaceILin1ELin1ELi16ELi16EalNS0_4GTOpIaLb1EEEmEEvNS_4cuda6detail10TensorInfoIT3_T6_EES8_S8_S8_NS6_IT4_S8_EES8_T5_.num_agpr, 0
	.set _ZN2at6native20bitonicSortKVInPlaceILin1ELin1ELi16ELi16EalNS0_4GTOpIaLb1EEEmEEvNS_4cuda6detail10TensorInfoIT3_T6_EES8_S8_S8_NS6_IT4_S8_EES8_T5_.numbered_sgpr, 31
	.set _ZN2at6native20bitonicSortKVInPlaceILin1ELin1ELi16ELi16EalNS0_4GTOpIaLb1EEEmEEvNS_4cuda6detail10TensorInfoIT3_T6_EES8_S8_S8_NS6_IT4_S8_EES8_T5_.num_named_barrier, 0
	.set _ZN2at6native20bitonicSortKVInPlaceILin1ELin1ELi16ELi16EalNS0_4GTOpIaLb1EEEmEEvNS_4cuda6detail10TensorInfoIT3_T6_EES8_S8_S8_NS6_IT4_S8_EES8_T5_.private_seg_size, 0
	.set _ZN2at6native20bitonicSortKVInPlaceILin1ELin1ELi16ELi16EalNS0_4GTOpIaLb1EEEmEEvNS_4cuda6detail10TensorInfoIT3_T6_EES8_S8_S8_NS6_IT4_S8_EES8_T5_.uses_vcc, 1
	.set _ZN2at6native20bitonicSortKVInPlaceILin1ELin1ELi16ELi16EalNS0_4GTOpIaLb1EEEmEEvNS_4cuda6detail10TensorInfoIT3_T6_EES8_S8_S8_NS6_IT4_S8_EES8_T5_.uses_flat_scratch, 0
	.set _ZN2at6native20bitonicSortKVInPlaceILin1ELin1ELi16ELi16EalNS0_4GTOpIaLb1EEEmEEvNS_4cuda6detail10TensorInfoIT3_T6_EES8_S8_S8_NS6_IT4_S8_EES8_T5_.has_dyn_sized_stack, 0
	.set _ZN2at6native20bitonicSortKVInPlaceILin1ELin1ELi16ELi16EalNS0_4GTOpIaLb1EEEmEEvNS_4cuda6detail10TensorInfoIT3_T6_EES8_S8_S8_NS6_IT4_S8_EES8_T5_.has_recursion, 0
	.set _ZN2at6native20bitonicSortKVInPlaceILin1ELin1ELi16ELi16EalNS0_4GTOpIaLb1EEEmEEvNS_4cuda6detail10TensorInfoIT3_T6_EES8_S8_S8_NS6_IT4_S8_EES8_T5_.has_indirect_call, 0
	.section	.AMDGPU.csdata,"",@progbits
; Kernel info:
; codeLenInByte = 6952
; TotalNumSgprs: 33
; NumVgprs: 37
; ScratchSize: 0
; MemoryBound: 0
; FloatMode: 240
; IeeeMode: 1
; LDSByteSize: 5120 bytes/workgroup (compile time only)
; SGPRBlocks: 0
; VGPRBlocks: 4
; NumSGPRsForWavesPerEU: 33
; NumVGPRsForWavesPerEU: 37
; Occupancy: 16
; WaveLimiterHint : 1
; COMPUTE_PGM_RSRC2:SCRATCH_EN: 0
; COMPUTE_PGM_RSRC2:USER_SGPR: 2
; COMPUTE_PGM_RSRC2:TRAP_HANDLER: 0
; COMPUTE_PGM_RSRC2:TGID_X_EN: 1
; COMPUTE_PGM_RSRC2:TGID_Y_EN: 1
; COMPUTE_PGM_RSRC2:TGID_Z_EN: 1
; COMPUTE_PGM_RSRC2:TIDIG_COMP_CNT: 1
	.section	.text._ZN2at6native20bitonicSortKVInPlaceILin2ELin1ELi16ELi16EilNS0_4LTOpIiLb1EEEjEEvNS_4cuda6detail10TensorInfoIT3_T6_EES8_S8_S8_NS6_IT4_S8_EES8_T5_,"axG",@progbits,_ZN2at6native20bitonicSortKVInPlaceILin2ELin1ELi16ELi16EilNS0_4LTOpIiLb1EEEjEEvNS_4cuda6detail10TensorInfoIT3_T6_EES8_S8_S8_NS6_IT4_S8_EES8_T5_,comdat
	.protected	_ZN2at6native20bitonicSortKVInPlaceILin2ELin1ELi16ELi16EilNS0_4LTOpIiLb1EEEjEEvNS_4cuda6detail10TensorInfoIT3_T6_EES8_S8_S8_NS6_IT4_S8_EES8_T5_ ; -- Begin function _ZN2at6native20bitonicSortKVInPlaceILin2ELin1ELi16ELi16EilNS0_4LTOpIiLb1EEEjEEvNS_4cuda6detail10TensorInfoIT3_T6_EES8_S8_S8_NS6_IT4_S8_EES8_T5_
	.globl	_ZN2at6native20bitonicSortKVInPlaceILin2ELin1ELi16ELi16EilNS0_4LTOpIiLb1EEEjEEvNS_4cuda6detail10TensorInfoIT3_T6_EES8_S8_S8_NS6_IT4_S8_EES8_T5_
	.p2align	8
	.type	_ZN2at6native20bitonicSortKVInPlaceILin2ELin1ELi16ELi16EilNS0_4LTOpIiLb1EEEjEEvNS_4cuda6detail10TensorInfoIT3_T6_EES8_S8_S8_NS6_IT4_S8_EES8_T5_,@function
_ZN2at6native20bitonicSortKVInPlaceILin2ELin1ELi16ELi16EilNS0_4LTOpIiLb1EEEjEEvNS_4cuda6detail10TensorInfoIT3_T6_EES8_S8_S8_NS6_IT4_S8_EES8_T5_: ; @_ZN2at6native20bitonicSortKVInPlaceILin2ELin1ELi16ELi16EilNS0_4LTOpIiLb1EEEjEEvNS_4cuda6detail10TensorInfoIT3_T6_EES8_S8_S8_NS6_IT4_S8_EES8_T5_
; %bb.0:
	s_clause 0x2
	s_load_b64 s[2:3], s[0:1], 0x1c8
	s_load_u16 s7, s[0:1], 0x1d6
	s_load_b96 s[4:6], s[0:1], 0xd8
	s_lshr_b32 s8, ttmp7, 16
	s_wait_kmcnt 0x0
	s_mul_i32 s3, s3, s8
	s_and_b32 s8, ttmp7, 0xffff
	s_delay_alu instid0(SALU_CYCLE_1) | instskip(NEXT) | instid1(SALU_CYCLE_1)
	s_add_co_i32 s3, s3, s8
	s_mul_i32 s2, s3, s2
	s_delay_alu instid0(SALU_CYCLE_1) | instskip(NEXT) | instid1(SALU_CYCLE_1)
	s_add_co_i32 s2, s2, ttmp9
	s_mul_i32 s2, s2, s7
	s_delay_alu instid0(SALU_CYCLE_1)
	s_cmp_ge_u32 s2, s4
	s_cbranch_scc1 .LBB16_43
; %bb.1:
	s_clause 0x1
	s_load_b32 s7, s[0:1], 0x1b8
	s_load_b64 s[8:9], s[0:1], 0x0
	v_bfe_u32 v8, v0, 10, 10
	s_delay_alu instid0(VALU_DEP_1) | instskip(SKIP_2) | instid1(VALU_DEP_2)
	v_add_nc_u32_e32 v3, s2, v8
	v_mov_b32_e32 v1, 0
	s_add_nc_u64 s[2:3], s[0:1], 0xe8
	v_mov_b32_e32 v4, v3
	s_wait_kmcnt 0x0
	s_cmp_lt_i32 s7, 2
	s_cbranch_scc1 .LBB16_4
; %bb.2:
	s_add_co_i32 s10, s7, -1
	s_mov_b32 s11, 0
	v_dual_mov_b32 v1, 0 :: v_dual_mov_b32 v4, v3
	s_lshl_b64 s[10:11], s[10:11], 2
	s_add_co_i32 s7, s7, 1
	s_wait_alu 0xfffe
	s_add_nc_u64 s[10:11], s[2:3], s[10:11]
	s_delay_alu instid0(SALU_CYCLE_1)
	s_add_nc_u64 s[10:11], s[10:11], 8
.LBB16_3:                               ; =>This Inner Loop Header: Depth=1
	s_clause 0x1
	s_load_b32 s12, s[10:11], 0x0
	s_load_b32 s13, s[10:11], 0x64
	s_add_co_i32 s7, s7, -1
	s_add_nc_u64 s[10:11], s[10:11], -4
	s_wait_kmcnt 0x0
	s_cvt_f32_u32 s14, s12
	s_sub_co_i32 s15, 0, s12
	s_wait_alu 0xfffe
	s_delay_alu instid0(SALU_CYCLE_1) | instskip(NEXT) | instid1(TRANS32_DEP_1)
	v_rcp_iflag_f32_e32 v2, s14
	v_readfirstlane_b32 s14, v2
	v_mov_b32_e32 v2, v4
	s_mul_f32 s14, s14, 0x4f7ffffe
	s_wait_alu 0xfffe
	s_delay_alu instid0(SALU_CYCLE_2) | instskip(SKIP_1) | instid1(SALU_CYCLE_2)
	s_cvt_u32_f32 s14, s14
	s_wait_alu 0xfffe
	s_mul_i32 s15, s15, s14
	s_wait_alu 0xfffe
	s_mul_hi_u32 s15, s14, s15
	s_wait_alu 0xfffe
	s_add_co_i32 s14, s14, s15
	s_cmp_gt_u32 s7, 2
	s_wait_alu 0xfffe
	v_mul_hi_u32 v4, v2, s14
	s_delay_alu instid0(VALU_DEP_1) | instskip(SKIP_1) | instid1(VALU_DEP_2)
	v_mul_lo_u32 v5, v4, s12
	v_add_nc_u32_e32 v6, 1, v4
	v_sub_nc_u32_e32 v5, v2, v5
	s_delay_alu instid0(VALU_DEP_1) | instskip(SKIP_2) | instid1(VALU_DEP_2)
	v_subrev_nc_u32_e32 v7, s12, v5
	v_cmp_le_u32_e32 vcc_lo, s12, v5
	s_wait_alu 0xfffd
	v_dual_cndmask_b32 v4, v4, v6 :: v_dual_cndmask_b32 v5, v5, v7
	s_delay_alu instid0(VALU_DEP_1) | instskip(NEXT) | instid1(VALU_DEP_2)
	v_add_nc_u32_e32 v6, 1, v4
	v_cmp_le_u32_e32 vcc_lo, s12, v5
	s_wait_alu 0xfffd
	s_delay_alu instid0(VALU_DEP_2) | instskip(NEXT) | instid1(VALU_DEP_1)
	v_cndmask_b32_e32 v4, v4, v6, vcc_lo
	v_mul_lo_u32 v5, v4, s12
	s_delay_alu instid0(VALU_DEP_1) | instskip(NEXT) | instid1(VALU_DEP_1)
	v_sub_nc_u32_e32 v2, v2, v5
	v_mad_co_u64_u32 v[1:2], null, s13, v2, v[1:2]
	s_cbranch_scc1 .LBB16_3
.LBB16_4:
	s_load_b32 s13, s[0:1], 0x6c
	s_add_nc_u64 s[10:11], s[0:1], 0x1c8
	s_load_b32 s14, s[2:3], 0x6c
	s_load_b32 s12, s[10:11], 0xc
	s_clause 0x1
	s_load_b32 s7, s[0:1], 0x1c0
	s_load_b64 s[10:11], s[2:3], 0x0
	v_and_b32_e32 v7, 0x3ff, v0
	v_cmp_gt_u32_e64 s0, s4, v3
	v_mov_b32_e32 v5, 0
	v_dual_mov_b32 v6, 0 :: v_dual_mov_b32 v11, 0
	v_mov_b32_e32 v10, 0
	s_wait_kmcnt 0x0
	v_mul_lo_u32 v2, s13, v3
	s_delay_alu instid0(VALU_DEP_1)
	v_mad_co_u64_u32 v[0:1], null, s14, v4, v[1:2]
	v_mov_b32_e32 v3, 0
	v_mov_b32_e32 v4, 0
	v_cmp_gt_u32_e32 vcc_lo, s5, v7
	s_and_b32 s2, s0, vcc_lo
	s_wait_alu 0xfffe
	s_and_saveexec_b32 s3, s2
	s_cbranch_execz .LBB16_6
; %bb.5:
	v_mad_co_u64_u32 v[5:6], null, v7, s6, v[2:3]
	v_mov_b32_e32 v6, 0
	v_mad_co_u64_u32 v[11:12], null, v7, s7, v[0:1]
	s_delay_alu instid0(VALU_DEP_2) | instskip(NEXT) | instid1(VALU_DEP_4)
	v_mov_b32_e32 v12, v6
	v_lshlrev_b64_e32 v[5:6], 2, v[5:6]
	s_delay_alu instid0(VALU_DEP_2) | instskip(NEXT) | instid1(VALU_DEP_2)
	v_lshlrev_b64_e32 v[11:12], 3, v[11:12]
	v_add_co_u32 v5, s1, s8, v5
	s_delay_alu instid0(VALU_DEP_1) | instskip(NEXT) | instid1(VALU_DEP_3)
	v_add_co_ci_u32_e64 v6, null, s9, v6, s1
	v_add_co_u32 v13, s1, s10, v11
	s_wait_alu 0xf1ff
	s_delay_alu instid0(VALU_DEP_4)
	v_add_co_ci_u32_e64 v14, null, s11, v12, s1
	global_load_b32 v11, v[5:6], off
	global_load_b64 v[5:6], v[13:14], off
.LBB16_6:
	s_wait_alu 0xfffe
	s_or_b32 exec_lo, exec_lo, s3
	s_and_b32 s3, 0xffff, s12
	v_lshl_add_u32 v14, v8, 7, 0x1000
	s_wait_alu 0xfffe
	v_add_nc_u32_e32 v1, s3, v7
	v_lshlrev_b32_e32 v12, 8, v8
	v_lshl_add_u32 v16, v8, 5, 0x1800
	v_cndmask_b32_e64 v13, 0, 1, s2
	v_lshl_add_u32 v8, v7, 2, v14
	v_cmp_gt_u32_e64 s1, s5, v1
	v_lshl_add_u32 v9, v7, 3, v12
	v_add_nc_u32_e32 v15, v16, v7
	s_wait_loadcnt 0x1
	ds_store_b32 v8, v11
	s_wait_loadcnt 0x0
	ds_store_b64 v9, v[5:6]
	ds_store_b8 v15, v13
	s_and_b32 s4, s0, s1
	s_wait_alu 0xfffe
	s_and_saveexec_b32 s5, s4
	s_cbranch_execz .LBB16_8
; %bb.7:
	v_mad_co_u64_u32 v[3:4], null, v1, s6, v[2:3]
	v_mov_b32_e32 v4, 0
	v_mad_co_u64_u32 v[5:6], null, v1, s7, v[0:1]
	s_delay_alu instid0(VALU_DEP_2) | instskip(NEXT) | instid1(VALU_DEP_4)
	v_mov_b32_e32 v6, v4
	v_lshlrev_b64_e32 v[3:4], 2, v[3:4]
	s_delay_alu instid0(VALU_DEP_2) | instskip(NEXT) | instid1(VALU_DEP_2)
	v_lshlrev_b64_e32 v[5:6], 3, v[5:6]
	v_add_co_u32 v3, s2, s8, v3
	s_wait_alu 0xf1ff
	s_delay_alu instid0(VALU_DEP_3) | instskip(NEXT) | instid1(VALU_DEP_3)
	v_add_co_ci_u32_e64 v4, null, s9, v4, s2
	v_add_co_u32 v5, s2, s10, v5
	s_wait_alu 0xf1ff
	v_add_co_ci_u32_e64 v6, null, s11, v6, s2
	global_load_b32 v10, v[3:4], off
	global_load_b64 v[3:4], v[5:6], off
.LBB16_8:
	s_wait_alu 0xfffe
	s_or_b32 exec_lo, exec_lo, s5
	v_lshl_add_u32 v5, s3, 2, v8
	v_lshl_add_u32 v6, s3, 3, v9
	v_cndmask_b32_e64 v11, 0, 1, s4
	v_add_nc_u32_e32 v13, v16, v1
	v_lshlrev_b32_e32 v18, 1, v7
	s_wait_loadcnt 0x1
	ds_store_b32 v5, v10
	s_wait_loadcnt 0x0
	ds_store_b64 v6, v[3:4]
	ds_store_b8 v13, v11
	v_lshlrev_b32_e32 v3, 2, v7
	s_wait_dscnt 0x0
	v_add_nc_u32_e32 v10, v16, v18
	s_barrier_signal -1
	s_barrier_wait -1
	v_add_nc_u32_e32 v11, v8, v3
	global_inv scope:SCOPE_SE
	ds_load_u16 v17, v10
	ds_load_b64 v[3:4], v11
	v_and_b32_e32 v13, 1, v7
	s_wait_dscnt 0x1
	v_lshrrev_b16 v15, 8, v17
	v_and_b32_e32 v19, 1, v17
	s_wait_dscnt 0x0
	v_cmp_lt_i32_e64 s2, v3, v4
	s_delay_alu instid0(VALU_DEP_3) | instskip(NEXT) | instid1(VALU_DEP_3)
	v_cmp_ne_u16_e64 s4, v15, v13
	v_cmp_eq_u32_e64 s3, 1, v19
	s_wait_alu 0xf1ff
	s_delay_alu instid0(VALU_DEP_2) | instskip(SKIP_2) | instid1(VALU_DEP_1)
	v_cndmask_b32_e64 v19, 0, 1, s4
	s_and_b32 s2, s2, s3
	s_wait_alu 0xfffe
	v_cndmask_b32_e64 v19, v19, v7, s2
	s_delay_alu instid0(VALU_DEP_1) | instskip(NEXT) | instid1(VALU_DEP_1)
	v_and_b32_e32 v19, 1, v19
	v_cmp_eq_u32_e64 s2, 1, v19
	v_lshl_add_u32 v19, v7, 3, v9
	s_and_saveexec_b32 s3, s2
	s_wait_alu 0xfffe
	s_xor_b32 s2, exec_lo, s3
	s_cbranch_execz .LBB16_10
; %bb.9:
	ds_load_b128 v[20:23], v19
	v_mov_b32_e32 v26, v4
	v_lshlrev_b16 v4, 8, v17
	v_mov_b32_e32 v27, v3
	s_delay_alu instid0(VALU_DEP_2)
	v_or_b32_e32 v3, v15, v4
	s_wait_dscnt 0x0
	v_dual_mov_b32 v24, v20 :: v_dual_mov_b32 v25, v21
	ds_store_b128 v19, v[22:25]
	ds_store_b64 v11, v[26:27]
	ds_store_b16 v10, v3
.LBB16_10:
	s_wait_alu 0xfffe
	s_or_b32 exec_lo, exec_lo, s2
	v_sub_nc_u32_e32 v17, v18, v13
	s_wait_loadcnt_dscnt 0x0
	s_barrier_signal -1
	s_barrier_wait -1
	global_inv scope:SCOPE_SE
	v_add_nc_u32_e32 v13, v16, v17
	v_lshl_add_u32 v15, v17, 2, v14
	v_bfe_u32 v23, v7, 1, 1
	v_lshl_add_u32 v17, v17, 3, v12
	ds_load_u8 v21, v13
	ds_load_2addr_b32 v[3:4], v15 offset1:2
	ds_load_u8 v22, v13 offset:2
	s_wait_dscnt 0x2
	v_and_b32_e32 v20, 1, v21
	s_wait_dscnt 0x1
	v_cmp_lt_i32_e64 s2, v3, v4
	s_wait_dscnt 0x0
	v_cmp_ne_u16_e64 s4, v22, v23
	v_cmp_eq_u32_e64 s3, 1, v20
	s_wait_alu 0xf1ff
	s_delay_alu instid0(VALU_DEP_2) | instskip(SKIP_2) | instid1(VALU_DEP_1)
	v_cndmask_b32_e64 v20, 0, 1, s4
	s_and_b32 s2, s2, s3
	s_wait_alu 0xfffe
	v_cndmask_b32_e64 v23, v20, v23, s2
	v_and_b32_e32 v20, 2, v7
	s_delay_alu instid0(VALU_DEP_2) | instskip(NEXT) | instid1(VALU_DEP_2)
	v_and_b32_e32 v23, 1, v23
	v_cmp_ne_u32_e64 s2, 0, v20
	s_delay_alu instid0(VALU_DEP_2)
	v_cmp_eq_u32_e64 s3, 1, v23
	s_and_saveexec_b32 s4, s3
	s_wait_alu 0xfffe
	s_xor_b32 s3, exec_lo, s4
	s_cbranch_execz .LBB16_12
; %bb.11:
	ds_load_2addr_b64 v[23:26], v17 offset1:2
	ds_store_2addr_b32 v15, v4, v3 offset1:2
	s_wait_dscnt 0x1
	ds_store_2addr_b64 v17, v[25:26], v[23:24] offset1:2
	ds_store_b8 v13, v22
	ds_store_b8 v13, v21 offset:2
.LBB16_12:
	s_wait_alu 0xfffe
	s_or_b32 exec_lo, exec_lo, s3
	s_wait_loadcnt_dscnt 0x0
	s_barrier_signal -1
	s_barrier_wait -1
	global_inv scope:SCOPE_SE
	ds_load_u16 v21, v10
	ds_load_b64 v[3:4], v11
	v_lshrrev_b32_e32 v22, 1, v20
	v_cndmask_b32_e64 v24, 0, 1, s2
	s_wait_dscnt 0x1
	v_lshrrev_b16 v20, 8, v21
	v_and_b32_e32 v23, 1, v21
	s_wait_dscnt 0x0
	v_cmp_lt_i32_e64 s2, v3, v4
	s_delay_alu instid0(VALU_DEP_3) | instskip(NEXT) | instid1(VALU_DEP_3)
	v_cmp_ne_u16_e64 s4, v20, v22
	v_cmp_eq_u32_e64 s3, 1, v23
	s_wait_alu 0xf1ff
	s_delay_alu instid0(VALU_DEP_2) | instskip(SKIP_3) | instid1(VALU_DEP_1)
	v_cndmask_b32_e64 v22, 0, 1, s4
	s_and_b32 s2, s2, s3
	s_mov_b32 s3, exec_lo
	s_wait_alu 0xfffe
	v_cndmask_b32_e64 v22, v22, v24, s2
	s_delay_alu instid0(VALU_DEP_1) | instskip(NEXT) | instid1(VALU_DEP_1)
	v_and_b32_e32 v22, 1, v22
	v_cmpx_eq_u32_e32 1, v22
	s_cbranch_execz .LBB16_14
; %bb.13:
	ds_load_b128 v[22:25], v19
	v_mov_b32_e32 v28, v4
	v_lshlrev_b16 v4, 8, v21
	v_mov_b32_e32 v29, v3
	s_delay_alu instid0(VALU_DEP_2)
	v_or_b32_e32 v3, v20, v4
	s_wait_dscnt 0x0
	v_dual_mov_b32 v26, v22 :: v_dual_mov_b32 v27, v23
	ds_store_b128 v19, v[24:27]
	ds_store_b64 v11, v[28:29]
	ds_store_b16 v10, v3
.LBB16_14:
	s_or_b32 exec_lo, exec_lo, s3
	v_and_b32_e32 v3, 3, v7
	s_wait_loadcnt_dscnt 0x0
	s_barrier_signal -1
	s_barrier_wait -1
	global_inv scope:SCOPE_SE
	v_sub_nc_u32_e32 v22, v18, v3
	v_bfe_u32 v25, v7, 2, 1
	s_delay_alu instid0(VALU_DEP_2)
	v_add_nc_u32_e32 v19, v16, v22
	v_lshl_add_u32 v20, v22, 2, v14
	v_lshl_add_u32 v22, v22, 3, v12
	ds_load_u8 v23, v19
	ds_load_2addr_b32 v[3:4], v20 offset1:4
	ds_load_u8 v24, v19 offset:4
	s_wait_dscnt 0x2
	v_and_b32_e32 v21, 1, v23
	s_wait_dscnt 0x1
	v_cmp_lt_i32_e64 s2, v3, v4
	s_wait_dscnt 0x0
	v_cmp_ne_u16_e64 s4, v24, v25
	v_cmp_eq_u32_e64 s3, 1, v21
	s_wait_alu 0xf1ff
	s_delay_alu instid0(VALU_DEP_2) | instskip(SKIP_3) | instid1(VALU_DEP_1)
	v_cndmask_b32_e64 v21, 0, 1, s4
	s_mov_b32 s4, exec_lo
	s_and_b32 s2, s2, s3
	s_wait_alu 0xfffe
	v_cndmask_b32_e64 v25, v21, v25, s2
	v_and_b32_e32 v21, 4, v7
	s_delay_alu instid0(VALU_DEP_2) | instskip(NEXT) | instid1(VALU_DEP_2)
	v_and_b32_e32 v25, 1, v25
	v_cmp_ne_u32_e64 s2, 0, v21
	s_delay_alu instid0(VALU_DEP_2)
	v_cmpx_eq_u32_e32 1, v25
	s_cbranch_execz .LBB16_16
; %bb.15:
	ds_load_2addr_b64 v[25:28], v22 offset1:4
	ds_store_2addr_b32 v20, v4, v3 offset1:4
	s_wait_dscnt 0x1
	ds_store_2addr_b64 v22, v[27:28], v[25:26] offset1:4
	ds_store_b8 v19, v24
	ds_store_b8 v19, v23 offset:4
.LBB16_16:
	s_or_b32 exec_lo, exec_lo, s4
	s_wait_loadcnt_dscnt 0x0
	s_barrier_signal -1
	s_barrier_wait -1
	global_inv scope:SCOPE_SE
	ds_load_u8 v24, v13
	ds_load_2addr_b32 v[3:4], v15 offset1:2
	ds_load_u8 v25, v13 offset:2
	v_lshrrev_b32_e32 v21, 2, v21
	v_cndmask_b32_e64 v23, 0, 1, s2
	s_wait_dscnt 0x2
	v_and_b32_e32 v26, 1, v24
	s_wait_dscnt 0x1
	v_cmp_lt_i32_e64 s2, v3, v4
	s_wait_dscnt 0x0
	v_cmp_ne_u16_e64 s4, v25, v21
	v_cmp_eq_u32_e64 s3, 1, v26
	s_wait_alu 0xf1ff
	s_delay_alu instid0(VALU_DEP_2) | instskip(SKIP_3) | instid1(VALU_DEP_1)
	v_cndmask_b32_e64 v26, 0, 1, s4
	s_and_b32 s2, s2, s3
	s_mov_b32 s3, exec_lo
	s_wait_alu 0xfffe
	v_cndmask_b32_e64 v26, v26, v23, s2
	s_delay_alu instid0(VALU_DEP_1) | instskip(NEXT) | instid1(VALU_DEP_1)
	v_and_b32_e32 v26, 1, v26
	v_cmpx_eq_u32_e32 1, v26
	s_cbranch_execz .LBB16_18
; %bb.17:
	ds_load_2addr_b64 v[26:29], v17 offset1:2
	ds_store_2addr_b32 v15, v4, v3 offset1:2
	s_wait_dscnt 0x1
	ds_store_2addr_b64 v17, v[28:29], v[26:27] offset1:2
	ds_store_b8 v13, v25
	ds_store_b8 v13, v24 offset:2
.LBB16_18:
	s_or_b32 exec_lo, exec_lo, s3
	s_wait_loadcnt_dscnt 0x0
	s_barrier_signal -1
	s_barrier_wait -1
	global_inv scope:SCOPE_SE
	ds_load_u16 v25, v10
	ds_load_b64 v[3:4], v11
	s_wait_dscnt 0x1
	v_lshrrev_b16 v24, 8, v25
	v_and_b32_e32 v26, 1, v25
	s_wait_dscnt 0x0
	v_cmp_lt_i32_e64 s2, v3, v4
	s_delay_alu instid0(VALU_DEP_3) | instskip(NEXT) | instid1(VALU_DEP_3)
	v_cmp_ne_u16_e64 s4, v24, v21
	v_cmp_eq_u32_e64 s3, 1, v26
	s_wait_alu 0xf1ff
	s_delay_alu instid0(VALU_DEP_2) | instskip(SKIP_2) | instid1(VALU_DEP_1)
	v_cndmask_b32_e64 v21, 0, 1, s4
	s_and_b32 s2, s2, s3
	s_wait_alu 0xfffe
	v_cndmask_b32_e64 v21, v21, v23, s2
	s_delay_alu instid0(VALU_DEP_1) | instskip(NEXT) | instid1(VALU_DEP_1)
	v_and_b32_e32 v21, 1, v21
	v_cmp_eq_u32_e64 s2, 1, v21
	v_lshl_add_u32 v21, v18, 3, v12
	s_and_saveexec_b32 s3, s2
	s_cbranch_execz .LBB16_20
; %bb.19:
	ds_load_b128 v[26:29], v21
	v_mov_b32_e32 v32, v4
	v_lshlrev_b16 v4, 8, v25
	v_mov_b32_e32 v33, v3
	s_delay_alu instid0(VALU_DEP_2)
	v_or_b32_e32 v3, v24, v4
	s_wait_dscnt 0x0
	v_dual_mov_b32 v30, v26 :: v_dual_mov_b32 v31, v27
	ds_store_b128 v21, v[28:31]
	ds_store_b64 v11, v[32:33]
	ds_store_b16 v10, v3
.LBB16_20:
	s_wait_alu 0xfffe
	s_or_b32 exec_lo, exec_lo, s3
	v_and_b32_e32 v3, 7, v7
	s_wait_loadcnt_dscnt 0x0
	s_barrier_signal -1
	s_barrier_wait -1
	global_inv scope:SCOPE_SE
	v_sub_nc_u32_e32 v25, v18, v3
	v_bfe_u32 v29, v7, 3, 1
	s_delay_alu instid0(VALU_DEP_2)
	v_add_nc_u32_e32 v23, v16, v25
	v_lshl_add_u32 v24, v25, 2, v14
	v_lshl_add_u32 v25, v25, 3, v12
	ds_load_u8 v27, v23
	ds_load_2addr_b32 v[3:4], v24 offset1:8
	ds_load_u8 v28, v23 offset:8
	s_wait_dscnt 0x2
	v_and_b32_e32 v26, 1, v27
	s_wait_dscnt 0x1
	v_cmp_lt_i32_e64 s2, v3, v4
	s_wait_dscnt 0x0
	v_cmp_ne_u16_e64 s4, v28, v29
	v_cmp_eq_u32_e64 s3, 1, v26
	s_wait_alu 0xf1ff
	s_delay_alu instid0(VALU_DEP_2) | instskip(SKIP_3) | instid1(VALU_DEP_1)
	v_cndmask_b32_e64 v26, 0, 1, s4
	s_mov_b32 s4, exec_lo
	s_and_b32 s2, s2, s3
	s_wait_alu 0xfffe
	v_cndmask_b32_e64 v29, v26, v29, s2
	v_and_b32_e32 v26, 8, v7
	s_delay_alu instid0(VALU_DEP_2) | instskip(NEXT) | instid1(VALU_DEP_2)
	v_and_b32_e32 v29, 1, v29
	v_cmp_ne_u32_e64 s2, 0, v26
	s_delay_alu instid0(VALU_DEP_2)
	v_cmpx_eq_u32_e32 1, v29
	s_cbranch_execz .LBB16_22
; %bb.21:
	ds_load_2addr_b64 v[29:32], v25 offset1:8
	ds_store_2addr_b32 v24, v4, v3 offset1:8
	s_wait_dscnt 0x1
	ds_store_2addr_b64 v25, v[31:32], v[29:30] offset1:8
	ds_store_b8 v23, v28
	ds_store_b8 v23, v27 offset:8
.LBB16_22:
	s_or_b32 exec_lo, exec_lo, s4
	s_wait_loadcnt_dscnt 0x0
	s_barrier_signal -1
	s_barrier_wait -1
	global_inv scope:SCOPE_SE
	ds_load_u8 v28, v19
	ds_load_2addr_b32 v[3:4], v20 offset1:4
	ds_load_u8 v29, v19 offset:4
	v_lshrrev_b32_e32 v26, 3, v26
	v_cndmask_b32_e64 v27, 0, 1, s2
	s_wait_dscnt 0x2
	v_and_b32_e32 v30, 1, v28
	s_wait_dscnt 0x1
	v_cmp_lt_i32_e64 s2, v3, v4
	s_wait_dscnt 0x0
	v_cmp_ne_u16_e64 s4, v29, v26
	v_cmp_eq_u32_e64 s3, 1, v30
	s_wait_alu 0xf1ff
	s_delay_alu instid0(VALU_DEP_2) | instskip(SKIP_3) | instid1(VALU_DEP_1)
	v_cndmask_b32_e64 v30, 0, 1, s4
	s_and_b32 s2, s2, s3
	s_mov_b32 s3, exec_lo
	s_wait_alu 0xfffe
	v_cndmask_b32_e64 v30, v30, v27, s2
	s_delay_alu instid0(VALU_DEP_1) | instskip(NEXT) | instid1(VALU_DEP_1)
	v_and_b32_e32 v30, 1, v30
	v_cmpx_eq_u32_e32 1, v30
	s_cbranch_execz .LBB16_24
; %bb.23:
	ds_load_2addr_b64 v[30:33], v22 offset1:4
	ds_store_2addr_b32 v20, v4, v3 offset1:4
	s_wait_dscnt 0x1
	ds_store_2addr_b64 v22, v[32:33], v[30:31] offset1:4
	ds_store_b8 v19, v29
	ds_store_b8 v19, v28 offset:4
.LBB16_24:
	s_or_b32 exec_lo, exec_lo, s3
	s_wait_loadcnt_dscnt 0x0
	s_barrier_signal -1
	s_barrier_wait -1
	global_inv scope:SCOPE_SE
	ds_load_u8 v28, v13
	ds_load_2addr_b32 v[3:4], v15 offset1:2
	ds_load_u8 v29, v13 offset:2
	s_wait_dscnt 0x2
	v_and_b32_e32 v30, 1, v28
	s_wait_dscnt 0x1
	v_cmp_lt_i32_e64 s2, v3, v4
	s_wait_dscnt 0x0
	v_cmp_ne_u16_e64 s4, v29, v26
	v_cmp_eq_u32_e64 s3, 1, v30
	s_wait_alu 0xf1ff
	s_delay_alu instid0(VALU_DEP_2) | instskip(SKIP_3) | instid1(VALU_DEP_1)
	v_cndmask_b32_e64 v30, 0, 1, s4
	s_and_b32 s2, s2, s3
	s_mov_b32 s3, exec_lo
	s_wait_alu 0xfffe
	v_cndmask_b32_e64 v30, v30, v27, s2
	s_delay_alu instid0(VALU_DEP_1) | instskip(NEXT) | instid1(VALU_DEP_1)
	v_and_b32_e32 v30, 1, v30
	v_cmpx_eq_u32_e32 1, v30
	s_cbranch_execz .LBB16_26
; %bb.25:
	ds_load_2addr_b64 v[30:33], v17 offset1:2
	ds_store_2addr_b32 v15, v4, v3 offset1:2
	s_wait_dscnt 0x1
	ds_store_2addr_b64 v17, v[32:33], v[30:31] offset1:2
	ds_store_b8 v13, v29
	ds_store_b8 v13, v28 offset:2
.LBB16_26:
	s_or_b32 exec_lo, exec_lo, s3
	s_wait_loadcnt_dscnt 0x0
	s_barrier_signal -1
	s_barrier_wait -1
	global_inv scope:SCOPE_SE
	ds_load_u16 v29, v10
	ds_load_b64 v[3:4], v11
	s_wait_dscnt 0x1
	v_lshrrev_b16 v28, 8, v29
	v_and_b32_e32 v30, 1, v29
	s_wait_dscnt 0x0
	v_cmp_lt_i32_e64 s2, v3, v4
	s_delay_alu instid0(VALU_DEP_3) | instskip(NEXT) | instid1(VALU_DEP_3)
	v_cmp_ne_u16_e64 s4, v28, v26
	v_cmp_eq_u32_e64 s3, 1, v30
	s_wait_alu 0xf1ff
	s_delay_alu instid0(VALU_DEP_2) | instskip(SKIP_3) | instid1(VALU_DEP_1)
	v_cndmask_b32_e64 v26, 0, 1, s4
	s_and_b32 s2, s2, s3
	s_mov_b32 s3, exec_lo
	s_wait_alu 0xfffe
	v_cndmask_b32_e64 v26, v26, v27, s2
	s_delay_alu instid0(VALU_DEP_1) | instskip(NEXT) | instid1(VALU_DEP_1)
	v_and_b32_e32 v26, 1, v26
	v_cmpx_eq_u32_e32 1, v26
	s_cbranch_execz .LBB16_28
; %bb.27:
	ds_load_b128 v[30:33], v21
	v_mov_b32_e32 v26, v4
	v_lshlrev_b16 v4, 8, v29
	v_mov_b32_e32 v27, v3
	s_delay_alu instid0(VALU_DEP_2)
	v_or_b32_e32 v3, v28, v4
	s_wait_dscnt 0x0
	v_dual_mov_b32 v34, v30 :: v_dual_mov_b32 v35, v31
	ds_store_b128 v21, v[32:35]
	ds_store_b64 v11, v[26:27]
	ds_store_b16 v10, v3
.LBB16_28:
	s_or_b32 exec_lo, exec_lo, s3
	v_and_b32_e32 v3, 15, v7
	s_wait_loadcnt_dscnt 0x0
	s_barrier_signal -1
	s_barrier_wait -1
	global_inv scope:SCOPE_SE
	v_sub_nc_u32_e32 v18, v18, v3
	s_delay_alu instid0(VALU_DEP_1)
	v_add_nc_u32_e32 v16, v16, v18
	v_lshl_add_u32 v14, v18, 2, v14
	ds_load_u8 v26, v16
	ds_load_u8 v27, v16 offset:16
	ds_load_2addr_b32 v[3:4], v14 offset1:16
	s_wait_dscnt 0x1
	v_and_b32_e32 v27, 0xff, v27
	v_and_b32_e32 v28, 1, v26
	s_wait_dscnt 0x0
	v_cmp_ge_i32_e64 s3, v3, v4
	s_delay_alu instid0(VALU_DEP_3) | instskip(NEXT) | instid1(VALU_DEP_3)
	v_cmp_ne_u16_e64 s4, 0, v27
	v_cmp_eq_u32_e64 s2, 1, v28
	s_xor_b32 s2, s2, -1
	s_wait_alu 0xfffe
	s_or_b32 s2, s3, s2
	s_wait_alu 0xfffe
	s_and_b32 s3, s2, s4
	s_wait_alu 0xfffe
	s_and_saveexec_b32 s2, s3
	s_cbranch_execz .LBB16_30
; %bb.29:
	v_lshl_add_u32 v12, v18, 3, v12
	v_mov_b32_e32 v18, 1
	ds_load_2addr_b64 v[27:30], v12 offset1:16
	ds_store_2addr_b32 v14, v4, v3 offset1:16
	s_wait_dscnt 0x1
	ds_store_2addr_b64 v12, v[29:30], v[27:28] offset1:16
	ds_store_b8 v16, v18
	ds_store_b8 v16, v26 offset:16
.LBB16_30:
	s_wait_alu 0xfffe
	s_or_b32 exec_lo, exec_lo, s2
	s_wait_loadcnt_dscnt 0x0
	s_barrier_signal -1
	s_barrier_wait -1
	global_inv scope:SCOPE_SE
	ds_load_u8 v12, v23
	ds_load_u8 v14, v23 offset:8
	ds_load_2addr_b32 v[3:4], v24 offset1:8
	s_wait_dscnt 0x2
	v_and_b32_e32 v16, 1, v12
	s_wait_dscnt 0x1
	v_and_b32_e32 v14, 0xff, v14
	s_wait_dscnt 0x0
	v_cmp_ge_i32_e64 s3, v3, v4
	v_cmp_eq_u32_e64 s2, 1, v16
	s_delay_alu instid0(VALU_DEP_3)
	v_cmp_ne_u16_e64 s4, 0, v14
	s_xor_b32 s2, s2, -1
	s_wait_alu 0xfffe
	s_or_b32 s2, s3, s2
	s_wait_alu 0xfffe
	s_and_b32 s3, s2, s4
	s_wait_alu 0xfffe
	s_and_saveexec_b32 s2, s3
	s_cbranch_execz .LBB16_32
; %bb.31:
	ds_load_2addr_b64 v[26:29], v25 offset1:8
	v_mov_b32_e32 v14, 1
	ds_store_2addr_b32 v24, v4, v3 offset1:8
	s_wait_dscnt 0x1
	ds_store_2addr_b64 v25, v[28:29], v[26:27] offset1:8
	ds_store_b8 v23, v14
	ds_store_b8 v23, v12 offset:8
.LBB16_32:
	s_wait_alu 0xfffe
	s_or_b32 exec_lo, exec_lo, s2
	s_wait_loadcnt_dscnt 0x0
	s_barrier_signal -1
	s_barrier_wait -1
	global_inv scope:SCOPE_SE
	ds_load_u8 v12, v19
	ds_load_u8 v14, v19 offset:4
	ds_load_2addr_b32 v[3:4], v20 offset1:4
	s_wait_dscnt 0x2
	v_and_b32_e32 v16, 1, v12
	s_wait_dscnt 0x1
	v_and_b32_e32 v14, 0xff, v14
	s_wait_dscnt 0x0
	v_cmp_ge_i32_e64 s3, v3, v4
	v_cmp_eq_u32_e64 s2, 1, v16
	s_delay_alu instid0(VALU_DEP_3)
	v_cmp_ne_u16_e64 s4, 0, v14
	s_xor_b32 s2, s2, -1
	s_wait_alu 0xfffe
	s_or_b32 s2, s3, s2
	s_wait_alu 0xfffe
	s_and_b32 s3, s2, s4
	s_wait_alu 0xfffe
	s_and_saveexec_b32 s2, s3
	s_cbranch_execz .LBB16_34
; %bb.33:
	ds_load_2addr_b64 v[23:26], v22 offset1:4
	v_mov_b32_e32 v14, 1
	ds_store_2addr_b32 v20, v4, v3 offset1:4
	s_wait_dscnt 0x1
	ds_store_2addr_b64 v22, v[25:26], v[23:24] offset1:4
	ds_store_b8 v19, v14
	ds_store_b8 v19, v12 offset:4
.LBB16_34:
	;; [unrolled: 35-line block ×3, first 2 shown]
	s_wait_alu 0xfffe
	s_or_b32 exec_lo, exec_lo, s2
	s_wait_loadcnt_dscnt 0x0
	s_barrier_signal -1
	s_barrier_wait -1
	global_inv scope:SCOPE_SE
	ds_load_u16 v12, v10
	ds_load_b64 v[3:4], v11
	s_wait_dscnt 0x1
	v_and_b32_e32 v13, 1, v12
	v_lshrrev_b16 v14, 8, v12
	s_wait_dscnt 0x0
	v_cmp_ge_i32_e64 s3, v3, v4
	s_delay_alu instid0(VALU_DEP_3) | instskip(NEXT) | instid1(VALU_DEP_3)
	v_cmp_eq_u32_e64 s2, 1, v13
	v_cmp_ne_u16_e64 s4, 0, v14
	s_xor_b32 s2, s2, -1
	s_wait_alu 0xfffe
	s_or_b32 s2, s3, s2
	s_wait_alu 0xfffe
	s_and_b32 s3, s2, s4
	s_wait_alu 0xfffe
	s_and_saveexec_b32 s2, s3
	s_cbranch_execz .LBB16_38
; %bb.37:
	ds_load_b128 v[13:16], v21
	v_mov_b32_e32 v19, v4
	v_lshlrev_b16 v4, 8, v12
	v_mov_b32_e32 v20, v3
	s_delay_alu instid0(VALU_DEP_2)
	v_or_b32_e32 v3, 1, v4
	s_wait_dscnt 0x0
	v_dual_mov_b32 v17, v13 :: v_dual_mov_b32 v18, v14
	ds_store_b128 v21, v[15:18]
	ds_store_b64 v11, v[19:20]
	ds_store_b16 v10, v3
.LBB16_38:
	s_wait_alu 0xfffe
	s_or_b32 exec_lo, exec_lo, s2
	s_wait_loadcnt_dscnt 0x0
	s_barrier_signal -1
	s_barrier_wait -1
	global_inv scope:SCOPE_SE
	s_and_saveexec_b32 s2, s0
	s_cbranch_execz .LBB16_43
; %bb.39:
	s_and_saveexec_b32 s0, vcc_lo
	s_cbranch_execz .LBB16_41
; %bb.40:
	v_mad_co_u64_u32 v[3:4], null, v7, s6, v[2:3]
	v_mov_b32_e32 v4, 0
	v_mad_co_u64_u32 v[10:11], null, v7, s7, v[0:1]
	ds_load_b32 v12, v8
	ds_load_b64 v[7:8], v9
	v_mov_b32_e32 v11, v4
	v_lshlrev_b64_e32 v[3:4], 2, v[3:4]
	s_delay_alu instid0(VALU_DEP_2) | instskip(NEXT) | instid1(VALU_DEP_2)
	v_lshlrev_b64_e32 v[9:10], 3, v[10:11]
	v_add_co_u32 v3, vcc_lo, s8, v3
	s_wait_alu 0xfffd
	s_delay_alu instid0(VALU_DEP_3) | instskip(NEXT) | instid1(VALU_DEP_3)
	v_add_co_ci_u32_e64 v4, null, s9, v4, vcc_lo
	v_add_co_u32 v9, vcc_lo, s10, v9
	s_wait_alu 0xfffd
	v_add_co_ci_u32_e64 v10, null, s11, v10, vcc_lo
	s_wait_dscnt 0x1
	global_store_b32 v[3:4], v12, off
	s_wait_dscnt 0x0
	global_store_b64 v[9:10], v[7:8], off
.LBB16_41:
	s_wait_alu 0xfffe
	s_or_b32 exec_lo, exec_lo, s0
	s_delay_alu instid0(SALU_CYCLE_1)
	s_and_b32 exec_lo, exec_lo, s1
	s_cbranch_execz .LBB16_43
; %bb.42:
	v_mad_co_u64_u32 v[2:3], null, v1, s6, v[2:3]
	v_mov_b32_e32 v3, 0
	v_mad_co_u64_u32 v[0:1], null, v1, s7, v[0:1]
	ds_load_b32 v7, v5
	ds_load_b64 v[4:5], v6
	v_mov_b32_e32 v1, v3
	v_lshlrev_b64_e32 v[2:3], 2, v[2:3]
	s_delay_alu instid0(VALU_DEP_2) | instskip(NEXT) | instid1(VALU_DEP_2)
	v_lshlrev_b64_e32 v[0:1], 3, v[0:1]
	v_add_co_u32 v2, vcc_lo, s8, v2
	s_wait_alu 0xfffd
	s_delay_alu instid0(VALU_DEP_3) | instskip(NEXT) | instid1(VALU_DEP_3)
	v_add_co_ci_u32_e64 v3, null, s9, v3, vcc_lo
	v_add_co_u32 v0, vcc_lo, s10, v0
	s_wait_alu 0xfffd
	v_add_co_ci_u32_e64 v1, null, s11, v1, vcc_lo
	s_wait_dscnt 0x1
	global_store_b32 v[2:3], v7, off
	s_wait_dscnt 0x0
	global_store_b64 v[0:1], v[4:5], off
.LBB16_43:
	s_endpgm
	.section	.rodata,"a",@progbits
	.p2align	6, 0x0
	.amdhsa_kernel _ZN2at6native20bitonicSortKVInPlaceILin2ELin1ELi16ELi16EilNS0_4LTOpIiLb1EEEjEEvNS_4cuda6detail10TensorInfoIT3_T6_EES8_S8_S8_NS6_IT4_S8_EES8_T5_
		.amdhsa_group_segment_fixed_size 6656
		.amdhsa_private_segment_fixed_size 0
		.amdhsa_kernarg_size 712
		.amdhsa_user_sgpr_count 2
		.amdhsa_user_sgpr_dispatch_ptr 0
		.amdhsa_user_sgpr_queue_ptr 0
		.amdhsa_user_sgpr_kernarg_segment_ptr 1
		.amdhsa_user_sgpr_dispatch_id 0
		.amdhsa_user_sgpr_private_segment_size 0
		.amdhsa_wavefront_size32 1
		.amdhsa_uses_dynamic_stack 0
		.amdhsa_enable_private_segment 0
		.amdhsa_system_sgpr_workgroup_id_x 1
		.amdhsa_system_sgpr_workgroup_id_y 1
		.amdhsa_system_sgpr_workgroup_id_z 1
		.amdhsa_system_sgpr_workgroup_info 0
		.amdhsa_system_vgpr_workitem_id 1
		.amdhsa_next_free_vgpr 36
		.amdhsa_next_free_sgpr 16
		.amdhsa_reserve_vcc 1
		.amdhsa_float_round_mode_32 0
		.amdhsa_float_round_mode_16_64 0
		.amdhsa_float_denorm_mode_32 3
		.amdhsa_float_denorm_mode_16_64 3
		.amdhsa_fp16_overflow 0
		.amdhsa_workgroup_processor_mode 1
		.amdhsa_memory_ordered 1
		.amdhsa_forward_progress 1
		.amdhsa_inst_pref_size 36
		.amdhsa_round_robin_scheduling 0
		.amdhsa_exception_fp_ieee_invalid_op 0
		.amdhsa_exception_fp_denorm_src 0
		.amdhsa_exception_fp_ieee_div_zero 0
		.amdhsa_exception_fp_ieee_overflow 0
		.amdhsa_exception_fp_ieee_underflow 0
		.amdhsa_exception_fp_ieee_inexact 0
		.amdhsa_exception_int_div_zero 0
	.end_amdhsa_kernel
	.section	.text._ZN2at6native20bitonicSortKVInPlaceILin2ELin1ELi16ELi16EilNS0_4LTOpIiLb1EEEjEEvNS_4cuda6detail10TensorInfoIT3_T6_EES8_S8_S8_NS6_IT4_S8_EES8_T5_,"axG",@progbits,_ZN2at6native20bitonicSortKVInPlaceILin2ELin1ELi16ELi16EilNS0_4LTOpIiLb1EEEjEEvNS_4cuda6detail10TensorInfoIT3_T6_EES8_S8_S8_NS6_IT4_S8_EES8_T5_,comdat
.Lfunc_end16:
	.size	_ZN2at6native20bitonicSortKVInPlaceILin2ELin1ELi16ELi16EilNS0_4LTOpIiLb1EEEjEEvNS_4cuda6detail10TensorInfoIT3_T6_EES8_S8_S8_NS6_IT4_S8_EES8_T5_, .Lfunc_end16-_ZN2at6native20bitonicSortKVInPlaceILin2ELin1ELi16ELi16EilNS0_4LTOpIiLb1EEEjEEvNS_4cuda6detail10TensorInfoIT3_T6_EES8_S8_S8_NS6_IT4_S8_EES8_T5_
                                        ; -- End function
	.set _ZN2at6native20bitonicSortKVInPlaceILin2ELin1ELi16ELi16EilNS0_4LTOpIiLb1EEEjEEvNS_4cuda6detail10TensorInfoIT3_T6_EES8_S8_S8_NS6_IT4_S8_EES8_T5_.num_vgpr, 36
	.set _ZN2at6native20bitonicSortKVInPlaceILin2ELin1ELi16ELi16EilNS0_4LTOpIiLb1EEEjEEvNS_4cuda6detail10TensorInfoIT3_T6_EES8_S8_S8_NS6_IT4_S8_EES8_T5_.num_agpr, 0
	.set _ZN2at6native20bitonicSortKVInPlaceILin2ELin1ELi16ELi16EilNS0_4LTOpIiLb1EEEjEEvNS_4cuda6detail10TensorInfoIT3_T6_EES8_S8_S8_NS6_IT4_S8_EES8_T5_.numbered_sgpr, 16
	.set _ZN2at6native20bitonicSortKVInPlaceILin2ELin1ELi16ELi16EilNS0_4LTOpIiLb1EEEjEEvNS_4cuda6detail10TensorInfoIT3_T6_EES8_S8_S8_NS6_IT4_S8_EES8_T5_.num_named_barrier, 0
	.set _ZN2at6native20bitonicSortKVInPlaceILin2ELin1ELi16ELi16EilNS0_4LTOpIiLb1EEEjEEvNS_4cuda6detail10TensorInfoIT3_T6_EES8_S8_S8_NS6_IT4_S8_EES8_T5_.private_seg_size, 0
	.set _ZN2at6native20bitonicSortKVInPlaceILin2ELin1ELi16ELi16EilNS0_4LTOpIiLb1EEEjEEvNS_4cuda6detail10TensorInfoIT3_T6_EES8_S8_S8_NS6_IT4_S8_EES8_T5_.uses_vcc, 1
	.set _ZN2at6native20bitonicSortKVInPlaceILin2ELin1ELi16ELi16EilNS0_4LTOpIiLb1EEEjEEvNS_4cuda6detail10TensorInfoIT3_T6_EES8_S8_S8_NS6_IT4_S8_EES8_T5_.uses_flat_scratch, 0
	.set _ZN2at6native20bitonicSortKVInPlaceILin2ELin1ELi16ELi16EilNS0_4LTOpIiLb1EEEjEEvNS_4cuda6detail10TensorInfoIT3_T6_EES8_S8_S8_NS6_IT4_S8_EES8_T5_.has_dyn_sized_stack, 0
	.set _ZN2at6native20bitonicSortKVInPlaceILin2ELin1ELi16ELi16EilNS0_4LTOpIiLb1EEEjEEvNS_4cuda6detail10TensorInfoIT3_T6_EES8_S8_S8_NS6_IT4_S8_EES8_T5_.has_recursion, 0
	.set _ZN2at6native20bitonicSortKVInPlaceILin2ELin1ELi16ELi16EilNS0_4LTOpIiLb1EEEjEEvNS_4cuda6detail10TensorInfoIT3_T6_EES8_S8_S8_NS6_IT4_S8_EES8_T5_.has_indirect_call, 0
	.section	.AMDGPU.csdata,"",@progbits
; Kernel info:
; codeLenInByte = 4504
; TotalNumSgprs: 18
; NumVgprs: 36
; ScratchSize: 0
; MemoryBound: 0
; FloatMode: 240
; IeeeMode: 1
; LDSByteSize: 6656 bytes/workgroup (compile time only)
; SGPRBlocks: 0
; VGPRBlocks: 4
; NumSGPRsForWavesPerEU: 18
; NumVGPRsForWavesPerEU: 36
; Occupancy: 16
; WaveLimiterHint : 1
; COMPUTE_PGM_RSRC2:SCRATCH_EN: 0
; COMPUTE_PGM_RSRC2:USER_SGPR: 2
; COMPUTE_PGM_RSRC2:TRAP_HANDLER: 0
; COMPUTE_PGM_RSRC2:TGID_X_EN: 1
; COMPUTE_PGM_RSRC2:TGID_Y_EN: 1
; COMPUTE_PGM_RSRC2:TGID_Z_EN: 1
; COMPUTE_PGM_RSRC2:TIDIG_COMP_CNT: 1
	.section	.text._ZN2at6native20bitonicSortKVInPlaceILin2ELin1ELi16ELi16EilNS0_4GTOpIiLb1EEEjEEvNS_4cuda6detail10TensorInfoIT3_T6_EES8_S8_S8_NS6_IT4_S8_EES8_T5_,"axG",@progbits,_ZN2at6native20bitonicSortKVInPlaceILin2ELin1ELi16ELi16EilNS0_4GTOpIiLb1EEEjEEvNS_4cuda6detail10TensorInfoIT3_T6_EES8_S8_S8_NS6_IT4_S8_EES8_T5_,comdat
	.protected	_ZN2at6native20bitonicSortKVInPlaceILin2ELin1ELi16ELi16EilNS0_4GTOpIiLb1EEEjEEvNS_4cuda6detail10TensorInfoIT3_T6_EES8_S8_S8_NS6_IT4_S8_EES8_T5_ ; -- Begin function _ZN2at6native20bitonicSortKVInPlaceILin2ELin1ELi16ELi16EilNS0_4GTOpIiLb1EEEjEEvNS_4cuda6detail10TensorInfoIT3_T6_EES8_S8_S8_NS6_IT4_S8_EES8_T5_
	.globl	_ZN2at6native20bitonicSortKVInPlaceILin2ELin1ELi16ELi16EilNS0_4GTOpIiLb1EEEjEEvNS_4cuda6detail10TensorInfoIT3_T6_EES8_S8_S8_NS6_IT4_S8_EES8_T5_
	.p2align	8
	.type	_ZN2at6native20bitonicSortKVInPlaceILin2ELin1ELi16ELi16EilNS0_4GTOpIiLb1EEEjEEvNS_4cuda6detail10TensorInfoIT3_T6_EES8_S8_S8_NS6_IT4_S8_EES8_T5_,@function
_ZN2at6native20bitonicSortKVInPlaceILin2ELin1ELi16ELi16EilNS0_4GTOpIiLb1EEEjEEvNS_4cuda6detail10TensorInfoIT3_T6_EES8_S8_S8_NS6_IT4_S8_EES8_T5_: ; @_ZN2at6native20bitonicSortKVInPlaceILin2ELin1ELi16ELi16EilNS0_4GTOpIiLb1EEEjEEvNS_4cuda6detail10TensorInfoIT3_T6_EES8_S8_S8_NS6_IT4_S8_EES8_T5_
; %bb.0:
	s_clause 0x2
	s_load_b64 s[2:3], s[0:1], 0x1c8
	s_load_u16 s7, s[0:1], 0x1d6
	s_load_b96 s[4:6], s[0:1], 0xd8
	s_lshr_b32 s8, ttmp7, 16
	s_wait_kmcnt 0x0
	s_mul_i32 s3, s3, s8
	s_and_b32 s8, ttmp7, 0xffff
	s_delay_alu instid0(SALU_CYCLE_1) | instskip(NEXT) | instid1(SALU_CYCLE_1)
	s_add_co_i32 s3, s3, s8
	s_mul_i32 s2, s3, s2
	s_delay_alu instid0(SALU_CYCLE_1) | instskip(NEXT) | instid1(SALU_CYCLE_1)
	s_add_co_i32 s2, s2, ttmp9
	s_mul_i32 s2, s2, s7
	s_delay_alu instid0(SALU_CYCLE_1)
	s_cmp_ge_u32 s2, s4
	s_cbranch_scc1 .LBB17_43
; %bb.1:
	s_clause 0x1
	s_load_b32 s7, s[0:1], 0x1b8
	s_load_b64 s[8:9], s[0:1], 0x0
	v_bfe_u32 v8, v0, 10, 10
	s_delay_alu instid0(VALU_DEP_1) | instskip(SKIP_2) | instid1(VALU_DEP_2)
	v_add_nc_u32_e32 v3, s2, v8
	v_mov_b32_e32 v1, 0
	s_add_nc_u64 s[2:3], s[0:1], 0xe8
	v_mov_b32_e32 v4, v3
	s_wait_kmcnt 0x0
	s_cmp_lt_i32 s7, 2
	s_cbranch_scc1 .LBB17_4
; %bb.2:
	s_add_co_i32 s10, s7, -1
	s_mov_b32 s11, 0
	v_dual_mov_b32 v1, 0 :: v_dual_mov_b32 v4, v3
	s_lshl_b64 s[10:11], s[10:11], 2
	s_add_co_i32 s7, s7, 1
	s_wait_alu 0xfffe
	s_add_nc_u64 s[10:11], s[2:3], s[10:11]
	s_delay_alu instid0(SALU_CYCLE_1)
	s_add_nc_u64 s[10:11], s[10:11], 8
.LBB17_3:                               ; =>This Inner Loop Header: Depth=1
	s_clause 0x1
	s_load_b32 s12, s[10:11], 0x0
	s_load_b32 s13, s[10:11], 0x64
	s_add_co_i32 s7, s7, -1
	s_add_nc_u64 s[10:11], s[10:11], -4
	s_wait_kmcnt 0x0
	s_cvt_f32_u32 s14, s12
	s_sub_co_i32 s15, 0, s12
	s_wait_alu 0xfffe
	s_delay_alu instid0(SALU_CYCLE_1) | instskip(NEXT) | instid1(TRANS32_DEP_1)
	v_rcp_iflag_f32_e32 v2, s14
	v_readfirstlane_b32 s14, v2
	v_mov_b32_e32 v2, v4
	s_mul_f32 s14, s14, 0x4f7ffffe
	s_wait_alu 0xfffe
	s_delay_alu instid0(SALU_CYCLE_2) | instskip(SKIP_1) | instid1(SALU_CYCLE_2)
	s_cvt_u32_f32 s14, s14
	s_wait_alu 0xfffe
	s_mul_i32 s15, s15, s14
	s_wait_alu 0xfffe
	s_mul_hi_u32 s15, s14, s15
	s_wait_alu 0xfffe
	s_add_co_i32 s14, s14, s15
	s_cmp_gt_u32 s7, 2
	s_wait_alu 0xfffe
	v_mul_hi_u32 v4, v2, s14
	s_delay_alu instid0(VALU_DEP_1) | instskip(SKIP_1) | instid1(VALU_DEP_2)
	v_mul_lo_u32 v5, v4, s12
	v_add_nc_u32_e32 v6, 1, v4
	v_sub_nc_u32_e32 v5, v2, v5
	s_delay_alu instid0(VALU_DEP_1) | instskip(SKIP_2) | instid1(VALU_DEP_2)
	v_subrev_nc_u32_e32 v7, s12, v5
	v_cmp_le_u32_e32 vcc_lo, s12, v5
	s_wait_alu 0xfffd
	v_dual_cndmask_b32 v4, v4, v6 :: v_dual_cndmask_b32 v5, v5, v7
	s_delay_alu instid0(VALU_DEP_1) | instskip(NEXT) | instid1(VALU_DEP_2)
	v_add_nc_u32_e32 v6, 1, v4
	v_cmp_le_u32_e32 vcc_lo, s12, v5
	s_wait_alu 0xfffd
	s_delay_alu instid0(VALU_DEP_2) | instskip(NEXT) | instid1(VALU_DEP_1)
	v_cndmask_b32_e32 v4, v4, v6, vcc_lo
	v_mul_lo_u32 v5, v4, s12
	s_delay_alu instid0(VALU_DEP_1) | instskip(NEXT) | instid1(VALU_DEP_1)
	v_sub_nc_u32_e32 v2, v2, v5
	v_mad_co_u64_u32 v[1:2], null, s13, v2, v[1:2]
	s_cbranch_scc1 .LBB17_3
.LBB17_4:
	s_load_b32 s13, s[0:1], 0x6c
	s_add_nc_u64 s[10:11], s[0:1], 0x1c8
	s_load_b32 s14, s[2:3], 0x6c
	s_load_b32 s12, s[10:11], 0xc
	s_clause 0x1
	s_load_b32 s7, s[0:1], 0x1c0
	s_load_b64 s[10:11], s[2:3], 0x0
	v_and_b32_e32 v7, 0x3ff, v0
	v_cmp_gt_u32_e64 s0, s4, v3
	v_mov_b32_e32 v5, 0
	v_dual_mov_b32 v6, 0 :: v_dual_mov_b32 v11, 0
	v_mov_b32_e32 v10, 0
	s_wait_kmcnt 0x0
	v_mul_lo_u32 v2, s13, v3
	s_delay_alu instid0(VALU_DEP_1)
	v_mad_co_u64_u32 v[0:1], null, s14, v4, v[1:2]
	v_mov_b32_e32 v3, 0
	v_mov_b32_e32 v4, 0
	v_cmp_gt_u32_e32 vcc_lo, s5, v7
	s_and_b32 s2, s0, vcc_lo
	s_wait_alu 0xfffe
	s_and_saveexec_b32 s3, s2
	s_cbranch_execz .LBB17_6
; %bb.5:
	v_mad_co_u64_u32 v[5:6], null, v7, s6, v[2:3]
	v_mov_b32_e32 v6, 0
	v_mad_co_u64_u32 v[11:12], null, v7, s7, v[0:1]
	s_delay_alu instid0(VALU_DEP_2) | instskip(NEXT) | instid1(VALU_DEP_4)
	v_mov_b32_e32 v12, v6
	v_lshlrev_b64_e32 v[5:6], 2, v[5:6]
	s_delay_alu instid0(VALU_DEP_2) | instskip(NEXT) | instid1(VALU_DEP_2)
	v_lshlrev_b64_e32 v[11:12], 3, v[11:12]
	v_add_co_u32 v5, s1, s8, v5
	s_delay_alu instid0(VALU_DEP_1) | instskip(NEXT) | instid1(VALU_DEP_3)
	v_add_co_ci_u32_e64 v6, null, s9, v6, s1
	v_add_co_u32 v13, s1, s10, v11
	s_wait_alu 0xf1ff
	s_delay_alu instid0(VALU_DEP_4)
	v_add_co_ci_u32_e64 v14, null, s11, v12, s1
	global_load_b32 v11, v[5:6], off
	global_load_b64 v[5:6], v[13:14], off
.LBB17_6:
	s_wait_alu 0xfffe
	s_or_b32 exec_lo, exec_lo, s3
	s_and_b32 s3, 0xffff, s12
	v_lshl_add_u32 v14, v8, 7, 0x1000
	s_wait_alu 0xfffe
	v_add_nc_u32_e32 v1, s3, v7
	v_lshlrev_b32_e32 v12, 8, v8
	v_lshl_add_u32 v16, v8, 5, 0x1800
	v_cndmask_b32_e64 v13, 0, 1, s2
	v_lshl_add_u32 v8, v7, 2, v14
	v_cmp_gt_u32_e64 s1, s5, v1
	v_lshl_add_u32 v9, v7, 3, v12
	v_add_nc_u32_e32 v15, v16, v7
	s_wait_loadcnt 0x1
	ds_store_b32 v8, v11
	s_wait_loadcnt 0x0
	ds_store_b64 v9, v[5:6]
	ds_store_b8 v15, v13
	s_and_b32 s4, s0, s1
	s_wait_alu 0xfffe
	s_and_saveexec_b32 s5, s4
	s_cbranch_execz .LBB17_8
; %bb.7:
	v_mad_co_u64_u32 v[3:4], null, v1, s6, v[2:3]
	v_mov_b32_e32 v4, 0
	v_mad_co_u64_u32 v[5:6], null, v1, s7, v[0:1]
	s_delay_alu instid0(VALU_DEP_2) | instskip(NEXT) | instid1(VALU_DEP_4)
	v_mov_b32_e32 v6, v4
	v_lshlrev_b64_e32 v[3:4], 2, v[3:4]
	s_delay_alu instid0(VALU_DEP_2) | instskip(NEXT) | instid1(VALU_DEP_2)
	v_lshlrev_b64_e32 v[5:6], 3, v[5:6]
	v_add_co_u32 v3, s2, s8, v3
	s_wait_alu 0xf1ff
	s_delay_alu instid0(VALU_DEP_3) | instskip(NEXT) | instid1(VALU_DEP_3)
	v_add_co_ci_u32_e64 v4, null, s9, v4, s2
	v_add_co_u32 v5, s2, s10, v5
	s_wait_alu 0xf1ff
	v_add_co_ci_u32_e64 v6, null, s11, v6, s2
	global_load_b32 v10, v[3:4], off
	global_load_b64 v[3:4], v[5:6], off
.LBB17_8:
	s_wait_alu 0xfffe
	s_or_b32 exec_lo, exec_lo, s5
	v_lshl_add_u32 v5, s3, 2, v8
	v_lshl_add_u32 v6, s3, 3, v9
	v_cndmask_b32_e64 v11, 0, 1, s4
	v_add_nc_u32_e32 v13, v16, v1
	v_lshlrev_b32_e32 v18, 1, v7
	s_wait_loadcnt 0x1
	ds_store_b32 v5, v10
	s_wait_loadcnt 0x0
	ds_store_b64 v6, v[3:4]
	ds_store_b8 v13, v11
	v_lshlrev_b32_e32 v3, 2, v7
	s_wait_dscnt 0x0
	v_add_nc_u32_e32 v10, v16, v18
	s_barrier_signal -1
	s_barrier_wait -1
	v_add_nc_u32_e32 v11, v8, v3
	global_inv scope:SCOPE_SE
	ds_load_u16 v17, v10
	ds_load_b64 v[3:4], v11
	v_and_b32_e32 v13, 1, v7
	s_wait_dscnt 0x1
	v_lshrrev_b16 v15, 8, v17
	v_and_b32_e32 v19, 1, v17
	s_wait_dscnt 0x0
	v_cmp_gt_i32_e64 s2, v3, v4
	s_delay_alu instid0(VALU_DEP_3) | instskip(NEXT) | instid1(VALU_DEP_3)
	v_cmp_ne_u16_e64 s4, v15, v13
	v_cmp_eq_u32_e64 s3, 1, v19
	s_wait_alu 0xf1ff
	s_delay_alu instid0(VALU_DEP_2) | instskip(SKIP_2) | instid1(VALU_DEP_1)
	v_cndmask_b32_e64 v19, 0, 1, s4
	s_and_b32 s2, s2, s3
	s_wait_alu 0xfffe
	v_cndmask_b32_e64 v19, v19, v7, s2
	s_delay_alu instid0(VALU_DEP_1) | instskip(NEXT) | instid1(VALU_DEP_1)
	v_and_b32_e32 v19, 1, v19
	v_cmp_eq_u32_e64 s2, 1, v19
	v_lshl_add_u32 v19, v7, 3, v9
	s_and_saveexec_b32 s3, s2
	s_wait_alu 0xfffe
	s_xor_b32 s2, exec_lo, s3
	s_cbranch_execz .LBB17_10
; %bb.9:
	ds_load_b128 v[20:23], v19
	v_mov_b32_e32 v26, v4
	v_lshlrev_b16 v4, 8, v17
	v_mov_b32_e32 v27, v3
	s_delay_alu instid0(VALU_DEP_2)
	v_or_b32_e32 v3, v15, v4
	s_wait_dscnt 0x0
	v_dual_mov_b32 v24, v20 :: v_dual_mov_b32 v25, v21
	ds_store_b128 v19, v[22:25]
	ds_store_b64 v11, v[26:27]
	ds_store_b16 v10, v3
.LBB17_10:
	s_wait_alu 0xfffe
	s_or_b32 exec_lo, exec_lo, s2
	v_sub_nc_u32_e32 v17, v18, v13
	s_wait_loadcnt_dscnt 0x0
	s_barrier_signal -1
	s_barrier_wait -1
	global_inv scope:SCOPE_SE
	v_add_nc_u32_e32 v13, v16, v17
	v_lshl_add_u32 v15, v17, 2, v14
	v_bfe_u32 v23, v7, 1, 1
	v_lshl_add_u32 v17, v17, 3, v12
	ds_load_u8 v21, v13
	ds_load_2addr_b32 v[3:4], v15 offset1:2
	ds_load_u8 v22, v13 offset:2
	s_wait_dscnt 0x2
	v_and_b32_e32 v20, 1, v21
	s_wait_dscnt 0x1
	v_cmp_gt_i32_e64 s2, v3, v4
	s_wait_dscnt 0x0
	v_cmp_ne_u16_e64 s4, v22, v23
	v_cmp_eq_u32_e64 s3, 1, v20
	s_wait_alu 0xf1ff
	s_delay_alu instid0(VALU_DEP_2) | instskip(SKIP_2) | instid1(VALU_DEP_1)
	v_cndmask_b32_e64 v20, 0, 1, s4
	s_and_b32 s2, s2, s3
	s_wait_alu 0xfffe
	v_cndmask_b32_e64 v23, v20, v23, s2
	v_and_b32_e32 v20, 2, v7
	s_delay_alu instid0(VALU_DEP_2) | instskip(NEXT) | instid1(VALU_DEP_2)
	v_and_b32_e32 v23, 1, v23
	v_cmp_ne_u32_e64 s2, 0, v20
	s_delay_alu instid0(VALU_DEP_2)
	v_cmp_eq_u32_e64 s3, 1, v23
	s_and_saveexec_b32 s4, s3
	s_wait_alu 0xfffe
	s_xor_b32 s3, exec_lo, s4
	s_cbranch_execz .LBB17_12
; %bb.11:
	ds_load_2addr_b64 v[23:26], v17 offset1:2
	ds_store_2addr_b32 v15, v4, v3 offset1:2
	s_wait_dscnt 0x1
	ds_store_2addr_b64 v17, v[25:26], v[23:24] offset1:2
	ds_store_b8 v13, v22
	ds_store_b8 v13, v21 offset:2
.LBB17_12:
	s_wait_alu 0xfffe
	s_or_b32 exec_lo, exec_lo, s3
	s_wait_loadcnt_dscnt 0x0
	s_barrier_signal -1
	s_barrier_wait -1
	global_inv scope:SCOPE_SE
	ds_load_u16 v21, v10
	ds_load_b64 v[3:4], v11
	v_lshrrev_b32_e32 v22, 1, v20
	v_cndmask_b32_e64 v24, 0, 1, s2
	s_wait_dscnt 0x1
	v_lshrrev_b16 v20, 8, v21
	v_and_b32_e32 v23, 1, v21
	s_wait_dscnt 0x0
	v_cmp_gt_i32_e64 s2, v3, v4
	s_delay_alu instid0(VALU_DEP_3) | instskip(NEXT) | instid1(VALU_DEP_3)
	v_cmp_ne_u16_e64 s4, v20, v22
	v_cmp_eq_u32_e64 s3, 1, v23
	s_wait_alu 0xf1ff
	s_delay_alu instid0(VALU_DEP_2) | instskip(SKIP_3) | instid1(VALU_DEP_1)
	v_cndmask_b32_e64 v22, 0, 1, s4
	s_and_b32 s2, s2, s3
	s_mov_b32 s3, exec_lo
	s_wait_alu 0xfffe
	v_cndmask_b32_e64 v22, v22, v24, s2
	s_delay_alu instid0(VALU_DEP_1) | instskip(NEXT) | instid1(VALU_DEP_1)
	v_and_b32_e32 v22, 1, v22
	v_cmpx_eq_u32_e32 1, v22
	s_cbranch_execz .LBB17_14
; %bb.13:
	ds_load_b128 v[22:25], v19
	v_mov_b32_e32 v28, v4
	v_lshlrev_b16 v4, 8, v21
	v_mov_b32_e32 v29, v3
	s_delay_alu instid0(VALU_DEP_2)
	v_or_b32_e32 v3, v20, v4
	s_wait_dscnt 0x0
	v_dual_mov_b32 v26, v22 :: v_dual_mov_b32 v27, v23
	ds_store_b128 v19, v[24:27]
	ds_store_b64 v11, v[28:29]
	ds_store_b16 v10, v3
.LBB17_14:
	s_or_b32 exec_lo, exec_lo, s3
	v_and_b32_e32 v3, 3, v7
	s_wait_loadcnt_dscnt 0x0
	s_barrier_signal -1
	s_barrier_wait -1
	global_inv scope:SCOPE_SE
	v_sub_nc_u32_e32 v22, v18, v3
	v_bfe_u32 v25, v7, 2, 1
	s_delay_alu instid0(VALU_DEP_2)
	v_add_nc_u32_e32 v19, v16, v22
	v_lshl_add_u32 v20, v22, 2, v14
	v_lshl_add_u32 v22, v22, 3, v12
	ds_load_u8 v23, v19
	ds_load_2addr_b32 v[3:4], v20 offset1:4
	ds_load_u8 v24, v19 offset:4
	s_wait_dscnt 0x2
	v_and_b32_e32 v21, 1, v23
	s_wait_dscnt 0x1
	v_cmp_gt_i32_e64 s2, v3, v4
	s_wait_dscnt 0x0
	v_cmp_ne_u16_e64 s4, v24, v25
	v_cmp_eq_u32_e64 s3, 1, v21
	s_wait_alu 0xf1ff
	s_delay_alu instid0(VALU_DEP_2) | instskip(SKIP_3) | instid1(VALU_DEP_1)
	v_cndmask_b32_e64 v21, 0, 1, s4
	s_mov_b32 s4, exec_lo
	s_and_b32 s2, s2, s3
	s_wait_alu 0xfffe
	v_cndmask_b32_e64 v25, v21, v25, s2
	v_and_b32_e32 v21, 4, v7
	s_delay_alu instid0(VALU_DEP_2) | instskip(NEXT) | instid1(VALU_DEP_2)
	v_and_b32_e32 v25, 1, v25
	v_cmp_ne_u32_e64 s2, 0, v21
	s_delay_alu instid0(VALU_DEP_2)
	v_cmpx_eq_u32_e32 1, v25
	s_cbranch_execz .LBB17_16
; %bb.15:
	ds_load_2addr_b64 v[25:28], v22 offset1:4
	ds_store_2addr_b32 v20, v4, v3 offset1:4
	s_wait_dscnt 0x1
	ds_store_2addr_b64 v22, v[27:28], v[25:26] offset1:4
	ds_store_b8 v19, v24
	ds_store_b8 v19, v23 offset:4
.LBB17_16:
	s_or_b32 exec_lo, exec_lo, s4
	s_wait_loadcnt_dscnt 0x0
	s_barrier_signal -1
	s_barrier_wait -1
	global_inv scope:SCOPE_SE
	ds_load_u8 v24, v13
	ds_load_2addr_b32 v[3:4], v15 offset1:2
	ds_load_u8 v25, v13 offset:2
	v_lshrrev_b32_e32 v21, 2, v21
	v_cndmask_b32_e64 v23, 0, 1, s2
	s_wait_dscnt 0x2
	v_and_b32_e32 v26, 1, v24
	s_wait_dscnt 0x1
	v_cmp_gt_i32_e64 s2, v3, v4
	s_wait_dscnt 0x0
	v_cmp_ne_u16_e64 s4, v25, v21
	v_cmp_eq_u32_e64 s3, 1, v26
	s_wait_alu 0xf1ff
	s_delay_alu instid0(VALU_DEP_2) | instskip(SKIP_3) | instid1(VALU_DEP_1)
	v_cndmask_b32_e64 v26, 0, 1, s4
	s_and_b32 s2, s2, s3
	s_mov_b32 s3, exec_lo
	s_wait_alu 0xfffe
	v_cndmask_b32_e64 v26, v26, v23, s2
	s_delay_alu instid0(VALU_DEP_1) | instskip(NEXT) | instid1(VALU_DEP_1)
	v_and_b32_e32 v26, 1, v26
	v_cmpx_eq_u32_e32 1, v26
	s_cbranch_execz .LBB17_18
; %bb.17:
	ds_load_2addr_b64 v[26:29], v17 offset1:2
	ds_store_2addr_b32 v15, v4, v3 offset1:2
	s_wait_dscnt 0x1
	ds_store_2addr_b64 v17, v[28:29], v[26:27] offset1:2
	ds_store_b8 v13, v25
	ds_store_b8 v13, v24 offset:2
.LBB17_18:
	s_or_b32 exec_lo, exec_lo, s3
	s_wait_loadcnt_dscnt 0x0
	s_barrier_signal -1
	s_barrier_wait -1
	global_inv scope:SCOPE_SE
	ds_load_u16 v25, v10
	ds_load_b64 v[3:4], v11
	s_wait_dscnt 0x1
	v_lshrrev_b16 v24, 8, v25
	v_and_b32_e32 v26, 1, v25
	s_wait_dscnt 0x0
	v_cmp_gt_i32_e64 s2, v3, v4
	s_delay_alu instid0(VALU_DEP_3) | instskip(NEXT) | instid1(VALU_DEP_3)
	v_cmp_ne_u16_e64 s4, v24, v21
	v_cmp_eq_u32_e64 s3, 1, v26
	s_wait_alu 0xf1ff
	s_delay_alu instid0(VALU_DEP_2) | instskip(SKIP_2) | instid1(VALU_DEP_1)
	v_cndmask_b32_e64 v21, 0, 1, s4
	s_and_b32 s2, s2, s3
	s_wait_alu 0xfffe
	v_cndmask_b32_e64 v21, v21, v23, s2
	s_delay_alu instid0(VALU_DEP_1) | instskip(NEXT) | instid1(VALU_DEP_1)
	v_and_b32_e32 v21, 1, v21
	v_cmp_eq_u32_e64 s2, 1, v21
	v_lshl_add_u32 v21, v18, 3, v12
	s_and_saveexec_b32 s3, s2
	s_cbranch_execz .LBB17_20
; %bb.19:
	ds_load_b128 v[26:29], v21
	v_mov_b32_e32 v32, v4
	v_lshlrev_b16 v4, 8, v25
	v_mov_b32_e32 v33, v3
	s_delay_alu instid0(VALU_DEP_2)
	v_or_b32_e32 v3, v24, v4
	s_wait_dscnt 0x0
	v_dual_mov_b32 v30, v26 :: v_dual_mov_b32 v31, v27
	ds_store_b128 v21, v[28:31]
	ds_store_b64 v11, v[32:33]
	ds_store_b16 v10, v3
.LBB17_20:
	s_wait_alu 0xfffe
	s_or_b32 exec_lo, exec_lo, s3
	v_and_b32_e32 v3, 7, v7
	s_wait_loadcnt_dscnt 0x0
	s_barrier_signal -1
	s_barrier_wait -1
	global_inv scope:SCOPE_SE
	v_sub_nc_u32_e32 v25, v18, v3
	v_bfe_u32 v29, v7, 3, 1
	s_delay_alu instid0(VALU_DEP_2)
	v_add_nc_u32_e32 v23, v16, v25
	v_lshl_add_u32 v24, v25, 2, v14
	v_lshl_add_u32 v25, v25, 3, v12
	ds_load_u8 v27, v23
	ds_load_2addr_b32 v[3:4], v24 offset1:8
	ds_load_u8 v28, v23 offset:8
	s_wait_dscnt 0x2
	v_and_b32_e32 v26, 1, v27
	s_wait_dscnt 0x1
	v_cmp_gt_i32_e64 s2, v3, v4
	s_wait_dscnt 0x0
	v_cmp_ne_u16_e64 s4, v28, v29
	v_cmp_eq_u32_e64 s3, 1, v26
	s_wait_alu 0xf1ff
	s_delay_alu instid0(VALU_DEP_2) | instskip(SKIP_3) | instid1(VALU_DEP_1)
	v_cndmask_b32_e64 v26, 0, 1, s4
	s_mov_b32 s4, exec_lo
	s_and_b32 s2, s2, s3
	s_wait_alu 0xfffe
	v_cndmask_b32_e64 v29, v26, v29, s2
	v_and_b32_e32 v26, 8, v7
	s_delay_alu instid0(VALU_DEP_2) | instskip(NEXT) | instid1(VALU_DEP_2)
	v_and_b32_e32 v29, 1, v29
	v_cmp_ne_u32_e64 s2, 0, v26
	s_delay_alu instid0(VALU_DEP_2)
	v_cmpx_eq_u32_e32 1, v29
	s_cbranch_execz .LBB17_22
; %bb.21:
	ds_load_2addr_b64 v[29:32], v25 offset1:8
	ds_store_2addr_b32 v24, v4, v3 offset1:8
	s_wait_dscnt 0x1
	ds_store_2addr_b64 v25, v[31:32], v[29:30] offset1:8
	ds_store_b8 v23, v28
	ds_store_b8 v23, v27 offset:8
.LBB17_22:
	s_or_b32 exec_lo, exec_lo, s4
	s_wait_loadcnt_dscnt 0x0
	s_barrier_signal -1
	s_barrier_wait -1
	global_inv scope:SCOPE_SE
	ds_load_u8 v28, v19
	ds_load_2addr_b32 v[3:4], v20 offset1:4
	ds_load_u8 v29, v19 offset:4
	v_lshrrev_b32_e32 v26, 3, v26
	v_cndmask_b32_e64 v27, 0, 1, s2
	s_wait_dscnt 0x2
	v_and_b32_e32 v30, 1, v28
	s_wait_dscnt 0x1
	v_cmp_gt_i32_e64 s2, v3, v4
	s_wait_dscnt 0x0
	v_cmp_ne_u16_e64 s4, v29, v26
	v_cmp_eq_u32_e64 s3, 1, v30
	s_wait_alu 0xf1ff
	s_delay_alu instid0(VALU_DEP_2) | instskip(SKIP_3) | instid1(VALU_DEP_1)
	v_cndmask_b32_e64 v30, 0, 1, s4
	s_and_b32 s2, s2, s3
	s_mov_b32 s3, exec_lo
	s_wait_alu 0xfffe
	v_cndmask_b32_e64 v30, v30, v27, s2
	s_delay_alu instid0(VALU_DEP_1) | instskip(NEXT) | instid1(VALU_DEP_1)
	v_and_b32_e32 v30, 1, v30
	v_cmpx_eq_u32_e32 1, v30
	s_cbranch_execz .LBB17_24
; %bb.23:
	ds_load_2addr_b64 v[30:33], v22 offset1:4
	ds_store_2addr_b32 v20, v4, v3 offset1:4
	s_wait_dscnt 0x1
	ds_store_2addr_b64 v22, v[32:33], v[30:31] offset1:4
	ds_store_b8 v19, v29
	ds_store_b8 v19, v28 offset:4
.LBB17_24:
	s_or_b32 exec_lo, exec_lo, s3
	s_wait_loadcnt_dscnt 0x0
	s_barrier_signal -1
	s_barrier_wait -1
	global_inv scope:SCOPE_SE
	ds_load_u8 v28, v13
	ds_load_2addr_b32 v[3:4], v15 offset1:2
	ds_load_u8 v29, v13 offset:2
	s_wait_dscnt 0x2
	v_and_b32_e32 v30, 1, v28
	s_wait_dscnt 0x1
	v_cmp_gt_i32_e64 s2, v3, v4
	s_wait_dscnt 0x0
	v_cmp_ne_u16_e64 s4, v29, v26
	v_cmp_eq_u32_e64 s3, 1, v30
	s_wait_alu 0xf1ff
	s_delay_alu instid0(VALU_DEP_2) | instskip(SKIP_3) | instid1(VALU_DEP_1)
	v_cndmask_b32_e64 v30, 0, 1, s4
	s_and_b32 s2, s2, s3
	s_mov_b32 s3, exec_lo
	s_wait_alu 0xfffe
	v_cndmask_b32_e64 v30, v30, v27, s2
	s_delay_alu instid0(VALU_DEP_1) | instskip(NEXT) | instid1(VALU_DEP_1)
	v_and_b32_e32 v30, 1, v30
	v_cmpx_eq_u32_e32 1, v30
	s_cbranch_execz .LBB17_26
; %bb.25:
	ds_load_2addr_b64 v[30:33], v17 offset1:2
	ds_store_2addr_b32 v15, v4, v3 offset1:2
	s_wait_dscnt 0x1
	ds_store_2addr_b64 v17, v[32:33], v[30:31] offset1:2
	ds_store_b8 v13, v29
	ds_store_b8 v13, v28 offset:2
.LBB17_26:
	s_or_b32 exec_lo, exec_lo, s3
	s_wait_loadcnt_dscnt 0x0
	s_barrier_signal -1
	s_barrier_wait -1
	global_inv scope:SCOPE_SE
	ds_load_u16 v29, v10
	ds_load_b64 v[3:4], v11
	s_wait_dscnt 0x1
	v_lshrrev_b16 v28, 8, v29
	v_and_b32_e32 v30, 1, v29
	s_wait_dscnt 0x0
	v_cmp_gt_i32_e64 s2, v3, v4
	s_delay_alu instid0(VALU_DEP_3) | instskip(NEXT) | instid1(VALU_DEP_3)
	v_cmp_ne_u16_e64 s4, v28, v26
	v_cmp_eq_u32_e64 s3, 1, v30
	s_wait_alu 0xf1ff
	s_delay_alu instid0(VALU_DEP_2) | instskip(SKIP_3) | instid1(VALU_DEP_1)
	v_cndmask_b32_e64 v26, 0, 1, s4
	s_and_b32 s2, s2, s3
	s_mov_b32 s3, exec_lo
	s_wait_alu 0xfffe
	v_cndmask_b32_e64 v26, v26, v27, s2
	s_delay_alu instid0(VALU_DEP_1) | instskip(NEXT) | instid1(VALU_DEP_1)
	v_and_b32_e32 v26, 1, v26
	v_cmpx_eq_u32_e32 1, v26
	s_cbranch_execz .LBB17_28
; %bb.27:
	ds_load_b128 v[30:33], v21
	v_mov_b32_e32 v26, v4
	v_lshlrev_b16 v4, 8, v29
	v_mov_b32_e32 v27, v3
	s_delay_alu instid0(VALU_DEP_2)
	v_or_b32_e32 v3, v28, v4
	s_wait_dscnt 0x0
	v_dual_mov_b32 v34, v30 :: v_dual_mov_b32 v35, v31
	ds_store_b128 v21, v[32:35]
	ds_store_b64 v11, v[26:27]
	ds_store_b16 v10, v3
.LBB17_28:
	s_or_b32 exec_lo, exec_lo, s3
	v_and_b32_e32 v3, 15, v7
	s_wait_loadcnt_dscnt 0x0
	s_barrier_signal -1
	s_barrier_wait -1
	global_inv scope:SCOPE_SE
	v_sub_nc_u32_e32 v18, v18, v3
	s_delay_alu instid0(VALU_DEP_1)
	v_add_nc_u32_e32 v16, v16, v18
	v_lshl_add_u32 v14, v18, 2, v14
	ds_load_u8 v26, v16
	ds_load_u8 v27, v16 offset:16
	ds_load_2addr_b32 v[3:4], v14 offset1:16
	s_wait_dscnt 0x1
	v_and_b32_e32 v27, 0xff, v27
	v_and_b32_e32 v28, 1, v26
	s_wait_dscnt 0x0
	v_cmp_le_i32_e64 s3, v3, v4
	s_delay_alu instid0(VALU_DEP_3) | instskip(NEXT) | instid1(VALU_DEP_3)
	v_cmp_ne_u16_e64 s4, 0, v27
	v_cmp_eq_u32_e64 s2, 1, v28
	s_xor_b32 s2, s2, -1
	s_wait_alu 0xfffe
	s_or_b32 s2, s3, s2
	s_wait_alu 0xfffe
	s_and_b32 s3, s2, s4
	s_wait_alu 0xfffe
	s_and_saveexec_b32 s2, s3
	s_cbranch_execz .LBB17_30
; %bb.29:
	v_lshl_add_u32 v12, v18, 3, v12
	v_mov_b32_e32 v18, 1
	ds_load_2addr_b64 v[27:30], v12 offset1:16
	ds_store_2addr_b32 v14, v4, v3 offset1:16
	s_wait_dscnt 0x1
	ds_store_2addr_b64 v12, v[29:30], v[27:28] offset1:16
	ds_store_b8 v16, v18
	ds_store_b8 v16, v26 offset:16
.LBB17_30:
	s_wait_alu 0xfffe
	s_or_b32 exec_lo, exec_lo, s2
	s_wait_loadcnt_dscnt 0x0
	s_barrier_signal -1
	s_barrier_wait -1
	global_inv scope:SCOPE_SE
	ds_load_u8 v12, v23
	ds_load_u8 v14, v23 offset:8
	ds_load_2addr_b32 v[3:4], v24 offset1:8
	s_wait_dscnt 0x2
	v_and_b32_e32 v16, 1, v12
	s_wait_dscnt 0x1
	v_and_b32_e32 v14, 0xff, v14
	s_wait_dscnt 0x0
	v_cmp_le_i32_e64 s3, v3, v4
	v_cmp_eq_u32_e64 s2, 1, v16
	s_delay_alu instid0(VALU_DEP_3)
	v_cmp_ne_u16_e64 s4, 0, v14
	s_xor_b32 s2, s2, -1
	s_wait_alu 0xfffe
	s_or_b32 s2, s3, s2
	s_wait_alu 0xfffe
	s_and_b32 s3, s2, s4
	s_wait_alu 0xfffe
	s_and_saveexec_b32 s2, s3
	s_cbranch_execz .LBB17_32
; %bb.31:
	ds_load_2addr_b64 v[26:29], v25 offset1:8
	v_mov_b32_e32 v14, 1
	ds_store_2addr_b32 v24, v4, v3 offset1:8
	s_wait_dscnt 0x1
	ds_store_2addr_b64 v25, v[28:29], v[26:27] offset1:8
	ds_store_b8 v23, v14
	ds_store_b8 v23, v12 offset:8
.LBB17_32:
	s_wait_alu 0xfffe
	s_or_b32 exec_lo, exec_lo, s2
	s_wait_loadcnt_dscnt 0x0
	s_barrier_signal -1
	s_barrier_wait -1
	global_inv scope:SCOPE_SE
	ds_load_u8 v12, v19
	ds_load_u8 v14, v19 offset:4
	ds_load_2addr_b32 v[3:4], v20 offset1:4
	s_wait_dscnt 0x2
	v_and_b32_e32 v16, 1, v12
	s_wait_dscnt 0x1
	v_and_b32_e32 v14, 0xff, v14
	s_wait_dscnt 0x0
	v_cmp_le_i32_e64 s3, v3, v4
	v_cmp_eq_u32_e64 s2, 1, v16
	s_delay_alu instid0(VALU_DEP_3)
	v_cmp_ne_u16_e64 s4, 0, v14
	s_xor_b32 s2, s2, -1
	s_wait_alu 0xfffe
	s_or_b32 s2, s3, s2
	s_wait_alu 0xfffe
	s_and_b32 s3, s2, s4
	s_wait_alu 0xfffe
	s_and_saveexec_b32 s2, s3
	s_cbranch_execz .LBB17_34
; %bb.33:
	ds_load_2addr_b64 v[23:26], v22 offset1:4
	v_mov_b32_e32 v14, 1
	ds_store_2addr_b32 v20, v4, v3 offset1:4
	s_wait_dscnt 0x1
	ds_store_2addr_b64 v22, v[25:26], v[23:24] offset1:4
	ds_store_b8 v19, v14
	ds_store_b8 v19, v12 offset:4
.LBB17_34:
	;; [unrolled: 35-line block ×3, first 2 shown]
	s_wait_alu 0xfffe
	s_or_b32 exec_lo, exec_lo, s2
	s_wait_loadcnt_dscnt 0x0
	s_barrier_signal -1
	s_barrier_wait -1
	global_inv scope:SCOPE_SE
	ds_load_u16 v12, v10
	ds_load_b64 v[3:4], v11
	s_wait_dscnt 0x1
	v_and_b32_e32 v13, 1, v12
	v_lshrrev_b16 v14, 8, v12
	s_wait_dscnt 0x0
	v_cmp_le_i32_e64 s3, v3, v4
	s_delay_alu instid0(VALU_DEP_3) | instskip(NEXT) | instid1(VALU_DEP_3)
	v_cmp_eq_u32_e64 s2, 1, v13
	v_cmp_ne_u16_e64 s4, 0, v14
	s_xor_b32 s2, s2, -1
	s_wait_alu 0xfffe
	s_or_b32 s2, s3, s2
	s_wait_alu 0xfffe
	s_and_b32 s3, s2, s4
	s_wait_alu 0xfffe
	s_and_saveexec_b32 s2, s3
	s_cbranch_execz .LBB17_38
; %bb.37:
	ds_load_b128 v[13:16], v21
	v_mov_b32_e32 v19, v4
	v_lshlrev_b16 v4, 8, v12
	v_mov_b32_e32 v20, v3
	s_delay_alu instid0(VALU_DEP_2)
	v_or_b32_e32 v3, 1, v4
	s_wait_dscnt 0x0
	v_dual_mov_b32 v17, v13 :: v_dual_mov_b32 v18, v14
	ds_store_b128 v21, v[15:18]
	ds_store_b64 v11, v[19:20]
	ds_store_b16 v10, v3
.LBB17_38:
	s_wait_alu 0xfffe
	s_or_b32 exec_lo, exec_lo, s2
	s_wait_loadcnt_dscnt 0x0
	s_barrier_signal -1
	s_barrier_wait -1
	global_inv scope:SCOPE_SE
	s_and_saveexec_b32 s2, s0
	s_cbranch_execz .LBB17_43
; %bb.39:
	s_and_saveexec_b32 s0, vcc_lo
	s_cbranch_execz .LBB17_41
; %bb.40:
	v_mad_co_u64_u32 v[3:4], null, v7, s6, v[2:3]
	v_mov_b32_e32 v4, 0
	v_mad_co_u64_u32 v[10:11], null, v7, s7, v[0:1]
	ds_load_b32 v12, v8
	ds_load_b64 v[7:8], v9
	v_mov_b32_e32 v11, v4
	v_lshlrev_b64_e32 v[3:4], 2, v[3:4]
	s_delay_alu instid0(VALU_DEP_2) | instskip(NEXT) | instid1(VALU_DEP_2)
	v_lshlrev_b64_e32 v[9:10], 3, v[10:11]
	v_add_co_u32 v3, vcc_lo, s8, v3
	s_wait_alu 0xfffd
	s_delay_alu instid0(VALU_DEP_3) | instskip(NEXT) | instid1(VALU_DEP_3)
	v_add_co_ci_u32_e64 v4, null, s9, v4, vcc_lo
	v_add_co_u32 v9, vcc_lo, s10, v9
	s_wait_alu 0xfffd
	v_add_co_ci_u32_e64 v10, null, s11, v10, vcc_lo
	s_wait_dscnt 0x1
	global_store_b32 v[3:4], v12, off
	s_wait_dscnt 0x0
	global_store_b64 v[9:10], v[7:8], off
.LBB17_41:
	s_wait_alu 0xfffe
	s_or_b32 exec_lo, exec_lo, s0
	s_delay_alu instid0(SALU_CYCLE_1)
	s_and_b32 exec_lo, exec_lo, s1
	s_cbranch_execz .LBB17_43
; %bb.42:
	v_mad_co_u64_u32 v[2:3], null, v1, s6, v[2:3]
	v_mov_b32_e32 v3, 0
	v_mad_co_u64_u32 v[0:1], null, v1, s7, v[0:1]
	ds_load_b32 v7, v5
	ds_load_b64 v[4:5], v6
	v_mov_b32_e32 v1, v3
	v_lshlrev_b64_e32 v[2:3], 2, v[2:3]
	s_delay_alu instid0(VALU_DEP_2) | instskip(NEXT) | instid1(VALU_DEP_2)
	v_lshlrev_b64_e32 v[0:1], 3, v[0:1]
	v_add_co_u32 v2, vcc_lo, s8, v2
	s_wait_alu 0xfffd
	s_delay_alu instid0(VALU_DEP_3) | instskip(NEXT) | instid1(VALU_DEP_3)
	v_add_co_ci_u32_e64 v3, null, s9, v3, vcc_lo
	v_add_co_u32 v0, vcc_lo, s10, v0
	s_wait_alu 0xfffd
	v_add_co_ci_u32_e64 v1, null, s11, v1, vcc_lo
	s_wait_dscnt 0x1
	global_store_b32 v[2:3], v7, off
	s_wait_dscnt 0x0
	global_store_b64 v[0:1], v[4:5], off
.LBB17_43:
	s_endpgm
	.section	.rodata,"a",@progbits
	.p2align	6, 0x0
	.amdhsa_kernel _ZN2at6native20bitonicSortKVInPlaceILin2ELin1ELi16ELi16EilNS0_4GTOpIiLb1EEEjEEvNS_4cuda6detail10TensorInfoIT3_T6_EES8_S8_S8_NS6_IT4_S8_EES8_T5_
		.amdhsa_group_segment_fixed_size 6656
		.amdhsa_private_segment_fixed_size 0
		.amdhsa_kernarg_size 712
		.amdhsa_user_sgpr_count 2
		.amdhsa_user_sgpr_dispatch_ptr 0
		.amdhsa_user_sgpr_queue_ptr 0
		.amdhsa_user_sgpr_kernarg_segment_ptr 1
		.amdhsa_user_sgpr_dispatch_id 0
		.amdhsa_user_sgpr_private_segment_size 0
		.amdhsa_wavefront_size32 1
		.amdhsa_uses_dynamic_stack 0
		.amdhsa_enable_private_segment 0
		.amdhsa_system_sgpr_workgroup_id_x 1
		.amdhsa_system_sgpr_workgroup_id_y 1
		.amdhsa_system_sgpr_workgroup_id_z 1
		.amdhsa_system_sgpr_workgroup_info 0
		.amdhsa_system_vgpr_workitem_id 1
		.amdhsa_next_free_vgpr 36
		.amdhsa_next_free_sgpr 16
		.amdhsa_reserve_vcc 1
		.amdhsa_float_round_mode_32 0
		.amdhsa_float_round_mode_16_64 0
		.amdhsa_float_denorm_mode_32 3
		.amdhsa_float_denorm_mode_16_64 3
		.amdhsa_fp16_overflow 0
		.amdhsa_workgroup_processor_mode 1
		.amdhsa_memory_ordered 1
		.amdhsa_forward_progress 1
		.amdhsa_inst_pref_size 36
		.amdhsa_round_robin_scheduling 0
		.amdhsa_exception_fp_ieee_invalid_op 0
		.amdhsa_exception_fp_denorm_src 0
		.amdhsa_exception_fp_ieee_div_zero 0
		.amdhsa_exception_fp_ieee_overflow 0
		.amdhsa_exception_fp_ieee_underflow 0
		.amdhsa_exception_fp_ieee_inexact 0
		.amdhsa_exception_int_div_zero 0
	.end_amdhsa_kernel
	.section	.text._ZN2at6native20bitonicSortKVInPlaceILin2ELin1ELi16ELi16EilNS0_4GTOpIiLb1EEEjEEvNS_4cuda6detail10TensorInfoIT3_T6_EES8_S8_S8_NS6_IT4_S8_EES8_T5_,"axG",@progbits,_ZN2at6native20bitonicSortKVInPlaceILin2ELin1ELi16ELi16EilNS0_4GTOpIiLb1EEEjEEvNS_4cuda6detail10TensorInfoIT3_T6_EES8_S8_S8_NS6_IT4_S8_EES8_T5_,comdat
.Lfunc_end17:
	.size	_ZN2at6native20bitonicSortKVInPlaceILin2ELin1ELi16ELi16EilNS0_4GTOpIiLb1EEEjEEvNS_4cuda6detail10TensorInfoIT3_T6_EES8_S8_S8_NS6_IT4_S8_EES8_T5_, .Lfunc_end17-_ZN2at6native20bitonicSortKVInPlaceILin2ELin1ELi16ELi16EilNS0_4GTOpIiLb1EEEjEEvNS_4cuda6detail10TensorInfoIT3_T6_EES8_S8_S8_NS6_IT4_S8_EES8_T5_
                                        ; -- End function
	.set _ZN2at6native20bitonicSortKVInPlaceILin2ELin1ELi16ELi16EilNS0_4GTOpIiLb1EEEjEEvNS_4cuda6detail10TensorInfoIT3_T6_EES8_S8_S8_NS6_IT4_S8_EES8_T5_.num_vgpr, 36
	.set _ZN2at6native20bitonicSortKVInPlaceILin2ELin1ELi16ELi16EilNS0_4GTOpIiLb1EEEjEEvNS_4cuda6detail10TensorInfoIT3_T6_EES8_S8_S8_NS6_IT4_S8_EES8_T5_.num_agpr, 0
	.set _ZN2at6native20bitonicSortKVInPlaceILin2ELin1ELi16ELi16EilNS0_4GTOpIiLb1EEEjEEvNS_4cuda6detail10TensorInfoIT3_T6_EES8_S8_S8_NS6_IT4_S8_EES8_T5_.numbered_sgpr, 16
	.set _ZN2at6native20bitonicSortKVInPlaceILin2ELin1ELi16ELi16EilNS0_4GTOpIiLb1EEEjEEvNS_4cuda6detail10TensorInfoIT3_T6_EES8_S8_S8_NS6_IT4_S8_EES8_T5_.num_named_barrier, 0
	.set _ZN2at6native20bitonicSortKVInPlaceILin2ELin1ELi16ELi16EilNS0_4GTOpIiLb1EEEjEEvNS_4cuda6detail10TensorInfoIT3_T6_EES8_S8_S8_NS6_IT4_S8_EES8_T5_.private_seg_size, 0
	.set _ZN2at6native20bitonicSortKVInPlaceILin2ELin1ELi16ELi16EilNS0_4GTOpIiLb1EEEjEEvNS_4cuda6detail10TensorInfoIT3_T6_EES8_S8_S8_NS6_IT4_S8_EES8_T5_.uses_vcc, 1
	.set _ZN2at6native20bitonicSortKVInPlaceILin2ELin1ELi16ELi16EilNS0_4GTOpIiLb1EEEjEEvNS_4cuda6detail10TensorInfoIT3_T6_EES8_S8_S8_NS6_IT4_S8_EES8_T5_.uses_flat_scratch, 0
	.set _ZN2at6native20bitonicSortKVInPlaceILin2ELin1ELi16ELi16EilNS0_4GTOpIiLb1EEEjEEvNS_4cuda6detail10TensorInfoIT3_T6_EES8_S8_S8_NS6_IT4_S8_EES8_T5_.has_dyn_sized_stack, 0
	.set _ZN2at6native20bitonicSortKVInPlaceILin2ELin1ELi16ELi16EilNS0_4GTOpIiLb1EEEjEEvNS_4cuda6detail10TensorInfoIT3_T6_EES8_S8_S8_NS6_IT4_S8_EES8_T5_.has_recursion, 0
	.set _ZN2at6native20bitonicSortKVInPlaceILin2ELin1ELi16ELi16EilNS0_4GTOpIiLb1EEEjEEvNS_4cuda6detail10TensorInfoIT3_T6_EES8_S8_S8_NS6_IT4_S8_EES8_T5_.has_indirect_call, 0
	.section	.AMDGPU.csdata,"",@progbits
; Kernel info:
; codeLenInByte = 4504
; TotalNumSgprs: 18
; NumVgprs: 36
; ScratchSize: 0
; MemoryBound: 0
; FloatMode: 240
; IeeeMode: 1
; LDSByteSize: 6656 bytes/workgroup (compile time only)
; SGPRBlocks: 0
; VGPRBlocks: 4
; NumSGPRsForWavesPerEU: 18
; NumVGPRsForWavesPerEU: 36
; Occupancy: 16
; WaveLimiterHint : 1
; COMPUTE_PGM_RSRC2:SCRATCH_EN: 0
; COMPUTE_PGM_RSRC2:USER_SGPR: 2
; COMPUTE_PGM_RSRC2:TRAP_HANDLER: 0
; COMPUTE_PGM_RSRC2:TGID_X_EN: 1
; COMPUTE_PGM_RSRC2:TGID_Y_EN: 1
; COMPUTE_PGM_RSRC2:TGID_Z_EN: 1
; COMPUTE_PGM_RSRC2:TIDIG_COMP_CNT: 1
	.section	.text._ZN2at6native20bitonicSortKVInPlaceILi2ELin1ELi16ELi16EilNS0_4LTOpIiLb1EEEjEEvNS_4cuda6detail10TensorInfoIT3_T6_EES8_S8_S8_NS6_IT4_S8_EES8_T5_,"axG",@progbits,_ZN2at6native20bitonicSortKVInPlaceILi2ELin1ELi16ELi16EilNS0_4LTOpIiLb1EEEjEEvNS_4cuda6detail10TensorInfoIT3_T6_EES8_S8_S8_NS6_IT4_S8_EES8_T5_,comdat
	.protected	_ZN2at6native20bitonicSortKVInPlaceILi2ELin1ELi16ELi16EilNS0_4LTOpIiLb1EEEjEEvNS_4cuda6detail10TensorInfoIT3_T6_EES8_S8_S8_NS6_IT4_S8_EES8_T5_ ; -- Begin function _ZN2at6native20bitonicSortKVInPlaceILi2ELin1ELi16ELi16EilNS0_4LTOpIiLb1EEEjEEvNS_4cuda6detail10TensorInfoIT3_T6_EES8_S8_S8_NS6_IT4_S8_EES8_T5_
	.globl	_ZN2at6native20bitonicSortKVInPlaceILi2ELin1ELi16ELi16EilNS0_4LTOpIiLb1EEEjEEvNS_4cuda6detail10TensorInfoIT3_T6_EES8_S8_S8_NS6_IT4_S8_EES8_T5_
	.p2align	8
	.type	_ZN2at6native20bitonicSortKVInPlaceILi2ELin1ELi16ELi16EilNS0_4LTOpIiLb1EEEjEEvNS_4cuda6detail10TensorInfoIT3_T6_EES8_S8_S8_NS6_IT4_S8_EES8_T5_,@function
_ZN2at6native20bitonicSortKVInPlaceILi2ELin1ELi16ELi16EilNS0_4LTOpIiLb1EEEjEEvNS_4cuda6detail10TensorInfoIT3_T6_EES8_S8_S8_NS6_IT4_S8_EES8_T5_: ; @_ZN2at6native20bitonicSortKVInPlaceILi2ELin1ELi16ELi16EilNS0_4LTOpIiLb1EEEjEEvNS_4cuda6detail10TensorInfoIT3_T6_EES8_S8_S8_NS6_IT4_S8_EES8_T5_
; %bb.0:
	s_clause 0x2
	s_load_b64 s[2:3], s[0:1], 0x1c8
	s_load_u16 s7, s[0:1], 0x1d6
	s_load_b96 s[4:6], s[0:1], 0xd8
	s_lshr_b32 s8, ttmp7, 16
	s_wait_kmcnt 0x0
	s_mul_i32 s3, s3, s8
	s_and_b32 s8, ttmp7, 0xffff
	s_delay_alu instid0(SALU_CYCLE_1) | instskip(NEXT) | instid1(SALU_CYCLE_1)
	s_add_co_i32 s3, s3, s8
	s_mul_i32 s2, s3, s2
	s_delay_alu instid0(SALU_CYCLE_1) | instskip(NEXT) | instid1(SALU_CYCLE_1)
	s_add_co_i32 s10, s2, ttmp9
	s_mul_i32 s10, s10, s7
	s_delay_alu instid0(SALU_CYCLE_1)
	s_cmp_ge_u32 s10, s4
	s_cbranch_scc1 .LBB18_44
; %bb.1:
	s_clause 0x2
	s_load_b32 s7, s[0:1], 0xc
	s_load_b64 s[2:3], s[0:1], 0x6c
	s_load_b32 s14, s[0:1], 0x1b8
	v_bfe_u32 v8, v0, 10, 10
	s_mov_b32 s13, 0
	s_delay_alu instid0(VALU_DEP_1) | instskip(SKIP_3) | instid1(SALU_CYCLE_2)
	v_add_nc_u32_e32 v4, s10, v8
	s_wait_kmcnt 0x0
	s_cvt_f32_u32 s8, s7
	s_sub_co_i32 s12, 0, s7
	v_rcp_iflag_f32_e32 v1, s8
	s_delay_alu instid0(TRANS32_DEP_1) | instskip(SKIP_3) | instid1(SALU_CYCLE_2)
	v_readfirstlane_b32 s8, v1
	v_mov_b32_e32 v1, 0
	s_mul_f32 s11, s8, 0x4f7ffffe
	s_load_b64 s[8:9], s[0:1], 0x0
	s_cvt_u32_f32 s11, s11
	s_wait_alu 0xfffe
	s_delay_alu instid0(SALU_CYCLE_2) | instskip(NEXT) | instid1(SALU_CYCLE_1)
	s_mul_i32 s12, s12, s11
	s_mul_hi_u32 s10, s11, s12
	s_wait_alu 0xfffe
	s_add_co_i32 s11, s11, s10
	s_cmp_lt_i32 s14, 2
	s_wait_alu 0xfffe
	v_mad_co_u64_u32 v[2:3], null, v4, s11, 0
	s_add_nc_u64 s[10:11], s[0:1], 0xe8
	s_cbranch_scc1 .LBB18_4
; %bb.2:
	s_add_co_i32 s12, s14, -1
	v_mov_b32_e32 v1, 0
	s_lshl_b64 s[12:13], s[12:13], 2
	v_mov_b32_e32 v5, v4
	s_wait_alu 0xfffe
	s_add_nc_u64 s[12:13], s[10:11], s[12:13]
	s_add_co_i32 s14, s14, 1
	s_add_nc_u64 s[12:13], s[12:13], 8
.LBB18_3:                               ; =>This Inner Loop Header: Depth=1
	s_clause 0x1
	s_load_b32 s15, s[12:13], 0x0
	s_load_b32 s16, s[12:13], 0x64
	s_add_co_i32 s14, s14, -1
	s_add_nc_u64 s[12:13], s[12:13], -4
	s_wait_kmcnt 0x0
	s_cvt_f32_u32 s17, s15
	s_sub_co_i32 s18, 0, s15
	s_wait_alu 0xfffe
	s_delay_alu instid0(SALU_CYCLE_1) | instskip(NEXT) | instid1(TRANS32_DEP_1)
	v_rcp_iflag_f32_e32 v2, s17
	v_readfirstlane_b32 s17, v2
	v_mov_b32_e32 v2, v5
	s_mul_f32 s17, s17, 0x4f7ffffe
	s_wait_alu 0xfffe
	s_delay_alu instid0(SALU_CYCLE_2) | instskip(SKIP_1) | instid1(SALU_CYCLE_2)
	s_cvt_u32_f32 s17, s17
	s_wait_alu 0xfffe
	s_mul_i32 s18, s18, s17
	s_delay_alu instid0(SALU_CYCLE_1) | instskip(NEXT) | instid1(SALU_CYCLE_1)
	s_mul_hi_u32 s18, s17, s18
	s_add_co_i32 s17, s17, s18
	s_cmp_gt_u32 s14, 2
	s_wait_alu 0xfffe
	v_mul_hi_u32 v5, v2, s17
	s_delay_alu instid0(VALU_DEP_1) | instskip(SKIP_1) | instid1(VALU_DEP_2)
	v_mul_lo_u32 v6, v5, s15
	v_add_nc_u32_e32 v7, 1, v5
	v_sub_nc_u32_e32 v6, v2, v6
	s_delay_alu instid0(VALU_DEP_1) | instskip(SKIP_2) | instid1(VALU_DEP_2)
	v_subrev_nc_u32_e32 v9, s15, v6
	v_cmp_le_u32_e32 vcc_lo, s15, v6
	s_wait_alu 0xfffd
	v_dual_cndmask_b32 v5, v5, v7 :: v_dual_cndmask_b32 v6, v6, v9
	s_delay_alu instid0(VALU_DEP_1) | instskip(NEXT) | instid1(VALU_DEP_2)
	v_add_nc_u32_e32 v7, 1, v5
	v_cmp_le_u32_e32 vcc_lo, s15, v6
	s_wait_alu 0xfffd
	s_delay_alu instid0(VALU_DEP_2) | instskip(NEXT) | instid1(VALU_DEP_1)
	v_cndmask_b32_e32 v5, v5, v7, vcc_lo
	v_mul_lo_u32 v6, v5, s15
	s_delay_alu instid0(VALU_DEP_1) | instskip(NEXT) | instid1(VALU_DEP_1)
	v_sub_nc_u32_e32 v2, v2, v6
	v_mad_co_u64_u32 v[1:2], null, s16, v2, v[1:2]
	s_cbranch_scc1 .LBB18_3
	s_branch .LBB18_5
.LBB18_4:
	v_mov_b32_e32 v5, v4
.LBB18_5:
	v_mul_lo_u32 v2, v3, s7
	v_add_nc_u32_e32 v6, 1, v3
	s_load_b32 s14, s[10:11], 0x6c
	s_add_nc_u64 s[12:13], s[0:1], 0x1c8
	v_mov_b32_e32 v10, 0
	s_load_b32 s12, s[12:13], 0xc
	v_mov_b32_e32 v11, 0
	s_delay_alu instid0(VALU_DEP_4) | instskip(NEXT) | instid1(VALU_DEP_1)
	v_sub_nc_u32_e32 v2, v4, v2
	v_subrev_nc_u32_e32 v7, s7, v2
	v_cmp_le_u32_e32 vcc_lo, s7, v2
	s_wait_alu 0xfffd
	s_delay_alu instid0(VALU_DEP_2) | instskip(NEXT) | instid1(VALU_DEP_1)
	v_dual_cndmask_b32 v3, v3, v6 :: v_dual_cndmask_b32 v2, v2, v7
	v_add_nc_u32_e32 v6, 1, v3
	s_delay_alu instid0(VALU_DEP_2) | instskip(SKIP_1) | instid1(VALU_DEP_2)
	v_cmp_le_u32_e32 vcc_lo, s7, v2
	s_wait_alu 0xfffd
	v_dual_cndmask_b32 v3, v3, v6 :: v_dual_and_b32 v6, 0x3ff, v0
	s_delay_alu instid0(VALU_DEP_1)
	v_mul_lo_u32 v2, v3, s7
	s_clause 0x1
	s_load_b32 s7, s[0:1], 0x1c0
	s_load_b64 s[10:11], s[10:11], 0x0
	v_cmp_gt_u32_e64 s0, s4, v4
	v_cmp_gt_u32_e32 vcc_lo, s5, v6
	s_delay_alu instid0(VALU_DEP_3) | instskip(NEXT) | instid1(VALU_DEP_1)
	v_sub_nc_u32_e32 v2, v4, v2
	v_mul_lo_u32 v2, v2, s3
	s_wait_kmcnt 0x0
	s_delay_alu instid0(VALU_DEP_1)
	v_mad_co_u64_u32 v[0:1], null, s14, v5, v[1:2]
	v_mad_co_u64_u32 v[1:2], null, v3, s2, v[2:3]
	v_mov_b32_e32 v2, 0
	v_dual_mov_b32 v4, 0 :: v_dual_mov_b32 v3, 0
	v_mov_b32_e32 v5, 0
	s_and_b32 s2, s0, vcc_lo
	s_wait_alu 0xfffe
	s_and_saveexec_b32 s3, s2
	s_cbranch_execz .LBB18_7
; %bb.6:
	v_mad_co_u64_u32 v[4:5], null, v6, s6, v[1:2]
	v_mov_b32_e32 v5, 0
	v_mad_co_u64_u32 v[11:12], null, v6, s7, v[0:1]
	s_delay_alu instid0(VALU_DEP_2) | instskip(NEXT) | instid1(VALU_DEP_4)
	v_mov_b32_e32 v12, v5
	v_lshlrev_b64_e32 v[4:5], 2, v[4:5]
	s_delay_alu instid0(VALU_DEP_2) | instskip(NEXT) | instid1(VALU_DEP_2)
	v_lshlrev_b64_e32 v[11:12], 3, v[11:12]
	v_add_co_u32 v4, s1, s8, v4
	s_delay_alu instid0(VALU_DEP_1) | instskip(NEXT) | instid1(VALU_DEP_3)
	v_add_co_ci_u32_e64 v5, null, s9, v5, s1
	v_add_co_u32 v13, s1, s10, v11
	s_wait_alu 0xf1ff
	s_delay_alu instid0(VALU_DEP_4)
	v_add_co_ci_u32_e64 v14, null, s11, v12, s1
	global_load_b32 v11, v[4:5], off
	global_load_b64 v[4:5], v[13:14], off
.LBB18_7:
	s_wait_alu 0xfffe
	s_or_b32 exec_lo, exec_lo, s3
	s_and_b32 s3, 0xffff, s12
	v_lshl_add_u32 v14, v8, 7, 0x1000
	s_wait_alu 0xfffe
	v_add_nc_u32_e32 v7, s3, v6
	v_lshlrev_b32_e32 v12, 8, v8
	v_lshl_add_u32 v16, v8, 5, 0x1800
	v_cndmask_b32_e64 v13, 0, 1, s2
	v_lshl_add_u32 v8, v6, 2, v14
	v_cmp_gt_u32_e64 s1, s5, v7
	v_lshl_add_u32 v9, v6, 3, v12
	v_add_nc_u32_e32 v15, v16, v6
	s_wait_loadcnt 0x1
	ds_store_b32 v8, v11
	s_wait_loadcnt 0x0
	ds_store_b64 v9, v[4:5]
	ds_store_b8 v15, v13
	s_and_b32 s4, s0, s1
	s_wait_alu 0xfffe
	s_and_saveexec_b32 s5, s4
	s_cbranch_execz .LBB18_9
; %bb.8:
	v_mad_co_u64_u32 v[2:3], null, v7, s6, v[1:2]
	v_mov_b32_e32 v3, 0
	v_mad_co_u64_u32 v[4:5], null, v7, s7, v[0:1]
	s_delay_alu instid0(VALU_DEP_2) | instskip(NEXT) | instid1(VALU_DEP_4)
	v_mov_b32_e32 v5, v3
	v_lshlrev_b64_e32 v[2:3], 2, v[2:3]
	s_delay_alu instid0(VALU_DEP_2) | instskip(NEXT) | instid1(VALU_DEP_2)
	v_lshlrev_b64_e32 v[4:5], 3, v[4:5]
	v_add_co_u32 v2, s2, s8, v2
	s_wait_alu 0xf1ff
	s_delay_alu instid0(VALU_DEP_3) | instskip(NEXT) | instid1(VALU_DEP_3)
	v_add_co_ci_u32_e64 v3, null, s9, v3, s2
	v_add_co_u32 v4, s2, s10, v4
	s_wait_alu 0xf1ff
	v_add_co_ci_u32_e64 v5, null, s11, v5, s2
	global_load_b32 v10, v[2:3], off
	global_load_b64 v[2:3], v[4:5], off
.LBB18_9:
	s_wait_alu 0xfffe
	s_or_b32 exec_lo, exec_lo, s5
	v_lshl_add_u32 v4, s3, 2, v8
	v_lshl_add_u32 v5, s3, 3, v9
	v_cndmask_b32_e64 v11, 0, 1, s4
	v_add_nc_u32_e32 v13, v16, v7
	v_lshlrev_b32_e32 v18, 1, v6
	s_wait_loadcnt 0x1
	ds_store_b32 v4, v10
	s_wait_loadcnt 0x0
	ds_store_b64 v5, v[2:3]
	ds_store_b8 v13, v11
	v_lshlrev_b32_e32 v2, 2, v6
	s_wait_dscnt 0x0
	v_add_nc_u32_e32 v10, v16, v18
	s_barrier_signal -1
	s_barrier_wait -1
	v_add_nc_u32_e32 v11, v8, v2
	global_inv scope:SCOPE_SE
	ds_load_u16 v17, v10
	ds_load_b64 v[2:3], v11
	v_and_b32_e32 v13, 1, v6
	s_wait_dscnt 0x1
	v_lshrrev_b16 v15, 8, v17
	v_and_b32_e32 v19, 1, v17
	s_wait_dscnt 0x0
	v_cmp_lt_i32_e64 s2, v2, v3
	s_delay_alu instid0(VALU_DEP_3) | instskip(NEXT) | instid1(VALU_DEP_3)
	v_cmp_ne_u16_e64 s4, v15, v13
	v_cmp_eq_u32_e64 s3, 1, v19
	s_wait_alu 0xf1ff
	s_delay_alu instid0(VALU_DEP_2) | instskip(SKIP_2) | instid1(VALU_DEP_1)
	v_cndmask_b32_e64 v19, 0, 1, s4
	s_and_b32 s2, s2, s3
	s_wait_alu 0xfffe
	v_cndmask_b32_e64 v19, v19, v6, s2
	s_delay_alu instid0(VALU_DEP_1) | instskip(NEXT) | instid1(VALU_DEP_1)
	v_and_b32_e32 v19, 1, v19
	v_cmp_eq_u32_e64 s2, 1, v19
	v_lshl_add_u32 v19, v6, 3, v9
	s_and_saveexec_b32 s3, s2
	s_wait_alu 0xfffe
	s_xor_b32 s2, exec_lo, s3
	s_cbranch_execz .LBB18_11
; %bb.10:
	ds_load_b128 v[20:23], v19
	v_mov_b32_e32 v26, v3
	v_lshlrev_b16 v3, 8, v17
	v_mov_b32_e32 v27, v2
	s_delay_alu instid0(VALU_DEP_2)
	v_or_b32_e32 v2, v15, v3
	s_wait_dscnt 0x0
	v_dual_mov_b32 v24, v20 :: v_dual_mov_b32 v25, v21
	ds_store_b128 v19, v[22:25]
	ds_store_b64 v11, v[26:27]
	ds_store_b16 v10, v2
.LBB18_11:
	s_wait_alu 0xfffe
	s_or_b32 exec_lo, exec_lo, s2
	v_sub_nc_u32_e32 v17, v18, v13
	s_wait_loadcnt_dscnt 0x0
	s_barrier_signal -1
	s_barrier_wait -1
	global_inv scope:SCOPE_SE
	v_add_nc_u32_e32 v13, v16, v17
	v_lshl_add_u32 v15, v17, 2, v14
	v_bfe_u32 v23, v6, 1, 1
	v_lshl_add_u32 v17, v17, 3, v12
	ds_load_u8 v21, v13
	ds_load_2addr_b32 v[2:3], v15 offset1:2
	ds_load_u8 v22, v13 offset:2
	s_wait_dscnt 0x2
	v_and_b32_e32 v20, 1, v21
	s_wait_dscnt 0x1
	v_cmp_lt_i32_e64 s2, v2, v3
	s_wait_dscnt 0x0
	v_cmp_ne_u16_e64 s4, v22, v23
	v_cmp_eq_u32_e64 s3, 1, v20
	s_wait_alu 0xf1ff
	s_delay_alu instid0(VALU_DEP_2) | instskip(SKIP_2) | instid1(VALU_DEP_1)
	v_cndmask_b32_e64 v20, 0, 1, s4
	s_and_b32 s2, s2, s3
	s_wait_alu 0xfffe
	v_cndmask_b32_e64 v23, v20, v23, s2
	v_and_b32_e32 v20, 2, v6
	s_delay_alu instid0(VALU_DEP_2) | instskip(NEXT) | instid1(VALU_DEP_2)
	v_and_b32_e32 v23, 1, v23
	v_cmp_ne_u32_e64 s2, 0, v20
	s_delay_alu instid0(VALU_DEP_2)
	v_cmp_eq_u32_e64 s3, 1, v23
	s_and_saveexec_b32 s4, s3
	s_wait_alu 0xfffe
	s_xor_b32 s3, exec_lo, s4
	s_cbranch_execz .LBB18_13
; %bb.12:
	ds_load_2addr_b64 v[23:26], v17 offset1:2
	ds_store_2addr_b32 v15, v3, v2 offset1:2
	s_wait_dscnt 0x1
	ds_store_2addr_b64 v17, v[25:26], v[23:24] offset1:2
	ds_store_b8 v13, v22
	ds_store_b8 v13, v21 offset:2
.LBB18_13:
	s_wait_alu 0xfffe
	s_or_b32 exec_lo, exec_lo, s3
	s_wait_loadcnt_dscnt 0x0
	s_barrier_signal -1
	s_barrier_wait -1
	global_inv scope:SCOPE_SE
	ds_load_u16 v21, v10
	ds_load_b64 v[2:3], v11
	v_lshrrev_b32_e32 v22, 1, v20
	v_cndmask_b32_e64 v24, 0, 1, s2
	s_wait_dscnt 0x1
	v_lshrrev_b16 v20, 8, v21
	v_and_b32_e32 v23, 1, v21
	s_wait_dscnt 0x0
	v_cmp_lt_i32_e64 s2, v2, v3
	s_delay_alu instid0(VALU_DEP_3) | instskip(NEXT) | instid1(VALU_DEP_3)
	v_cmp_ne_u16_e64 s4, v20, v22
	v_cmp_eq_u32_e64 s3, 1, v23
	s_wait_alu 0xf1ff
	s_delay_alu instid0(VALU_DEP_2) | instskip(SKIP_3) | instid1(VALU_DEP_1)
	v_cndmask_b32_e64 v22, 0, 1, s4
	s_and_b32 s2, s2, s3
	s_mov_b32 s3, exec_lo
	s_wait_alu 0xfffe
	v_cndmask_b32_e64 v22, v22, v24, s2
	s_delay_alu instid0(VALU_DEP_1) | instskip(NEXT) | instid1(VALU_DEP_1)
	v_and_b32_e32 v22, 1, v22
	v_cmpx_eq_u32_e32 1, v22
	s_cbranch_execz .LBB18_15
; %bb.14:
	ds_load_b128 v[22:25], v19
	v_mov_b32_e32 v28, v3
	v_lshlrev_b16 v3, 8, v21
	v_mov_b32_e32 v29, v2
	s_delay_alu instid0(VALU_DEP_2)
	v_or_b32_e32 v2, v20, v3
	s_wait_dscnt 0x0
	v_dual_mov_b32 v26, v22 :: v_dual_mov_b32 v27, v23
	ds_store_b128 v19, v[24:27]
	ds_store_b64 v11, v[28:29]
	ds_store_b16 v10, v2
.LBB18_15:
	s_or_b32 exec_lo, exec_lo, s3
	v_and_b32_e32 v2, 3, v6
	s_wait_loadcnt_dscnt 0x0
	s_barrier_signal -1
	s_barrier_wait -1
	global_inv scope:SCOPE_SE
	v_sub_nc_u32_e32 v22, v18, v2
	v_bfe_u32 v25, v6, 2, 1
	s_delay_alu instid0(VALU_DEP_2)
	v_add_nc_u32_e32 v19, v16, v22
	v_lshl_add_u32 v20, v22, 2, v14
	v_lshl_add_u32 v22, v22, 3, v12
	ds_load_u8 v23, v19
	ds_load_2addr_b32 v[2:3], v20 offset1:4
	ds_load_u8 v24, v19 offset:4
	s_wait_dscnt 0x2
	v_and_b32_e32 v21, 1, v23
	s_wait_dscnt 0x1
	v_cmp_lt_i32_e64 s2, v2, v3
	s_wait_dscnt 0x0
	v_cmp_ne_u16_e64 s4, v24, v25
	v_cmp_eq_u32_e64 s3, 1, v21
	s_wait_alu 0xf1ff
	s_delay_alu instid0(VALU_DEP_2) | instskip(SKIP_3) | instid1(VALU_DEP_1)
	v_cndmask_b32_e64 v21, 0, 1, s4
	s_mov_b32 s4, exec_lo
	s_and_b32 s2, s2, s3
	s_wait_alu 0xfffe
	v_cndmask_b32_e64 v25, v21, v25, s2
	v_and_b32_e32 v21, 4, v6
	s_delay_alu instid0(VALU_DEP_2) | instskip(NEXT) | instid1(VALU_DEP_2)
	v_and_b32_e32 v25, 1, v25
	v_cmp_ne_u32_e64 s2, 0, v21
	s_delay_alu instid0(VALU_DEP_2)
	v_cmpx_eq_u32_e32 1, v25
	s_cbranch_execz .LBB18_17
; %bb.16:
	ds_load_2addr_b64 v[25:28], v22 offset1:4
	ds_store_2addr_b32 v20, v3, v2 offset1:4
	s_wait_dscnt 0x1
	ds_store_2addr_b64 v22, v[27:28], v[25:26] offset1:4
	ds_store_b8 v19, v24
	ds_store_b8 v19, v23 offset:4
.LBB18_17:
	s_or_b32 exec_lo, exec_lo, s4
	s_wait_loadcnt_dscnt 0x0
	s_barrier_signal -1
	s_barrier_wait -1
	global_inv scope:SCOPE_SE
	ds_load_u8 v24, v13
	ds_load_2addr_b32 v[2:3], v15 offset1:2
	ds_load_u8 v25, v13 offset:2
	v_lshrrev_b32_e32 v21, 2, v21
	v_cndmask_b32_e64 v23, 0, 1, s2
	s_wait_dscnt 0x2
	v_and_b32_e32 v26, 1, v24
	s_wait_dscnt 0x1
	v_cmp_lt_i32_e64 s2, v2, v3
	s_wait_dscnt 0x0
	v_cmp_ne_u16_e64 s4, v25, v21
	v_cmp_eq_u32_e64 s3, 1, v26
	s_wait_alu 0xf1ff
	s_delay_alu instid0(VALU_DEP_2) | instskip(SKIP_3) | instid1(VALU_DEP_1)
	v_cndmask_b32_e64 v26, 0, 1, s4
	s_and_b32 s2, s2, s3
	s_mov_b32 s3, exec_lo
	s_wait_alu 0xfffe
	v_cndmask_b32_e64 v26, v26, v23, s2
	s_delay_alu instid0(VALU_DEP_1) | instskip(NEXT) | instid1(VALU_DEP_1)
	v_and_b32_e32 v26, 1, v26
	v_cmpx_eq_u32_e32 1, v26
	s_cbranch_execz .LBB18_19
; %bb.18:
	ds_load_2addr_b64 v[26:29], v17 offset1:2
	ds_store_2addr_b32 v15, v3, v2 offset1:2
	s_wait_dscnt 0x1
	ds_store_2addr_b64 v17, v[28:29], v[26:27] offset1:2
	ds_store_b8 v13, v25
	ds_store_b8 v13, v24 offset:2
.LBB18_19:
	s_or_b32 exec_lo, exec_lo, s3
	s_wait_loadcnt_dscnt 0x0
	s_barrier_signal -1
	s_barrier_wait -1
	global_inv scope:SCOPE_SE
	ds_load_u16 v25, v10
	ds_load_b64 v[2:3], v11
	s_wait_dscnt 0x1
	v_lshrrev_b16 v24, 8, v25
	v_and_b32_e32 v26, 1, v25
	s_wait_dscnt 0x0
	v_cmp_lt_i32_e64 s2, v2, v3
	s_delay_alu instid0(VALU_DEP_3) | instskip(NEXT) | instid1(VALU_DEP_3)
	v_cmp_ne_u16_e64 s4, v24, v21
	v_cmp_eq_u32_e64 s3, 1, v26
	s_wait_alu 0xf1ff
	s_delay_alu instid0(VALU_DEP_2) | instskip(SKIP_2) | instid1(VALU_DEP_1)
	v_cndmask_b32_e64 v21, 0, 1, s4
	s_and_b32 s2, s2, s3
	s_wait_alu 0xfffe
	v_cndmask_b32_e64 v21, v21, v23, s2
	s_delay_alu instid0(VALU_DEP_1) | instskip(NEXT) | instid1(VALU_DEP_1)
	v_and_b32_e32 v21, 1, v21
	v_cmp_eq_u32_e64 s2, 1, v21
	v_lshl_add_u32 v21, v18, 3, v12
	s_and_saveexec_b32 s3, s2
	s_cbranch_execz .LBB18_21
; %bb.20:
	ds_load_b128 v[26:29], v21
	v_mov_b32_e32 v32, v3
	v_lshlrev_b16 v3, 8, v25
	v_mov_b32_e32 v33, v2
	s_delay_alu instid0(VALU_DEP_2)
	v_or_b32_e32 v2, v24, v3
	s_wait_dscnt 0x0
	v_dual_mov_b32 v30, v26 :: v_dual_mov_b32 v31, v27
	ds_store_b128 v21, v[28:31]
	ds_store_b64 v11, v[32:33]
	ds_store_b16 v10, v2
.LBB18_21:
	s_wait_alu 0xfffe
	s_or_b32 exec_lo, exec_lo, s3
	v_and_b32_e32 v2, 7, v6
	s_wait_loadcnt_dscnt 0x0
	s_barrier_signal -1
	s_barrier_wait -1
	global_inv scope:SCOPE_SE
	v_sub_nc_u32_e32 v25, v18, v2
	v_bfe_u32 v29, v6, 3, 1
	s_delay_alu instid0(VALU_DEP_2)
	v_add_nc_u32_e32 v23, v16, v25
	v_lshl_add_u32 v24, v25, 2, v14
	v_lshl_add_u32 v25, v25, 3, v12
	ds_load_u8 v27, v23
	ds_load_2addr_b32 v[2:3], v24 offset1:8
	ds_load_u8 v28, v23 offset:8
	s_wait_dscnt 0x2
	v_and_b32_e32 v26, 1, v27
	s_wait_dscnt 0x1
	v_cmp_lt_i32_e64 s2, v2, v3
	s_wait_dscnt 0x0
	v_cmp_ne_u16_e64 s4, v28, v29
	v_cmp_eq_u32_e64 s3, 1, v26
	s_wait_alu 0xf1ff
	s_delay_alu instid0(VALU_DEP_2) | instskip(SKIP_3) | instid1(VALU_DEP_1)
	v_cndmask_b32_e64 v26, 0, 1, s4
	s_mov_b32 s4, exec_lo
	s_and_b32 s2, s2, s3
	s_wait_alu 0xfffe
	v_cndmask_b32_e64 v29, v26, v29, s2
	v_and_b32_e32 v26, 8, v6
	s_delay_alu instid0(VALU_DEP_2) | instskip(NEXT) | instid1(VALU_DEP_2)
	v_and_b32_e32 v29, 1, v29
	v_cmp_ne_u32_e64 s2, 0, v26
	s_delay_alu instid0(VALU_DEP_2)
	v_cmpx_eq_u32_e32 1, v29
	s_cbranch_execz .LBB18_23
; %bb.22:
	ds_load_2addr_b64 v[29:32], v25 offset1:8
	ds_store_2addr_b32 v24, v3, v2 offset1:8
	s_wait_dscnt 0x1
	ds_store_2addr_b64 v25, v[31:32], v[29:30] offset1:8
	ds_store_b8 v23, v28
	ds_store_b8 v23, v27 offset:8
.LBB18_23:
	s_or_b32 exec_lo, exec_lo, s4
	s_wait_loadcnt_dscnt 0x0
	s_barrier_signal -1
	s_barrier_wait -1
	global_inv scope:SCOPE_SE
	ds_load_u8 v28, v19
	ds_load_2addr_b32 v[2:3], v20 offset1:4
	ds_load_u8 v29, v19 offset:4
	v_lshrrev_b32_e32 v26, 3, v26
	v_cndmask_b32_e64 v27, 0, 1, s2
	s_wait_dscnt 0x2
	v_and_b32_e32 v30, 1, v28
	s_wait_dscnt 0x1
	v_cmp_lt_i32_e64 s2, v2, v3
	s_wait_dscnt 0x0
	v_cmp_ne_u16_e64 s4, v29, v26
	v_cmp_eq_u32_e64 s3, 1, v30
	s_wait_alu 0xf1ff
	s_delay_alu instid0(VALU_DEP_2) | instskip(SKIP_3) | instid1(VALU_DEP_1)
	v_cndmask_b32_e64 v30, 0, 1, s4
	s_and_b32 s2, s2, s3
	s_mov_b32 s3, exec_lo
	s_wait_alu 0xfffe
	v_cndmask_b32_e64 v30, v30, v27, s2
	s_delay_alu instid0(VALU_DEP_1) | instskip(NEXT) | instid1(VALU_DEP_1)
	v_and_b32_e32 v30, 1, v30
	v_cmpx_eq_u32_e32 1, v30
	s_cbranch_execz .LBB18_25
; %bb.24:
	ds_load_2addr_b64 v[30:33], v22 offset1:4
	ds_store_2addr_b32 v20, v3, v2 offset1:4
	s_wait_dscnt 0x1
	ds_store_2addr_b64 v22, v[32:33], v[30:31] offset1:4
	ds_store_b8 v19, v29
	ds_store_b8 v19, v28 offset:4
.LBB18_25:
	s_or_b32 exec_lo, exec_lo, s3
	s_wait_loadcnt_dscnt 0x0
	s_barrier_signal -1
	s_barrier_wait -1
	global_inv scope:SCOPE_SE
	ds_load_u8 v28, v13
	ds_load_2addr_b32 v[2:3], v15 offset1:2
	ds_load_u8 v29, v13 offset:2
	s_wait_dscnt 0x2
	v_and_b32_e32 v30, 1, v28
	s_wait_dscnt 0x1
	v_cmp_lt_i32_e64 s2, v2, v3
	s_wait_dscnt 0x0
	v_cmp_ne_u16_e64 s4, v29, v26
	v_cmp_eq_u32_e64 s3, 1, v30
	s_wait_alu 0xf1ff
	s_delay_alu instid0(VALU_DEP_2) | instskip(SKIP_3) | instid1(VALU_DEP_1)
	v_cndmask_b32_e64 v30, 0, 1, s4
	s_and_b32 s2, s2, s3
	s_mov_b32 s3, exec_lo
	s_wait_alu 0xfffe
	v_cndmask_b32_e64 v30, v30, v27, s2
	s_delay_alu instid0(VALU_DEP_1) | instskip(NEXT) | instid1(VALU_DEP_1)
	v_and_b32_e32 v30, 1, v30
	v_cmpx_eq_u32_e32 1, v30
	s_cbranch_execz .LBB18_27
; %bb.26:
	ds_load_2addr_b64 v[30:33], v17 offset1:2
	ds_store_2addr_b32 v15, v3, v2 offset1:2
	s_wait_dscnt 0x1
	ds_store_2addr_b64 v17, v[32:33], v[30:31] offset1:2
	ds_store_b8 v13, v29
	ds_store_b8 v13, v28 offset:2
.LBB18_27:
	s_or_b32 exec_lo, exec_lo, s3
	s_wait_loadcnt_dscnt 0x0
	s_barrier_signal -1
	s_barrier_wait -1
	global_inv scope:SCOPE_SE
	ds_load_u16 v29, v10
	ds_load_b64 v[2:3], v11
	s_wait_dscnt 0x1
	v_lshrrev_b16 v28, 8, v29
	v_and_b32_e32 v30, 1, v29
	s_wait_dscnt 0x0
	v_cmp_lt_i32_e64 s2, v2, v3
	s_delay_alu instid0(VALU_DEP_3) | instskip(NEXT) | instid1(VALU_DEP_3)
	v_cmp_ne_u16_e64 s4, v28, v26
	v_cmp_eq_u32_e64 s3, 1, v30
	s_wait_alu 0xf1ff
	s_delay_alu instid0(VALU_DEP_2) | instskip(SKIP_3) | instid1(VALU_DEP_1)
	v_cndmask_b32_e64 v26, 0, 1, s4
	s_and_b32 s2, s2, s3
	s_mov_b32 s3, exec_lo
	s_wait_alu 0xfffe
	v_cndmask_b32_e64 v26, v26, v27, s2
	s_delay_alu instid0(VALU_DEP_1) | instskip(NEXT) | instid1(VALU_DEP_1)
	v_and_b32_e32 v26, 1, v26
	v_cmpx_eq_u32_e32 1, v26
	s_cbranch_execz .LBB18_29
; %bb.28:
	ds_load_b128 v[30:33], v21
	v_mov_b32_e32 v26, v3
	v_lshlrev_b16 v3, 8, v29
	v_mov_b32_e32 v27, v2
	s_delay_alu instid0(VALU_DEP_2)
	v_or_b32_e32 v2, v28, v3
	s_wait_dscnt 0x0
	v_dual_mov_b32 v34, v30 :: v_dual_mov_b32 v35, v31
	ds_store_b128 v21, v[32:35]
	ds_store_b64 v11, v[26:27]
	ds_store_b16 v10, v2
.LBB18_29:
	s_or_b32 exec_lo, exec_lo, s3
	v_and_b32_e32 v2, 15, v6
	s_wait_loadcnt_dscnt 0x0
	s_barrier_signal -1
	s_barrier_wait -1
	global_inv scope:SCOPE_SE
	v_sub_nc_u32_e32 v18, v18, v2
	s_delay_alu instid0(VALU_DEP_1)
	v_add_nc_u32_e32 v16, v16, v18
	v_lshl_add_u32 v14, v18, 2, v14
	ds_load_u8 v26, v16
	ds_load_u8 v27, v16 offset:16
	ds_load_2addr_b32 v[2:3], v14 offset1:16
	s_wait_dscnt 0x1
	v_and_b32_e32 v27, 0xff, v27
	v_and_b32_e32 v28, 1, v26
	s_wait_dscnt 0x0
	v_cmp_ge_i32_e64 s3, v2, v3
	s_delay_alu instid0(VALU_DEP_3) | instskip(NEXT) | instid1(VALU_DEP_3)
	v_cmp_ne_u16_e64 s4, 0, v27
	v_cmp_eq_u32_e64 s2, 1, v28
	s_xor_b32 s2, s2, -1
	s_wait_alu 0xfffe
	s_or_b32 s2, s3, s2
	s_wait_alu 0xfffe
	s_and_b32 s3, s2, s4
	s_wait_alu 0xfffe
	s_and_saveexec_b32 s2, s3
	s_cbranch_execz .LBB18_31
; %bb.30:
	v_lshl_add_u32 v12, v18, 3, v12
	v_mov_b32_e32 v18, 1
	ds_load_2addr_b64 v[27:30], v12 offset1:16
	ds_store_2addr_b32 v14, v3, v2 offset1:16
	s_wait_dscnt 0x1
	ds_store_2addr_b64 v12, v[29:30], v[27:28] offset1:16
	ds_store_b8 v16, v18
	ds_store_b8 v16, v26 offset:16
.LBB18_31:
	s_wait_alu 0xfffe
	s_or_b32 exec_lo, exec_lo, s2
	s_wait_loadcnt_dscnt 0x0
	s_barrier_signal -1
	s_barrier_wait -1
	global_inv scope:SCOPE_SE
	ds_load_u8 v12, v23
	ds_load_u8 v14, v23 offset:8
	ds_load_2addr_b32 v[2:3], v24 offset1:8
	s_wait_dscnt 0x2
	v_and_b32_e32 v16, 1, v12
	s_wait_dscnt 0x1
	v_and_b32_e32 v14, 0xff, v14
	s_wait_dscnt 0x0
	v_cmp_ge_i32_e64 s3, v2, v3
	v_cmp_eq_u32_e64 s2, 1, v16
	s_delay_alu instid0(VALU_DEP_3)
	v_cmp_ne_u16_e64 s4, 0, v14
	s_xor_b32 s2, s2, -1
	s_wait_alu 0xfffe
	s_or_b32 s2, s3, s2
	s_wait_alu 0xfffe
	s_and_b32 s3, s2, s4
	s_wait_alu 0xfffe
	s_and_saveexec_b32 s2, s3
	s_cbranch_execz .LBB18_33
; %bb.32:
	ds_load_2addr_b64 v[26:29], v25 offset1:8
	v_mov_b32_e32 v14, 1
	ds_store_2addr_b32 v24, v3, v2 offset1:8
	s_wait_dscnt 0x1
	ds_store_2addr_b64 v25, v[28:29], v[26:27] offset1:8
	ds_store_b8 v23, v14
	ds_store_b8 v23, v12 offset:8
.LBB18_33:
	s_wait_alu 0xfffe
	s_or_b32 exec_lo, exec_lo, s2
	s_wait_loadcnt_dscnt 0x0
	s_barrier_signal -1
	s_barrier_wait -1
	global_inv scope:SCOPE_SE
	ds_load_u8 v12, v19
	ds_load_u8 v14, v19 offset:4
	ds_load_2addr_b32 v[2:3], v20 offset1:4
	s_wait_dscnt 0x2
	v_and_b32_e32 v16, 1, v12
	s_wait_dscnt 0x1
	v_and_b32_e32 v14, 0xff, v14
	s_wait_dscnt 0x0
	v_cmp_ge_i32_e64 s3, v2, v3
	v_cmp_eq_u32_e64 s2, 1, v16
	s_delay_alu instid0(VALU_DEP_3)
	v_cmp_ne_u16_e64 s4, 0, v14
	s_xor_b32 s2, s2, -1
	s_wait_alu 0xfffe
	s_or_b32 s2, s3, s2
	s_wait_alu 0xfffe
	s_and_b32 s3, s2, s4
	s_wait_alu 0xfffe
	s_and_saveexec_b32 s2, s3
	s_cbranch_execz .LBB18_35
; %bb.34:
	ds_load_2addr_b64 v[23:26], v22 offset1:4
	v_mov_b32_e32 v14, 1
	ds_store_2addr_b32 v20, v3, v2 offset1:4
	s_wait_dscnt 0x1
	ds_store_2addr_b64 v22, v[25:26], v[23:24] offset1:4
	ds_store_b8 v19, v14
	ds_store_b8 v19, v12 offset:4
.LBB18_35:
	;; [unrolled: 35-line block ×3, first 2 shown]
	s_wait_alu 0xfffe
	s_or_b32 exec_lo, exec_lo, s2
	s_wait_loadcnt_dscnt 0x0
	s_barrier_signal -1
	s_barrier_wait -1
	global_inv scope:SCOPE_SE
	ds_load_u16 v12, v10
	ds_load_b64 v[2:3], v11
	s_wait_dscnt 0x1
	v_and_b32_e32 v13, 1, v12
	v_lshrrev_b16 v14, 8, v12
	s_wait_dscnt 0x0
	v_cmp_ge_i32_e64 s3, v2, v3
	s_delay_alu instid0(VALU_DEP_3) | instskip(NEXT) | instid1(VALU_DEP_3)
	v_cmp_eq_u32_e64 s2, 1, v13
	v_cmp_ne_u16_e64 s4, 0, v14
	s_xor_b32 s2, s2, -1
	s_wait_alu 0xfffe
	s_or_b32 s2, s3, s2
	s_wait_alu 0xfffe
	s_and_b32 s3, s2, s4
	s_wait_alu 0xfffe
	s_and_saveexec_b32 s2, s3
	s_cbranch_execz .LBB18_39
; %bb.38:
	ds_load_b128 v[13:16], v21
	v_mov_b32_e32 v19, v3
	v_lshlrev_b16 v3, 8, v12
	v_mov_b32_e32 v20, v2
	s_delay_alu instid0(VALU_DEP_2)
	v_or_b32_e32 v2, 1, v3
	s_wait_dscnt 0x0
	v_dual_mov_b32 v17, v13 :: v_dual_mov_b32 v18, v14
	ds_store_b128 v21, v[15:18]
	ds_store_b64 v11, v[19:20]
	ds_store_b16 v10, v2
.LBB18_39:
	s_wait_alu 0xfffe
	s_or_b32 exec_lo, exec_lo, s2
	s_wait_loadcnt_dscnt 0x0
	s_barrier_signal -1
	s_barrier_wait -1
	global_inv scope:SCOPE_SE
	s_and_saveexec_b32 s2, s0
	s_cbranch_execz .LBB18_44
; %bb.40:
	s_and_saveexec_b32 s0, vcc_lo
	s_cbranch_execz .LBB18_42
; %bb.41:
	v_mad_co_u64_u32 v[2:3], null, v6, s6, v[1:2]
	v_mov_b32_e32 v3, 0
	v_mad_co_u64_u32 v[10:11], null, v6, s7, v[0:1]
	ds_load_b32 v6, v8
	ds_load_b64 v[8:9], v9
	v_mov_b32_e32 v11, v3
	v_lshlrev_b64_e32 v[2:3], 2, v[2:3]
	s_delay_alu instid0(VALU_DEP_2) | instskip(NEXT) | instid1(VALU_DEP_2)
	v_lshlrev_b64_e32 v[10:11], 3, v[10:11]
	v_add_co_u32 v2, vcc_lo, s8, v2
	s_wait_alu 0xfffd
	s_delay_alu instid0(VALU_DEP_3) | instskip(NEXT) | instid1(VALU_DEP_3)
	v_add_co_ci_u32_e64 v3, null, s9, v3, vcc_lo
	v_add_co_u32 v10, vcc_lo, s10, v10
	s_wait_alu 0xfffd
	v_add_co_ci_u32_e64 v11, null, s11, v11, vcc_lo
	s_wait_dscnt 0x1
	global_store_b32 v[2:3], v6, off
	s_wait_dscnt 0x0
	global_store_b64 v[10:11], v[8:9], off
.LBB18_42:
	s_wait_alu 0xfffe
	s_or_b32 exec_lo, exec_lo, s0
	s_delay_alu instid0(SALU_CYCLE_1)
	s_and_b32 exec_lo, exec_lo, s1
	s_cbranch_execz .LBB18_44
; %bb.43:
	v_mad_co_u64_u32 v[1:2], null, v7, s6, v[1:2]
	v_mov_b32_e32 v2, 0
	ds_load_b32 v8, v4
	ds_load_b64 v[3:4], v5
	v_mad_co_u64_u32 v[6:7], null, v7, s7, v[0:1]
	v_mov_b32_e32 v7, v2
	v_lshlrev_b64_e32 v[0:1], 2, v[1:2]
	s_delay_alu instid0(VALU_DEP_2) | instskip(NEXT) | instid1(VALU_DEP_2)
	v_lshlrev_b64_e32 v[5:6], 3, v[6:7]
	v_add_co_u32 v0, vcc_lo, s8, v0
	s_wait_alu 0xfffd
	s_delay_alu instid0(VALU_DEP_3) | instskip(NEXT) | instid1(VALU_DEP_3)
	v_add_co_ci_u32_e64 v1, null, s9, v1, vcc_lo
	v_add_co_u32 v5, vcc_lo, s10, v5
	s_wait_alu 0xfffd
	v_add_co_ci_u32_e64 v6, null, s11, v6, vcc_lo
	s_wait_dscnt 0x1
	global_store_b32 v[0:1], v8, off
	s_wait_dscnt 0x0
	global_store_b64 v[5:6], v[3:4], off
.LBB18_44:
	s_endpgm
	.section	.rodata,"a",@progbits
	.p2align	6, 0x0
	.amdhsa_kernel _ZN2at6native20bitonicSortKVInPlaceILi2ELin1ELi16ELi16EilNS0_4LTOpIiLb1EEEjEEvNS_4cuda6detail10TensorInfoIT3_T6_EES8_S8_S8_NS6_IT4_S8_EES8_T5_
		.amdhsa_group_segment_fixed_size 6656
		.amdhsa_private_segment_fixed_size 0
		.amdhsa_kernarg_size 712
		.amdhsa_user_sgpr_count 2
		.amdhsa_user_sgpr_dispatch_ptr 0
		.amdhsa_user_sgpr_queue_ptr 0
		.amdhsa_user_sgpr_kernarg_segment_ptr 1
		.amdhsa_user_sgpr_dispatch_id 0
		.amdhsa_user_sgpr_private_segment_size 0
		.amdhsa_wavefront_size32 1
		.amdhsa_uses_dynamic_stack 0
		.amdhsa_enable_private_segment 0
		.amdhsa_system_sgpr_workgroup_id_x 1
		.amdhsa_system_sgpr_workgroup_id_y 1
		.amdhsa_system_sgpr_workgroup_id_z 1
		.amdhsa_system_sgpr_workgroup_info 0
		.amdhsa_system_vgpr_workitem_id 1
		.amdhsa_next_free_vgpr 36
		.amdhsa_next_free_sgpr 19
		.amdhsa_reserve_vcc 1
		.amdhsa_float_round_mode_32 0
		.amdhsa_float_round_mode_16_64 0
		.amdhsa_float_denorm_mode_32 3
		.amdhsa_float_denorm_mode_16_64 3
		.amdhsa_fp16_overflow 0
		.amdhsa_workgroup_processor_mode 1
		.amdhsa_memory_ordered 1
		.amdhsa_forward_progress 1
		.amdhsa_inst_pref_size 37
		.amdhsa_round_robin_scheduling 0
		.amdhsa_exception_fp_ieee_invalid_op 0
		.amdhsa_exception_fp_denorm_src 0
		.amdhsa_exception_fp_ieee_div_zero 0
		.amdhsa_exception_fp_ieee_overflow 0
		.amdhsa_exception_fp_ieee_underflow 0
		.amdhsa_exception_fp_ieee_inexact 0
		.amdhsa_exception_int_div_zero 0
	.end_amdhsa_kernel
	.section	.text._ZN2at6native20bitonicSortKVInPlaceILi2ELin1ELi16ELi16EilNS0_4LTOpIiLb1EEEjEEvNS_4cuda6detail10TensorInfoIT3_T6_EES8_S8_S8_NS6_IT4_S8_EES8_T5_,"axG",@progbits,_ZN2at6native20bitonicSortKVInPlaceILi2ELin1ELi16ELi16EilNS0_4LTOpIiLb1EEEjEEvNS_4cuda6detail10TensorInfoIT3_T6_EES8_S8_S8_NS6_IT4_S8_EES8_T5_,comdat
.Lfunc_end18:
	.size	_ZN2at6native20bitonicSortKVInPlaceILi2ELin1ELi16ELi16EilNS0_4LTOpIiLb1EEEjEEvNS_4cuda6detail10TensorInfoIT3_T6_EES8_S8_S8_NS6_IT4_S8_EES8_T5_, .Lfunc_end18-_ZN2at6native20bitonicSortKVInPlaceILi2ELin1ELi16ELi16EilNS0_4LTOpIiLb1EEEjEEvNS_4cuda6detail10TensorInfoIT3_T6_EES8_S8_S8_NS6_IT4_S8_EES8_T5_
                                        ; -- End function
	.set _ZN2at6native20bitonicSortKVInPlaceILi2ELin1ELi16ELi16EilNS0_4LTOpIiLb1EEEjEEvNS_4cuda6detail10TensorInfoIT3_T6_EES8_S8_S8_NS6_IT4_S8_EES8_T5_.num_vgpr, 36
	.set _ZN2at6native20bitonicSortKVInPlaceILi2ELin1ELi16ELi16EilNS0_4LTOpIiLb1EEEjEEvNS_4cuda6detail10TensorInfoIT3_T6_EES8_S8_S8_NS6_IT4_S8_EES8_T5_.num_agpr, 0
	.set _ZN2at6native20bitonicSortKVInPlaceILi2ELin1ELi16ELi16EilNS0_4LTOpIiLb1EEEjEEvNS_4cuda6detail10TensorInfoIT3_T6_EES8_S8_S8_NS6_IT4_S8_EES8_T5_.numbered_sgpr, 19
	.set _ZN2at6native20bitonicSortKVInPlaceILi2ELin1ELi16ELi16EilNS0_4LTOpIiLb1EEEjEEvNS_4cuda6detail10TensorInfoIT3_T6_EES8_S8_S8_NS6_IT4_S8_EES8_T5_.num_named_barrier, 0
	.set _ZN2at6native20bitonicSortKVInPlaceILi2ELin1ELi16ELi16EilNS0_4LTOpIiLb1EEEjEEvNS_4cuda6detail10TensorInfoIT3_T6_EES8_S8_S8_NS6_IT4_S8_EES8_T5_.private_seg_size, 0
	.set _ZN2at6native20bitonicSortKVInPlaceILi2ELin1ELi16ELi16EilNS0_4LTOpIiLb1EEEjEEvNS_4cuda6detail10TensorInfoIT3_T6_EES8_S8_S8_NS6_IT4_S8_EES8_T5_.uses_vcc, 1
	.set _ZN2at6native20bitonicSortKVInPlaceILi2ELin1ELi16ELi16EilNS0_4LTOpIiLb1EEEjEEvNS_4cuda6detail10TensorInfoIT3_T6_EES8_S8_S8_NS6_IT4_S8_EES8_T5_.uses_flat_scratch, 0
	.set _ZN2at6native20bitonicSortKVInPlaceILi2ELin1ELi16ELi16EilNS0_4LTOpIiLb1EEEjEEvNS_4cuda6detail10TensorInfoIT3_T6_EES8_S8_S8_NS6_IT4_S8_EES8_T5_.has_dyn_sized_stack, 0
	.set _ZN2at6native20bitonicSortKVInPlaceILi2ELin1ELi16ELi16EilNS0_4LTOpIiLb1EEEjEEvNS_4cuda6detail10TensorInfoIT3_T6_EES8_S8_S8_NS6_IT4_S8_EES8_T5_.has_recursion, 0
	.set _ZN2at6native20bitonicSortKVInPlaceILi2ELin1ELi16ELi16EilNS0_4LTOpIiLb1EEEjEEvNS_4cuda6detail10TensorInfoIT3_T6_EES8_S8_S8_NS6_IT4_S8_EES8_T5_.has_indirect_call, 0
	.section	.AMDGPU.csdata,"",@progbits
; Kernel info:
; codeLenInByte = 4668
; TotalNumSgprs: 21
; NumVgprs: 36
; ScratchSize: 0
; MemoryBound: 0
; FloatMode: 240
; IeeeMode: 1
; LDSByteSize: 6656 bytes/workgroup (compile time only)
; SGPRBlocks: 0
; VGPRBlocks: 4
; NumSGPRsForWavesPerEU: 21
; NumVGPRsForWavesPerEU: 36
; Occupancy: 16
; WaveLimiterHint : 1
; COMPUTE_PGM_RSRC2:SCRATCH_EN: 0
; COMPUTE_PGM_RSRC2:USER_SGPR: 2
; COMPUTE_PGM_RSRC2:TRAP_HANDLER: 0
; COMPUTE_PGM_RSRC2:TGID_X_EN: 1
; COMPUTE_PGM_RSRC2:TGID_Y_EN: 1
; COMPUTE_PGM_RSRC2:TGID_Z_EN: 1
; COMPUTE_PGM_RSRC2:TIDIG_COMP_CNT: 1
	.section	.text._ZN2at6native20bitonicSortKVInPlaceILi2ELin1ELi16ELi16EilNS0_4GTOpIiLb1EEEjEEvNS_4cuda6detail10TensorInfoIT3_T6_EES8_S8_S8_NS6_IT4_S8_EES8_T5_,"axG",@progbits,_ZN2at6native20bitonicSortKVInPlaceILi2ELin1ELi16ELi16EilNS0_4GTOpIiLb1EEEjEEvNS_4cuda6detail10TensorInfoIT3_T6_EES8_S8_S8_NS6_IT4_S8_EES8_T5_,comdat
	.protected	_ZN2at6native20bitonicSortKVInPlaceILi2ELin1ELi16ELi16EilNS0_4GTOpIiLb1EEEjEEvNS_4cuda6detail10TensorInfoIT3_T6_EES8_S8_S8_NS6_IT4_S8_EES8_T5_ ; -- Begin function _ZN2at6native20bitonicSortKVInPlaceILi2ELin1ELi16ELi16EilNS0_4GTOpIiLb1EEEjEEvNS_4cuda6detail10TensorInfoIT3_T6_EES8_S8_S8_NS6_IT4_S8_EES8_T5_
	.globl	_ZN2at6native20bitonicSortKVInPlaceILi2ELin1ELi16ELi16EilNS0_4GTOpIiLb1EEEjEEvNS_4cuda6detail10TensorInfoIT3_T6_EES8_S8_S8_NS6_IT4_S8_EES8_T5_
	.p2align	8
	.type	_ZN2at6native20bitonicSortKVInPlaceILi2ELin1ELi16ELi16EilNS0_4GTOpIiLb1EEEjEEvNS_4cuda6detail10TensorInfoIT3_T6_EES8_S8_S8_NS6_IT4_S8_EES8_T5_,@function
_ZN2at6native20bitonicSortKVInPlaceILi2ELin1ELi16ELi16EilNS0_4GTOpIiLb1EEEjEEvNS_4cuda6detail10TensorInfoIT3_T6_EES8_S8_S8_NS6_IT4_S8_EES8_T5_: ; @_ZN2at6native20bitonicSortKVInPlaceILi2ELin1ELi16ELi16EilNS0_4GTOpIiLb1EEEjEEvNS_4cuda6detail10TensorInfoIT3_T6_EES8_S8_S8_NS6_IT4_S8_EES8_T5_
; %bb.0:
	s_clause 0x2
	s_load_b64 s[2:3], s[0:1], 0x1c8
	s_load_u16 s7, s[0:1], 0x1d6
	s_load_b96 s[4:6], s[0:1], 0xd8
	s_lshr_b32 s8, ttmp7, 16
	s_wait_kmcnt 0x0
	s_mul_i32 s3, s3, s8
	s_and_b32 s8, ttmp7, 0xffff
	s_delay_alu instid0(SALU_CYCLE_1) | instskip(NEXT) | instid1(SALU_CYCLE_1)
	s_add_co_i32 s3, s3, s8
	s_mul_i32 s2, s3, s2
	s_delay_alu instid0(SALU_CYCLE_1) | instskip(NEXT) | instid1(SALU_CYCLE_1)
	s_add_co_i32 s10, s2, ttmp9
	s_mul_i32 s10, s10, s7
	s_delay_alu instid0(SALU_CYCLE_1)
	s_cmp_ge_u32 s10, s4
	s_cbranch_scc1 .LBB19_44
; %bb.1:
	s_clause 0x2
	s_load_b32 s7, s[0:1], 0xc
	s_load_b64 s[2:3], s[0:1], 0x6c
	s_load_b32 s14, s[0:1], 0x1b8
	v_bfe_u32 v8, v0, 10, 10
	s_mov_b32 s13, 0
	s_delay_alu instid0(VALU_DEP_1) | instskip(SKIP_3) | instid1(SALU_CYCLE_2)
	v_add_nc_u32_e32 v4, s10, v8
	s_wait_kmcnt 0x0
	s_cvt_f32_u32 s8, s7
	s_sub_co_i32 s12, 0, s7
	v_rcp_iflag_f32_e32 v1, s8
	s_delay_alu instid0(TRANS32_DEP_1) | instskip(SKIP_3) | instid1(SALU_CYCLE_2)
	v_readfirstlane_b32 s8, v1
	v_mov_b32_e32 v1, 0
	s_mul_f32 s11, s8, 0x4f7ffffe
	s_load_b64 s[8:9], s[0:1], 0x0
	s_cvt_u32_f32 s11, s11
	s_wait_alu 0xfffe
	s_delay_alu instid0(SALU_CYCLE_2) | instskip(NEXT) | instid1(SALU_CYCLE_1)
	s_mul_i32 s12, s12, s11
	s_mul_hi_u32 s10, s11, s12
	s_wait_alu 0xfffe
	s_add_co_i32 s11, s11, s10
	s_cmp_lt_i32 s14, 2
	s_wait_alu 0xfffe
	v_mad_co_u64_u32 v[2:3], null, v4, s11, 0
	s_add_nc_u64 s[10:11], s[0:1], 0xe8
	s_cbranch_scc1 .LBB19_4
; %bb.2:
	s_add_co_i32 s12, s14, -1
	v_mov_b32_e32 v1, 0
	s_lshl_b64 s[12:13], s[12:13], 2
	v_mov_b32_e32 v5, v4
	s_wait_alu 0xfffe
	s_add_nc_u64 s[12:13], s[10:11], s[12:13]
	s_add_co_i32 s14, s14, 1
	s_add_nc_u64 s[12:13], s[12:13], 8
.LBB19_3:                               ; =>This Inner Loop Header: Depth=1
	s_clause 0x1
	s_load_b32 s15, s[12:13], 0x0
	s_load_b32 s16, s[12:13], 0x64
	s_add_co_i32 s14, s14, -1
	s_add_nc_u64 s[12:13], s[12:13], -4
	s_wait_kmcnt 0x0
	s_cvt_f32_u32 s17, s15
	s_sub_co_i32 s18, 0, s15
	s_wait_alu 0xfffe
	s_delay_alu instid0(SALU_CYCLE_1) | instskip(NEXT) | instid1(TRANS32_DEP_1)
	v_rcp_iflag_f32_e32 v2, s17
	v_readfirstlane_b32 s17, v2
	v_mov_b32_e32 v2, v5
	s_mul_f32 s17, s17, 0x4f7ffffe
	s_wait_alu 0xfffe
	s_delay_alu instid0(SALU_CYCLE_2) | instskip(SKIP_1) | instid1(SALU_CYCLE_2)
	s_cvt_u32_f32 s17, s17
	s_wait_alu 0xfffe
	s_mul_i32 s18, s18, s17
	s_delay_alu instid0(SALU_CYCLE_1) | instskip(NEXT) | instid1(SALU_CYCLE_1)
	s_mul_hi_u32 s18, s17, s18
	s_add_co_i32 s17, s17, s18
	s_cmp_gt_u32 s14, 2
	s_wait_alu 0xfffe
	v_mul_hi_u32 v5, v2, s17
	s_delay_alu instid0(VALU_DEP_1) | instskip(SKIP_1) | instid1(VALU_DEP_2)
	v_mul_lo_u32 v6, v5, s15
	v_add_nc_u32_e32 v7, 1, v5
	v_sub_nc_u32_e32 v6, v2, v6
	s_delay_alu instid0(VALU_DEP_1) | instskip(SKIP_2) | instid1(VALU_DEP_2)
	v_subrev_nc_u32_e32 v9, s15, v6
	v_cmp_le_u32_e32 vcc_lo, s15, v6
	s_wait_alu 0xfffd
	v_dual_cndmask_b32 v5, v5, v7 :: v_dual_cndmask_b32 v6, v6, v9
	s_delay_alu instid0(VALU_DEP_1) | instskip(NEXT) | instid1(VALU_DEP_2)
	v_add_nc_u32_e32 v7, 1, v5
	v_cmp_le_u32_e32 vcc_lo, s15, v6
	s_wait_alu 0xfffd
	s_delay_alu instid0(VALU_DEP_2) | instskip(NEXT) | instid1(VALU_DEP_1)
	v_cndmask_b32_e32 v5, v5, v7, vcc_lo
	v_mul_lo_u32 v6, v5, s15
	s_delay_alu instid0(VALU_DEP_1) | instskip(NEXT) | instid1(VALU_DEP_1)
	v_sub_nc_u32_e32 v2, v2, v6
	v_mad_co_u64_u32 v[1:2], null, s16, v2, v[1:2]
	s_cbranch_scc1 .LBB19_3
	s_branch .LBB19_5
.LBB19_4:
	v_mov_b32_e32 v5, v4
.LBB19_5:
	v_mul_lo_u32 v2, v3, s7
	v_add_nc_u32_e32 v6, 1, v3
	s_load_b32 s14, s[10:11], 0x6c
	s_add_nc_u64 s[12:13], s[0:1], 0x1c8
	v_mov_b32_e32 v10, 0
	s_load_b32 s12, s[12:13], 0xc
	v_mov_b32_e32 v11, 0
	s_delay_alu instid0(VALU_DEP_4) | instskip(NEXT) | instid1(VALU_DEP_1)
	v_sub_nc_u32_e32 v2, v4, v2
	v_subrev_nc_u32_e32 v7, s7, v2
	v_cmp_le_u32_e32 vcc_lo, s7, v2
	s_wait_alu 0xfffd
	s_delay_alu instid0(VALU_DEP_2) | instskip(NEXT) | instid1(VALU_DEP_1)
	v_dual_cndmask_b32 v3, v3, v6 :: v_dual_cndmask_b32 v2, v2, v7
	v_add_nc_u32_e32 v6, 1, v3
	s_delay_alu instid0(VALU_DEP_2) | instskip(SKIP_1) | instid1(VALU_DEP_2)
	v_cmp_le_u32_e32 vcc_lo, s7, v2
	s_wait_alu 0xfffd
	v_dual_cndmask_b32 v3, v3, v6 :: v_dual_and_b32 v6, 0x3ff, v0
	s_delay_alu instid0(VALU_DEP_1)
	v_mul_lo_u32 v2, v3, s7
	s_clause 0x1
	s_load_b32 s7, s[0:1], 0x1c0
	s_load_b64 s[10:11], s[10:11], 0x0
	v_cmp_gt_u32_e64 s0, s4, v4
	v_cmp_gt_u32_e32 vcc_lo, s5, v6
	s_delay_alu instid0(VALU_DEP_3) | instskip(NEXT) | instid1(VALU_DEP_1)
	v_sub_nc_u32_e32 v2, v4, v2
	v_mul_lo_u32 v2, v2, s3
	s_wait_kmcnt 0x0
	s_delay_alu instid0(VALU_DEP_1)
	v_mad_co_u64_u32 v[0:1], null, s14, v5, v[1:2]
	v_mad_co_u64_u32 v[1:2], null, v3, s2, v[2:3]
	v_mov_b32_e32 v2, 0
	v_dual_mov_b32 v4, 0 :: v_dual_mov_b32 v3, 0
	v_mov_b32_e32 v5, 0
	s_and_b32 s2, s0, vcc_lo
	s_wait_alu 0xfffe
	s_and_saveexec_b32 s3, s2
	s_cbranch_execz .LBB19_7
; %bb.6:
	v_mad_co_u64_u32 v[4:5], null, v6, s6, v[1:2]
	v_mov_b32_e32 v5, 0
	v_mad_co_u64_u32 v[11:12], null, v6, s7, v[0:1]
	s_delay_alu instid0(VALU_DEP_2) | instskip(NEXT) | instid1(VALU_DEP_4)
	v_mov_b32_e32 v12, v5
	v_lshlrev_b64_e32 v[4:5], 2, v[4:5]
	s_delay_alu instid0(VALU_DEP_2) | instskip(NEXT) | instid1(VALU_DEP_2)
	v_lshlrev_b64_e32 v[11:12], 3, v[11:12]
	v_add_co_u32 v4, s1, s8, v4
	s_delay_alu instid0(VALU_DEP_1) | instskip(NEXT) | instid1(VALU_DEP_3)
	v_add_co_ci_u32_e64 v5, null, s9, v5, s1
	v_add_co_u32 v13, s1, s10, v11
	s_wait_alu 0xf1ff
	s_delay_alu instid0(VALU_DEP_4)
	v_add_co_ci_u32_e64 v14, null, s11, v12, s1
	global_load_b32 v11, v[4:5], off
	global_load_b64 v[4:5], v[13:14], off
.LBB19_7:
	s_wait_alu 0xfffe
	s_or_b32 exec_lo, exec_lo, s3
	s_and_b32 s3, 0xffff, s12
	v_lshl_add_u32 v14, v8, 7, 0x1000
	s_wait_alu 0xfffe
	v_add_nc_u32_e32 v7, s3, v6
	v_lshlrev_b32_e32 v12, 8, v8
	v_lshl_add_u32 v16, v8, 5, 0x1800
	v_cndmask_b32_e64 v13, 0, 1, s2
	v_lshl_add_u32 v8, v6, 2, v14
	v_cmp_gt_u32_e64 s1, s5, v7
	v_lshl_add_u32 v9, v6, 3, v12
	v_add_nc_u32_e32 v15, v16, v6
	s_wait_loadcnt 0x1
	ds_store_b32 v8, v11
	s_wait_loadcnt 0x0
	ds_store_b64 v9, v[4:5]
	ds_store_b8 v15, v13
	s_and_b32 s4, s0, s1
	s_wait_alu 0xfffe
	s_and_saveexec_b32 s5, s4
	s_cbranch_execz .LBB19_9
; %bb.8:
	v_mad_co_u64_u32 v[2:3], null, v7, s6, v[1:2]
	v_mov_b32_e32 v3, 0
	v_mad_co_u64_u32 v[4:5], null, v7, s7, v[0:1]
	s_delay_alu instid0(VALU_DEP_2) | instskip(NEXT) | instid1(VALU_DEP_4)
	v_mov_b32_e32 v5, v3
	v_lshlrev_b64_e32 v[2:3], 2, v[2:3]
	s_delay_alu instid0(VALU_DEP_2) | instskip(NEXT) | instid1(VALU_DEP_2)
	v_lshlrev_b64_e32 v[4:5], 3, v[4:5]
	v_add_co_u32 v2, s2, s8, v2
	s_wait_alu 0xf1ff
	s_delay_alu instid0(VALU_DEP_3) | instskip(NEXT) | instid1(VALU_DEP_3)
	v_add_co_ci_u32_e64 v3, null, s9, v3, s2
	v_add_co_u32 v4, s2, s10, v4
	s_wait_alu 0xf1ff
	v_add_co_ci_u32_e64 v5, null, s11, v5, s2
	global_load_b32 v10, v[2:3], off
	global_load_b64 v[2:3], v[4:5], off
.LBB19_9:
	s_wait_alu 0xfffe
	s_or_b32 exec_lo, exec_lo, s5
	v_lshl_add_u32 v4, s3, 2, v8
	v_lshl_add_u32 v5, s3, 3, v9
	v_cndmask_b32_e64 v11, 0, 1, s4
	v_add_nc_u32_e32 v13, v16, v7
	v_lshlrev_b32_e32 v18, 1, v6
	s_wait_loadcnt 0x1
	ds_store_b32 v4, v10
	s_wait_loadcnt 0x0
	ds_store_b64 v5, v[2:3]
	ds_store_b8 v13, v11
	v_lshlrev_b32_e32 v2, 2, v6
	s_wait_dscnt 0x0
	v_add_nc_u32_e32 v10, v16, v18
	s_barrier_signal -1
	s_barrier_wait -1
	v_add_nc_u32_e32 v11, v8, v2
	global_inv scope:SCOPE_SE
	ds_load_u16 v17, v10
	ds_load_b64 v[2:3], v11
	v_and_b32_e32 v13, 1, v6
	s_wait_dscnt 0x1
	v_lshrrev_b16 v15, 8, v17
	v_and_b32_e32 v19, 1, v17
	s_wait_dscnt 0x0
	v_cmp_gt_i32_e64 s2, v2, v3
	s_delay_alu instid0(VALU_DEP_3) | instskip(NEXT) | instid1(VALU_DEP_3)
	v_cmp_ne_u16_e64 s4, v15, v13
	v_cmp_eq_u32_e64 s3, 1, v19
	s_wait_alu 0xf1ff
	s_delay_alu instid0(VALU_DEP_2) | instskip(SKIP_2) | instid1(VALU_DEP_1)
	v_cndmask_b32_e64 v19, 0, 1, s4
	s_and_b32 s2, s2, s3
	s_wait_alu 0xfffe
	v_cndmask_b32_e64 v19, v19, v6, s2
	s_delay_alu instid0(VALU_DEP_1) | instskip(NEXT) | instid1(VALU_DEP_1)
	v_and_b32_e32 v19, 1, v19
	v_cmp_eq_u32_e64 s2, 1, v19
	v_lshl_add_u32 v19, v6, 3, v9
	s_and_saveexec_b32 s3, s2
	s_wait_alu 0xfffe
	s_xor_b32 s2, exec_lo, s3
	s_cbranch_execz .LBB19_11
; %bb.10:
	ds_load_b128 v[20:23], v19
	v_mov_b32_e32 v26, v3
	v_lshlrev_b16 v3, 8, v17
	v_mov_b32_e32 v27, v2
	s_delay_alu instid0(VALU_DEP_2)
	v_or_b32_e32 v2, v15, v3
	s_wait_dscnt 0x0
	v_dual_mov_b32 v24, v20 :: v_dual_mov_b32 v25, v21
	ds_store_b128 v19, v[22:25]
	ds_store_b64 v11, v[26:27]
	ds_store_b16 v10, v2
.LBB19_11:
	s_wait_alu 0xfffe
	s_or_b32 exec_lo, exec_lo, s2
	v_sub_nc_u32_e32 v17, v18, v13
	s_wait_loadcnt_dscnt 0x0
	s_barrier_signal -1
	s_barrier_wait -1
	global_inv scope:SCOPE_SE
	v_add_nc_u32_e32 v13, v16, v17
	v_lshl_add_u32 v15, v17, 2, v14
	v_bfe_u32 v23, v6, 1, 1
	v_lshl_add_u32 v17, v17, 3, v12
	ds_load_u8 v21, v13
	ds_load_2addr_b32 v[2:3], v15 offset1:2
	ds_load_u8 v22, v13 offset:2
	s_wait_dscnt 0x2
	v_and_b32_e32 v20, 1, v21
	s_wait_dscnt 0x1
	v_cmp_gt_i32_e64 s2, v2, v3
	s_wait_dscnt 0x0
	v_cmp_ne_u16_e64 s4, v22, v23
	v_cmp_eq_u32_e64 s3, 1, v20
	s_wait_alu 0xf1ff
	s_delay_alu instid0(VALU_DEP_2) | instskip(SKIP_2) | instid1(VALU_DEP_1)
	v_cndmask_b32_e64 v20, 0, 1, s4
	s_and_b32 s2, s2, s3
	s_wait_alu 0xfffe
	v_cndmask_b32_e64 v23, v20, v23, s2
	v_and_b32_e32 v20, 2, v6
	s_delay_alu instid0(VALU_DEP_2) | instskip(NEXT) | instid1(VALU_DEP_2)
	v_and_b32_e32 v23, 1, v23
	v_cmp_ne_u32_e64 s2, 0, v20
	s_delay_alu instid0(VALU_DEP_2)
	v_cmp_eq_u32_e64 s3, 1, v23
	s_and_saveexec_b32 s4, s3
	s_wait_alu 0xfffe
	s_xor_b32 s3, exec_lo, s4
	s_cbranch_execz .LBB19_13
; %bb.12:
	ds_load_2addr_b64 v[23:26], v17 offset1:2
	ds_store_2addr_b32 v15, v3, v2 offset1:2
	s_wait_dscnt 0x1
	ds_store_2addr_b64 v17, v[25:26], v[23:24] offset1:2
	ds_store_b8 v13, v22
	ds_store_b8 v13, v21 offset:2
.LBB19_13:
	s_wait_alu 0xfffe
	s_or_b32 exec_lo, exec_lo, s3
	s_wait_loadcnt_dscnt 0x0
	s_barrier_signal -1
	s_barrier_wait -1
	global_inv scope:SCOPE_SE
	ds_load_u16 v21, v10
	ds_load_b64 v[2:3], v11
	v_lshrrev_b32_e32 v22, 1, v20
	v_cndmask_b32_e64 v24, 0, 1, s2
	s_wait_dscnt 0x1
	v_lshrrev_b16 v20, 8, v21
	v_and_b32_e32 v23, 1, v21
	s_wait_dscnt 0x0
	v_cmp_gt_i32_e64 s2, v2, v3
	s_delay_alu instid0(VALU_DEP_3) | instskip(NEXT) | instid1(VALU_DEP_3)
	v_cmp_ne_u16_e64 s4, v20, v22
	v_cmp_eq_u32_e64 s3, 1, v23
	s_wait_alu 0xf1ff
	s_delay_alu instid0(VALU_DEP_2) | instskip(SKIP_3) | instid1(VALU_DEP_1)
	v_cndmask_b32_e64 v22, 0, 1, s4
	s_and_b32 s2, s2, s3
	s_mov_b32 s3, exec_lo
	s_wait_alu 0xfffe
	v_cndmask_b32_e64 v22, v22, v24, s2
	s_delay_alu instid0(VALU_DEP_1) | instskip(NEXT) | instid1(VALU_DEP_1)
	v_and_b32_e32 v22, 1, v22
	v_cmpx_eq_u32_e32 1, v22
	s_cbranch_execz .LBB19_15
; %bb.14:
	ds_load_b128 v[22:25], v19
	v_mov_b32_e32 v28, v3
	v_lshlrev_b16 v3, 8, v21
	v_mov_b32_e32 v29, v2
	s_delay_alu instid0(VALU_DEP_2)
	v_or_b32_e32 v2, v20, v3
	s_wait_dscnt 0x0
	v_dual_mov_b32 v26, v22 :: v_dual_mov_b32 v27, v23
	ds_store_b128 v19, v[24:27]
	ds_store_b64 v11, v[28:29]
	ds_store_b16 v10, v2
.LBB19_15:
	s_or_b32 exec_lo, exec_lo, s3
	v_and_b32_e32 v2, 3, v6
	s_wait_loadcnt_dscnt 0x0
	s_barrier_signal -1
	s_barrier_wait -1
	global_inv scope:SCOPE_SE
	v_sub_nc_u32_e32 v22, v18, v2
	v_bfe_u32 v25, v6, 2, 1
	s_delay_alu instid0(VALU_DEP_2)
	v_add_nc_u32_e32 v19, v16, v22
	v_lshl_add_u32 v20, v22, 2, v14
	v_lshl_add_u32 v22, v22, 3, v12
	ds_load_u8 v23, v19
	ds_load_2addr_b32 v[2:3], v20 offset1:4
	ds_load_u8 v24, v19 offset:4
	s_wait_dscnt 0x2
	v_and_b32_e32 v21, 1, v23
	s_wait_dscnt 0x1
	v_cmp_gt_i32_e64 s2, v2, v3
	s_wait_dscnt 0x0
	v_cmp_ne_u16_e64 s4, v24, v25
	v_cmp_eq_u32_e64 s3, 1, v21
	s_wait_alu 0xf1ff
	s_delay_alu instid0(VALU_DEP_2) | instskip(SKIP_3) | instid1(VALU_DEP_1)
	v_cndmask_b32_e64 v21, 0, 1, s4
	s_mov_b32 s4, exec_lo
	s_and_b32 s2, s2, s3
	s_wait_alu 0xfffe
	v_cndmask_b32_e64 v25, v21, v25, s2
	v_and_b32_e32 v21, 4, v6
	s_delay_alu instid0(VALU_DEP_2) | instskip(NEXT) | instid1(VALU_DEP_2)
	v_and_b32_e32 v25, 1, v25
	v_cmp_ne_u32_e64 s2, 0, v21
	s_delay_alu instid0(VALU_DEP_2)
	v_cmpx_eq_u32_e32 1, v25
	s_cbranch_execz .LBB19_17
; %bb.16:
	ds_load_2addr_b64 v[25:28], v22 offset1:4
	ds_store_2addr_b32 v20, v3, v2 offset1:4
	s_wait_dscnt 0x1
	ds_store_2addr_b64 v22, v[27:28], v[25:26] offset1:4
	ds_store_b8 v19, v24
	ds_store_b8 v19, v23 offset:4
.LBB19_17:
	s_or_b32 exec_lo, exec_lo, s4
	s_wait_loadcnt_dscnt 0x0
	s_barrier_signal -1
	s_barrier_wait -1
	global_inv scope:SCOPE_SE
	ds_load_u8 v24, v13
	ds_load_2addr_b32 v[2:3], v15 offset1:2
	ds_load_u8 v25, v13 offset:2
	v_lshrrev_b32_e32 v21, 2, v21
	v_cndmask_b32_e64 v23, 0, 1, s2
	s_wait_dscnt 0x2
	v_and_b32_e32 v26, 1, v24
	s_wait_dscnt 0x1
	v_cmp_gt_i32_e64 s2, v2, v3
	s_wait_dscnt 0x0
	v_cmp_ne_u16_e64 s4, v25, v21
	v_cmp_eq_u32_e64 s3, 1, v26
	s_wait_alu 0xf1ff
	s_delay_alu instid0(VALU_DEP_2) | instskip(SKIP_3) | instid1(VALU_DEP_1)
	v_cndmask_b32_e64 v26, 0, 1, s4
	s_and_b32 s2, s2, s3
	s_mov_b32 s3, exec_lo
	s_wait_alu 0xfffe
	v_cndmask_b32_e64 v26, v26, v23, s2
	s_delay_alu instid0(VALU_DEP_1) | instskip(NEXT) | instid1(VALU_DEP_1)
	v_and_b32_e32 v26, 1, v26
	v_cmpx_eq_u32_e32 1, v26
	s_cbranch_execz .LBB19_19
; %bb.18:
	ds_load_2addr_b64 v[26:29], v17 offset1:2
	ds_store_2addr_b32 v15, v3, v2 offset1:2
	s_wait_dscnt 0x1
	ds_store_2addr_b64 v17, v[28:29], v[26:27] offset1:2
	ds_store_b8 v13, v25
	ds_store_b8 v13, v24 offset:2
.LBB19_19:
	s_or_b32 exec_lo, exec_lo, s3
	s_wait_loadcnt_dscnt 0x0
	s_barrier_signal -1
	s_barrier_wait -1
	global_inv scope:SCOPE_SE
	ds_load_u16 v25, v10
	ds_load_b64 v[2:3], v11
	s_wait_dscnt 0x1
	v_lshrrev_b16 v24, 8, v25
	v_and_b32_e32 v26, 1, v25
	s_wait_dscnt 0x0
	v_cmp_gt_i32_e64 s2, v2, v3
	s_delay_alu instid0(VALU_DEP_3) | instskip(NEXT) | instid1(VALU_DEP_3)
	v_cmp_ne_u16_e64 s4, v24, v21
	v_cmp_eq_u32_e64 s3, 1, v26
	s_wait_alu 0xf1ff
	s_delay_alu instid0(VALU_DEP_2) | instskip(SKIP_2) | instid1(VALU_DEP_1)
	v_cndmask_b32_e64 v21, 0, 1, s4
	s_and_b32 s2, s2, s3
	s_wait_alu 0xfffe
	v_cndmask_b32_e64 v21, v21, v23, s2
	s_delay_alu instid0(VALU_DEP_1) | instskip(NEXT) | instid1(VALU_DEP_1)
	v_and_b32_e32 v21, 1, v21
	v_cmp_eq_u32_e64 s2, 1, v21
	v_lshl_add_u32 v21, v18, 3, v12
	s_and_saveexec_b32 s3, s2
	s_cbranch_execz .LBB19_21
; %bb.20:
	ds_load_b128 v[26:29], v21
	v_mov_b32_e32 v32, v3
	v_lshlrev_b16 v3, 8, v25
	v_mov_b32_e32 v33, v2
	s_delay_alu instid0(VALU_DEP_2)
	v_or_b32_e32 v2, v24, v3
	s_wait_dscnt 0x0
	v_dual_mov_b32 v30, v26 :: v_dual_mov_b32 v31, v27
	ds_store_b128 v21, v[28:31]
	ds_store_b64 v11, v[32:33]
	ds_store_b16 v10, v2
.LBB19_21:
	s_wait_alu 0xfffe
	s_or_b32 exec_lo, exec_lo, s3
	v_and_b32_e32 v2, 7, v6
	s_wait_loadcnt_dscnt 0x0
	s_barrier_signal -1
	s_barrier_wait -1
	global_inv scope:SCOPE_SE
	v_sub_nc_u32_e32 v25, v18, v2
	v_bfe_u32 v29, v6, 3, 1
	s_delay_alu instid0(VALU_DEP_2)
	v_add_nc_u32_e32 v23, v16, v25
	v_lshl_add_u32 v24, v25, 2, v14
	v_lshl_add_u32 v25, v25, 3, v12
	ds_load_u8 v27, v23
	ds_load_2addr_b32 v[2:3], v24 offset1:8
	ds_load_u8 v28, v23 offset:8
	s_wait_dscnt 0x2
	v_and_b32_e32 v26, 1, v27
	s_wait_dscnt 0x1
	v_cmp_gt_i32_e64 s2, v2, v3
	s_wait_dscnt 0x0
	v_cmp_ne_u16_e64 s4, v28, v29
	v_cmp_eq_u32_e64 s3, 1, v26
	s_wait_alu 0xf1ff
	s_delay_alu instid0(VALU_DEP_2) | instskip(SKIP_3) | instid1(VALU_DEP_1)
	v_cndmask_b32_e64 v26, 0, 1, s4
	s_mov_b32 s4, exec_lo
	s_and_b32 s2, s2, s3
	s_wait_alu 0xfffe
	v_cndmask_b32_e64 v29, v26, v29, s2
	v_and_b32_e32 v26, 8, v6
	s_delay_alu instid0(VALU_DEP_2) | instskip(NEXT) | instid1(VALU_DEP_2)
	v_and_b32_e32 v29, 1, v29
	v_cmp_ne_u32_e64 s2, 0, v26
	s_delay_alu instid0(VALU_DEP_2)
	v_cmpx_eq_u32_e32 1, v29
	s_cbranch_execz .LBB19_23
; %bb.22:
	ds_load_2addr_b64 v[29:32], v25 offset1:8
	ds_store_2addr_b32 v24, v3, v2 offset1:8
	s_wait_dscnt 0x1
	ds_store_2addr_b64 v25, v[31:32], v[29:30] offset1:8
	ds_store_b8 v23, v28
	ds_store_b8 v23, v27 offset:8
.LBB19_23:
	s_or_b32 exec_lo, exec_lo, s4
	s_wait_loadcnt_dscnt 0x0
	s_barrier_signal -1
	s_barrier_wait -1
	global_inv scope:SCOPE_SE
	ds_load_u8 v28, v19
	ds_load_2addr_b32 v[2:3], v20 offset1:4
	ds_load_u8 v29, v19 offset:4
	v_lshrrev_b32_e32 v26, 3, v26
	v_cndmask_b32_e64 v27, 0, 1, s2
	s_wait_dscnt 0x2
	v_and_b32_e32 v30, 1, v28
	s_wait_dscnt 0x1
	v_cmp_gt_i32_e64 s2, v2, v3
	s_wait_dscnt 0x0
	v_cmp_ne_u16_e64 s4, v29, v26
	v_cmp_eq_u32_e64 s3, 1, v30
	s_wait_alu 0xf1ff
	s_delay_alu instid0(VALU_DEP_2) | instskip(SKIP_3) | instid1(VALU_DEP_1)
	v_cndmask_b32_e64 v30, 0, 1, s4
	s_and_b32 s2, s2, s3
	s_mov_b32 s3, exec_lo
	s_wait_alu 0xfffe
	v_cndmask_b32_e64 v30, v30, v27, s2
	s_delay_alu instid0(VALU_DEP_1) | instskip(NEXT) | instid1(VALU_DEP_1)
	v_and_b32_e32 v30, 1, v30
	v_cmpx_eq_u32_e32 1, v30
	s_cbranch_execz .LBB19_25
; %bb.24:
	ds_load_2addr_b64 v[30:33], v22 offset1:4
	ds_store_2addr_b32 v20, v3, v2 offset1:4
	s_wait_dscnt 0x1
	ds_store_2addr_b64 v22, v[32:33], v[30:31] offset1:4
	ds_store_b8 v19, v29
	ds_store_b8 v19, v28 offset:4
.LBB19_25:
	s_or_b32 exec_lo, exec_lo, s3
	s_wait_loadcnt_dscnt 0x0
	s_barrier_signal -1
	s_barrier_wait -1
	global_inv scope:SCOPE_SE
	ds_load_u8 v28, v13
	ds_load_2addr_b32 v[2:3], v15 offset1:2
	ds_load_u8 v29, v13 offset:2
	s_wait_dscnt 0x2
	v_and_b32_e32 v30, 1, v28
	s_wait_dscnt 0x1
	v_cmp_gt_i32_e64 s2, v2, v3
	s_wait_dscnt 0x0
	v_cmp_ne_u16_e64 s4, v29, v26
	v_cmp_eq_u32_e64 s3, 1, v30
	s_wait_alu 0xf1ff
	s_delay_alu instid0(VALU_DEP_2) | instskip(SKIP_3) | instid1(VALU_DEP_1)
	v_cndmask_b32_e64 v30, 0, 1, s4
	s_and_b32 s2, s2, s3
	s_mov_b32 s3, exec_lo
	s_wait_alu 0xfffe
	v_cndmask_b32_e64 v30, v30, v27, s2
	s_delay_alu instid0(VALU_DEP_1) | instskip(NEXT) | instid1(VALU_DEP_1)
	v_and_b32_e32 v30, 1, v30
	v_cmpx_eq_u32_e32 1, v30
	s_cbranch_execz .LBB19_27
; %bb.26:
	ds_load_2addr_b64 v[30:33], v17 offset1:2
	ds_store_2addr_b32 v15, v3, v2 offset1:2
	s_wait_dscnt 0x1
	ds_store_2addr_b64 v17, v[32:33], v[30:31] offset1:2
	ds_store_b8 v13, v29
	ds_store_b8 v13, v28 offset:2
.LBB19_27:
	s_or_b32 exec_lo, exec_lo, s3
	s_wait_loadcnt_dscnt 0x0
	s_barrier_signal -1
	s_barrier_wait -1
	global_inv scope:SCOPE_SE
	ds_load_u16 v29, v10
	ds_load_b64 v[2:3], v11
	s_wait_dscnt 0x1
	v_lshrrev_b16 v28, 8, v29
	v_and_b32_e32 v30, 1, v29
	s_wait_dscnt 0x0
	v_cmp_gt_i32_e64 s2, v2, v3
	s_delay_alu instid0(VALU_DEP_3) | instskip(NEXT) | instid1(VALU_DEP_3)
	v_cmp_ne_u16_e64 s4, v28, v26
	v_cmp_eq_u32_e64 s3, 1, v30
	s_wait_alu 0xf1ff
	s_delay_alu instid0(VALU_DEP_2) | instskip(SKIP_3) | instid1(VALU_DEP_1)
	v_cndmask_b32_e64 v26, 0, 1, s4
	s_and_b32 s2, s2, s3
	s_mov_b32 s3, exec_lo
	s_wait_alu 0xfffe
	v_cndmask_b32_e64 v26, v26, v27, s2
	s_delay_alu instid0(VALU_DEP_1) | instskip(NEXT) | instid1(VALU_DEP_1)
	v_and_b32_e32 v26, 1, v26
	v_cmpx_eq_u32_e32 1, v26
	s_cbranch_execz .LBB19_29
; %bb.28:
	ds_load_b128 v[30:33], v21
	v_mov_b32_e32 v26, v3
	v_lshlrev_b16 v3, 8, v29
	v_mov_b32_e32 v27, v2
	s_delay_alu instid0(VALU_DEP_2)
	v_or_b32_e32 v2, v28, v3
	s_wait_dscnt 0x0
	v_dual_mov_b32 v34, v30 :: v_dual_mov_b32 v35, v31
	ds_store_b128 v21, v[32:35]
	ds_store_b64 v11, v[26:27]
	ds_store_b16 v10, v2
.LBB19_29:
	s_or_b32 exec_lo, exec_lo, s3
	v_and_b32_e32 v2, 15, v6
	s_wait_loadcnt_dscnt 0x0
	s_barrier_signal -1
	s_barrier_wait -1
	global_inv scope:SCOPE_SE
	v_sub_nc_u32_e32 v18, v18, v2
	s_delay_alu instid0(VALU_DEP_1)
	v_add_nc_u32_e32 v16, v16, v18
	v_lshl_add_u32 v14, v18, 2, v14
	ds_load_u8 v26, v16
	ds_load_u8 v27, v16 offset:16
	ds_load_2addr_b32 v[2:3], v14 offset1:16
	s_wait_dscnt 0x1
	v_and_b32_e32 v27, 0xff, v27
	v_and_b32_e32 v28, 1, v26
	s_wait_dscnt 0x0
	v_cmp_le_i32_e64 s3, v2, v3
	s_delay_alu instid0(VALU_DEP_3) | instskip(NEXT) | instid1(VALU_DEP_3)
	v_cmp_ne_u16_e64 s4, 0, v27
	v_cmp_eq_u32_e64 s2, 1, v28
	s_xor_b32 s2, s2, -1
	s_wait_alu 0xfffe
	s_or_b32 s2, s3, s2
	s_wait_alu 0xfffe
	s_and_b32 s3, s2, s4
	s_wait_alu 0xfffe
	s_and_saveexec_b32 s2, s3
	s_cbranch_execz .LBB19_31
; %bb.30:
	v_lshl_add_u32 v12, v18, 3, v12
	v_mov_b32_e32 v18, 1
	ds_load_2addr_b64 v[27:30], v12 offset1:16
	ds_store_2addr_b32 v14, v3, v2 offset1:16
	s_wait_dscnt 0x1
	ds_store_2addr_b64 v12, v[29:30], v[27:28] offset1:16
	ds_store_b8 v16, v18
	ds_store_b8 v16, v26 offset:16
.LBB19_31:
	s_wait_alu 0xfffe
	s_or_b32 exec_lo, exec_lo, s2
	s_wait_loadcnt_dscnt 0x0
	s_barrier_signal -1
	s_barrier_wait -1
	global_inv scope:SCOPE_SE
	ds_load_u8 v12, v23
	ds_load_u8 v14, v23 offset:8
	ds_load_2addr_b32 v[2:3], v24 offset1:8
	s_wait_dscnt 0x2
	v_and_b32_e32 v16, 1, v12
	s_wait_dscnt 0x1
	v_and_b32_e32 v14, 0xff, v14
	s_wait_dscnt 0x0
	v_cmp_le_i32_e64 s3, v2, v3
	v_cmp_eq_u32_e64 s2, 1, v16
	s_delay_alu instid0(VALU_DEP_3)
	v_cmp_ne_u16_e64 s4, 0, v14
	s_xor_b32 s2, s2, -1
	s_wait_alu 0xfffe
	s_or_b32 s2, s3, s2
	s_wait_alu 0xfffe
	s_and_b32 s3, s2, s4
	s_wait_alu 0xfffe
	s_and_saveexec_b32 s2, s3
	s_cbranch_execz .LBB19_33
; %bb.32:
	ds_load_2addr_b64 v[26:29], v25 offset1:8
	v_mov_b32_e32 v14, 1
	ds_store_2addr_b32 v24, v3, v2 offset1:8
	s_wait_dscnt 0x1
	ds_store_2addr_b64 v25, v[28:29], v[26:27] offset1:8
	ds_store_b8 v23, v14
	ds_store_b8 v23, v12 offset:8
.LBB19_33:
	s_wait_alu 0xfffe
	s_or_b32 exec_lo, exec_lo, s2
	s_wait_loadcnt_dscnt 0x0
	s_barrier_signal -1
	s_barrier_wait -1
	global_inv scope:SCOPE_SE
	ds_load_u8 v12, v19
	ds_load_u8 v14, v19 offset:4
	ds_load_2addr_b32 v[2:3], v20 offset1:4
	s_wait_dscnt 0x2
	v_and_b32_e32 v16, 1, v12
	s_wait_dscnt 0x1
	v_and_b32_e32 v14, 0xff, v14
	s_wait_dscnt 0x0
	v_cmp_le_i32_e64 s3, v2, v3
	v_cmp_eq_u32_e64 s2, 1, v16
	s_delay_alu instid0(VALU_DEP_3)
	v_cmp_ne_u16_e64 s4, 0, v14
	s_xor_b32 s2, s2, -1
	s_wait_alu 0xfffe
	s_or_b32 s2, s3, s2
	s_wait_alu 0xfffe
	s_and_b32 s3, s2, s4
	s_wait_alu 0xfffe
	s_and_saveexec_b32 s2, s3
	s_cbranch_execz .LBB19_35
; %bb.34:
	ds_load_2addr_b64 v[23:26], v22 offset1:4
	v_mov_b32_e32 v14, 1
	ds_store_2addr_b32 v20, v3, v2 offset1:4
	s_wait_dscnt 0x1
	ds_store_2addr_b64 v22, v[25:26], v[23:24] offset1:4
	ds_store_b8 v19, v14
	ds_store_b8 v19, v12 offset:4
.LBB19_35:
	;; [unrolled: 35-line block ×3, first 2 shown]
	s_wait_alu 0xfffe
	s_or_b32 exec_lo, exec_lo, s2
	s_wait_loadcnt_dscnt 0x0
	s_barrier_signal -1
	s_barrier_wait -1
	global_inv scope:SCOPE_SE
	ds_load_u16 v12, v10
	ds_load_b64 v[2:3], v11
	s_wait_dscnt 0x1
	v_and_b32_e32 v13, 1, v12
	v_lshrrev_b16 v14, 8, v12
	s_wait_dscnt 0x0
	v_cmp_le_i32_e64 s3, v2, v3
	s_delay_alu instid0(VALU_DEP_3) | instskip(NEXT) | instid1(VALU_DEP_3)
	v_cmp_eq_u32_e64 s2, 1, v13
	v_cmp_ne_u16_e64 s4, 0, v14
	s_xor_b32 s2, s2, -1
	s_wait_alu 0xfffe
	s_or_b32 s2, s3, s2
	s_wait_alu 0xfffe
	s_and_b32 s3, s2, s4
	s_wait_alu 0xfffe
	s_and_saveexec_b32 s2, s3
	s_cbranch_execz .LBB19_39
; %bb.38:
	ds_load_b128 v[13:16], v21
	v_mov_b32_e32 v19, v3
	v_lshlrev_b16 v3, 8, v12
	v_mov_b32_e32 v20, v2
	s_delay_alu instid0(VALU_DEP_2)
	v_or_b32_e32 v2, 1, v3
	s_wait_dscnt 0x0
	v_dual_mov_b32 v17, v13 :: v_dual_mov_b32 v18, v14
	ds_store_b128 v21, v[15:18]
	ds_store_b64 v11, v[19:20]
	ds_store_b16 v10, v2
.LBB19_39:
	s_wait_alu 0xfffe
	s_or_b32 exec_lo, exec_lo, s2
	s_wait_loadcnt_dscnt 0x0
	s_barrier_signal -1
	s_barrier_wait -1
	global_inv scope:SCOPE_SE
	s_and_saveexec_b32 s2, s0
	s_cbranch_execz .LBB19_44
; %bb.40:
	s_and_saveexec_b32 s0, vcc_lo
	s_cbranch_execz .LBB19_42
; %bb.41:
	v_mad_co_u64_u32 v[2:3], null, v6, s6, v[1:2]
	v_mov_b32_e32 v3, 0
	v_mad_co_u64_u32 v[10:11], null, v6, s7, v[0:1]
	ds_load_b32 v6, v8
	ds_load_b64 v[8:9], v9
	v_mov_b32_e32 v11, v3
	v_lshlrev_b64_e32 v[2:3], 2, v[2:3]
	s_delay_alu instid0(VALU_DEP_2) | instskip(NEXT) | instid1(VALU_DEP_2)
	v_lshlrev_b64_e32 v[10:11], 3, v[10:11]
	v_add_co_u32 v2, vcc_lo, s8, v2
	s_wait_alu 0xfffd
	s_delay_alu instid0(VALU_DEP_3) | instskip(NEXT) | instid1(VALU_DEP_3)
	v_add_co_ci_u32_e64 v3, null, s9, v3, vcc_lo
	v_add_co_u32 v10, vcc_lo, s10, v10
	s_wait_alu 0xfffd
	v_add_co_ci_u32_e64 v11, null, s11, v11, vcc_lo
	s_wait_dscnt 0x1
	global_store_b32 v[2:3], v6, off
	s_wait_dscnt 0x0
	global_store_b64 v[10:11], v[8:9], off
.LBB19_42:
	s_wait_alu 0xfffe
	s_or_b32 exec_lo, exec_lo, s0
	s_delay_alu instid0(SALU_CYCLE_1)
	s_and_b32 exec_lo, exec_lo, s1
	s_cbranch_execz .LBB19_44
; %bb.43:
	v_mad_co_u64_u32 v[1:2], null, v7, s6, v[1:2]
	v_mov_b32_e32 v2, 0
	ds_load_b32 v8, v4
	ds_load_b64 v[3:4], v5
	v_mad_co_u64_u32 v[6:7], null, v7, s7, v[0:1]
	v_mov_b32_e32 v7, v2
	v_lshlrev_b64_e32 v[0:1], 2, v[1:2]
	s_delay_alu instid0(VALU_DEP_2) | instskip(NEXT) | instid1(VALU_DEP_2)
	v_lshlrev_b64_e32 v[5:6], 3, v[6:7]
	v_add_co_u32 v0, vcc_lo, s8, v0
	s_wait_alu 0xfffd
	s_delay_alu instid0(VALU_DEP_3) | instskip(NEXT) | instid1(VALU_DEP_3)
	v_add_co_ci_u32_e64 v1, null, s9, v1, vcc_lo
	v_add_co_u32 v5, vcc_lo, s10, v5
	s_wait_alu 0xfffd
	v_add_co_ci_u32_e64 v6, null, s11, v6, vcc_lo
	s_wait_dscnt 0x1
	global_store_b32 v[0:1], v8, off
	s_wait_dscnt 0x0
	global_store_b64 v[5:6], v[3:4], off
.LBB19_44:
	s_endpgm
	.section	.rodata,"a",@progbits
	.p2align	6, 0x0
	.amdhsa_kernel _ZN2at6native20bitonicSortKVInPlaceILi2ELin1ELi16ELi16EilNS0_4GTOpIiLb1EEEjEEvNS_4cuda6detail10TensorInfoIT3_T6_EES8_S8_S8_NS6_IT4_S8_EES8_T5_
		.amdhsa_group_segment_fixed_size 6656
		.amdhsa_private_segment_fixed_size 0
		.amdhsa_kernarg_size 712
		.amdhsa_user_sgpr_count 2
		.amdhsa_user_sgpr_dispatch_ptr 0
		.amdhsa_user_sgpr_queue_ptr 0
		.amdhsa_user_sgpr_kernarg_segment_ptr 1
		.amdhsa_user_sgpr_dispatch_id 0
		.amdhsa_user_sgpr_private_segment_size 0
		.amdhsa_wavefront_size32 1
		.amdhsa_uses_dynamic_stack 0
		.amdhsa_enable_private_segment 0
		.amdhsa_system_sgpr_workgroup_id_x 1
		.amdhsa_system_sgpr_workgroup_id_y 1
		.amdhsa_system_sgpr_workgroup_id_z 1
		.amdhsa_system_sgpr_workgroup_info 0
		.amdhsa_system_vgpr_workitem_id 1
		.amdhsa_next_free_vgpr 36
		.amdhsa_next_free_sgpr 19
		.amdhsa_reserve_vcc 1
		.amdhsa_float_round_mode_32 0
		.amdhsa_float_round_mode_16_64 0
		.amdhsa_float_denorm_mode_32 3
		.amdhsa_float_denorm_mode_16_64 3
		.amdhsa_fp16_overflow 0
		.amdhsa_workgroup_processor_mode 1
		.amdhsa_memory_ordered 1
		.amdhsa_forward_progress 1
		.amdhsa_inst_pref_size 37
		.amdhsa_round_robin_scheduling 0
		.amdhsa_exception_fp_ieee_invalid_op 0
		.amdhsa_exception_fp_denorm_src 0
		.amdhsa_exception_fp_ieee_div_zero 0
		.amdhsa_exception_fp_ieee_overflow 0
		.amdhsa_exception_fp_ieee_underflow 0
		.amdhsa_exception_fp_ieee_inexact 0
		.amdhsa_exception_int_div_zero 0
	.end_amdhsa_kernel
	.section	.text._ZN2at6native20bitonicSortKVInPlaceILi2ELin1ELi16ELi16EilNS0_4GTOpIiLb1EEEjEEvNS_4cuda6detail10TensorInfoIT3_T6_EES8_S8_S8_NS6_IT4_S8_EES8_T5_,"axG",@progbits,_ZN2at6native20bitonicSortKVInPlaceILi2ELin1ELi16ELi16EilNS0_4GTOpIiLb1EEEjEEvNS_4cuda6detail10TensorInfoIT3_T6_EES8_S8_S8_NS6_IT4_S8_EES8_T5_,comdat
.Lfunc_end19:
	.size	_ZN2at6native20bitonicSortKVInPlaceILi2ELin1ELi16ELi16EilNS0_4GTOpIiLb1EEEjEEvNS_4cuda6detail10TensorInfoIT3_T6_EES8_S8_S8_NS6_IT4_S8_EES8_T5_, .Lfunc_end19-_ZN2at6native20bitonicSortKVInPlaceILi2ELin1ELi16ELi16EilNS0_4GTOpIiLb1EEEjEEvNS_4cuda6detail10TensorInfoIT3_T6_EES8_S8_S8_NS6_IT4_S8_EES8_T5_
                                        ; -- End function
	.set _ZN2at6native20bitonicSortKVInPlaceILi2ELin1ELi16ELi16EilNS0_4GTOpIiLb1EEEjEEvNS_4cuda6detail10TensorInfoIT3_T6_EES8_S8_S8_NS6_IT4_S8_EES8_T5_.num_vgpr, 36
	.set _ZN2at6native20bitonicSortKVInPlaceILi2ELin1ELi16ELi16EilNS0_4GTOpIiLb1EEEjEEvNS_4cuda6detail10TensorInfoIT3_T6_EES8_S8_S8_NS6_IT4_S8_EES8_T5_.num_agpr, 0
	.set _ZN2at6native20bitonicSortKVInPlaceILi2ELin1ELi16ELi16EilNS0_4GTOpIiLb1EEEjEEvNS_4cuda6detail10TensorInfoIT3_T6_EES8_S8_S8_NS6_IT4_S8_EES8_T5_.numbered_sgpr, 19
	.set _ZN2at6native20bitonicSortKVInPlaceILi2ELin1ELi16ELi16EilNS0_4GTOpIiLb1EEEjEEvNS_4cuda6detail10TensorInfoIT3_T6_EES8_S8_S8_NS6_IT4_S8_EES8_T5_.num_named_barrier, 0
	.set _ZN2at6native20bitonicSortKVInPlaceILi2ELin1ELi16ELi16EilNS0_4GTOpIiLb1EEEjEEvNS_4cuda6detail10TensorInfoIT3_T6_EES8_S8_S8_NS6_IT4_S8_EES8_T5_.private_seg_size, 0
	.set _ZN2at6native20bitonicSortKVInPlaceILi2ELin1ELi16ELi16EilNS0_4GTOpIiLb1EEEjEEvNS_4cuda6detail10TensorInfoIT3_T6_EES8_S8_S8_NS6_IT4_S8_EES8_T5_.uses_vcc, 1
	.set _ZN2at6native20bitonicSortKVInPlaceILi2ELin1ELi16ELi16EilNS0_4GTOpIiLb1EEEjEEvNS_4cuda6detail10TensorInfoIT3_T6_EES8_S8_S8_NS6_IT4_S8_EES8_T5_.uses_flat_scratch, 0
	.set _ZN2at6native20bitonicSortKVInPlaceILi2ELin1ELi16ELi16EilNS0_4GTOpIiLb1EEEjEEvNS_4cuda6detail10TensorInfoIT3_T6_EES8_S8_S8_NS6_IT4_S8_EES8_T5_.has_dyn_sized_stack, 0
	.set _ZN2at6native20bitonicSortKVInPlaceILi2ELin1ELi16ELi16EilNS0_4GTOpIiLb1EEEjEEvNS_4cuda6detail10TensorInfoIT3_T6_EES8_S8_S8_NS6_IT4_S8_EES8_T5_.has_recursion, 0
	.set _ZN2at6native20bitonicSortKVInPlaceILi2ELin1ELi16ELi16EilNS0_4GTOpIiLb1EEEjEEvNS_4cuda6detail10TensorInfoIT3_T6_EES8_S8_S8_NS6_IT4_S8_EES8_T5_.has_indirect_call, 0
	.section	.AMDGPU.csdata,"",@progbits
; Kernel info:
; codeLenInByte = 4668
; TotalNumSgprs: 21
; NumVgprs: 36
; ScratchSize: 0
; MemoryBound: 0
; FloatMode: 240
; IeeeMode: 1
; LDSByteSize: 6656 bytes/workgroup (compile time only)
; SGPRBlocks: 0
; VGPRBlocks: 4
; NumSGPRsForWavesPerEU: 21
; NumVGPRsForWavesPerEU: 36
; Occupancy: 16
; WaveLimiterHint : 1
; COMPUTE_PGM_RSRC2:SCRATCH_EN: 0
; COMPUTE_PGM_RSRC2:USER_SGPR: 2
; COMPUTE_PGM_RSRC2:TRAP_HANDLER: 0
; COMPUTE_PGM_RSRC2:TGID_X_EN: 1
; COMPUTE_PGM_RSRC2:TGID_Y_EN: 1
; COMPUTE_PGM_RSRC2:TGID_Z_EN: 1
; COMPUTE_PGM_RSRC2:TIDIG_COMP_CNT: 1
	.section	.text._ZN2at6native20bitonicSortKVInPlaceILin1ELin1ELi16ELi16EilNS0_4LTOpIiLb1EEEjEEvNS_4cuda6detail10TensorInfoIT3_T6_EES8_S8_S8_NS6_IT4_S8_EES8_T5_,"axG",@progbits,_ZN2at6native20bitonicSortKVInPlaceILin1ELin1ELi16ELi16EilNS0_4LTOpIiLb1EEEjEEvNS_4cuda6detail10TensorInfoIT3_T6_EES8_S8_S8_NS6_IT4_S8_EES8_T5_,comdat
	.protected	_ZN2at6native20bitonicSortKVInPlaceILin1ELin1ELi16ELi16EilNS0_4LTOpIiLb1EEEjEEvNS_4cuda6detail10TensorInfoIT3_T6_EES8_S8_S8_NS6_IT4_S8_EES8_T5_ ; -- Begin function _ZN2at6native20bitonicSortKVInPlaceILin1ELin1ELi16ELi16EilNS0_4LTOpIiLb1EEEjEEvNS_4cuda6detail10TensorInfoIT3_T6_EES8_S8_S8_NS6_IT4_S8_EES8_T5_
	.globl	_ZN2at6native20bitonicSortKVInPlaceILin1ELin1ELi16ELi16EilNS0_4LTOpIiLb1EEEjEEvNS_4cuda6detail10TensorInfoIT3_T6_EES8_S8_S8_NS6_IT4_S8_EES8_T5_
	.p2align	8
	.type	_ZN2at6native20bitonicSortKVInPlaceILin1ELin1ELi16ELi16EilNS0_4LTOpIiLb1EEEjEEvNS_4cuda6detail10TensorInfoIT3_T6_EES8_S8_S8_NS6_IT4_S8_EES8_T5_,@function
_ZN2at6native20bitonicSortKVInPlaceILin1ELin1ELi16ELi16EilNS0_4LTOpIiLb1EEEjEEvNS_4cuda6detail10TensorInfoIT3_T6_EES8_S8_S8_NS6_IT4_S8_EES8_T5_: ; @_ZN2at6native20bitonicSortKVInPlaceILin1ELin1ELi16ELi16EilNS0_4LTOpIiLb1EEEjEEvNS_4cuda6detail10TensorInfoIT3_T6_EES8_S8_S8_NS6_IT4_S8_EES8_T5_
; %bb.0:
	s_clause 0x2
	s_load_b64 s[2:3], s[0:1], 0x1c8
	s_load_u16 s7, s[0:1], 0x1d6
	s_load_b96 s[4:6], s[0:1], 0xd8
	s_lshr_b32 s8, ttmp7, 16
	s_wait_kmcnt 0x0
	s_mul_i32 s3, s3, s8
	s_and_b32 s8, ttmp7, 0xffff
	s_delay_alu instid0(SALU_CYCLE_1) | instskip(NEXT) | instid1(SALU_CYCLE_1)
	s_add_co_i32 s3, s3, s8
	s_mul_i32 s2, s3, s2
	s_delay_alu instid0(SALU_CYCLE_1) | instskip(NEXT) | instid1(SALU_CYCLE_1)
	s_add_co_i32 s3, s2, ttmp9
	s_mul_i32 s3, s3, s7
	s_delay_alu instid0(SALU_CYCLE_1)
	s_cmp_ge_u32 s3, s4
	s_cbranch_scc1 .LBB20_46
; %bb.1:
	s_load_b32 s2, s[0:1], 0xd0
	v_bfe_u32 v8, v0, 10, 10
	s_delay_alu instid0(VALU_DEP_1) | instskip(NEXT) | instid1(VALU_DEP_1)
	v_dual_mov_b32 v1, 0 :: v_dual_add_nc_u32 v6, s3, v8
	v_mov_b32_e32 v3, v6
	s_wait_kmcnt 0x0
	s_cmp_lt_i32 s2, 2
	s_cbranch_scc1 .LBB20_4
; %bb.2:
	s_add_co_i32 s8, s2, -1
	s_mov_b32 s9, 0
	v_mov_b32_e32 v1, 0
	s_lshl_b64 s[8:9], s[8:9], 2
	v_mov_b32_e32 v3, v6
	s_add_nc_u64 s[8:9], s[0:1], s[8:9]
	s_add_co_i32 s7, s2, 1
	s_add_nc_u64 s[2:3], s[8:9], 8
.LBB20_3:                               ; =>This Inner Loop Header: Depth=1
	s_clause 0x1
	s_load_b32 s8, s[2:3], 0x0
	s_load_b32 s9, s[2:3], 0x64
	s_add_co_i32 s7, s7, -1
	s_add_nc_u64 s[2:3], s[2:3], -4
	s_wait_kmcnt 0x0
	s_cvt_f32_u32 s10, s8
	s_sub_co_i32 s11, 0, s8
	s_wait_alu 0xfffe
	s_delay_alu instid0(SALU_CYCLE_1) | instskip(NEXT) | instid1(TRANS32_DEP_1)
	v_rcp_iflag_f32_e32 v2, s10
	v_readfirstlane_b32 s10, v2
	v_mov_b32_e32 v2, v3
	s_mul_f32 s10, s10, 0x4f7ffffe
	s_wait_alu 0xfffe
	s_delay_alu instid0(SALU_CYCLE_2) | instskip(SKIP_1) | instid1(SALU_CYCLE_2)
	s_cvt_u32_f32 s10, s10
	s_wait_alu 0xfffe
	s_mul_i32 s11, s11, s10
	s_wait_alu 0xfffe
	s_mul_hi_u32 s11, s10, s11
	s_wait_alu 0xfffe
	s_add_co_i32 s10, s10, s11
	s_cmp_gt_u32 s7, 2
	s_wait_alu 0xfffe
	v_mul_hi_u32 v3, v2, s10
	s_delay_alu instid0(VALU_DEP_1) | instskip(SKIP_1) | instid1(VALU_DEP_2)
	v_mul_lo_u32 v4, v3, s8
	v_add_nc_u32_e32 v5, 1, v3
	v_sub_nc_u32_e32 v4, v2, v4
	s_delay_alu instid0(VALU_DEP_1) | instskip(SKIP_2) | instid1(VALU_DEP_2)
	v_subrev_nc_u32_e32 v7, s8, v4
	v_cmp_le_u32_e32 vcc_lo, s8, v4
	s_wait_alu 0xfffd
	v_dual_cndmask_b32 v3, v3, v5 :: v_dual_cndmask_b32 v4, v4, v7
	s_delay_alu instid0(VALU_DEP_1) | instskip(NEXT) | instid1(VALU_DEP_2)
	v_add_nc_u32_e32 v5, 1, v3
	v_cmp_le_u32_e32 vcc_lo, s8, v4
	s_wait_alu 0xfffd
	s_delay_alu instid0(VALU_DEP_2) | instskip(NEXT) | instid1(VALU_DEP_1)
	v_cndmask_b32_e32 v3, v3, v5, vcc_lo
	v_mul_lo_u32 v4, v3, s8
	s_delay_alu instid0(VALU_DEP_1) | instskip(NEXT) | instid1(VALU_DEP_1)
	v_sub_nc_u32_e32 v2, v2, v4
	v_mad_co_u64_u32 v[1:2], null, s9, v2, v[1:2]
	s_cbranch_scc1 .LBB20_3
.LBB20_4:
	s_load_b32 s7, s[0:1], 0x1b8
	v_dual_mov_b32 v4, 0 :: v_dual_mov_b32 v9, v6
	s_add_nc_u64 s[2:3], s[0:1], 0x1c8
	s_wait_kmcnt 0x0
	s_cmp_lt_i32 s7, 2
	s_cbranch_scc1 .LBB20_7
; %bb.5:
	s_add_co_i32 s8, s7, -1
	s_mov_b32 s9, 0
	v_dual_mov_b32 v4, 0 :: v_dual_mov_b32 v9, v6
	s_wait_alu 0xfffe
	s_lshl_b64 s[8:9], s[8:9], 2
	s_add_co_i32 s7, s7, 1
	s_wait_alu 0xfffe
	s_add_nc_u64 s[8:9], s[0:1], s[8:9]
	s_wait_alu 0xfffe
	s_add_nc_u64 s[8:9], s[8:9], 0xf0
.LBB20_6:                               ; =>This Inner Loop Header: Depth=1
	s_clause 0x1
	s_load_b32 s10, s[8:9], 0x0
	s_load_b32 s11, s[8:9], 0x64
	s_add_co_i32 s7, s7, -1
	s_add_nc_u64 s[8:9], s[8:9], -4
	s_wait_kmcnt 0x0
	s_cvt_f32_u32 s12, s10
	s_sub_co_i32 s13, 0, s10
	s_wait_alu 0xfffe
	s_delay_alu instid0(SALU_CYCLE_1) | instskip(NEXT) | instid1(TRANS32_DEP_1)
	v_rcp_iflag_f32_e32 v2, s12
	v_readfirstlane_b32 s12, v2
	v_mov_b32_e32 v2, v9
	s_mul_f32 s12, s12, 0x4f7ffffe
	s_wait_alu 0xfffe
	s_delay_alu instid0(SALU_CYCLE_2) | instskip(SKIP_1) | instid1(SALU_CYCLE_2)
	s_cvt_u32_f32 s12, s12
	s_wait_alu 0xfffe
	s_mul_i32 s13, s13, s12
	s_wait_alu 0xfffe
	s_mul_hi_u32 s13, s12, s13
	s_wait_alu 0xfffe
	s_add_co_i32 s12, s12, s13
	s_cmp_gt_u32 s7, 2
	s_wait_alu 0xfffe
	v_mul_hi_u32 v5, v2, s12
	s_delay_alu instid0(VALU_DEP_1) | instskip(SKIP_1) | instid1(VALU_DEP_2)
	v_mul_lo_u32 v7, v5, s10
	v_add_nc_u32_e32 v9, 1, v5
	v_sub_nc_u32_e32 v7, v2, v7
	s_delay_alu instid0(VALU_DEP_1) | instskip(SKIP_3) | instid1(VALU_DEP_3)
	v_subrev_nc_u32_e32 v10, s10, v7
	v_cmp_le_u32_e32 vcc_lo, s10, v7
	s_wait_alu 0xfffd
	v_cndmask_b32_e32 v5, v5, v9, vcc_lo
	v_cndmask_b32_e32 v7, v7, v10, vcc_lo
	s_delay_alu instid0(VALU_DEP_2) | instskip(NEXT) | instid1(VALU_DEP_2)
	v_add_nc_u32_e32 v9, 1, v5
	v_cmp_le_u32_e32 vcc_lo, s10, v7
	s_wait_alu 0xfffd
	s_delay_alu instid0(VALU_DEP_2) | instskip(NEXT) | instid1(VALU_DEP_1)
	v_cndmask_b32_e32 v9, v5, v9, vcc_lo
	v_mul_lo_u32 v5, v9, s10
	s_delay_alu instid0(VALU_DEP_1) | instskip(NEXT) | instid1(VALU_DEP_1)
	v_sub_nc_u32_e32 v2, v2, v5
	v_mad_co_u64_u32 v[4:5], null, s11, v2, v[4:5]
	s_cbranch_scc1 .LBB20_6
.LBB20_7:
	s_clause 0x1
	s_load_b32 s12, s[0:1], 0x6c
	s_load_b32 s13, s[0:1], 0x154
	;; [unrolled: 1-line block ×3, first 2 shown]
	s_clause 0x2
	s_load_b32 s7, s[0:1], 0x1c0
	s_load_b64 s[10:11], s[0:1], 0x0
	s_load_b64 s[8:9], s[0:1], 0xe8
	v_and_b32_e32 v7, 0x3ff, v0
	v_cmp_gt_u32_e64 s0, s4, v6
	v_dual_mov_b32 v10, 0 :: v_dual_mov_b32 v11, 0
	s_wait_kmcnt 0x0
	v_mad_co_u64_u32 v[2:3], null, s12, v3, v[1:2]
	v_mad_co_u64_u32 v[0:1], null, s13, v9, v[4:5]
	v_mov_b32_e32 v3, 0
	v_mov_b32_e32 v4, 0
	v_cmp_gt_u32_e32 vcc_lo, s5, v7
	v_mov_b32_e32 v5, 0
	v_mov_b32_e32 v6, 0
	s_and_b32 s4, s0, vcc_lo
	s_wait_alu 0xfffe
	s_and_saveexec_b32 s3, s4
	s_cbranch_execz .LBB20_9
; %bb.8:
	v_mad_co_u64_u32 v[5:6], null, v7, s6, v[2:3]
	v_mov_b32_e32 v6, 0
	v_mad_co_u64_u32 v[11:12], null, v7, s7, v[0:1]
	s_delay_alu instid0(VALU_DEP_2) | instskip(NEXT) | instid1(VALU_DEP_4)
	v_mov_b32_e32 v12, v6
	v_lshlrev_b64_e32 v[5:6], 2, v[5:6]
	s_delay_alu instid0(VALU_DEP_2) | instskip(NEXT) | instid1(VALU_DEP_2)
	v_lshlrev_b64_e32 v[11:12], 3, v[11:12]
	v_add_co_u32 v5, s1, s10, v5
	s_delay_alu instid0(VALU_DEP_1) | instskip(NEXT) | instid1(VALU_DEP_3)
	v_add_co_ci_u32_e64 v6, null, s11, v6, s1
	v_add_co_u32 v13, s1, s8, v11
	s_wait_alu 0xf1ff
	s_delay_alu instid0(VALU_DEP_4)
	v_add_co_ci_u32_e64 v14, null, s9, v12, s1
	global_load_b32 v11, v[5:6], off
	global_load_b64 v[5:6], v[13:14], off
.LBB20_9:
	s_wait_alu 0xfffe
	s_or_b32 exec_lo, exec_lo, s3
	s_and_b32 s3, 0xffff, s2
	v_lshl_add_u32 v14, v8, 7, 0x1000
	s_wait_alu 0xfffe
	v_add_nc_u32_e32 v1, s3, v7
	v_lshlrev_b32_e32 v12, 8, v8
	v_lshl_add_u32 v16, v8, 5, 0x1800
	v_cndmask_b32_e64 v13, 0, 1, s4
	v_lshl_add_u32 v8, v7, 2, v14
	v_cmp_gt_u32_e64 s1, s5, v1
	v_lshl_add_u32 v9, v7, 3, v12
	v_add_nc_u32_e32 v15, v16, v7
	s_wait_loadcnt 0x1
	ds_store_b32 v8, v11
	s_wait_loadcnt 0x0
	ds_store_b64 v9, v[5:6]
	ds_store_b8 v15, v13
	s_and_b32 s4, s0, s1
	s_wait_alu 0xfffe
	s_and_saveexec_b32 s5, s4
	s_cbranch_execz .LBB20_11
; %bb.10:
	v_mad_co_u64_u32 v[3:4], null, v1, s6, v[2:3]
	v_mov_b32_e32 v4, 0
	v_mad_co_u64_u32 v[5:6], null, v1, s7, v[0:1]
	s_delay_alu instid0(VALU_DEP_2) | instskip(NEXT) | instid1(VALU_DEP_4)
	v_mov_b32_e32 v6, v4
	v_lshlrev_b64_e32 v[3:4], 2, v[3:4]
	s_delay_alu instid0(VALU_DEP_2) | instskip(NEXT) | instid1(VALU_DEP_2)
	v_lshlrev_b64_e32 v[5:6], 3, v[5:6]
	v_add_co_u32 v3, s2, s10, v3
	s_wait_alu 0xf1ff
	s_delay_alu instid0(VALU_DEP_3) | instskip(NEXT) | instid1(VALU_DEP_3)
	v_add_co_ci_u32_e64 v4, null, s11, v4, s2
	v_add_co_u32 v5, s2, s8, v5
	s_wait_alu 0xf1ff
	v_add_co_ci_u32_e64 v6, null, s9, v6, s2
	global_load_b32 v10, v[3:4], off
	global_load_b64 v[3:4], v[5:6], off
.LBB20_11:
	s_wait_alu 0xfffe
	s_or_b32 exec_lo, exec_lo, s5
	v_lshl_add_u32 v5, s3, 2, v8
	v_lshl_add_u32 v6, s3, 3, v9
	v_cndmask_b32_e64 v11, 0, 1, s4
	v_add_nc_u32_e32 v13, v16, v1
	v_lshlrev_b32_e32 v18, 1, v7
	s_wait_loadcnt 0x1
	ds_store_b32 v5, v10
	s_wait_loadcnt 0x0
	ds_store_b64 v6, v[3:4]
	ds_store_b8 v13, v11
	v_lshlrev_b32_e32 v3, 2, v7
	s_wait_dscnt 0x0
	v_add_nc_u32_e32 v10, v16, v18
	s_barrier_signal -1
	s_barrier_wait -1
	v_add_nc_u32_e32 v11, v8, v3
	global_inv scope:SCOPE_SE
	ds_load_u16 v17, v10
	ds_load_b64 v[3:4], v11
	v_and_b32_e32 v13, 1, v7
	s_wait_dscnt 0x1
	v_lshrrev_b16 v15, 8, v17
	v_and_b32_e32 v19, 1, v17
	s_wait_dscnt 0x0
	v_cmp_lt_i32_e64 s2, v3, v4
	s_delay_alu instid0(VALU_DEP_3) | instskip(NEXT) | instid1(VALU_DEP_3)
	v_cmp_ne_u16_e64 s4, v15, v13
	v_cmp_eq_u32_e64 s3, 1, v19
	s_wait_alu 0xf1ff
	s_delay_alu instid0(VALU_DEP_2) | instskip(SKIP_2) | instid1(VALU_DEP_1)
	v_cndmask_b32_e64 v19, 0, 1, s4
	s_and_b32 s2, s2, s3
	s_wait_alu 0xfffe
	v_cndmask_b32_e64 v19, v19, v7, s2
	s_delay_alu instid0(VALU_DEP_1) | instskip(NEXT) | instid1(VALU_DEP_1)
	v_and_b32_e32 v19, 1, v19
	v_cmp_eq_u32_e64 s2, 1, v19
	v_lshl_add_u32 v19, v7, 3, v9
	s_and_saveexec_b32 s3, s2
	s_wait_alu 0xfffe
	s_xor_b32 s2, exec_lo, s3
	s_cbranch_execz .LBB20_13
; %bb.12:
	ds_load_b128 v[20:23], v19
	v_mov_b32_e32 v26, v4
	v_lshlrev_b16 v4, 8, v17
	v_mov_b32_e32 v27, v3
	s_delay_alu instid0(VALU_DEP_2)
	v_or_b32_e32 v3, v15, v4
	s_wait_dscnt 0x0
	v_dual_mov_b32 v24, v20 :: v_dual_mov_b32 v25, v21
	ds_store_b128 v19, v[22:25]
	ds_store_b64 v11, v[26:27]
	ds_store_b16 v10, v3
.LBB20_13:
	s_wait_alu 0xfffe
	s_or_b32 exec_lo, exec_lo, s2
	v_sub_nc_u32_e32 v17, v18, v13
	s_wait_loadcnt_dscnt 0x0
	s_barrier_signal -1
	s_barrier_wait -1
	global_inv scope:SCOPE_SE
	v_add_nc_u32_e32 v13, v16, v17
	v_lshl_add_u32 v15, v17, 2, v14
	v_bfe_u32 v23, v7, 1, 1
	v_lshl_add_u32 v17, v17, 3, v12
	ds_load_u8 v21, v13
	ds_load_2addr_b32 v[3:4], v15 offset1:2
	ds_load_u8 v22, v13 offset:2
	s_wait_dscnt 0x2
	v_and_b32_e32 v20, 1, v21
	s_wait_dscnt 0x1
	v_cmp_lt_i32_e64 s2, v3, v4
	s_wait_dscnt 0x0
	v_cmp_ne_u16_e64 s4, v22, v23
	v_cmp_eq_u32_e64 s3, 1, v20
	s_wait_alu 0xf1ff
	s_delay_alu instid0(VALU_DEP_2) | instskip(SKIP_2) | instid1(VALU_DEP_1)
	v_cndmask_b32_e64 v20, 0, 1, s4
	s_and_b32 s2, s2, s3
	s_wait_alu 0xfffe
	v_cndmask_b32_e64 v23, v20, v23, s2
	v_and_b32_e32 v20, 2, v7
	s_delay_alu instid0(VALU_DEP_2) | instskip(NEXT) | instid1(VALU_DEP_2)
	v_and_b32_e32 v23, 1, v23
	v_cmp_ne_u32_e64 s2, 0, v20
	s_delay_alu instid0(VALU_DEP_2)
	v_cmp_eq_u32_e64 s3, 1, v23
	s_and_saveexec_b32 s4, s3
	s_wait_alu 0xfffe
	s_xor_b32 s3, exec_lo, s4
	s_cbranch_execz .LBB20_15
; %bb.14:
	ds_load_2addr_b64 v[23:26], v17 offset1:2
	ds_store_2addr_b32 v15, v4, v3 offset1:2
	s_wait_dscnt 0x1
	ds_store_2addr_b64 v17, v[25:26], v[23:24] offset1:2
	ds_store_b8 v13, v22
	ds_store_b8 v13, v21 offset:2
.LBB20_15:
	s_wait_alu 0xfffe
	s_or_b32 exec_lo, exec_lo, s3
	s_wait_loadcnt_dscnt 0x0
	s_barrier_signal -1
	s_barrier_wait -1
	global_inv scope:SCOPE_SE
	ds_load_u16 v21, v10
	ds_load_b64 v[3:4], v11
	v_lshrrev_b32_e32 v22, 1, v20
	v_cndmask_b32_e64 v24, 0, 1, s2
	s_wait_dscnt 0x1
	v_lshrrev_b16 v20, 8, v21
	v_and_b32_e32 v23, 1, v21
	s_wait_dscnt 0x0
	v_cmp_lt_i32_e64 s2, v3, v4
	s_delay_alu instid0(VALU_DEP_3) | instskip(NEXT) | instid1(VALU_DEP_3)
	v_cmp_ne_u16_e64 s4, v20, v22
	v_cmp_eq_u32_e64 s3, 1, v23
	s_wait_alu 0xf1ff
	s_delay_alu instid0(VALU_DEP_2) | instskip(SKIP_3) | instid1(VALU_DEP_1)
	v_cndmask_b32_e64 v22, 0, 1, s4
	s_and_b32 s2, s2, s3
	s_mov_b32 s3, exec_lo
	s_wait_alu 0xfffe
	v_cndmask_b32_e64 v22, v22, v24, s2
	s_delay_alu instid0(VALU_DEP_1) | instskip(NEXT) | instid1(VALU_DEP_1)
	v_and_b32_e32 v22, 1, v22
	v_cmpx_eq_u32_e32 1, v22
	s_cbranch_execz .LBB20_17
; %bb.16:
	ds_load_b128 v[22:25], v19
	v_mov_b32_e32 v28, v4
	v_lshlrev_b16 v4, 8, v21
	v_mov_b32_e32 v29, v3
	s_delay_alu instid0(VALU_DEP_2)
	v_or_b32_e32 v3, v20, v4
	s_wait_dscnt 0x0
	v_dual_mov_b32 v26, v22 :: v_dual_mov_b32 v27, v23
	ds_store_b128 v19, v[24:27]
	ds_store_b64 v11, v[28:29]
	ds_store_b16 v10, v3
.LBB20_17:
	s_or_b32 exec_lo, exec_lo, s3
	v_and_b32_e32 v3, 3, v7
	s_wait_loadcnt_dscnt 0x0
	s_barrier_signal -1
	s_barrier_wait -1
	global_inv scope:SCOPE_SE
	v_sub_nc_u32_e32 v22, v18, v3
	v_bfe_u32 v25, v7, 2, 1
	s_delay_alu instid0(VALU_DEP_2)
	v_add_nc_u32_e32 v19, v16, v22
	v_lshl_add_u32 v20, v22, 2, v14
	v_lshl_add_u32 v22, v22, 3, v12
	ds_load_u8 v23, v19
	ds_load_2addr_b32 v[3:4], v20 offset1:4
	ds_load_u8 v24, v19 offset:4
	s_wait_dscnt 0x2
	v_and_b32_e32 v21, 1, v23
	s_wait_dscnt 0x1
	v_cmp_lt_i32_e64 s2, v3, v4
	s_wait_dscnt 0x0
	v_cmp_ne_u16_e64 s4, v24, v25
	v_cmp_eq_u32_e64 s3, 1, v21
	s_wait_alu 0xf1ff
	s_delay_alu instid0(VALU_DEP_2) | instskip(SKIP_3) | instid1(VALU_DEP_1)
	v_cndmask_b32_e64 v21, 0, 1, s4
	s_mov_b32 s4, exec_lo
	s_and_b32 s2, s2, s3
	s_wait_alu 0xfffe
	v_cndmask_b32_e64 v25, v21, v25, s2
	v_and_b32_e32 v21, 4, v7
	s_delay_alu instid0(VALU_DEP_2) | instskip(NEXT) | instid1(VALU_DEP_2)
	v_and_b32_e32 v25, 1, v25
	v_cmp_ne_u32_e64 s2, 0, v21
	s_delay_alu instid0(VALU_DEP_2)
	v_cmpx_eq_u32_e32 1, v25
	s_cbranch_execz .LBB20_19
; %bb.18:
	ds_load_2addr_b64 v[25:28], v22 offset1:4
	ds_store_2addr_b32 v20, v4, v3 offset1:4
	s_wait_dscnt 0x1
	ds_store_2addr_b64 v22, v[27:28], v[25:26] offset1:4
	ds_store_b8 v19, v24
	ds_store_b8 v19, v23 offset:4
.LBB20_19:
	s_or_b32 exec_lo, exec_lo, s4
	s_wait_loadcnt_dscnt 0x0
	s_barrier_signal -1
	s_barrier_wait -1
	global_inv scope:SCOPE_SE
	ds_load_u8 v24, v13
	ds_load_2addr_b32 v[3:4], v15 offset1:2
	ds_load_u8 v25, v13 offset:2
	v_lshrrev_b32_e32 v21, 2, v21
	v_cndmask_b32_e64 v23, 0, 1, s2
	s_wait_dscnt 0x2
	v_and_b32_e32 v26, 1, v24
	s_wait_dscnt 0x1
	v_cmp_lt_i32_e64 s2, v3, v4
	s_wait_dscnt 0x0
	v_cmp_ne_u16_e64 s4, v25, v21
	v_cmp_eq_u32_e64 s3, 1, v26
	s_wait_alu 0xf1ff
	s_delay_alu instid0(VALU_DEP_2) | instskip(SKIP_3) | instid1(VALU_DEP_1)
	v_cndmask_b32_e64 v26, 0, 1, s4
	s_and_b32 s2, s2, s3
	s_mov_b32 s3, exec_lo
	s_wait_alu 0xfffe
	v_cndmask_b32_e64 v26, v26, v23, s2
	s_delay_alu instid0(VALU_DEP_1) | instskip(NEXT) | instid1(VALU_DEP_1)
	v_and_b32_e32 v26, 1, v26
	v_cmpx_eq_u32_e32 1, v26
	s_cbranch_execz .LBB20_21
; %bb.20:
	ds_load_2addr_b64 v[26:29], v17 offset1:2
	ds_store_2addr_b32 v15, v4, v3 offset1:2
	s_wait_dscnt 0x1
	ds_store_2addr_b64 v17, v[28:29], v[26:27] offset1:2
	ds_store_b8 v13, v25
	ds_store_b8 v13, v24 offset:2
.LBB20_21:
	s_or_b32 exec_lo, exec_lo, s3
	s_wait_loadcnt_dscnt 0x0
	s_barrier_signal -1
	s_barrier_wait -1
	global_inv scope:SCOPE_SE
	ds_load_u16 v25, v10
	ds_load_b64 v[3:4], v11
	s_wait_dscnt 0x1
	v_lshrrev_b16 v24, 8, v25
	v_and_b32_e32 v26, 1, v25
	s_wait_dscnt 0x0
	v_cmp_lt_i32_e64 s2, v3, v4
	s_delay_alu instid0(VALU_DEP_3) | instskip(NEXT) | instid1(VALU_DEP_3)
	v_cmp_ne_u16_e64 s4, v24, v21
	v_cmp_eq_u32_e64 s3, 1, v26
	s_wait_alu 0xf1ff
	s_delay_alu instid0(VALU_DEP_2) | instskip(SKIP_2) | instid1(VALU_DEP_1)
	v_cndmask_b32_e64 v21, 0, 1, s4
	s_and_b32 s2, s2, s3
	s_wait_alu 0xfffe
	v_cndmask_b32_e64 v21, v21, v23, s2
	s_delay_alu instid0(VALU_DEP_1) | instskip(NEXT) | instid1(VALU_DEP_1)
	v_and_b32_e32 v21, 1, v21
	v_cmp_eq_u32_e64 s2, 1, v21
	v_lshl_add_u32 v21, v18, 3, v12
	s_and_saveexec_b32 s3, s2
	s_cbranch_execz .LBB20_23
; %bb.22:
	ds_load_b128 v[26:29], v21
	v_mov_b32_e32 v32, v4
	v_lshlrev_b16 v4, 8, v25
	v_mov_b32_e32 v33, v3
	s_delay_alu instid0(VALU_DEP_2)
	v_or_b32_e32 v3, v24, v4
	s_wait_dscnt 0x0
	v_dual_mov_b32 v30, v26 :: v_dual_mov_b32 v31, v27
	ds_store_b128 v21, v[28:31]
	ds_store_b64 v11, v[32:33]
	ds_store_b16 v10, v3
.LBB20_23:
	s_wait_alu 0xfffe
	s_or_b32 exec_lo, exec_lo, s3
	v_and_b32_e32 v3, 7, v7
	s_wait_loadcnt_dscnt 0x0
	s_barrier_signal -1
	s_barrier_wait -1
	global_inv scope:SCOPE_SE
	v_sub_nc_u32_e32 v25, v18, v3
	v_bfe_u32 v29, v7, 3, 1
	s_delay_alu instid0(VALU_DEP_2)
	v_add_nc_u32_e32 v23, v16, v25
	v_lshl_add_u32 v24, v25, 2, v14
	v_lshl_add_u32 v25, v25, 3, v12
	ds_load_u8 v27, v23
	ds_load_2addr_b32 v[3:4], v24 offset1:8
	ds_load_u8 v28, v23 offset:8
	s_wait_dscnt 0x2
	v_and_b32_e32 v26, 1, v27
	s_wait_dscnt 0x1
	v_cmp_lt_i32_e64 s2, v3, v4
	s_wait_dscnt 0x0
	v_cmp_ne_u16_e64 s4, v28, v29
	v_cmp_eq_u32_e64 s3, 1, v26
	s_wait_alu 0xf1ff
	s_delay_alu instid0(VALU_DEP_2) | instskip(SKIP_3) | instid1(VALU_DEP_1)
	v_cndmask_b32_e64 v26, 0, 1, s4
	s_mov_b32 s4, exec_lo
	s_and_b32 s2, s2, s3
	s_wait_alu 0xfffe
	v_cndmask_b32_e64 v29, v26, v29, s2
	v_and_b32_e32 v26, 8, v7
	s_delay_alu instid0(VALU_DEP_2) | instskip(NEXT) | instid1(VALU_DEP_2)
	v_and_b32_e32 v29, 1, v29
	v_cmp_ne_u32_e64 s2, 0, v26
	s_delay_alu instid0(VALU_DEP_2)
	v_cmpx_eq_u32_e32 1, v29
	s_cbranch_execz .LBB20_25
; %bb.24:
	ds_load_2addr_b64 v[29:32], v25 offset1:8
	ds_store_2addr_b32 v24, v4, v3 offset1:8
	s_wait_dscnt 0x1
	ds_store_2addr_b64 v25, v[31:32], v[29:30] offset1:8
	ds_store_b8 v23, v28
	ds_store_b8 v23, v27 offset:8
.LBB20_25:
	s_or_b32 exec_lo, exec_lo, s4
	s_wait_loadcnt_dscnt 0x0
	s_barrier_signal -1
	s_barrier_wait -1
	global_inv scope:SCOPE_SE
	ds_load_u8 v28, v19
	ds_load_2addr_b32 v[3:4], v20 offset1:4
	ds_load_u8 v29, v19 offset:4
	v_lshrrev_b32_e32 v26, 3, v26
	v_cndmask_b32_e64 v27, 0, 1, s2
	s_wait_dscnt 0x2
	v_and_b32_e32 v30, 1, v28
	s_wait_dscnt 0x1
	v_cmp_lt_i32_e64 s2, v3, v4
	s_wait_dscnt 0x0
	v_cmp_ne_u16_e64 s4, v29, v26
	v_cmp_eq_u32_e64 s3, 1, v30
	s_wait_alu 0xf1ff
	s_delay_alu instid0(VALU_DEP_2) | instskip(SKIP_3) | instid1(VALU_DEP_1)
	v_cndmask_b32_e64 v30, 0, 1, s4
	s_and_b32 s2, s2, s3
	s_mov_b32 s3, exec_lo
	s_wait_alu 0xfffe
	v_cndmask_b32_e64 v30, v30, v27, s2
	s_delay_alu instid0(VALU_DEP_1) | instskip(NEXT) | instid1(VALU_DEP_1)
	v_and_b32_e32 v30, 1, v30
	v_cmpx_eq_u32_e32 1, v30
	s_cbranch_execz .LBB20_27
; %bb.26:
	ds_load_2addr_b64 v[30:33], v22 offset1:4
	ds_store_2addr_b32 v20, v4, v3 offset1:4
	s_wait_dscnt 0x1
	ds_store_2addr_b64 v22, v[32:33], v[30:31] offset1:4
	ds_store_b8 v19, v29
	ds_store_b8 v19, v28 offset:4
.LBB20_27:
	s_or_b32 exec_lo, exec_lo, s3
	s_wait_loadcnt_dscnt 0x0
	s_barrier_signal -1
	s_barrier_wait -1
	global_inv scope:SCOPE_SE
	ds_load_u8 v28, v13
	ds_load_2addr_b32 v[3:4], v15 offset1:2
	ds_load_u8 v29, v13 offset:2
	s_wait_dscnt 0x2
	v_and_b32_e32 v30, 1, v28
	s_wait_dscnt 0x1
	v_cmp_lt_i32_e64 s2, v3, v4
	s_wait_dscnt 0x0
	v_cmp_ne_u16_e64 s4, v29, v26
	v_cmp_eq_u32_e64 s3, 1, v30
	s_wait_alu 0xf1ff
	s_delay_alu instid0(VALU_DEP_2) | instskip(SKIP_3) | instid1(VALU_DEP_1)
	v_cndmask_b32_e64 v30, 0, 1, s4
	s_and_b32 s2, s2, s3
	s_mov_b32 s3, exec_lo
	s_wait_alu 0xfffe
	v_cndmask_b32_e64 v30, v30, v27, s2
	s_delay_alu instid0(VALU_DEP_1) | instskip(NEXT) | instid1(VALU_DEP_1)
	v_and_b32_e32 v30, 1, v30
	v_cmpx_eq_u32_e32 1, v30
	s_cbranch_execz .LBB20_29
; %bb.28:
	ds_load_2addr_b64 v[30:33], v17 offset1:2
	ds_store_2addr_b32 v15, v4, v3 offset1:2
	s_wait_dscnt 0x1
	ds_store_2addr_b64 v17, v[32:33], v[30:31] offset1:2
	ds_store_b8 v13, v29
	ds_store_b8 v13, v28 offset:2
.LBB20_29:
	s_or_b32 exec_lo, exec_lo, s3
	s_wait_loadcnt_dscnt 0x0
	s_barrier_signal -1
	s_barrier_wait -1
	global_inv scope:SCOPE_SE
	ds_load_u16 v29, v10
	ds_load_b64 v[3:4], v11
	s_wait_dscnt 0x1
	v_lshrrev_b16 v28, 8, v29
	v_and_b32_e32 v30, 1, v29
	s_wait_dscnt 0x0
	v_cmp_lt_i32_e64 s2, v3, v4
	s_delay_alu instid0(VALU_DEP_3) | instskip(NEXT) | instid1(VALU_DEP_3)
	v_cmp_ne_u16_e64 s4, v28, v26
	v_cmp_eq_u32_e64 s3, 1, v30
	s_wait_alu 0xf1ff
	s_delay_alu instid0(VALU_DEP_2) | instskip(SKIP_3) | instid1(VALU_DEP_1)
	v_cndmask_b32_e64 v26, 0, 1, s4
	s_and_b32 s2, s2, s3
	s_mov_b32 s3, exec_lo
	s_wait_alu 0xfffe
	v_cndmask_b32_e64 v26, v26, v27, s2
	s_delay_alu instid0(VALU_DEP_1) | instskip(NEXT) | instid1(VALU_DEP_1)
	v_and_b32_e32 v26, 1, v26
	v_cmpx_eq_u32_e32 1, v26
	s_cbranch_execz .LBB20_31
; %bb.30:
	ds_load_b128 v[30:33], v21
	v_mov_b32_e32 v26, v4
	v_lshlrev_b16 v4, 8, v29
	v_mov_b32_e32 v27, v3
	s_delay_alu instid0(VALU_DEP_2)
	v_or_b32_e32 v3, v28, v4
	s_wait_dscnt 0x0
	v_dual_mov_b32 v34, v30 :: v_dual_mov_b32 v35, v31
	ds_store_b128 v21, v[32:35]
	ds_store_b64 v11, v[26:27]
	ds_store_b16 v10, v3
.LBB20_31:
	s_or_b32 exec_lo, exec_lo, s3
	v_and_b32_e32 v3, 15, v7
	s_wait_loadcnt_dscnt 0x0
	s_barrier_signal -1
	s_barrier_wait -1
	global_inv scope:SCOPE_SE
	v_sub_nc_u32_e32 v18, v18, v3
	s_delay_alu instid0(VALU_DEP_1)
	v_add_nc_u32_e32 v16, v16, v18
	v_lshl_add_u32 v14, v18, 2, v14
	ds_load_u8 v26, v16
	ds_load_u8 v27, v16 offset:16
	ds_load_2addr_b32 v[3:4], v14 offset1:16
	s_wait_dscnt 0x1
	v_and_b32_e32 v27, 0xff, v27
	v_and_b32_e32 v28, 1, v26
	s_wait_dscnt 0x0
	v_cmp_ge_i32_e64 s3, v3, v4
	s_delay_alu instid0(VALU_DEP_3) | instskip(NEXT) | instid1(VALU_DEP_3)
	v_cmp_ne_u16_e64 s4, 0, v27
	v_cmp_eq_u32_e64 s2, 1, v28
	s_xor_b32 s2, s2, -1
	s_wait_alu 0xfffe
	s_or_b32 s2, s3, s2
	s_wait_alu 0xfffe
	s_and_b32 s3, s2, s4
	s_wait_alu 0xfffe
	s_and_saveexec_b32 s2, s3
	s_cbranch_execz .LBB20_33
; %bb.32:
	v_lshl_add_u32 v12, v18, 3, v12
	v_mov_b32_e32 v18, 1
	ds_load_2addr_b64 v[27:30], v12 offset1:16
	ds_store_2addr_b32 v14, v4, v3 offset1:16
	s_wait_dscnt 0x1
	ds_store_2addr_b64 v12, v[29:30], v[27:28] offset1:16
	ds_store_b8 v16, v18
	ds_store_b8 v16, v26 offset:16
.LBB20_33:
	s_wait_alu 0xfffe
	s_or_b32 exec_lo, exec_lo, s2
	s_wait_loadcnt_dscnt 0x0
	s_barrier_signal -1
	s_barrier_wait -1
	global_inv scope:SCOPE_SE
	ds_load_u8 v12, v23
	ds_load_u8 v14, v23 offset:8
	ds_load_2addr_b32 v[3:4], v24 offset1:8
	s_wait_dscnt 0x2
	v_and_b32_e32 v16, 1, v12
	s_wait_dscnt 0x1
	v_and_b32_e32 v14, 0xff, v14
	s_wait_dscnt 0x0
	v_cmp_ge_i32_e64 s3, v3, v4
	v_cmp_eq_u32_e64 s2, 1, v16
	s_delay_alu instid0(VALU_DEP_3)
	v_cmp_ne_u16_e64 s4, 0, v14
	s_xor_b32 s2, s2, -1
	s_wait_alu 0xfffe
	s_or_b32 s2, s3, s2
	s_wait_alu 0xfffe
	s_and_b32 s3, s2, s4
	s_wait_alu 0xfffe
	s_and_saveexec_b32 s2, s3
	s_cbranch_execz .LBB20_35
; %bb.34:
	ds_load_2addr_b64 v[26:29], v25 offset1:8
	v_mov_b32_e32 v14, 1
	ds_store_2addr_b32 v24, v4, v3 offset1:8
	s_wait_dscnt 0x1
	ds_store_2addr_b64 v25, v[28:29], v[26:27] offset1:8
	ds_store_b8 v23, v14
	ds_store_b8 v23, v12 offset:8
.LBB20_35:
	s_wait_alu 0xfffe
	s_or_b32 exec_lo, exec_lo, s2
	s_wait_loadcnt_dscnt 0x0
	s_barrier_signal -1
	s_barrier_wait -1
	global_inv scope:SCOPE_SE
	ds_load_u8 v12, v19
	ds_load_u8 v14, v19 offset:4
	ds_load_2addr_b32 v[3:4], v20 offset1:4
	s_wait_dscnt 0x2
	v_and_b32_e32 v16, 1, v12
	s_wait_dscnt 0x1
	v_and_b32_e32 v14, 0xff, v14
	s_wait_dscnt 0x0
	v_cmp_ge_i32_e64 s3, v3, v4
	v_cmp_eq_u32_e64 s2, 1, v16
	s_delay_alu instid0(VALU_DEP_3)
	v_cmp_ne_u16_e64 s4, 0, v14
	s_xor_b32 s2, s2, -1
	s_wait_alu 0xfffe
	s_or_b32 s2, s3, s2
	s_wait_alu 0xfffe
	s_and_b32 s3, s2, s4
	s_wait_alu 0xfffe
	s_and_saveexec_b32 s2, s3
	s_cbranch_execz .LBB20_37
; %bb.36:
	ds_load_2addr_b64 v[23:26], v22 offset1:4
	v_mov_b32_e32 v14, 1
	ds_store_2addr_b32 v20, v4, v3 offset1:4
	s_wait_dscnt 0x1
	ds_store_2addr_b64 v22, v[25:26], v[23:24] offset1:4
	ds_store_b8 v19, v14
	ds_store_b8 v19, v12 offset:4
.LBB20_37:
	;; [unrolled: 35-line block ×3, first 2 shown]
	s_wait_alu 0xfffe
	s_or_b32 exec_lo, exec_lo, s2
	s_wait_loadcnt_dscnt 0x0
	s_barrier_signal -1
	s_barrier_wait -1
	global_inv scope:SCOPE_SE
	ds_load_u16 v12, v10
	ds_load_b64 v[3:4], v11
	s_wait_dscnt 0x1
	v_and_b32_e32 v13, 1, v12
	v_lshrrev_b16 v14, 8, v12
	s_wait_dscnt 0x0
	v_cmp_ge_i32_e64 s3, v3, v4
	s_delay_alu instid0(VALU_DEP_3) | instskip(NEXT) | instid1(VALU_DEP_3)
	v_cmp_eq_u32_e64 s2, 1, v13
	v_cmp_ne_u16_e64 s4, 0, v14
	s_xor_b32 s2, s2, -1
	s_wait_alu 0xfffe
	s_or_b32 s2, s3, s2
	s_wait_alu 0xfffe
	s_and_b32 s3, s2, s4
	s_wait_alu 0xfffe
	s_and_saveexec_b32 s2, s3
	s_cbranch_execz .LBB20_41
; %bb.40:
	ds_load_b128 v[13:16], v21
	v_mov_b32_e32 v19, v4
	v_lshlrev_b16 v4, 8, v12
	v_mov_b32_e32 v20, v3
	s_delay_alu instid0(VALU_DEP_2)
	v_or_b32_e32 v3, 1, v4
	s_wait_dscnt 0x0
	v_dual_mov_b32 v17, v13 :: v_dual_mov_b32 v18, v14
	ds_store_b128 v21, v[15:18]
	ds_store_b64 v11, v[19:20]
	ds_store_b16 v10, v3
.LBB20_41:
	s_wait_alu 0xfffe
	s_or_b32 exec_lo, exec_lo, s2
	s_wait_loadcnt_dscnt 0x0
	s_barrier_signal -1
	s_barrier_wait -1
	global_inv scope:SCOPE_SE
	s_and_saveexec_b32 s2, s0
	s_cbranch_execz .LBB20_46
; %bb.42:
	s_and_saveexec_b32 s0, vcc_lo
	s_cbranch_execz .LBB20_44
; %bb.43:
	v_mad_co_u64_u32 v[3:4], null, v7, s6, v[2:3]
	v_mov_b32_e32 v4, 0
	v_mad_co_u64_u32 v[10:11], null, v7, s7, v[0:1]
	ds_load_b32 v12, v8
	ds_load_b64 v[7:8], v9
	v_mov_b32_e32 v11, v4
	v_lshlrev_b64_e32 v[3:4], 2, v[3:4]
	s_delay_alu instid0(VALU_DEP_2) | instskip(NEXT) | instid1(VALU_DEP_2)
	v_lshlrev_b64_e32 v[9:10], 3, v[10:11]
	v_add_co_u32 v3, vcc_lo, s10, v3
	s_wait_alu 0xfffd
	s_delay_alu instid0(VALU_DEP_3) | instskip(NEXT) | instid1(VALU_DEP_3)
	v_add_co_ci_u32_e64 v4, null, s11, v4, vcc_lo
	v_add_co_u32 v9, vcc_lo, s8, v9
	s_wait_alu 0xfffd
	v_add_co_ci_u32_e64 v10, null, s9, v10, vcc_lo
	s_wait_dscnt 0x1
	global_store_b32 v[3:4], v12, off
	s_wait_dscnt 0x0
	global_store_b64 v[9:10], v[7:8], off
.LBB20_44:
	s_wait_alu 0xfffe
	s_or_b32 exec_lo, exec_lo, s0
	s_delay_alu instid0(SALU_CYCLE_1)
	s_and_b32 exec_lo, exec_lo, s1
	s_cbranch_execz .LBB20_46
; %bb.45:
	v_mad_co_u64_u32 v[2:3], null, v1, s6, v[2:3]
	v_mov_b32_e32 v3, 0
	v_mad_co_u64_u32 v[0:1], null, v1, s7, v[0:1]
	ds_load_b32 v7, v5
	ds_load_b64 v[4:5], v6
	v_mov_b32_e32 v1, v3
	v_lshlrev_b64_e32 v[2:3], 2, v[2:3]
	s_delay_alu instid0(VALU_DEP_2) | instskip(NEXT) | instid1(VALU_DEP_2)
	v_lshlrev_b64_e32 v[0:1], 3, v[0:1]
	v_add_co_u32 v2, vcc_lo, s10, v2
	s_wait_alu 0xfffd
	s_delay_alu instid0(VALU_DEP_3) | instskip(NEXT) | instid1(VALU_DEP_3)
	v_add_co_ci_u32_e64 v3, null, s11, v3, vcc_lo
	v_add_co_u32 v0, vcc_lo, s8, v0
	s_wait_alu 0xfffd
	v_add_co_ci_u32_e64 v1, null, s9, v1, vcc_lo
	s_wait_dscnt 0x1
	global_store_b32 v[2:3], v7, off
	s_wait_dscnt 0x0
	global_store_b64 v[0:1], v[4:5], off
.LBB20_46:
	s_endpgm
	.section	.rodata,"a",@progbits
	.p2align	6, 0x0
	.amdhsa_kernel _ZN2at6native20bitonicSortKVInPlaceILin1ELin1ELi16ELi16EilNS0_4LTOpIiLb1EEEjEEvNS_4cuda6detail10TensorInfoIT3_T6_EES8_S8_S8_NS6_IT4_S8_EES8_T5_
		.amdhsa_group_segment_fixed_size 6656
		.amdhsa_private_segment_fixed_size 0
		.amdhsa_kernarg_size 712
		.amdhsa_user_sgpr_count 2
		.amdhsa_user_sgpr_dispatch_ptr 0
		.amdhsa_user_sgpr_queue_ptr 0
		.amdhsa_user_sgpr_kernarg_segment_ptr 1
		.amdhsa_user_sgpr_dispatch_id 0
		.amdhsa_user_sgpr_private_segment_size 0
		.amdhsa_wavefront_size32 1
		.amdhsa_uses_dynamic_stack 0
		.amdhsa_enable_private_segment 0
		.amdhsa_system_sgpr_workgroup_id_x 1
		.amdhsa_system_sgpr_workgroup_id_y 1
		.amdhsa_system_sgpr_workgroup_id_z 1
		.amdhsa_system_sgpr_workgroup_info 0
		.amdhsa_system_vgpr_workitem_id 1
		.amdhsa_next_free_vgpr 36
		.amdhsa_next_free_sgpr 14
		.amdhsa_reserve_vcc 1
		.amdhsa_float_round_mode_32 0
		.amdhsa_float_round_mode_16_64 0
		.amdhsa_float_denorm_mode_32 3
		.amdhsa_float_denorm_mode_16_64 3
		.amdhsa_fp16_overflow 0
		.amdhsa_workgroup_processor_mode 1
		.amdhsa_memory_ordered 1
		.amdhsa_forward_progress 1
		.amdhsa_inst_pref_size 38
		.amdhsa_round_robin_scheduling 0
		.amdhsa_exception_fp_ieee_invalid_op 0
		.amdhsa_exception_fp_denorm_src 0
		.amdhsa_exception_fp_ieee_div_zero 0
		.amdhsa_exception_fp_ieee_overflow 0
		.amdhsa_exception_fp_ieee_underflow 0
		.amdhsa_exception_fp_ieee_inexact 0
		.amdhsa_exception_int_div_zero 0
	.end_amdhsa_kernel
	.section	.text._ZN2at6native20bitonicSortKVInPlaceILin1ELin1ELi16ELi16EilNS0_4LTOpIiLb1EEEjEEvNS_4cuda6detail10TensorInfoIT3_T6_EES8_S8_S8_NS6_IT4_S8_EES8_T5_,"axG",@progbits,_ZN2at6native20bitonicSortKVInPlaceILin1ELin1ELi16ELi16EilNS0_4LTOpIiLb1EEEjEEvNS_4cuda6detail10TensorInfoIT3_T6_EES8_S8_S8_NS6_IT4_S8_EES8_T5_,comdat
.Lfunc_end20:
	.size	_ZN2at6native20bitonicSortKVInPlaceILin1ELin1ELi16ELi16EilNS0_4LTOpIiLb1EEEjEEvNS_4cuda6detail10TensorInfoIT3_T6_EES8_S8_S8_NS6_IT4_S8_EES8_T5_, .Lfunc_end20-_ZN2at6native20bitonicSortKVInPlaceILin1ELin1ELi16ELi16EilNS0_4LTOpIiLb1EEEjEEvNS_4cuda6detail10TensorInfoIT3_T6_EES8_S8_S8_NS6_IT4_S8_EES8_T5_
                                        ; -- End function
	.set _ZN2at6native20bitonicSortKVInPlaceILin1ELin1ELi16ELi16EilNS0_4LTOpIiLb1EEEjEEvNS_4cuda6detail10TensorInfoIT3_T6_EES8_S8_S8_NS6_IT4_S8_EES8_T5_.num_vgpr, 36
	.set _ZN2at6native20bitonicSortKVInPlaceILin1ELin1ELi16ELi16EilNS0_4LTOpIiLb1EEEjEEvNS_4cuda6detail10TensorInfoIT3_T6_EES8_S8_S8_NS6_IT4_S8_EES8_T5_.num_agpr, 0
	.set _ZN2at6native20bitonicSortKVInPlaceILin1ELin1ELi16ELi16EilNS0_4LTOpIiLb1EEEjEEvNS_4cuda6detail10TensorInfoIT3_T6_EES8_S8_S8_NS6_IT4_S8_EES8_T5_.numbered_sgpr, 14
	.set _ZN2at6native20bitonicSortKVInPlaceILin1ELin1ELi16ELi16EilNS0_4LTOpIiLb1EEEjEEvNS_4cuda6detail10TensorInfoIT3_T6_EES8_S8_S8_NS6_IT4_S8_EES8_T5_.num_named_barrier, 0
	.set _ZN2at6native20bitonicSortKVInPlaceILin1ELin1ELi16ELi16EilNS0_4LTOpIiLb1EEEjEEvNS_4cuda6detail10TensorInfoIT3_T6_EES8_S8_S8_NS6_IT4_S8_EES8_T5_.private_seg_size, 0
	.set _ZN2at6native20bitonicSortKVInPlaceILin1ELin1ELi16ELi16EilNS0_4LTOpIiLb1EEEjEEvNS_4cuda6detail10TensorInfoIT3_T6_EES8_S8_S8_NS6_IT4_S8_EES8_T5_.uses_vcc, 1
	.set _ZN2at6native20bitonicSortKVInPlaceILin1ELin1ELi16ELi16EilNS0_4LTOpIiLb1EEEjEEvNS_4cuda6detail10TensorInfoIT3_T6_EES8_S8_S8_NS6_IT4_S8_EES8_T5_.uses_flat_scratch, 0
	.set _ZN2at6native20bitonicSortKVInPlaceILin1ELin1ELi16ELi16EilNS0_4LTOpIiLb1EEEjEEvNS_4cuda6detail10TensorInfoIT3_T6_EES8_S8_S8_NS6_IT4_S8_EES8_T5_.has_dyn_sized_stack, 0
	.set _ZN2at6native20bitonicSortKVInPlaceILin1ELin1ELi16ELi16EilNS0_4LTOpIiLb1EEEjEEvNS_4cuda6detail10TensorInfoIT3_T6_EES8_S8_S8_NS6_IT4_S8_EES8_T5_.has_recursion, 0
	.set _ZN2at6native20bitonicSortKVInPlaceILin1ELin1ELi16ELi16EilNS0_4LTOpIiLb1EEEjEEvNS_4cuda6detail10TensorInfoIT3_T6_EES8_S8_S8_NS6_IT4_S8_EES8_T5_.has_indirect_call, 0
	.section	.AMDGPU.csdata,"",@progbits
; Kernel info:
; codeLenInByte = 4776
; TotalNumSgprs: 16
; NumVgprs: 36
; ScratchSize: 0
; MemoryBound: 0
; FloatMode: 240
; IeeeMode: 1
; LDSByteSize: 6656 bytes/workgroup (compile time only)
; SGPRBlocks: 0
; VGPRBlocks: 4
; NumSGPRsForWavesPerEU: 16
; NumVGPRsForWavesPerEU: 36
; Occupancy: 16
; WaveLimiterHint : 1
; COMPUTE_PGM_RSRC2:SCRATCH_EN: 0
; COMPUTE_PGM_RSRC2:USER_SGPR: 2
; COMPUTE_PGM_RSRC2:TRAP_HANDLER: 0
; COMPUTE_PGM_RSRC2:TGID_X_EN: 1
; COMPUTE_PGM_RSRC2:TGID_Y_EN: 1
; COMPUTE_PGM_RSRC2:TGID_Z_EN: 1
; COMPUTE_PGM_RSRC2:TIDIG_COMP_CNT: 1
	.section	.text._ZN2at6native20bitonicSortKVInPlaceILin1ELin1ELi16ELi16EilNS0_4GTOpIiLb1EEEjEEvNS_4cuda6detail10TensorInfoIT3_T6_EES8_S8_S8_NS6_IT4_S8_EES8_T5_,"axG",@progbits,_ZN2at6native20bitonicSortKVInPlaceILin1ELin1ELi16ELi16EilNS0_4GTOpIiLb1EEEjEEvNS_4cuda6detail10TensorInfoIT3_T6_EES8_S8_S8_NS6_IT4_S8_EES8_T5_,comdat
	.protected	_ZN2at6native20bitonicSortKVInPlaceILin1ELin1ELi16ELi16EilNS0_4GTOpIiLb1EEEjEEvNS_4cuda6detail10TensorInfoIT3_T6_EES8_S8_S8_NS6_IT4_S8_EES8_T5_ ; -- Begin function _ZN2at6native20bitonicSortKVInPlaceILin1ELin1ELi16ELi16EilNS0_4GTOpIiLb1EEEjEEvNS_4cuda6detail10TensorInfoIT3_T6_EES8_S8_S8_NS6_IT4_S8_EES8_T5_
	.globl	_ZN2at6native20bitonicSortKVInPlaceILin1ELin1ELi16ELi16EilNS0_4GTOpIiLb1EEEjEEvNS_4cuda6detail10TensorInfoIT3_T6_EES8_S8_S8_NS6_IT4_S8_EES8_T5_
	.p2align	8
	.type	_ZN2at6native20bitonicSortKVInPlaceILin1ELin1ELi16ELi16EilNS0_4GTOpIiLb1EEEjEEvNS_4cuda6detail10TensorInfoIT3_T6_EES8_S8_S8_NS6_IT4_S8_EES8_T5_,@function
_ZN2at6native20bitonicSortKVInPlaceILin1ELin1ELi16ELi16EilNS0_4GTOpIiLb1EEEjEEvNS_4cuda6detail10TensorInfoIT3_T6_EES8_S8_S8_NS6_IT4_S8_EES8_T5_: ; @_ZN2at6native20bitonicSortKVInPlaceILin1ELin1ELi16ELi16EilNS0_4GTOpIiLb1EEEjEEvNS_4cuda6detail10TensorInfoIT3_T6_EES8_S8_S8_NS6_IT4_S8_EES8_T5_
; %bb.0:
	s_clause 0x2
	s_load_b64 s[2:3], s[0:1], 0x1c8
	s_load_u16 s7, s[0:1], 0x1d6
	s_load_b96 s[4:6], s[0:1], 0xd8
	s_lshr_b32 s8, ttmp7, 16
	s_wait_kmcnt 0x0
	s_mul_i32 s3, s3, s8
	s_and_b32 s8, ttmp7, 0xffff
	s_delay_alu instid0(SALU_CYCLE_1) | instskip(NEXT) | instid1(SALU_CYCLE_1)
	s_add_co_i32 s3, s3, s8
	s_mul_i32 s2, s3, s2
	s_delay_alu instid0(SALU_CYCLE_1) | instskip(NEXT) | instid1(SALU_CYCLE_1)
	s_add_co_i32 s3, s2, ttmp9
	s_mul_i32 s3, s3, s7
	s_delay_alu instid0(SALU_CYCLE_1)
	s_cmp_ge_u32 s3, s4
	s_cbranch_scc1 .LBB21_46
; %bb.1:
	s_load_b32 s2, s[0:1], 0xd0
	v_bfe_u32 v8, v0, 10, 10
	s_delay_alu instid0(VALU_DEP_1) | instskip(NEXT) | instid1(VALU_DEP_1)
	v_dual_mov_b32 v1, 0 :: v_dual_add_nc_u32 v6, s3, v8
	v_mov_b32_e32 v3, v6
	s_wait_kmcnt 0x0
	s_cmp_lt_i32 s2, 2
	s_cbranch_scc1 .LBB21_4
; %bb.2:
	s_add_co_i32 s8, s2, -1
	s_mov_b32 s9, 0
	v_mov_b32_e32 v1, 0
	s_lshl_b64 s[8:9], s[8:9], 2
	v_mov_b32_e32 v3, v6
	s_add_nc_u64 s[8:9], s[0:1], s[8:9]
	s_add_co_i32 s7, s2, 1
	s_add_nc_u64 s[2:3], s[8:9], 8
.LBB21_3:                               ; =>This Inner Loop Header: Depth=1
	s_clause 0x1
	s_load_b32 s8, s[2:3], 0x0
	s_load_b32 s9, s[2:3], 0x64
	s_add_co_i32 s7, s7, -1
	s_add_nc_u64 s[2:3], s[2:3], -4
	s_wait_kmcnt 0x0
	s_cvt_f32_u32 s10, s8
	s_sub_co_i32 s11, 0, s8
	s_wait_alu 0xfffe
	s_delay_alu instid0(SALU_CYCLE_1) | instskip(NEXT) | instid1(TRANS32_DEP_1)
	v_rcp_iflag_f32_e32 v2, s10
	v_readfirstlane_b32 s10, v2
	v_mov_b32_e32 v2, v3
	s_mul_f32 s10, s10, 0x4f7ffffe
	s_wait_alu 0xfffe
	s_delay_alu instid0(SALU_CYCLE_2) | instskip(SKIP_1) | instid1(SALU_CYCLE_2)
	s_cvt_u32_f32 s10, s10
	s_wait_alu 0xfffe
	s_mul_i32 s11, s11, s10
	s_wait_alu 0xfffe
	s_mul_hi_u32 s11, s10, s11
	s_wait_alu 0xfffe
	s_add_co_i32 s10, s10, s11
	s_cmp_gt_u32 s7, 2
	s_wait_alu 0xfffe
	v_mul_hi_u32 v3, v2, s10
	s_delay_alu instid0(VALU_DEP_1) | instskip(SKIP_1) | instid1(VALU_DEP_2)
	v_mul_lo_u32 v4, v3, s8
	v_add_nc_u32_e32 v5, 1, v3
	v_sub_nc_u32_e32 v4, v2, v4
	s_delay_alu instid0(VALU_DEP_1) | instskip(SKIP_2) | instid1(VALU_DEP_2)
	v_subrev_nc_u32_e32 v7, s8, v4
	v_cmp_le_u32_e32 vcc_lo, s8, v4
	s_wait_alu 0xfffd
	v_dual_cndmask_b32 v3, v3, v5 :: v_dual_cndmask_b32 v4, v4, v7
	s_delay_alu instid0(VALU_DEP_1) | instskip(NEXT) | instid1(VALU_DEP_2)
	v_add_nc_u32_e32 v5, 1, v3
	v_cmp_le_u32_e32 vcc_lo, s8, v4
	s_wait_alu 0xfffd
	s_delay_alu instid0(VALU_DEP_2) | instskip(NEXT) | instid1(VALU_DEP_1)
	v_cndmask_b32_e32 v3, v3, v5, vcc_lo
	v_mul_lo_u32 v4, v3, s8
	s_delay_alu instid0(VALU_DEP_1) | instskip(NEXT) | instid1(VALU_DEP_1)
	v_sub_nc_u32_e32 v2, v2, v4
	v_mad_co_u64_u32 v[1:2], null, s9, v2, v[1:2]
	s_cbranch_scc1 .LBB21_3
.LBB21_4:
	s_load_b32 s7, s[0:1], 0x1b8
	v_dual_mov_b32 v4, 0 :: v_dual_mov_b32 v9, v6
	s_add_nc_u64 s[2:3], s[0:1], 0x1c8
	s_wait_kmcnt 0x0
	s_cmp_lt_i32 s7, 2
	s_cbranch_scc1 .LBB21_7
; %bb.5:
	s_add_co_i32 s8, s7, -1
	s_mov_b32 s9, 0
	v_dual_mov_b32 v4, 0 :: v_dual_mov_b32 v9, v6
	s_wait_alu 0xfffe
	s_lshl_b64 s[8:9], s[8:9], 2
	s_add_co_i32 s7, s7, 1
	s_wait_alu 0xfffe
	s_add_nc_u64 s[8:9], s[0:1], s[8:9]
	s_wait_alu 0xfffe
	s_add_nc_u64 s[8:9], s[8:9], 0xf0
.LBB21_6:                               ; =>This Inner Loop Header: Depth=1
	s_clause 0x1
	s_load_b32 s10, s[8:9], 0x0
	s_load_b32 s11, s[8:9], 0x64
	s_add_co_i32 s7, s7, -1
	s_add_nc_u64 s[8:9], s[8:9], -4
	s_wait_kmcnt 0x0
	s_cvt_f32_u32 s12, s10
	s_sub_co_i32 s13, 0, s10
	s_wait_alu 0xfffe
	s_delay_alu instid0(SALU_CYCLE_1) | instskip(NEXT) | instid1(TRANS32_DEP_1)
	v_rcp_iflag_f32_e32 v2, s12
	v_readfirstlane_b32 s12, v2
	v_mov_b32_e32 v2, v9
	s_mul_f32 s12, s12, 0x4f7ffffe
	s_wait_alu 0xfffe
	s_delay_alu instid0(SALU_CYCLE_2) | instskip(SKIP_1) | instid1(SALU_CYCLE_2)
	s_cvt_u32_f32 s12, s12
	s_wait_alu 0xfffe
	s_mul_i32 s13, s13, s12
	s_wait_alu 0xfffe
	s_mul_hi_u32 s13, s12, s13
	s_wait_alu 0xfffe
	s_add_co_i32 s12, s12, s13
	s_cmp_gt_u32 s7, 2
	s_wait_alu 0xfffe
	v_mul_hi_u32 v5, v2, s12
	s_delay_alu instid0(VALU_DEP_1) | instskip(SKIP_1) | instid1(VALU_DEP_2)
	v_mul_lo_u32 v7, v5, s10
	v_add_nc_u32_e32 v9, 1, v5
	v_sub_nc_u32_e32 v7, v2, v7
	s_delay_alu instid0(VALU_DEP_1) | instskip(SKIP_3) | instid1(VALU_DEP_3)
	v_subrev_nc_u32_e32 v10, s10, v7
	v_cmp_le_u32_e32 vcc_lo, s10, v7
	s_wait_alu 0xfffd
	v_cndmask_b32_e32 v5, v5, v9, vcc_lo
	v_cndmask_b32_e32 v7, v7, v10, vcc_lo
	s_delay_alu instid0(VALU_DEP_2) | instskip(NEXT) | instid1(VALU_DEP_2)
	v_add_nc_u32_e32 v9, 1, v5
	v_cmp_le_u32_e32 vcc_lo, s10, v7
	s_wait_alu 0xfffd
	s_delay_alu instid0(VALU_DEP_2) | instskip(NEXT) | instid1(VALU_DEP_1)
	v_cndmask_b32_e32 v9, v5, v9, vcc_lo
	v_mul_lo_u32 v5, v9, s10
	s_delay_alu instid0(VALU_DEP_1) | instskip(NEXT) | instid1(VALU_DEP_1)
	v_sub_nc_u32_e32 v2, v2, v5
	v_mad_co_u64_u32 v[4:5], null, s11, v2, v[4:5]
	s_cbranch_scc1 .LBB21_6
.LBB21_7:
	s_clause 0x1
	s_load_b32 s12, s[0:1], 0x6c
	s_load_b32 s13, s[0:1], 0x154
	;; [unrolled: 1-line block ×3, first 2 shown]
	s_clause 0x2
	s_load_b32 s7, s[0:1], 0x1c0
	s_load_b64 s[10:11], s[0:1], 0x0
	s_load_b64 s[8:9], s[0:1], 0xe8
	v_and_b32_e32 v7, 0x3ff, v0
	v_cmp_gt_u32_e64 s0, s4, v6
	v_dual_mov_b32 v10, 0 :: v_dual_mov_b32 v11, 0
	s_wait_kmcnt 0x0
	v_mad_co_u64_u32 v[2:3], null, s12, v3, v[1:2]
	v_mad_co_u64_u32 v[0:1], null, s13, v9, v[4:5]
	v_mov_b32_e32 v3, 0
	v_mov_b32_e32 v4, 0
	v_cmp_gt_u32_e32 vcc_lo, s5, v7
	v_mov_b32_e32 v5, 0
	v_mov_b32_e32 v6, 0
	s_and_b32 s4, s0, vcc_lo
	s_wait_alu 0xfffe
	s_and_saveexec_b32 s3, s4
	s_cbranch_execz .LBB21_9
; %bb.8:
	v_mad_co_u64_u32 v[5:6], null, v7, s6, v[2:3]
	v_mov_b32_e32 v6, 0
	v_mad_co_u64_u32 v[11:12], null, v7, s7, v[0:1]
	s_delay_alu instid0(VALU_DEP_2) | instskip(NEXT) | instid1(VALU_DEP_4)
	v_mov_b32_e32 v12, v6
	v_lshlrev_b64_e32 v[5:6], 2, v[5:6]
	s_delay_alu instid0(VALU_DEP_2) | instskip(NEXT) | instid1(VALU_DEP_2)
	v_lshlrev_b64_e32 v[11:12], 3, v[11:12]
	v_add_co_u32 v5, s1, s10, v5
	s_delay_alu instid0(VALU_DEP_1) | instskip(NEXT) | instid1(VALU_DEP_3)
	v_add_co_ci_u32_e64 v6, null, s11, v6, s1
	v_add_co_u32 v13, s1, s8, v11
	s_wait_alu 0xf1ff
	s_delay_alu instid0(VALU_DEP_4)
	v_add_co_ci_u32_e64 v14, null, s9, v12, s1
	global_load_b32 v11, v[5:6], off
	global_load_b64 v[5:6], v[13:14], off
.LBB21_9:
	s_wait_alu 0xfffe
	s_or_b32 exec_lo, exec_lo, s3
	s_and_b32 s3, 0xffff, s2
	v_lshl_add_u32 v14, v8, 7, 0x1000
	s_wait_alu 0xfffe
	v_add_nc_u32_e32 v1, s3, v7
	v_lshlrev_b32_e32 v12, 8, v8
	v_lshl_add_u32 v16, v8, 5, 0x1800
	v_cndmask_b32_e64 v13, 0, 1, s4
	v_lshl_add_u32 v8, v7, 2, v14
	v_cmp_gt_u32_e64 s1, s5, v1
	v_lshl_add_u32 v9, v7, 3, v12
	v_add_nc_u32_e32 v15, v16, v7
	s_wait_loadcnt 0x1
	ds_store_b32 v8, v11
	s_wait_loadcnt 0x0
	ds_store_b64 v9, v[5:6]
	ds_store_b8 v15, v13
	s_and_b32 s4, s0, s1
	s_wait_alu 0xfffe
	s_and_saveexec_b32 s5, s4
	s_cbranch_execz .LBB21_11
; %bb.10:
	v_mad_co_u64_u32 v[3:4], null, v1, s6, v[2:3]
	v_mov_b32_e32 v4, 0
	v_mad_co_u64_u32 v[5:6], null, v1, s7, v[0:1]
	s_delay_alu instid0(VALU_DEP_2) | instskip(NEXT) | instid1(VALU_DEP_4)
	v_mov_b32_e32 v6, v4
	v_lshlrev_b64_e32 v[3:4], 2, v[3:4]
	s_delay_alu instid0(VALU_DEP_2) | instskip(NEXT) | instid1(VALU_DEP_2)
	v_lshlrev_b64_e32 v[5:6], 3, v[5:6]
	v_add_co_u32 v3, s2, s10, v3
	s_wait_alu 0xf1ff
	s_delay_alu instid0(VALU_DEP_3) | instskip(NEXT) | instid1(VALU_DEP_3)
	v_add_co_ci_u32_e64 v4, null, s11, v4, s2
	v_add_co_u32 v5, s2, s8, v5
	s_wait_alu 0xf1ff
	v_add_co_ci_u32_e64 v6, null, s9, v6, s2
	global_load_b32 v10, v[3:4], off
	global_load_b64 v[3:4], v[5:6], off
.LBB21_11:
	s_wait_alu 0xfffe
	s_or_b32 exec_lo, exec_lo, s5
	v_lshl_add_u32 v5, s3, 2, v8
	v_lshl_add_u32 v6, s3, 3, v9
	v_cndmask_b32_e64 v11, 0, 1, s4
	v_add_nc_u32_e32 v13, v16, v1
	v_lshlrev_b32_e32 v18, 1, v7
	s_wait_loadcnt 0x1
	ds_store_b32 v5, v10
	s_wait_loadcnt 0x0
	ds_store_b64 v6, v[3:4]
	ds_store_b8 v13, v11
	v_lshlrev_b32_e32 v3, 2, v7
	s_wait_dscnt 0x0
	v_add_nc_u32_e32 v10, v16, v18
	s_barrier_signal -1
	s_barrier_wait -1
	v_add_nc_u32_e32 v11, v8, v3
	global_inv scope:SCOPE_SE
	ds_load_u16 v17, v10
	ds_load_b64 v[3:4], v11
	v_and_b32_e32 v13, 1, v7
	s_wait_dscnt 0x1
	v_lshrrev_b16 v15, 8, v17
	v_and_b32_e32 v19, 1, v17
	s_wait_dscnt 0x0
	v_cmp_gt_i32_e64 s2, v3, v4
	s_delay_alu instid0(VALU_DEP_3) | instskip(NEXT) | instid1(VALU_DEP_3)
	v_cmp_ne_u16_e64 s4, v15, v13
	v_cmp_eq_u32_e64 s3, 1, v19
	s_wait_alu 0xf1ff
	s_delay_alu instid0(VALU_DEP_2) | instskip(SKIP_2) | instid1(VALU_DEP_1)
	v_cndmask_b32_e64 v19, 0, 1, s4
	s_and_b32 s2, s2, s3
	s_wait_alu 0xfffe
	v_cndmask_b32_e64 v19, v19, v7, s2
	s_delay_alu instid0(VALU_DEP_1) | instskip(NEXT) | instid1(VALU_DEP_1)
	v_and_b32_e32 v19, 1, v19
	v_cmp_eq_u32_e64 s2, 1, v19
	v_lshl_add_u32 v19, v7, 3, v9
	s_and_saveexec_b32 s3, s2
	s_wait_alu 0xfffe
	s_xor_b32 s2, exec_lo, s3
	s_cbranch_execz .LBB21_13
; %bb.12:
	ds_load_b128 v[20:23], v19
	v_mov_b32_e32 v26, v4
	v_lshlrev_b16 v4, 8, v17
	v_mov_b32_e32 v27, v3
	s_delay_alu instid0(VALU_DEP_2)
	v_or_b32_e32 v3, v15, v4
	s_wait_dscnt 0x0
	v_dual_mov_b32 v24, v20 :: v_dual_mov_b32 v25, v21
	ds_store_b128 v19, v[22:25]
	ds_store_b64 v11, v[26:27]
	ds_store_b16 v10, v3
.LBB21_13:
	s_wait_alu 0xfffe
	s_or_b32 exec_lo, exec_lo, s2
	v_sub_nc_u32_e32 v17, v18, v13
	s_wait_loadcnt_dscnt 0x0
	s_barrier_signal -1
	s_barrier_wait -1
	global_inv scope:SCOPE_SE
	v_add_nc_u32_e32 v13, v16, v17
	v_lshl_add_u32 v15, v17, 2, v14
	v_bfe_u32 v23, v7, 1, 1
	v_lshl_add_u32 v17, v17, 3, v12
	ds_load_u8 v21, v13
	ds_load_2addr_b32 v[3:4], v15 offset1:2
	ds_load_u8 v22, v13 offset:2
	s_wait_dscnt 0x2
	v_and_b32_e32 v20, 1, v21
	s_wait_dscnt 0x1
	v_cmp_gt_i32_e64 s2, v3, v4
	s_wait_dscnt 0x0
	v_cmp_ne_u16_e64 s4, v22, v23
	v_cmp_eq_u32_e64 s3, 1, v20
	s_wait_alu 0xf1ff
	s_delay_alu instid0(VALU_DEP_2) | instskip(SKIP_2) | instid1(VALU_DEP_1)
	v_cndmask_b32_e64 v20, 0, 1, s4
	s_and_b32 s2, s2, s3
	s_wait_alu 0xfffe
	v_cndmask_b32_e64 v23, v20, v23, s2
	v_and_b32_e32 v20, 2, v7
	s_delay_alu instid0(VALU_DEP_2) | instskip(NEXT) | instid1(VALU_DEP_2)
	v_and_b32_e32 v23, 1, v23
	v_cmp_ne_u32_e64 s2, 0, v20
	s_delay_alu instid0(VALU_DEP_2)
	v_cmp_eq_u32_e64 s3, 1, v23
	s_and_saveexec_b32 s4, s3
	s_wait_alu 0xfffe
	s_xor_b32 s3, exec_lo, s4
	s_cbranch_execz .LBB21_15
; %bb.14:
	ds_load_2addr_b64 v[23:26], v17 offset1:2
	ds_store_2addr_b32 v15, v4, v3 offset1:2
	s_wait_dscnt 0x1
	ds_store_2addr_b64 v17, v[25:26], v[23:24] offset1:2
	ds_store_b8 v13, v22
	ds_store_b8 v13, v21 offset:2
.LBB21_15:
	s_wait_alu 0xfffe
	s_or_b32 exec_lo, exec_lo, s3
	s_wait_loadcnt_dscnt 0x0
	s_barrier_signal -1
	s_barrier_wait -1
	global_inv scope:SCOPE_SE
	ds_load_u16 v21, v10
	ds_load_b64 v[3:4], v11
	v_lshrrev_b32_e32 v22, 1, v20
	v_cndmask_b32_e64 v24, 0, 1, s2
	s_wait_dscnt 0x1
	v_lshrrev_b16 v20, 8, v21
	v_and_b32_e32 v23, 1, v21
	s_wait_dscnt 0x0
	v_cmp_gt_i32_e64 s2, v3, v4
	s_delay_alu instid0(VALU_DEP_3) | instskip(NEXT) | instid1(VALU_DEP_3)
	v_cmp_ne_u16_e64 s4, v20, v22
	v_cmp_eq_u32_e64 s3, 1, v23
	s_wait_alu 0xf1ff
	s_delay_alu instid0(VALU_DEP_2) | instskip(SKIP_3) | instid1(VALU_DEP_1)
	v_cndmask_b32_e64 v22, 0, 1, s4
	s_and_b32 s2, s2, s3
	s_mov_b32 s3, exec_lo
	s_wait_alu 0xfffe
	v_cndmask_b32_e64 v22, v22, v24, s2
	s_delay_alu instid0(VALU_DEP_1) | instskip(NEXT) | instid1(VALU_DEP_1)
	v_and_b32_e32 v22, 1, v22
	v_cmpx_eq_u32_e32 1, v22
	s_cbranch_execz .LBB21_17
; %bb.16:
	ds_load_b128 v[22:25], v19
	v_mov_b32_e32 v28, v4
	v_lshlrev_b16 v4, 8, v21
	v_mov_b32_e32 v29, v3
	s_delay_alu instid0(VALU_DEP_2)
	v_or_b32_e32 v3, v20, v4
	s_wait_dscnt 0x0
	v_dual_mov_b32 v26, v22 :: v_dual_mov_b32 v27, v23
	ds_store_b128 v19, v[24:27]
	ds_store_b64 v11, v[28:29]
	ds_store_b16 v10, v3
.LBB21_17:
	s_or_b32 exec_lo, exec_lo, s3
	v_and_b32_e32 v3, 3, v7
	s_wait_loadcnt_dscnt 0x0
	s_barrier_signal -1
	s_barrier_wait -1
	global_inv scope:SCOPE_SE
	v_sub_nc_u32_e32 v22, v18, v3
	v_bfe_u32 v25, v7, 2, 1
	s_delay_alu instid0(VALU_DEP_2)
	v_add_nc_u32_e32 v19, v16, v22
	v_lshl_add_u32 v20, v22, 2, v14
	v_lshl_add_u32 v22, v22, 3, v12
	ds_load_u8 v23, v19
	ds_load_2addr_b32 v[3:4], v20 offset1:4
	ds_load_u8 v24, v19 offset:4
	s_wait_dscnt 0x2
	v_and_b32_e32 v21, 1, v23
	s_wait_dscnt 0x1
	v_cmp_gt_i32_e64 s2, v3, v4
	s_wait_dscnt 0x0
	v_cmp_ne_u16_e64 s4, v24, v25
	v_cmp_eq_u32_e64 s3, 1, v21
	s_wait_alu 0xf1ff
	s_delay_alu instid0(VALU_DEP_2) | instskip(SKIP_3) | instid1(VALU_DEP_1)
	v_cndmask_b32_e64 v21, 0, 1, s4
	s_mov_b32 s4, exec_lo
	s_and_b32 s2, s2, s3
	s_wait_alu 0xfffe
	v_cndmask_b32_e64 v25, v21, v25, s2
	v_and_b32_e32 v21, 4, v7
	s_delay_alu instid0(VALU_DEP_2) | instskip(NEXT) | instid1(VALU_DEP_2)
	v_and_b32_e32 v25, 1, v25
	v_cmp_ne_u32_e64 s2, 0, v21
	s_delay_alu instid0(VALU_DEP_2)
	v_cmpx_eq_u32_e32 1, v25
	s_cbranch_execz .LBB21_19
; %bb.18:
	ds_load_2addr_b64 v[25:28], v22 offset1:4
	ds_store_2addr_b32 v20, v4, v3 offset1:4
	s_wait_dscnt 0x1
	ds_store_2addr_b64 v22, v[27:28], v[25:26] offset1:4
	ds_store_b8 v19, v24
	ds_store_b8 v19, v23 offset:4
.LBB21_19:
	s_or_b32 exec_lo, exec_lo, s4
	s_wait_loadcnt_dscnt 0x0
	s_barrier_signal -1
	s_barrier_wait -1
	global_inv scope:SCOPE_SE
	ds_load_u8 v24, v13
	ds_load_2addr_b32 v[3:4], v15 offset1:2
	ds_load_u8 v25, v13 offset:2
	v_lshrrev_b32_e32 v21, 2, v21
	v_cndmask_b32_e64 v23, 0, 1, s2
	s_wait_dscnt 0x2
	v_and_b32_e32 v26, 1, v24
	s_wait_dscnt 0x1
	v_cmp_gt_i32_e64 s2, v3, v4
	s_wait_dscnt 0x0
	v_cmp_ne_u16_e64 s4, v25, v21
	v_cmp_eq_u32_e64 s3, 1, v26
	s_wait_alu 0xf1ff
	s_delay_alu instid0(VALU_DEP_2) | instskip(SKIP_3) | instid1(VALU_DEP_1)
	v_cndmask_b32_e64 v26, 0, 1, s4
	s_and_b32 s2, s2, s3
	s_mov_b32 s3, exec_lo
	s_wait_alu 0xfffe
	v_cndmask_b32_e64 v26, v26, v23, s2
	s_delay_alu instid0(VALU_DEP_1) | instskip(NEXT) | instid1(VALU_DEP_1)
	v_and_b32_e32 v26, 1, v26
	v_cmpx_eq_u32_e32 1, v26
	s_cbranch_execz .LBB21_21
; %bb.20:
	ds_load_2addr_b64 v[26:29], v17 offset1:2
	ds_store_2addr_b32 v15, v4, v3 offset1:2
	s_wait_dscnt 0x1
	ds_store_2addr_b64 v17, v[28:29], v[26:27] offset1:2
	ds_store_b8 v13, v25
	ds_store_b8 v13, v24 offset:2
.LBB21_21:
	s_or_b32 exec_lo, exec_lo, s3
	s_wait_loadcnt_dscnt 0x0
	s_barrier_signal -1
	s_barrier_wait -1
	global_inv scope:SCOPE_SE
	ds_load_u16 v25, v10
	ds_load_b64 v[3:4], v11
	s_wait_dscnt 0x1
	v_lshrrev_b16 v24, 8, v25
	v_and_b32_e32 v26, 1, v25
	s_wait_dscnt 0x0
	v_cmp_gt_i32_e64 s2, v3, v4
	s_delay_alu instid0(VALU_DEP_3) | instskip(NEXT) | instid1(VALU_DEP_3)
	v_cmp_ne_u16_e64 s4, v24, v21
	v_cmp_eq_u32_e64 s3, 1, v26
	s_wait_alu 0xf1ff
	s_delay_alu instid0(VALU_DEP_2) | instskip(SKIP_2) | instid1(VALU_DEP_1)
	v_cndmask_b32_e64 v21, 0, 1, s4
	s_and_b32 s2, s2, s3
	s_wait_alu 0xfffe
	v_cndmask_b32_e64 v21, v21, v23, s2
	s_delay_alu instid0(VALU_DEP_1) | instskip(NEXT) | instid1(VALU_DEP_1)
	v_and_b32_e32 v21, 1, v21
	v_cmp_eq_u32_e64 s2, 1, v21
	v_lshl_add_u32 v21, v18, 3, v12
	s_and_saveexec_b32 s3, s2
	s_cbranch_execz .LBB21_23
; %bb.22:
	ds_load_b128 v[26:29], v21
	v_mov_b32_e32 v32, v4
	v_lshlrev_b16 v4, 8, v25
	v_mov_b32_e32 v33, v3
	s_delay_alu instid0(VALU_DEP_2)
	v_or_b32_e32 v3, v24, v4
	s_wait_dscnt 0x0
	v_dual_mov_b32 v30, v26 :: v_dual_mov_b32 v31, v27
	ds_store_b128 v21, v[28:31]
	ds_store_b64 v11, v[32:33]
	ds_store_b16 v10, v3
.LBB21_23:
	s_wait_alu 0xfffe
	s_or_b32 exec_lo, exec_lo, s3
	v_and_b32_e32 v3, 7, v7
	s_wait_loadcnt_dscnt 0x0
	s_barrier_signal -1
	s_barrier_wait -1
	global_inv scope:SCOPE_SE
	v_sub_nc_u32_e32 v25, v18, v3
	v_bfe_u32 v29, v7, 3, 1
	s_delay_alu instid0(VALU_DEP_2)
	v_add_nc_u32_e32 v23, v16, v25
	v_lshl_add_u32 v24, v25, 2, v14
	v_lshl_add_u32 v25, v25, 3, v12
	ds_load_u8 v27, v23
	ds_load_2addr_b32 v[3:4], v24 offset1:8
	ds_load_u8 v28, v23 offset:8
	s_wait_dscnt 0x2
	v_and_b32_e32 v26, 1, v27
	s_wait_dscnt 0x1
	v_cmp_gt_i32_e64 s2, v3, v4
	s_wait_dscnt 0x0
	v_cmp_ne_u16_e64 s4, v28, v29
	v_cmp_eq_u32_e64 s3, 1, v26
	s_wait_alu 0xf1ff
	s_delay_alu instid0(VALU_DEP_2) | instskip(SKIP_3) | instid1(VALU_DEP_1)
	v_cndmask_b32_e64 v26, 0, 1, s4
	s_mov_b32 s4, exec_lo
	s_and_b32 s2, s2, s3
	s_wait_alu 0xfffe
	v_cndmask_b32_e64 v29, v26, v29, s2
	v_and_b32_e32 v26, 8, v7
	s_delay_alu instid0(VALU_DEP_2) | instskip(NEXT) | instid1(VALU_DEP_2)
	v_and_b32_e32 v29, 1, v29
	v_cmp_ne_u32_e64 s2, 0, v26
	s_delay_alu instid0(VALU_DEP_2)
	v_cmpx_eq_u32_e32 1, v29
	s_cbranch_execz .LBB21_25
; %bb.24:
	ds_load_2addr_b64 v[29:32], v25 offset1:8
	ds_store_2addr_b32 v24, v4, v3 offset1:8
	s_wait_dscnt 0x1
	ds_store_2addr_b64 v25, v[31:32], v[29:30] offset1:8
	ds_store_b8 v23, v28
	ds_store_b8 v23, v27 offset:8
.LBB21_25:
	s_or_b32 exec_lo, exec_lo, s4
	s_wait_loadcnt_dscnt 0x0
	s_barrier_signal -1
	s_barrier_wait -1
	global_inv scope:SCOPE_SE
	ds_load_u8 v28, v19
	ds_load_2addr_b32 v[3:4], v20 offset1:4
	ds_load_u8 v29, v19 offset:4
	v_lshrrev_b32_e32 v26, 3, v26
	v_cndmask_b32_e64 v27, 0, 1, s2
	s_wait_dscnt 0x2
	v_and_b32_e32 v30, 1, v28
	s_wait_dscnt 0x1
	v_cmp_gt_i32_e64 s2, v3, v4
	s_wait_dscnt 0x0
	v_cmp_ne_u16_e64 s4, v29, v26
	v_cmp_eq_u32_e64 s3, 1, v30
	s_wait_alu 0xf1ff
	s_delay_alu instid0(VALU_DEP_2) | instskip(SKIP_3) | instid1(VALU_DEP_1)
	v_cndmask_b32_e64 v30, 0, 1, s4
	s_and_b32 s2, s2, s3
	s_mov_b32 s3, exec_lo
	s_wait_alu 0xfffe
	v_cndmask_b32_e64 v30, v30, v27, s2
	s_delay_alu instid0(VALU_DEP_1) | instskip(NEXT) | instid1(VALU_DEP_1)
	v_and_b32_e32 v30, 1, v30
	v_cmpx_eq_u32_e32 1, v30
	s_cbranch_execz .LBB21_27
; %bb.26:
	ds_load_2addr_b64 v[30:33], v22 offset1:4
	ds_store_2addr_b32 v20, v4, v3 offset1:4
	s_wait_dscnt 0x1
	ds_store_2addr_b64 v22, v[32:33], v[30:31] offset1:4
	ds_store_b8 v19, v29
	ds_store_b8 v19, v28 offset:4
.LBB21_27:
	s_or_b32 exec_lo, exec_lo, s3
	s_wait_loadcnt_dscnt 0x0
	s_barrier_signal -1
	s_barrier_wait -1
	global_inv scope:SCOPE_SE
	ds_load_u8 v28, v13
	ds_load_2addr_b32 v[3:4], v15 offset1:2
	ds_load_u8 v29, v13 offset:2
	s_wait_dscnt 0x2
	v_and_b32_e32 v30, 1, v28
	s_wait_dscnt 0x1
	v_cmp_gt_i32_e64 s2, v3, v4
	s_wait_dscnt 0x0
	v_cmp_ne_u16_e64 s4, v29, v26
	v_cmp_eq_u32_e64 s3, 1, v30
	s_wait_alu 0xf1ff
	s_delay_alu instid0(VALU_DEP_2) | instskip(SKIP_3) | instid1(VALU_DEP_1)
	v_cndmask_b32_e64 v30, 0, 1, s4
	s_and_b32 s2, s2, s3
	s_mov_b32 s3, exec_lo
	s_wait_alu 0xfffe
	v_cndmask_b32_e64 v30, v30, v27, s2
	s_delay_alu instid0(VALU_DEP_1) | instskip(NEXT) | instid1(VALU_DEP_1)
	v_and_b32_e32 v30, 1, v30
	v_cmpx_eq_u32_e32 1, v30
	s_cbranch_execz .LBB21_29
; %bb.28:
	ds_load_2addr_b64 v[30:33], v17 offset1:2
	ds_store_2addr_b32 v15, v4, v3 offset1:2
	s_wait_dscnt 0x1
	ds_store_2addr_b64 v17, v[32:33], v[30:31] offset1:2
	ds_store_b8 v13, v29
	ds_store_b8 v13, v28 offset:2
.LBB21_29:
	s_or_b32 exec_lo, exec_lo, s3
	s_wait_loadcnt_dscnt 0x0
	s_barrier_signal -1
	s_barrier_wait -1
	global_inv scope:SCOPE_SE
	ds_load_u16 v29, v10
	ds_load_b64 v[3:4], v11
	s_wait_dscnt 0x1
	v_lshrrev_b16 v28, 8, v29
	v_and_b32_e32 v30, 1, v29
	s_wait_dscnt 0x0
	v_cmp_gt_i32_e64 s2, v3, v4
	s_delay_alu instid0(VALU_DEP_3) | instskip(NEXT) | instid1(VALU_DEP_3)
	v_cmp_ne_u16_e64 s4, v28, v26
	v_cmp_eq_u32_e64 s3, 1, v30
	s_wait_alu 0xf1ff
	s_delay_alu instid0(VALU_DEP_2) | instskip(SKIP_3) | instid1(VALU_DEP_1)
	v_cndmask_b32_e64 v26, 0, 1, s4
	s_and_b32 s2, s2, s3
	s_mov_b32 s3, exec_lo
	s_wait_alu 0xfffe
	v_cndmask_b32_e64 v26, v26, v27, s2
	s_delay_alu instid0(VALU_DEP_1) | instskip(NEXT) | instid1(VALU_DEP_1)
	v_and_b32_e32 v26, 1, v26
	v_cmpx_eq_u32_e32 1, v26
	s_cbranch_execz .LBB21_31
; %bb.30:
	ds_load_b128 v[30:33], v21
	v_mov_b32_e32 v26, v4
	v_lshlrev_b16 v4, 8, v29
	v_mov_b32_e32 v27, v3
	s_delay_alu instid0(VALU_DEP_2)
	v_or_b32_e32 v3, v28, v4
	s_wait_dscnt 0x0
	v_dual_mov_b32 v34, v30 :: v_dual_mov_b32 v35, v31
	ds_store_b128 v21, v[32:35]
	ds_store_b64 v11, v[26:27]
	ds_store_b16 v10, v3
.LBB21_31:
	s_or_b32 exec_lo, exec_lo, s3
	v_and_b32_e32 v3, 15, v7
	s_wait_loadcnt_dscnt 0x0
	s_barrier_signal -1
	s_barrier_wait -1
	global_inv scope:SCOPE_SE
	v_sub_nc_u32_e32 v18, v18, v3
	s_delay_alu instid0(VALU_DEP_1)
	v_add_nc_u32_e32 v16, v16, v18
	v_lshl_add_u32 v14, v18, 2, v14
	ds_load_u8 v26, v16
	ds_load_u8 v27, v16 offset:16
	ds_load_2addr_b32 v[3:4], v14 offset1:16
	s_wait_dscnt 0x1
	v_and_b32_e32 v27, 0xff, v27
	v_and_b32_e32 v28, 1, v26
	s_wait_dscnt 0x0
	v_cmp_le_i32_e64 s3, v3, v4
	s_delay_alu instid0(VALU_DEP_3) | instskip(NEXT) | instid1(VALU_DEP_3)
	v_cmp_ne_u16_e64 s4, 0, v27
	v_cmp_eq_u32_e64 s2, 1, v28
	s_xor_b32 s2, s2, -1
	s_wait_alu 0xfffe
	s_or_b32 s2, s3, s2
	s_wait_alu 0xfffe
	s_and_b32 s3, s2, s4
	s_wait_alu 0xfffe
	s_and_saveexec_b32 s2, s3
	s_cbranch_execz .LBB21_33
; %bb.32:
	v_lshl_add_u32 v12, v18, 3, v12
	v_mov_b32_e32 v18, 1
	ds_load_2addr_b64 v[27:30], v12 offset1:16
	ds_store_2addr_b32 v14, v4, v3 offset1:16
	s_wait_dscnt 0x1
	ds_store_2addr_b64 v12, v[29:30], v[27:28] offset1:16
	ds_store_b8 v16, v18
	ds_store_b8 v16, v26 offset:16
.LBB21_33:
	s_wait_alu 0xfffe
	s_or_b32 exec_lo, exec_lo, s2
	s_wait_loadcnt_dscnt 0x0
	s_barrier_signal -1
	s_barrier_wait -1
	global_inv scope:SCOPE_SE
	ds_load_u8 v12, v23
	ds_load_u8 v14, v23 offset:8
	ds_load_2addr_b32 v[3:4], v24 offset1:8
	s_wait_dscnt 0x2
	v_and_b32_e32 v16, 1, v12
	s_wait_dscnt 0x1
	v_and_b32_e32 v14, 0xff, v14
	s_wait_dscnt 0x0
	v_cmp_le_i32_e64 s3, v3, v4
	v_cmp_eq_u32_e64 s2, 1, v16
	s_delay_alu instid0(VALU_DEP_3)
	v_cmp_ne_u16_e64 s4, 0, v14
	s_xor_b32 s2, s2, -1
	s_wait_alu 0xfffe
	s_or_b32 s2, s3, s2
	s_wait_alu 0xfffe
	s_and_b32 s3, s2, s4
	s_wait_alu 0xfffe
	s_and_saveexec_b32 s2, s3
	s_cbranch_execz .LBB21_35
; %bb.34:
	ds_load_2addr_b64 v[26:29], v25 offset1:8
	v_mov_b32_e32 v14, 1
	ds_store_2addr_b32 v24, v4, v3 offset1:8
	s_wait_dscnt 0x1
	ds_store_2addr_b64 v25, v[28:29], v[26:27] offset1:8
	ds_store_b8 v23, v14
	ds_store_b8 v23, v12 offset:8
.LBB21_35:
	s_wait_alu 0xfffe
	s_or_b32 exec_lo, exec_lo, s2
	s_wait_loadcnt_dscnt 0x0
	s_barrier_signal -1
	s_barrier_wait -1
	global_inv scope:SCOPE_SE
	ds_load_u8 v12, v19
	ds_load_u8 v14, v19 offset:4
	ds_load_2addr_b32 v[3:4], v20 offset1:4
	s_wait_dscnt 0x2
	v_and_b32_e32 v16, 1, v12
	s_wait_dscnt 0x1
	v_and_b32_e32 v14, 0xff, v14
	s_wait_dscnt 0x0
	v_cmp_le_i32_e64 s3, v3, v4
	v_cmp_eq_u32_e64 s2, 1, v16
	s_delay_alu instid0(VALU_DEP_3)
	v_cmp_ne_u16_e64 s4, 0, v14
	s_xor_b32 s2, s2, -1
	s_wait_alu 0xfffe
	s_or_b32 s2, s3, s2
	s_wait_alu 0xfffe
	s_and_b32 s3, s2, s4
	s_wait_alu 0xfffe
	s_and_saveexec_b32 s2, s3
	s_cbranch_execz .LBB21_37
; %bb.36:
	ds_load_2addr_b64 v[23:26], v22 offset1:4
	v_mov_b32_e32 v14, 1
	ds_store_2addr_b32 v20, v4, v3 offset1:4
	s_wait_dscnt 0x1
	ds_store_2addr_b64 v22, v[25:26], v[23:24] offset1:4
	ds_store_b8 v19, v14
	ds_store_b8 v19, v12 offset:4
.LBB21_37:
	;; [unrolled: 35-line block ×3, first 2 shown]
	s_wait_alu 0xfffe
	s_or_b32 exec_lo, exec_lo, s2
	s_wait_loadcnt_dscnt 0x0
	s_barrier_signal -1
	s_barrier_wait -1
	global_inv scope:SCOPE_SE
	ds_load_u16 v12, v10
	ds_load_b64 v[3:4], v11
	s_wait_dscnt 0x1
	v_and_b32_e32 v13, 1, v12
	v_lshrrev_b16 v14, 8, v12
	s_wait_dscnt 0x0
	v_cmp_le_i32_e64 s3, v3, v4
	s_delay_alu instid0(VALU_DEP_3) | instskip(NEXT) | instid1(VALU_DEP_3)
	v_cmp_eq_u32_e64 s2, 1, v13
	v_cmp_ne_u16_e64 s4, 0, v14
	s_xor_b32 s2, s2, -1
	s_wait_alu 0xfffe
	s_or_b32 s2, s3, s2
	s_wait_alu 0xfffe
	s_and_b32 s3, s2, s4
	s_wait_alu 0xfffe
	s_and_saveexec_b32 s2, s3
	s_cbranch_execz .LBB21_41
; %bb.40:
	ds_load_b128 v[13:16], v21
	v_mov_b32_e32 v19, v4
	v_lshlrev_b16 v4, 8, v12
	v_mov_b32_e32 v20, v3
	s_delay_alu instid0(VALU_DEP_2)
	v_or_b32_e32 v3, 1, v4
	s_wait_dscnt 0x0
	v_dual_mov_b32 v17, v13 :: v_dual_mov_b32 v18, v14
	ds_store_b128 v21, v[15:18]
	ds_store_b64 v11, v[19:20]
	ds_store_b16 v10, v3
.LBB21_41:
	s_wait_alu 0xfffe
	s_or_b32 exec_lo, exec_lo, s2
	s_wait_loadcnt_dscnt 0x0
	s_barrier_signal -1
	s_barrier_wait -1
	global_inv scope:SCOPE_SE
	s_and_saveexec_b32 s2, s0
	s_cbranch_execz .LBB21_46
; %bb.42:
	s_and_saveexec_b32 s0, vcc_lo
	s_cbranch_execz .LBB21_44
; %bb.43:
	v_mad_co_u64_u32 v[3:4], null, v7, s6, v[2:3]
	v_mov_b32_e32 v4, 0
	v_mad_co_u64_u32 v[10:11], null, v7, s7, v[0:1]
	ds_load_b32 v12, v8
	ds_load_b64 v[7:8], v9
	v_mov_b32_e32 v11, v4
	v_lshlrev_b64_e32 v[3:4], 2, v[3:4]
	s_delay_alu instid0(VALU_DEP_2) | instskip(NEXT) | instid1(VALU_DEP_2)
	v_lshlrev_b64_e32 v[9:10], 3, v[10:11]
	v_add_co_u32 v3, vcc_lo, s10, v3
	s_wait_alu 0xfffd
	s_delay_alu instid0(VALU_DEP_3) | instskip(NEXT) | instid1(VALU_DEP_3)
	v_add_co_ci_u32_e64 v4, null, s11, v4, vcc_lo
	v_add_co_u32 v9, vcc_lo, s8, v9
	s_wait_alu 0xfffd
	v_add_co_ci_u32_e64 v10, null, s9, v10, vcc_lo
	s_wait_dscnt 0x1
	global_store_b32 v[3:4], v12, off
	s_wait_dscnt 0x0
	global_store_b64 v[9:10], v[7:8], off
.LBB21_44:
	s_wait_alu 0xfffe
	s_or_b32 exec_lo, exec_lo, s0
	s_delay_alu instid0(SALU_CYCLE_1)
	s_and_b32 exec_lo, exec_lo, s1
	s_cbranch_execz .LBB21_46
; %bb.45:
	v_mad_co_u64_u32 v[2:3], null, v1, s6, v[2:3]
	v_mov_b32_e32 v3, 0
	v_mad_co_u64_u32 v[0:1], null, v1, s7, v[0:1]
	ds_load_b32 v7, v5
	ds_load_b64 v[4:5], v6
	v_mov_b32_e32 v1, v3
	v_lshlrev_b64_e32 v[2:3], 2, v[2:3]
	s_delay_alu instid0(VALU_DEP_2) | instskip(NEXT) | instid1(VALU_DEP_2)
	v_lshlrev_b64_e32 v[0:1], 3, v[0:1]
	v_add_co_u32 v2, vcc_lo, s10, v2
	s_wait_alu 0xfffd
	s_delay_alu instid0(VALU_DEP_3) | instskip(NEXT) | instid1(VALU_DEP_3)
	v_add_co_ci_u32_e64 v3, null, s11, v3, vcc_lo
	v_add_co_u32 v0, vcc_lo, s8, v0
	s_wait_alu 0xfffd
	v_add_co_ci_u32_e64 v1, null, s9, v1, vcc_lo
	s_wait_dscnt 0x1
	global_store_b32 v[2:3], v7, off
	s_wait_dscnt 0x0
	global_store_b64 v[0:1], v[4:5], off
.LBB21_46:
	s_endpgm
	.section	.rodata,"a",@progbits
	.p2align	6, 0x0
	.amdhsa_kernel _ZN2at6native20bitonicSortKVInPlaceILin1ELin1ELi16ELi16EilNS0_4GTOpIiLb1EEEjEEvNS_4cuda6detail10TensorInfoIT3_T6_EES8_S8_S8_NS6_IT4_S8_EES8_T5_
		.amdhsa_group_segment_fixed_size 6656
		.amdhsa_private_segment_fixed_size 0
		.amdhsa_kernarg_size 712
		.amdhsa_user_sgpr_count 2
		.amdhsa_user_sgpr_dispatch_ptr 0
		.amdhsa_user_sgpr_queue_ptr 0
		.amdhsa_user_sgpr_kernarg_segment_ptr 1
		.amdhsa_user_sgpr_dispatch_id 0
		.amdhsa_user_sgpr_private_segment_size 0
		.amdhsa_wavefront_size32 1
		.amdhsa_uses_dynamic_stack 0
		.amdhsa_enable_private_segment 0
		.amdhsa_system_sgpr_workgroup_id_x 1
		.amdhsa_system_sgpr_workgroup_id_y 1
		.amdhsa_system_sgpr_workgroup_id_z 1
		.amdhsa_system_sgpr_workgroup_info 0
		.amdhsa_system_vgpr_workitem_id 1
		.amdhsa_next_free_vgpr 36
		.amdhsa_next_free_sgpr 14
		.amdhsa_reserve_vcc 1
		.amdhsa_float_round_mode_32 0
		.amdhsa_float_round_mode_16_64 0
		.amdhsa_float_denorm_mode_32 3
		.amdhsa_float_denorm_mode_16_64 3
		.amdhsa_fp16_overflow 0
		.amdhsa_workgroup_processor_mode 1
		.amdhsa_memory_ordered 1
		.amdhsa_forward_progress 1
		.amdhsa_inst_pref_size 38
		.amdhsa_round_robin_scheduling 0
		.amdhsa_exception_fp_ieee_invalid_op 0
		.amdhsa_exception_fp_denorm_src 0
		.amdhsa_exception_fp_ieee_div_zero 0
		.amdhsa_exception_fp_ieee_overflow 0
		.amdhsa_exception_fp_ieee_underflow 0
		.amdhsa_exception_fp_ieee_inexact 0
		.amdhsa_exception_int_div_zero 0
	.end_amdhsa_kernel
	.section	.text._ZN2at6native20bitonicSortKVInPlaceILin1ELin1ELi16ELi16EilNS0_4GTOpIiLb1EEEjEEvNS_4cuda6detail10TensorInfoIT3_T6_EES8_S8_S8_NS6_IT4_S8_EES8_T5_,"axG",@progbits,_ZN2at6native20bitonicSortKVInPlaceILin1ELin1ELi16ELi16EilNS0_4GTOpIiLb1EEEjEEvNS_4cuda6detail10TensorInfoIT3_T6_EES8_S8_S8_NS6_IT4_S8_EES8_T5_,comdat
.Lfunc_end21:
	.size	_ZN2at6native20bitonicSortKVInPlaceILin1ELin1ELi16ELi16EilNS0_4GTOpIiLb1EEEjEEvNS_4cuda6detail10TensorInfoIT3_T6_EES8_S8_S8_NS6_IT4_S8_EES8_T5_, .Lfunc_end21-_ZN2at6native20bitonicSortKVInPlaceILin1ELin1ELi16ELi16EilNS0_4GTOpIiLb1EEEjEEvNS_4cuda6detail10TensorInfoIT3_T6_EES8_S8_S8_NS6_IT4_S8_EES8_T5_
                                        ; -- End function
	.set _ZN2at6native20bitonicSortKVInPlaceILin1ELin1ELi16ELi16EilNS0_4GTOpIiLb1EEEjEEvNS_4cuda6detail10TensorInfoIT3_T6_EES8_S8_S8_NS6_IT4_S8_EES8_T5_.num_vgpr, 36
	.set _ZN2at6native20bitonicSortKVInPlaceILin1ELin1ELi16ELi16EilNS0_4GTOpIiLb1EEEjEEvNS_4cuda6detail10TensorInfoIT3_T6_EES8_S8_S8_NS6_IT4_S8_EES8_T5_.num_agpr, 0
	.set _ZN2at6native20bitonicSortKVInPlaceILin1ELin1ELi16ELi16EilNS0_4GTOpIiLb1EEEjEEvNS_4cuda6detail10TensorInfoIT3_T6_EES8_S8_S8_NS6_IT4_S8_EES8_T5_.numbered_sgpr, 14
	.set _ZN2at6native20bitonicSortKVInPlaceILin1ELin1ELi16ELi16EilNS0_4GTOpIiLb1EEEjEEvNS_4cuda6detail10TensorInfoIT3_T6_EES8_S8_S8_NS6_IT4_S8_EES8_T5_.num_named_barrier, 0
	.set _ZN2at6native20bitonicSortKVInPlaceILin1ELin1ELi16ELi16EilNS0_4GTOpIiLb1EEEjEEvNS_4cuda6detail10TensorInfoIT3_T6_EES8_S8_S8_NS6_IT4_S8_EES8_T5_.private_seg_size, 0
	.set _ZN2at6native20bitonicSortKVInPlaceILin1ELin1ELi16ELi16EilNS0_4GTOpIiLb1EEEjEEvNS_4cuda6detail10TensorInfoIT3_T6_EES8_S8_S8_NS6_IT4_S8_EES8_T5_.uses_vcc, 1
	.set _ZN2at6native20bitonicSortKVInPlaceILin1ELin1ELi16ELi16EilNS0_4GTOpIiLb1EEEjEEvNS_4cuda6detail10TensorInfoIT3_T6_EES8_S8_S8_NS6_IT4_S8_EES8_T5_.uses_flat_scratch, 0
	.set _ZN2at6native20bitonicSortKVInPlaceILin1ELin1ELi16ELi16EilNS0_4GTOpIiLb1EEEjEEvNS_4cuda6detail10TensorInfoIT3_T6_EES8_S8_S8_NS6_IT4_S8_EES8_T5_.has_dyn_sized_stack, 0
	.set _ZN2at6native20bitonicSortKVInPlaceILin1ELin1ELi16ELi16EilNS0_4GTOpIiLb1EEEjEEvNS_4cuda6detail10TensorInfoIT3_T6_EES8_S8_S8_NS6_IT4_S8_EES8_T5_.has_recursion, 0
	.set _ZN2at6native20bitonicSortKVInPlaceILin1ELin1ELi16ELi16EilNS0_4GTOpIiLb1EEEjEEvNS_4cuda6detail10TensorInfoIT3_T6_EES8_S8_S8_NS6_IT4_S8_EES8_T5_.has_indirect_call, 0
	.section	.AMDGPU.csdata,"",@progbits
; Kernel info:
; codeLenInByte = 4776
; TotalNumSgprs: 16
; NumVgprs: 36
; ScratchSize: 0
; MemoryBound: 0
; FloatMode: 240
; IeeeMode: 1
; LDSByteSize: 6656 bytes/workgroup (compile time only)
; SGPRBlocks: 0
; VGPRBlocks: 4
; NumSGPRsForWavesPerEU: 16
; NumVGPRsForWavesPerEU: 36
; Occupancy: 16
; WaveLimiterHint : 1
; COMPUTE_PGM_RSRC2:SCRATCH_EN: 0
; COMPUTE_PGM_RSRC2:USER_SGPR: 2
; COMPUTE_PGM_RSRC2:TRAP_HANDLER: 0
; COMPUTE_PGM_RSRC2:TGID_X_EN: 1
; COMPUTE_PGM_RSRC2:TGID_Y_EN: 1
; COMPUTE_PGM_RSRC2:TGID_Z_EN: 1
; COMPUTE_PGM_RSRC2:TIDIG_COMP_CNT: 1
	.section	.text._ZN2at6native20bitonicSortKVInPlaceILin1ELin1ELi16ELi16EilNS0_4LTOpIiLb1EEEmEEvNS_4cuda6detail10TensorInfoIT3_T6_EES8_S8_S8_NS6_IT4_S8_EES8_T5_,"axG",@progbits,_ZN2at6native20bitonicSortKVInPlaceILin1ELin1ELi16ELi16EilNS0_4LTOpIiLb1EEEmEEvNS_4cuda6detail10TensorInfoIT3_T6_EES8_S8_S8_NS6_IT4_S8_EES8_T5_,comdat
	.protected	_ZN2at6native20bitonicSortKVInPlaceILin1ELin1ELi16ELi16EilNS0_4LTOpIiLb1EEEmEEvNS_4cuda6detail10TensorInfoIT3_T6_EES8_S8_S8_NS6_IT4_S8_EES8_T5_ ; -- Begin function _ZN2at6native20bitonicSortKVInPlaceILin1ELin1ELi16ELi16EilNS0_4LTOpIiLb1EEEmEEvNS_4cuda6detail10TensorInfoIT3_T6_EES8_S8_S8_NS6_IT4_S8_EES8_T5_
	.globl	_ZN2at6native20bitonicSortKVInPlaceILin1ELin1ELi16ELi16EilNS0_4LTOpIiLb1EEEmEEvNS_4cuda6detail10TensorInfoIT3_T6_EES8_S8_S8_NS6_IT4_S8_EES8_T5_
	.p2align	8
	.type	_ZN2at6native20bitonicSortKVInPlaceILin1ELin1ELi16ELi16EilNS0_4LTOpIiLb1EEEmEEvNS_4cuda6detail10TensorInfoIT3_T6_EES8_S8_S8_NS6_IT4_S8_EES8_T5_,@function
_ZN2at6native20bitonicSortKVInPlaceILin1ELin1ELi16ELi16EilNS0_4LTOpIiLb1EEEmEEvNS_4cuda6detail10TensorInfoIT3_T6_EES8_S8_S8_NS6_IT4_S8_EES8_T5_: ; @_ZN2at6native20bitonicSortKVInPlaceILin1ELin1ELi16ELi16EilNS0_4LTOpIiLb1EEEmEEvNS_4cuda6detail10TensorInfoIT3_T6_EES8_S8_S8_NS6_IT4_S8_EES8_T5_
; %bb.0:
	v_mov_b32_e32 v1, 0
	s_lshr_b32 s8, ttmp7, 16
	s_and_b32 s9, ttmp7, 0xffff
	global_load_u16 v1, v1, s[0:1] offset:886
	s_clause 0x1
	s_load_b64 s[2:3], s[0:1], 0x368
	s_load_b128 s[4:7], s[0:1], 0x1a0
	s_wait_kmcnt 0x0
	s_mul_i32 s3, s3, s8
	s_delay_alu instid0(SALU_CYCLE_1) | instskip(NEXT) | instid1(SALU_CYCLE_1)
	s_add_co_i32 s3, s3, s9
	s_mul_i32 s2, s3, s2
	s_delay_alu instid0(SALU_CYCLE_1) | instskip(SKIP_2) | instid1(VALU_DEP_1)
	s_add_co_i32 s2, s2, ttmp9
	s_wait_loadcnt 0x0
	v_and_b32_e32 v1, 0xffff, v1
	v_mul_hi_u32 v2, v1, s2
	v_mul_lo_u32 v1, v1, s2
	s_delay_alu instid0(VALU_DEP_1)
	v_cmp_le_u64_e32 vcc_lo, s[4:5], v[1:2]
	s_cbranch_vccnz .LBB22_56
; %bb.1:
	s_clause 0x1
	s_load_b32 s10, s[0:1], 0x198
	s_load_b64 s[8:9], s[0:1], 0x1b0
	v_bfe_u32 v16, v0, 10, 10
	s_delay_alu instid0(VALU_DEP_1) | instskip(NEXT) | instid1(VALU_DEP_1)
	v_add_co_u32 v4, vcc_lo, v1, v16
	v_add_co_ci_u32_e64 v5, null, 0, v2, vcc_lo
	v_mov_b32_e32 v2, 0
	v_mov_b32_e32 v3, 0
	s_delay_alu instid0(VALU_DEP_3)
	v_dual_mov_b32 v7, v5 :: v_dual_mov_b32 v6, v4
	s_wait_kmcnt 0x0
	s_cmp_lt_i32 s10, 2
	s_cbranch_scc1 .LBB22_9
; %bb.2:
	s_add_co_i32 s2, s10, -1
	s_mov_b32 s3, 0
	v_dual_mov_b32 v2, 0 :: v_dual_mov_b32 v11, v5
	s_wait_alu 0xfffe
	s_lshl_b64 s[12:13], s[2:3], 3
	v_dual_mov_b32 v3, 0 :: v_dual_mov_b32 v8, 0
	v_mov_b32_e32 v10, v4
	s_add_nc_u64 s[12:13], s[0:1], s[12:13]
	s_add_co_i32 s14, s10, 1
	s_add_nc_u64 s[10:11], s[12:13], 8
.LBB22_3:                               ; =>This Inner Loop Header: Depth=1
	s_load_b64 s[12:13], s[10:11], 0x0
                                        ; implicit-def: $vgpr6_vgpr7
	s_mov_b32 s2, exec_lo
	s_wait_kmcnt 0x0
	v_or_b32_e32 v9, s13, v11
	s_delay_alu instid0(VALU_DEP_1)
	v_cmpx_ne_u64_e32 0, v[8:9]
	s_wait_alu 0xfffe
	s_xor_b32 s15, exec_lo, s2
	s_cbranch_execz .LBB22_5
; %bb.4:                                ;   in Loop: Header=BB22_3 Depth=1
	s_cvt_f32_u32 s2, s12
	s_cvt_f32_u32 s16, s13
	s_sub_nc_u64 s[18:19], 0, s[12:13]
	s_wait_alu 0xfffe
	s_delay_alu instid0(SALU_CYCLE_1) | instskip(SKIP_1) | instid1(SALU_CYCLE_2)
	s_fmamk_f32 s2, s16, 0x4f800000, s2
	s_wait_alu 0xfffe
	v_s_rcp_f32 s2, s2
	s_delay_alu instid0(TRANS32_DEP_1) | instskip(SKIP_1) | instid1(SALU_CYCLE_2)
	s_mul_f32 s2, s2, 0x5f7ffffc
	s_wait_alu 0xfffe
	s_mul_f32 s16, s2, 0x2f800000
	s_wait_alu 0xfffe
	s_delay_alu instid0(SALU_CYCLE_2) | instskip(SKIP_1) | instid1(SALU_CYCLE_2)
	s_trunc_f32 s16, s16
	s_wait_alu 0xfffe
	s_fmamk_f32 s2, s16, 0xcf800000, s2
	s_cvt_u32_f32 s17, s16
	s_wait_alu 0xfffe
	s_delay_alu instid0(SALU_CYCLE_1) | instskip(SKIP_1) | instid1(SALU_CYCLE_2)
	s_cvt_u32_f32 s16, s2
	s_wait_alu 0xfffe
	s_mul_u64 s[20:21], s[18:19], s[16:17]
	s_delay_alu instid0(SALU_CYCLE_1)
	s_mul_hi_u32 s23, s16, s21
	s_mul_i32 s22, s16, s21
	s_mul_hi_u32 s2, s16, s20
	s_mul_i32 s25, s17, s20
	s_wait_alu 0xfffe
	s_add_nc_u64 s[22:23], s[2:3], s[22:23]
	s_mul_hi_u32 s24, s17, s20
	s_mul_hi_u32 s26, s17, s21
	s_add_co_u32 s2, s22, s25
	s_add_co_ci_u32 s2, s23, s24
	s_mul_i32 s20, s17, s21
	s_add_co_ci_u32 s21, s26, 0
	s_wait_alu 0xfffe
	s_add_nc_u64 s[20:21], s[2:3], s[20:21]
	s_delay_alu instid0(SALU_CYCLE_1)
	s_add_co_u32 s16, s16, s20
	s_cselect_b32 s2, -1, 0
	s_wait_alu 0xfffe
	s_cmp_lg_u32 s2, 0
	s_add_co_ci_u32 s17, s17, s21
	s_wait_alu 0xfffe
	s_mul_u64 s[18:19], s[18:19], s[16:17]
	s_delay_alu instid0(SALU_CYCLE_1)
	s_mul_hi_u32 s21, s16, s19
	s_mul_i32 s20, s16, s19
	s_mul_hi_u32 s2, s16, s18
	s_mul_i32 s23, s17, s18
	s_wait_alu 0xfffe
	s_add_nc_u64 s[20:21], s[2:3], s[20:21]
	s_mul_hi_u32 s22, s17, s18
	s_mul_hi_u32 s24, s17, s19
	s_add_co_u32 s2, s20, s23
	s_add_co_ci_u32 s2, s21, s22
	s_mul_i32 s18, s17, s19
	s_add_co_ci_u32 s19, s24, 0
	s_wait_alu 0xfffe
	s_add_nc_u64 s[18:19], s[2:3], s[18:19]
	s_delay_alu instid0(SALU_CYCLE_1)
	s_add_co_u32 s2, s16, s18
	s_cselect_b32 s16, -1, 0
	s_wait_alu 0xfffe
	v_mul_hi_u32 v1, v10, s2
	s_cmp_lg_u32 s16, 0
	v_mad_co_u64_u32 v[12:13], null, v11, s2, 0
	s_add_co_ci_u32 s16, s17, s19
	s_wait_alu 0xfffe
	v_mad_co_u64_u32 v[6:7], null, v10, s16, 0
	v_mad_co_u64_u32 v[14:15], null, v11, s16, 0
	s_delay_alu instid0(VALU_DEP_2) | instskip(SKIP_1) | instid1(VALU_DEP_3)
	v_add_co_u32 v1, vcc_lo, v1, v6
	s_wait_alu 0xfffd
	v_add_co_ci_u32_e64 v6, null, 0, v7, vcc_lo
	s_delay_alu instid0(VALU_DEP_2) | instskip(SKIP_1) | instid1(VALU_DEP_2)
	v_add_co_u32 v1, vcc_lo, v1, v12
	s_wait_alu 0xfffd
	v_add_co_ci_u32_e32 v1, vcc_lo, v6, v13, vcc_lo
	s_wait_alu 0xfffd
	v_add_co_ci_u32_e32 v6, vcc_lo, 0, v15, vcc_lo
	s_delay_alu instid0(VALU_DEP_2) | instskip(SKIP_1) | instid1(VALU_DEP_2)
	v_add_co_u32 v1, vcc_lo, v1, v14
	s_wait_alu 0xfffd
	v_add_co_ci_u32_e64 v9, null, 0, v6, vcc_lo
	s_delay_alu instid0(VALU_DEP_2) | instskip(SKIP_1) | instid1(VALU_DEP_3)
	v_mul_lo_u32 v12, s13, v1
	v_mad_co_u64_u32 v[6:7], null, s12, v1, 0
	v_mul_lo_u32 v13, s12, v9
	s_delay_alu instid0(VALU_DEP_2) | instskip(NEXT) | instid1(VALU_DEP_2)
	v_sub_co_u32 v6, vcc_lo, v10, v6
	v_add3_u32 v7, v7, v13, v12
	v_add_co_u32 v13, s2, v1, 2
	s_wait_alu 0xf1ff
	v_add_co_ci_u32_e64 v14, null, 0, v9, s2
	s_delay_alu instid0(VALU_DEP_3) | instskip(SKIP_3) | instid1(VALU_DEP_3)
	v_sub_nc_u32_e32 v12, v11, v7
	v_sub_co_u32 v15, s2, v6, s12
	s_wait_alu 0xfffd
	v_sub_co_ci_u32_e64 v7, null, v11, v7, vcc_lo
	v_subrev_co_ci_u32_e64 v12, null, s13, v12, vcc_lo
	s_delay_alu instid0(VALU_DEP_3) | instskip(SKIP_1) | instid1(VALU_DEP_2)
	v_cmp_le_u32_e32 vcc_lo, s12, v15
	s_wait_alu 0xf1ff
	v_subrev_co_ci_u32_e64 v12, null, 0, v12, s2
	s_wait_alu 0xfffd
	v_cndmask_b32_e64 v15, 0, -1, vcc_lo
	v_cmp_eq_u32_e64 s2, s13, v7
	s_delay_alu instid0(VALU_DEP_3)
	v_cmp_le_u32_e32 vcc_lo, s13, v12
	s_wait_alu 0xfffd
	v_cndmask_b32_e64 v17, 0, -1, vcc_lo
	v_cmp_le_u32_e32 vcc_lo, s12, v6
	s_wait_alu 0xfffd
	v_cndmask_b32_e64 v6, 0, -1, vcc_lo
	;; [unrolled: 3-line block ×3, first 2 shown]
	v_cmp_eq_u32_e32 vcc_lo, s13, v12
	s_wait_alu 0xf1ff
	s_delay_alu instid0(VALU_DEP_2)
	v_cndmask_b32_e64 v6, v18, v6, s2
	s_wait_alu 0xfffd
	v_cndmask_b32_e32 v12, v17, v15, vcc_lo
	v_add_co_u32 v15, vcc_lo, v1, 1
	s_wait_alu 0xfffd
	v_add_co_ci_u32_e64 v17, null, 0, v9, vcc_lo
	s_delay_alu instid0(VALU_DEP_3) | instskip(SKIP_1) | instid1(VALU_DEP_2)
	v_cmp_ne_u32_e32 vcc_lo, 0, v12
	s_wait_alu 0xfffd
	v_dual_cndmask_b32 v7, v17, v14 :: v_dual_cndmask_b32 v12, v15, v13
	v_cmp_ne_u32_e32 vcc_lo, 0, v6
	s_wait_alu 0xfffd
	s_delay_alu instid0(VALU_DEP_2) | instskip(NEXT) | instid1(VALU_DEP_3)
	v_cndmask_b32_e32 v7, v9, v7, vcc_lo
	v_cndmask_b32_e32 v6, v1, v12, vcc_lo
.LBB22_5:                               ;   in Loop: Header=BB22_3 Depth=1
	s_wait_alu 0xfffe
	s_and_not1_saveexec_b32 s2, s15
	s_cbranch_execz .LBB22_7
; %bb.6:                                ;   in Loop: Header=BB22_3 Depth=1
	v_cvt_f32_u32_e32 v1, s12
	s_sub_co_i32 s15, 0, s12
	s_delay_alu instid0(VALU_DEP_1) | instskip(NEXT) | instid1(TRANS32_DEP_1)
	v_rcp_iflag_f32_e32 v1, v1
	v_mul_f32_e32 v1, 0x4f7ffffe, v1
	s_delay_alu instid0(VALU_DEP_1) | instskip(SKIP_1) | instid1(VALU_DEP_1)
	v_cvt_u32_f32_e32 v1, v1
	s_wait_alu 0xfffe
	v_mul_lo_u32 v6, s15, v1
	s_delay_alu instid0(VALU_DEP_1) | instskip(NEXT) | instid1(VALU_DEP_1)
	v_mul_hi_u32 v6, v1, v6
	v_add_nc_u32_e32 v1, v1, v6
	s_delay_alu instid0(VALU_DEP_1) | instskip(NEXT) | instid1(VALU_DEP_1)
	v_mul_hi_u32 v1, v10, v1
	v_mul_lo_u32 v6, v1, s12
	v_add_nc_u32_e32 v7, 1, v1
	s_delay_alu instid0(VALU_DEP_2) | instskip(NEXT) | instid1(VALU_DEP_1)
	v_sub_nc_u32_e32 v6, v10, v6
	v_subrev_nc_u32_e32 v9, s12, v6
	v_cmp_le_u32_e32 vcc_lo, s12, v6
	s_wait_alu 0xfffd
	s_delay_alu instid0(VALU_DEP_2) | instskip(NEXT) | instid1(VALU_DEP_1)
	v_dual_cndmask_b32 v6, v6, v9 :: v_dual_cndmask_b32 v1, v1, v7
	v_cmp_le_u32_e32 vcc_lo, s12, v6
	s_delay_alu instid0(VALU_DEP_2) | instskip(SKIP_1) | instid1(VALU_DEP_1)
	v_add_nc_u32_e32 v7, 1, v1
	s_wait_alu 0xfffd
	v_dual_cndmask_b32 v6, v1, v7 :: v_dual_mov_b32 v7, v8
.LBB22_7:                               ;   in Loop: Header=BB22_3 Depth=1
	s_wait_alu 0xfffe
	s_or_b32 exec_lo, exec_lo, s2
	s_load_b64 s[16:17], s[10:11], 0xc8
	s_delay_alu instid0(VALU_DEP_1)
	v_mul_lo_u32 v1, v7, s12
	v_mul_lo_u32 v9, v6, s13
	v_mad_co_u64_u32 v[12:13], null, v6, s12, 0
	s_add_co_i32 s14, s14, -1
	s_add_nc_u64 s[10:11], s[10:11], -8
	s_wait_alu 0xfffe
	s_cmp_gt_u32 s14, 2
	v_add3_u32 v1, v13, v9, v1
	v_sub_co_u32 v9, vcc_lo, v10, v12
	s_wait_alu 0xfffd
	s_delay_alu instid0(VALU_DEP_2) | instskip(SKIP_1) | instid1(VALU_DEP_2)
	v_sub_co_ci_u32_e64 v1, null, v11, v1, vcc_lo
	s_wait_kmcnt 0x0
	v_mul_lo_u32 v10, s17, v9
	s_delay_alu instid0(VALU_DEP_2) | instskip(SKIP_1) | instid1(VALU_DEP_1)
	v_mul_lo_u32 v1, s16, v1
	v_mad_co_u64_u32 v[2:3], null, s16, v9, v[2:3]
	v_add3_u32 v3, v10, v3, v1
	s_cbranch_scc0 .LBB22_9
; %bb.8:                                ;   in Loop: Header=BB22_3 Depth=1
	v_dual_mov_b32 v11, v7 :: v_dual_mov_b32 v10, v6
	s_branch .LBB22_3
.LBB22_9:
	s_clause 0x1
	s_load_b32 s14, s[0:1], 0x350
	s_load_b64 s[10:11], s[0:1], 0xd0
	v_dual_mov_b32 v8, 0 :: v_dual_mov_b32 v15, v5
	v_dual_mov_b32 v9, 0 :: v_dual_mov_b32 v14, v4
	s_add_nc_u64 s[12:13], s[0:1], 0x368
	s_wait_kmcnt 0x0
	s_cmp_lt_i32 s14, 2
	s_cbranch_scc1 .LBB22_17
; %bb.10:
	s_add_co_i32 s2, s14, -1
	s_mov_b32 s3, 0
	v_dual_mov_b32 v8, 0 :: v_dual_mov_b32 v13, v5
	s_wait_alu 0xfffe
	s_lshl_b64 s[16:17], s[2:3], 3
	v_dual_mov_b32 v9, 0 :: v_dual_mov_b32 v10, 0
	v_mov_b32_e32 v12, v4
	s_wait_alu 0xfffe
	s_add_nc_u64 s[16:17], s[0:1], s[16:17]
	s_add_co_i32 s18, s14, 1
	s_wait_alu 0xfffe
	s_add_nc_u64 s[14:15], s[16:17], 0x1c0
.LBB22_11:                              ; =>This Inner Loop Header: Depth=1
	s_load_b64 s[16:17], s[14:15], 0x0
                                        ; implicit-def: $vgpr14_vgpr15
	s_mov_b32 s2, exec_lo
	s_wait_kmcnt 0x0
	v_or_b32_e32 v11, s17, v13
	s_delay_alu instid0(VALU_DEP_1)
	v_cmpx_ne_u64_e32 0, v[10:11]
	s_wait_alu 0xfffe
	s_xor_b32 s19, exec_lo, s2
	s_cbranch_execz .LBB22_13
; %bb.12:                               ;   in Loop: Header=BB22_11 Depth=1
	s_cvt_f32_u32 s2, s16
	s_cvt_f32_u32 s20, s17
	s_sub_nc_u64 s[22:23], 0, s[16:17]
	s_wait_alu 0xfffe
	s_delay_alu instid0(SALU_CYCLE_1) | instskip(SKIP_1) | instid1(SALU_CYCLE_2)
	s_fmamk_f32 s2, s20, 0x4f800000, s2
	s_wait_alu 0xfffe
	v_s_rcp_f32 s2, s2
	s_delay_alu instid0(TRANS32_DEP_1) | instskip(SKIP_1) | instid1(SALU_CYCLE_2)
	s_mul_f32 s2, s2, 0x5f7ffffc
	s_wait_alu 0xfffe
	s_mul_f32 s20, s2, 0x2f800000
	s_wait_alu 0xfffe
	s_delay_alu instid0(SALU_CYCLE_2) | instskip(SKIP_1) | instid1(SALU_CYCLE_2)
	s_trunc_f32 s20, s20
	s_wait_alu 0xfffe
	s_fmamk_f32 s2, s20, 0xcf800000, s2
	s_cvt_u32_f32 s21, s20
	s_wait_alu 0xfffe
	s_delay_alu instid0(SALU_CYCLE_1) | instskip(SKIP_1) | instid1(SALU_CYCLE_2)
	s_cvt_u32_f32 s20, s2
	s_wait_alu 0xfffe
	s_mul_u64 s[24:25], s[22:23], s[20:21]
	s_delay_alu instid0(SALU_CYCLE_1)
	s_mul_hi_u32 s27, s20, s25
	s_mul_i32 s26, s20, s25
	s_mul_hi_u32 s2, s20, s24
	s_mul_i32 s29, s21, s24
	s_wait_alu 0xfffe
	s_add_nc_u64 s[26:27], s[2:3], s[26:27]
	s_mul_hi_u32 s28, s21, s24
	s_mul_hi_u32 s30, s21, s25
	s_add_co_u32 s2, s26, s29
	s_add_co_ci_u32 s2, s27, s28
	s_mul_i32 s24, s21, s25
	s_add_co_ci_u32 s25, s30, 0
	s_wait_alu 0xfffe
	s_add_nc_u64 s[24:25], s[2:3], s[24:25]
	s_delay_alu instid0(SALU_CYCLE_1)
	s_add_co_u32 s20, s20, s24
	s_cselect_b32 s2, -1, 0
	s_wait_alu 0xfffe
	s_cmp_lg_u32 s2, 0
	s_add_co_ci_u32 s21, s21, s25
	s_wait_alu 0xfffe
	s_mul_u64 s[22:23], s[22:23], s[20:21]
	s_delay_alu instid0(SALU_CYCLE_1)
	s_mul_hi_u32 s25, s20, s23
	s_mul_i32 s24, s20, s23
	s_mul_hi_u32 s2, s20, s22
	s_mul_i32 s27, s21, s22
	s_wait_alu 0xfffe
	s_add_nc_u64 s[24:25], s[2:3], s[24:25]
	s_mul_hi_u32 s26, s21, s22
	s_mul_hi_u32 s28, s21, s23
	s_add_co_u32 s2, s24, s27
	s_add_co_ci_u32 s2, s25, s26
	s_mul_i32 s22, s21, s23
	s_add_co_ci_u32 s23, s28, 0
	s_wait_alu 0xfffe
	s_add_nc_u64 s[22:23], s[2:3], s[22:23]
	s_delay_alu instid0(SALU_CYCLE_1)
	s_add_co_u32 s2, s20, s22
	s_cselect_b32 s20, -1, 0
	s_wait_alu 0xfffe
	v_mul_hi_u32 v1, v12, s2
	s_cmp_lg_u32 s20, 0
	v_mad_co_u64_u32 v[17:18], null, v13, s2, 0
	s_add_co_ci_u32 s20, s21, s23
	s_wait_alu 0xfffe
	v_mad_co_u64_u32 v[14:15], null, v12, s20, 0
	v_mad_co_u64_u32 v[19:20], null, v13, s20, 0
	s_delay_alu instid0(VALU_DEP_2) | instskip(SKIP_1) | instid1(VALU_DEP_3)
	v_add_co_u32 v1, vcc_lo, v1, v14
	s_wait_alu 0xfffd
	v_add_co_ci_u32_e64 v11, null, 0, v15, vcc_lo
	s_delay_alu instid0(VALU_DEP_2) | instskip(SKIP_1) | instid1(VALU_DEP_2)
	v_add_co_u32 v1, vcc_lo, v1, v17
	s_wait_alu 0xfffd
	v_add_co_ci_u32_e32 v1, vcc_lo, v11, v18, vcc_lo
	s_wait_alu 0xfffd
	v_add_co_ci_u32_e32 v11, vcc_lo, 0, v20, vcc_lo
	s_delay_alu instid0(VALU_DEP_2) | instskip(SKIP_1) | instid1(VALU_DEP_2)
	v_add_co_u32 v1, vcc_lo, v1, v19
	s_wait_alu 0xfffd
	v_add_co_ci_u32_e64 v11, null, 0, v11, vcc_lo
	s_delay_alu instid0(VALU_DEP_2) | instskip(SKIP_1) | instid1(VALU_DEP_3)
	v_mul_lo_u32 v17, s17, v1
	v_mad_co_u64_u32 v[14:15], null, s16, v1, 0
	v_mul_lo_u32 v18, s16, v11
	s_delay_alu instid0(VALU_DEP_2) | instskip(NEXT) | instid1(VALU_DEP_2)
	v_sub_co_u32 v14, vcc_lo, v12, v14
	v_add3_u32 v15, v15, v18, v17
	v_add_co_u32 v18, s2, v1, 2
	s_wait_alu 0xf1ff
	v_add_co_ci_u32_e64 v19, null, 0, v11, s2
	s_delay_alu instid0(VALU_DEP_3) | instskip(SKIP_3) | instid1(VALU_DEP_3)
	v_sub_nc_u32_e32 v17, v13, v15
	v_sub_co_u32 v20, s2, v14, s16
	s_wait_alu 0xfffd
	v_sub_co_ci_u32_e64 v15, null, v13, v15, vcc_lo
	v_subrev_co_ci_u32_e64 v17, null, s17, v17, vcc_lo
	s_delay_alu instid0(VALU_DEP_3) | instskip(SKIP_1) | instid1(VALU_DEP_2)
	v_cmp_le_u32_e32 vcc_lo, s16, v20
	s_wait_alu 0xf1ff
	v_subrev_co_ci_u32_e64 v17, null, 0, v17, s2
	s_wait_alu 0xfffd
	v_cndmask_b32_e64 v20, 0, -1, vcc_lo
	v_cmp_eq_u32_e64 s2, s17, v15
	s_delay_alu instid0(VALU_DEP_3)
	v_cmp_le_u32_e32 vcc_lo, s17, v17
	s_wait_alu 0xfffd
	v_cndmask_b32_e64 v21, 0, -1, vcc_lo
	v_cmp_le_u32_e32 vcc_lo, s16, v14
	s_wait_alu 0xfffd
	v_cndmask_b32_e64 v14, 0, -1, vcc_lo
	;; [unrolled: 3-line block ×3, first 2 shown]
	v_cmp_eq_u32_e32 vcc_lo, s17, v17
	s_wait_alu 0xf1ff
	s_delay_alu instid0(VALU_DEP_2)
	v_cndmask_b32_e64 v14, v22, v14, s2
	s_wait_alu 0xfffd
	v_cndmask_b32_e32 v17, v21, v20, vcc_lo
	v_add_co_u32 v20, vcc_lo, v1, 1
	s_wait_alu 0xfffd
	v_add_co_ci_u32_e64 v21, null, 0, v11, vcc_lo
	s_delay_alu instid0(VALU_DEP_3) | instskip(SKIP_1) | instid1(VALU_DEP_2)
	v_cmp_ne_u32_e32 vcc_lo, 0, v17
	s_wait_alu 0xfffd
	v_cndmask_b32_e32 v15, v21, v19, vcc_lo
	v_cndmask_b32_e32 v17, v20, v18, vcc_lo
	v_cmp_ne_u32_e32 vcc_lo, 0, v14
	s_wait_alu 0xfffd
	s_delay_alu instid0(VALU_DEP_2)
	v_dual_cndmask_b32 v15, v11, v15 :: v_dual_cndmask_b32 v14, v1, v17
.LBB22_13:                              ;   in Loop: Header=BB22_11 Depth=1
	s_wait_alu 0xfffe
	s_and_not1_saveexec_b32 s2, s19
	s_cbranch_execz .LBB22_15
; %bb.14:                               ;   in Loop: Header=BB22_11 Depth=1
	v_cvt_f32_u32_e32 v1, s16
	s_sub_co_i32 s19, 0, s16
	s_delay_alu instid0(VALU_DEP_1) | instskip(NEXT) | instid1(TRANS32_DEP_1)
	v_rcp_iflag_f32_e32 v1, v1
	v_mul_f32_e32 v1, 0x4f7ffffe, v1
	s_delay_alu instid0(VALU_DEP_1) | instskip(SKIP_1) | instid1(VALU_DEP_1)
	v_cvt_u32_f32_e32 v1, v1
	s_wait_alu 0xfffe
	v_mul_lo_u32 v11, s19, v1
	s_delay_alu instid0(VALU_DEP_1) | instskip(NEXT) | instid1(VALU_DEP_1)
	v_mul_hi_u32 v11, v1, v11
	v_add_nc_u32_e32 v1, v1, v11
	s_delay_alu instid0(VALU_DEP_1) | instskip(NEXT) | instid1(VALU_DEP_1)
	v_mul_hi_u32 v1, v12, v1
	v_mul_lo_u32 v11, v1, s16
	s_delay_alu instid0(VALU_DEP_1) | instskip(NEXT) | instid1(VALU_DEP_1)
	v_sub_nc_u32_e32 v11, v12, v11
	v_subrev_nc_u32_e32 v15, s16, v11
	v_cmp_le_u32_e32 vcc_lo, s16, v11
	s_wait_alu 0xfffd
	s_delay_alu instid0(VALU_DEP_2) | instskip(NEXT) | instid1(VALU_DEP_1)
	v_dual_cndmask_b32 v11, v11, v15 :: v_dual_add_nc_u32 v14, 1, v1
	v_cndmask_b32_e32 v1, v1, v14, vcc_lo
	v_mov_b32_e32 v15, v10
	s_delay_alu instid0(VALU_DEP_3) | instskip(NEXT) | instid1(VALU_DEP_3)
	v_cmp_le_u32_e32 vcc_lo, s16, v11
	v_add_nc_u32_e32 v14, 1, v1
	s_wait_alu 0xfffd
	s_delay_alu instid0(VALU_DEP_1)
	v_cndmask_b32_e32 v14, v1, v14, vcc_lo
.LBB22_15:                              ;   in Loop: Header=BB22_11 Depth=1
	s_wait_alu 0xfffe
	s_or_b32 exec_lo, exec_lo, s2
	s_load_b64 s[20:21], s[14:15], 0xc8
	v_mul_lo_u32 v1, v15, s16
	v_mul_lo_u32 v11, v14, s17
	v_mad_co_u64_u32 v[17:18], null, v14, s16, 0
	s_add_co_i32 s18, s18, -1
	s_add_nc_u64 s[14:15], s[14:15], -8
	s_wait_alu 0xfffe
	s_cmp_gt_u32 s18, 2
	v_add3_u32 v1, v18, v11, v1
	v_sub_co_u32 v11, vcc_lo, v12, v17
	s_wait_alu 0xfffd
	s_delay_alu instid0(VALU_DEP_2) | instskip(SKIP_1) | instid1(VALU_DEP_2)
	v_sub_co_ci_u32_e64 v1, null, v13, v1, vcc_lo
	s_wait_kmcnt 0x0
	v_mul_lo_u32 v12, s21, v11
	s_delay_alu instid0(VALU_DEP_2) | instskip(SKIP_1) | instid1(VALU_DEP_1)
	v_mul_lo_u32 v1, s20, v1
	v_mad_co_u64_u32 v[8:9], null, s20, v11, v[8:9]
	v_add3_u32 v9, v12, v9, v1
	s_cbranch_scc0 .LBB22_17
; %bb.16:                               ;   in Loop: Header=BB22_11 Depth=1
	v_dual_mov_b32 v12, v14 :: v_dual_mov_b32 v13, v15
	s_branch .LBB22_11
.LBB22_17:
	s_load_b64 s[2:3], s[0:1], 0x288
	v_mul_lo_u32 v17, s11, v6
	v_mul_lo_u32 v18, s10, v7
	v_mad_co_u64_u32 v[6:7], null, s10, v6, 0
	v_cmp_gt_u64_e32 vcc_lo, s[4:5], v[4:5]
	s_clause 0x2
	s_load_b64 s[10:11], s[0:1], 0x358
	s_load_b64 s[4:5], s[0:1], 0x0
	;; [unrolled: 1-line block ×3, first 2 shown]
	v_mov_b32_e32 v1, 0
	v_lshlrev_b64_e32 v[12:13], 2, v[2:3]
	v_and_b32_e32 v2, 0x3ff, v0
	v_add3_u32 v7, v7, v18, v17
	s_delay_alu instid0(VALU_DEP_4)
	v_mov_b32_e32 v3, v1
	s_wait_kmcnt 0x0
	v_mul_lo_u32 v4, s3, v14
	v_mul_lo_u32 v5, s2, v15
	v_mad_co_u64_u32 v[10:11], null, s2, v14, 0
	s_load_b32 s2, s[12:13], 0xc
	v_lshlrev_b64_e32 v[14:15], 3, v[8:9]
	v_lshlrev_b64_e32 v[8:9], 2, v[6:7]
	v_mov_b32_e32 v6, 0
	v_mov_b32_e32 v7, 0
	v_add3_u32 v11, v11, v5, v4
	v_mov_b32_e32 v4, 0
	v_add_co_u32 v0, s1, s4, v8
	v_cmp_gt_u64_e64 s0, s[6:7], v[2:3]
	s_delay_alu instid0(VALU_DEP_4) | instskip(SKIP_2) | instid1(VALU_DEP_4)
	v_lshlrev_b64_e32 v[10:11], 3, v[10:11]
	v_add_co_ci_u32_e64 v3, null, s5, v9, s1
	v_mov_b32_e32 v5, 0
	s_and_b32 s4, vcc_lo, s0
	s_delay_alu instid0(VALU_DEP_3)
	v_add_co_u32 v10, s1, s14, v10
	s_wait_alu 0xf1ff
	v_add_co_ci_u32_e64 v11, null, s15, v11, s1
	v_add_co_u32 v8, s1, v0, v12
	s_wait_alu 0xf1ff
	v_add_co_ci_u32_e64 v9, null, v3, v13, s1
	;; [unrolled: 3-line block ×3, first 2 shown]
	v_mov_b32_e32 v3, 0
	s_wait_alu 0xfffe
	s_and_saveexec_b32 s3, s4
	s_cbranch_execz .LBB22_19
; %bb.18:
	v_mad_co_u64_u32 v[6:7], null, s8, v2, 0
	v_mad_co_u64_u32 v[12:13], null, s10, v2, 0
	s_delay_alu instid0(VALU_DEP_1) | instskip(NEXT) | instid1(VALU_DEP_1)
	v_dual_mov_b32 v0, v7 :: v_dual_mov_b32 v3, v13
	v_mad_co_u64_u32 v[13:14], null, s9, v2, v[0:1]
	s_delay_alu instid0(VALU_DEP_2) | instskip(NEXT) | instid1(VALU_DEP_2)
	v_mad_co_u64_u32 v[14:15], null, s11, v2, v[3:4]
	v_mov_b32_e32 v7, v13
	s_delay_alu instid0(VALU_DEP_2) | instskip(NEXT) | instid1(VALU_DEP_2)
	v_mov_b32_e32 v13, v14
	v_lshlrev_b64_e32 v[6:7], 2, v[6:7]
	s_delay_alu instid0(VALU_DEP_2) | instskip(NEXT) | instid1(VALU_DEP_2)
	v_lshlrev_b64_e32 v[12:13], 3, v[12:13]
	v_add_co_u32 v6, s1, v8, v6
	s_wait_alu 0xf1ff
	s_delay_alu instid0(VALU_DEP_3) | instskip(NEXT) | instid1(VALU_DEP_3)
	v_add_co_ci_u32_e64 v7, null, v9, v7, s1
	v_add_co_u32 v12, s1, v10, v12
	s_wait_alu 0xf1ff
	v_add_co_ci_u32_e64 v13, null, v11, v13, s1
	global_load_b32 v3, v[6:7], off
	global_load_b64 v[6:7], v[12:13], off
.LBB22_19:
	s_wait_alu 0xfffe
	s_or_b32 exec_lo, exec_lo, s3
	s_wait_kmcnt 0x0
	s_and_b32 s3, 0xffff, s2
	v_lshl_add_u32 v15, v16, 7, 0x1000
	s_wait_alu 0xfffe
	v_add_nc_u32_e32 v0, s3, v2
	v_lshlrev_b32_e32 v14, 8, v16
	v_lshl_add_u32 v18, v16, 5, 0x1800
	v_cndmask_b32_e64 v16, 0, 1, s4
	v_lshl_add_u32 v12, v2, 2, v15
	v_cmp_gt_u64_e64 s1, s[6:7], v[0:1]
	v_lshl_add_u32 v13, v2, 3, v14
	v_add_nc_u32_e32 v17, v18, v2
	s_wait_loadcnt 0x1
	ds_store_b32 v12, v3
	s_wait_loadcnt 0x0
	ds_store_b64 v13, v[6:7]
	ds_store_b8 v17, v16
	s_and_b32 s4, vcc_lo, s1
	s_wait_alu 0xfffe
	s_and_saveexec_b32 s5, s4
	s_cbranch_execz .LBB22_21
; %bb.20:
	v_mad_co_u64_u32 v[3:4], null, s8, v0, 0
	v_mad_co_u64_u32 v[5:6], null, s10, v0, 0
	s_delay_alu instid0(VALU_DEP_1) | instskip(NEXT) | instid1(VALU_DEP_1)
	v_dual_mov_b32 v1, v4 :: v_dual_mov_b32 v4, v6
	v_mad_co_u64_u32 v[6:7], null, s9, v0, v[1:2]
	s_delay_alu instid0(VALU_DEP_2) | instskip(NEXT) | instid1(VALU_DEP_2)
	v_mad_co_u64_u32 v[16:17], null, s11, v0, v[4:5]
	v_mov_b32_e32 v4, v6
	s_delay_alu instid0(VALU_DEP_2) | instskip(NEXT) | instid1(VALU_DEP_2)
	v_mov_b32_e32 v6, v16
	v_lshlrev_b64_e32 v[3:4], 2, v[3:4]
	s_delay_alu instid0(VALU_DEP_2) | instskip(NEXT) | instid1(VALU_DEP_2)
	v_lshlrev_b64_e32 v[5:6], 3, v[5:6]
	v_add_co_u32 v3, s2, v8, v3
	s_wait_alu 0xf1ff
	s_delay_alu instid0(VALU_DEP_3) | instskip(NEXT) | instid1(VALU_DEP_3)
	v_add_co_ci_u32_e64 v4, null, v9, v4, s2
	v_add_co_u32 v5, s2, v10, v5
	s_wait_alu 0xf1ff
	v_add_co_ci_u32_e64 v6, null, v11, v6, s2
	global_load_b32 v1, v[3:4], off
	global_load_b64 v[4:5], v[5:6], off
.LBB22_21:
	s_wait_alu 0xfffe
	s_or_b32 exec_lo, exec_lo, s5
	v_lshl_add_u32 v6, s3, 2, v12
	v_lshl_add_u32 v7, s3, 3, v13
	v_cndmask_b32_e64 v3, 0, 1, s4
	v_add_nc_u32_e32 v16, v18, v0
	v_lshlrev_b32_e32 v20, 1, v2
	s_wait_loadcnt 0x1
	ds_store_b32 v6, v1
	s_wait_loadcnt 0x0
	ds_store_b64 v7, v[4:5]
	ds_store_b8 v16, v3
	v_lshlrev_b32_e32 v3, 2, v2
	s_wait_dscnt 0x0
	v_add_nc_u32_e32 v1, v18, v20
	s_barrier_signal -1
	s_barrier_wait -1
	v_add_nc_u32_e32 v5, v12, v3
	global_inv scope:SCOPE_SE
	ds_load_u16 v19, v1
	ds_load_b64 v[3:4], v5
	v_and_b32_e32 v16, 1, v2
	s_wait_dscnt 0x1
	v_lshrrev_b16 v17, 8, v19
	v_and_b32_e32 v21, 1, v19
	s_wait_dscnt 0x0
	v_cmp_lt_i32_e64 s2, v3, v4
	s_delay_alu instid0(VALU_DEP_3) | instskip(NEXT) | instid1(VALU_DEP_3)
	v_cmp_ne_u16_e64 s4, v17, v16
	v_cmp_eq_u32_e64 s3, 1, v21
	s_wait_alu 0xf1ff
	s_delay_alu instid0(VALU_DEP_2) | instskip(SKIP_2) | instid1(VALU_DEP_1)
	v_cndmask_b32_e64 v21, 0, 1, s4
	s_and_b32 s2, s2, s3
	s_wait_alu 0xfffe
	v_cndmask_b32_e64 v21, v21, v2, s2
	s_delay_alu instid0(VALU_DEP_1) | instskip(NEXT) | instid1(VALU_DEP_1)
	v_and_b32_e32 v21, 1, v21
	v_cmp_eq_u32_e64 s2, 1, v21
	v_lshl_add_u32 v21, v2, 3, v13
	s_and_saveexec_b32 s3, s2
	s_wait_alu 0xfffe
	s_xor_b32 s2, exec_lo, s3
	s_cbranch_execz .LBB22_23
; %bb.22:
	ds_load_b128 v[22:25], v21
	v_mov_b32_e32 v28, v4
	v_lshlrev_b16 v4, 8, v19
	v_mov_b32_e32 v29, v3
	s_delay_alu instid0(VALU_DEP_2)
	v_or_b32_e32 v3, v17, v4
	s_wait_dscnt 0x0
	v_dual_mov_b32 v26, v22 :: v_dual_mov_b32 v27, v23
	ds_store_b128 v21, v[24:27]
	ds_store_b64 v5, v[28:29]
	ds_store_b16 v1, v3
.LBB22_23:
	s_wait_alu 0xfffe
	s_or_b32 exec_lo, exec_lo, s2
	v_sub_nc_u32_e32 v19, v20, v16
	s_wait_loadcnt_dscnt 0x0
	s_barrier_signal -1
	s_barrier_wait -1
	global_inv scope:SCOPE_SE
	v_add_nc_u32_e32 v16, v18, v19
	v_lshl_add_u32 v17, v19, 2, v15
	v_bfe_u32 v25, v2, 1, 1
	v_lshl_add_u32 v19, v19, 3, v14
	ds_load_u8 v23, v16
	ds_load_2addr_b32 v[3:4], v17 offset1:2
	ds_load_u8 v24, v16 offset:2
	s_wait_dscnt 0x2
	v_and_b32_e32 v22, 1, v23
	s_wait_dscnt 0x1
	v_cmp_lt_i32_e64 s2, v3, v4
	s_wait_dscnt 0x0
	v_cmp_ne_u16_e64 s4, v24, v25
	v_cmp_eq_u32_e64 s3, 1, v22
	s_wait_alu 0xf1ff
	s_delay_alu instid0(VALU_DEP_2) | instskip(SKIP_2) | instid1(VALU_DEP_1)
	v_cndmask_b32_e64 v22, 0, 1, s4
	s_and_b32 s2, s2, s3
	s_wait_alu 0xfffe
	v_cndmask_b32_e64 v25, v22, v25, s2
	v_and_b32_e32 v22, 2, v2
	s_delay_alu instid0(VALU_DEP_2) | instskip(NEXT) | instid1(VALU_DEP_2)
	v_and_b32_e32 v25, 1, v25
	v_cmp_ne_u32_e64 s2, 0, v22
	s_delay_alu instid0(VALU_DEP_2)
	v_cmp_eq_u32_e64 s3, 1, v25
	s_and_saveexec_b32 s4, s3
	s_wait_alu 0xfffe
	s_xor_b32 s3, exec_lo, s4
	s_cbranch_execz .LBB22_25
; %bb.24:
	ds_load_2addr_b64 v[25:28], v19 offset1:2
	ds_store_2addr_b32 v17, v4, v3 offset1:2
	s_wait_dscnt 0x1
	ds_store_2addr_b64 v19, v[27:28], v[25:26] offset1:2
	ds_store_b8 v16, v24
	ds_store_b8 v16, v23 offset:2
.LBB22_25:
	s_wait_alu 0xfffe
	s_or_b32 exec_lo, exec_lo, s3
	s_wait_loadcnt_dscnt 0x0
	s_barrier_signal -1
	s_barrier_wait -1
	global_inv scope:SCOPE_SE
	ds_load_u16 v23, v1
	ds_load_b64 v[3:4], v5
	v_lshrrev_b32_e32 v24, 1, v22
	v_cndmask_b32_e64 v26, 0, 1, s2
	s_wait_dscnt 0x1
	v_lshrrev_b16 v22, 8, v23
	v_and_b32_e32 v25, 1, v23
	s_wait_dscnt 0x0
	v_cmp_lt_i32_e64 s2, v3, v4
	s_delay_alu instid0(VALU_DEP_3) | instskip(NEXT) | instid1(VALU_DEP_3)
	v_cmp_ne_u16_e64 s4, v22, v24
	v_cmp_eq_u32_e64 s3, 1, v25
	s_wait_alu 0xf1ff
	s_delay_alu instid0(VALU_DEP_2) | instskip(SKIP_3) | instid1(VALU_DEP_1)
	v_cndmask_b32_e64 v24, 0, 1, s4
	s_and_b32 s2, s2, s3
	s_mov_b32 s3, exec_lo
	s_wait_alu 0xfffe
	v_cndmask_b32_e64 v24, v24, v26, s2
	s_delay_alu instid0(VALU_DEP_1) | instskip(NEXT) | instid1(VALU_DEP_1)
	v_and_b32_e32 v24, 1, v24
	v_cmpx_eq_u32_e32 1, v24
	s_cbranch_execz .LBB22_27
; %bb.26:
	ds_load_b128 v[24:27], v21
	v_mov_b32_e32 v30, v4
	v_lshlrev_b16 v4, 8, v23
	v_mov_b32_e32 v31, v3
	s_delay_alu instid0(VALU_DEP_2)
	v_or_b32_e32 v3, v22, v4
	s_wait_dscnt 0x0
	v_dual_mov_b32 v28, v24 :: v_dual_mov_b32 v29, v25
	ds_store_b128 v21, v[26:29]
	ds_store_b64 v5, v[30:31]
	ds_store_b16 v1, v3
.LBB22_27:
	s_or_b32 exec_lo, exec_lo, s3
	v_and_b32_e32 v3, 3, v2
	s_wait_loadcnt_dscnt 0x0
	s_barrier_signal -1
	s_barrier_wait -1
	global_inv scope:SCOPE_SE
	v_sub_nc_u32_e32 v24, v20, v3
	v_bfe_u32 v27, v2, 2, 1
	s_delay_alu instid0(VALU_DEP_2)
	v_add_nc_u32_e32 v21, v18, v24
	v_lshl_add_u32 v22, v24, 2, v15
	v_lshl_add_u32 v24, v24, 3, v14
	ds_load_u8 v25, v21
	ds_load_2addr_b32 v[3:4], v22 offset1:4
	ds_load_u8 v26, v21 offset:4
	s_wait_dscnt 0x2
	v_and_b32_e32 v23, 1, v25
	s_wait_dscnt 0x1
	v_cmp_lt_i32_e64 s2, v3, v4
	s_wait_dscnt 0x0
	v_cmp_ne_u16_e64 s4, v26, v27
	v_cmp_eq_u32_e64 s3, 1, v23
	s_wait_alu 0xf1ff
	s_delay_alu instid0(VALU_DEP_2) | instskip(SKIP_3) | instid1(VALU_DEP_1)
	v_cndmask_b32_e64 v23, 0, 1, s4
	s_mov_b32 s4, exec_lo
	s_and_b32 s2, s2, s3
	s_wait_alu 0xfffe
	v_cndmask_b32_e64 v27, v23, v27, s2
	v_and_b32_e32 v23, 4, v2
	s_delay_alu instid0(VALU_DEP_2) | instskip(NEXT) | instid1(VALU_DEP_2)
	v_and_b32_e32 v27, 1, v27
	v_cmp_ne_u32_e64 s2, 0, v23
	s_delay_alu instid0(VALU_DEP_2)
	v_cmpx_eq_u32_e32 1, v27
	s_cbranch_execz .LBB22_29
; %bb.28:
	ds_load_2addr_b64 v[27:30], v24 offset1:4
	ds_store_2addr_b32 v22, v4, v3 offset1:4
	s_wait_dscnt 0x1
	ds_store_2addr_b64 v24, v[29:30], v[27:28] offset1:4
	ds_store_b8 v21, v26
	ds_store_b8 v21, v25 offset:4
.LBB22_29:
	s_or_b32 exec_lo, exec_lo, s4
	s_wait_loadcnt_dscnt 0x0
	s_barrier_signal -1
	s_barrier_wait -1
	global_inv scope:SCOPE_SE
	ds_load_u8 v26, v16
	ds_load_2addr_b32 v[3:4], v17 offset1:2
	ds_load_u8 v27, v16 offset:2
	v_lshrrev_b32_e32 v23, 2, v23
	v_cndmask_b32_e64 v25, 0, 1, s2
	s_wait_dscnt 0x2
	v_and_b32_e32 v28, 1, v26
	s_wait_dscnt 0x1
	v_cmp_lt_i32_e64 s2, v3, v4
	s_wait_dscnt 0x0
	v_cmp_ne_u16_e64 s4, v27, v23
	v_cmp_eq_u32_e64 s3, 1, v28
	s_wait_alu 0xf1ff
	s_delay_alu instid0(VALU_DEP_2) | instskip(SKIP_3) | instid1(VALU_DEP_1)
	v_cndmask_b32_e64 v28, 0, 1, s4
	s_and_b32 s2, s2, s3
	s_mov_b32 s3, exec_lo
	s_wait_alu 0xfffe
	v_cndmask_b32_e64 v28, v28, v25, s2
	s_delay_alu instid0(VALU_DEP_1) | instskip(NEXT) | instid1(VALU_DEP_1)
	v_and_b32_e32 v28, 1, v28
	v_cmpx_eq_u32_e32 1, v28
	s_cbranch_execz .LBB22_31
; %bb.30:
	ds_load_2addr_b64 v[28:31], v19 offset1:2
	ds_store_2addr_b32 v17, v4, v3 offset1:2
	s_wait_dscnt 0x1
	ds_store_2addr_b64 v19, v[30:31], v[28:29] offset1:2
	ds_store_b8 v16, v27
	ds_store_b8 v16, v26 offset:2
.LBB22_31:
	s_or_b32 exec_lo, exec_lo, s3
	s_wait_loadcnt_dscnt 0x0
	s_barrier_signal -1
	s_barrier_wait -1
	global_inv scope:SCOPE_SE
	ds_load_u16 v27, v1
	ds_load_b64 v[3:4], v5
	s_wait_dscnt 0x1
	v_lshrrev_b16 v26, 8, v27
	v_and_b32_e32 v28, 1, v27
	s_wait_dscnt 0x0
	v_cmp_lt_i32_e64 s2, v3, v4
	s_delay_alu instid0(VALU_DEP_3) | instskip(NEXT) | instid1(VALU_DEP_3)
	v_cmp_ne_u16_e64 s4, v26, v23
	v_cmp_eq_u32_e64 s3, 1, v28
	s_wait_alu 0xf1ff
	s_delay_alu instid0(VALU_DEP_2) | instskip(SKIP_2) | instid1(VALU_DEP_1)
	v_cndmask_b32_e64 v23, 0, 1, s4
	s_and_b32 s2, s2, s3
	s_wait_alu 0xfffe
	v_cndmask_b32_e64 v23, v23, v25, s2
	s_delay_alu instid0(VALU_DEP_1) | instskip(NEXT) | instid1(VALU_DEP_1)
	v_and_b32_e32 v23, 1, v23
	v_cmp_eq_u32_e64 s2, 1, v23
	v_lshl_add_u32 v23, v20, 3, v14
	s_and_saveexec_b32 s3, s2
	s_cbranch_execz .LBB22_33
; %bb.32:
	ds_load_b128 v[28:31], v23
	v_mov_b32_e32 v34, v4
	v_lshlrev_b16 v4, 8, v27
	v_mov_b32_e32 v35, v3
	s_delay_alu instid0(VALU_DEP_2)
	v_or_b32_e32 v3, v26, v4
	s_wait_dscnt 0x0
	v_dual_mov_b32 v32, v28 :: v_dual_mov_b32 v33, v29
	ds_store_b128 v23, v[30:33]
	ds_store_b64 v5, v[34:35]
	ds_store_b16 v1, v3
.LBB22_33:
	s_wait_alu 0xfffe
	s_or_b32 exec_lo, exec_lo, s3
	v_and_b32_e32 v3, 7, v2
	s_wait_loadcnt_dscnt 0x0
	s_barrier_signal -1
	s_barrier_wait -1
	global_inv scope:SCOPE_SE
	v_sub_nc_u32_e32 v27, v20, v3
	v_bfe_u32 v31, v2, 3, 1
	s_delay_alu instid0(VALU_DEP_2)
	v_add_nc_u32_e32 v25, v18, v27
	v_lshl_add_u32 v26, v27, 2, v15
	v_lshl_add_u32 v27, v27, 3, v14
	ds_load_u8 v29, v25
	ds_load_2addr_b32 v[3:4], v26 offset1:8
	ds_load_u8 v30, v25 offset:8
	s_wait_dscnt 0x2
	v_and_b32_e32 v28, 1, v29
	s_wait_dscnt 0x1
	v_cmp_lt_i32_e64 s2, v3, v4
	s_wait_dscnt 0x0
	v_cmp_ne_u16_e64 s4, v30, v31
	v_cmp_eq_u32_e64 s3, 1, v28
	s_wait_alu 0xf1ff
	s_delay_alu instid0(VALU_DEP_2) | instskip(SKIP_3) | instid1(VALU_DEP_1)
	v_cndmask_b32_e64 v28, 0, 1, s4
	s_mov_b32 s4, exec_lo
	s_and_b32 s2, s2, s3
	s_wait_alu 0xfffe
	v_cndmask_b32_e64 v31, v28, v31, s2
	v_and_b32_e32 v28, 8, v2
	s_delay_alu instid0(VALU_DEP_2) | instskip(NEXT) | instid1(VALU_DEP_2)
	v_and_b32_e32 v31, 1, v31
	v_cmp_ne_u32_e64 s2, 0, v28
	s_delay_alu instid0(VALU_DEP_2)
	v_cmpx_eq_u32_e32 1, v31
	s_cbranch_execz .LBB22_35
; %bb.34:
	ds_load_2addr_b64 v[31:34], v27 offset1:8
	ds_store_2addr_b32 v26, v4, v3 offset1:8
	s_wait_dscnt 0x1
	ds_store_2addr_b64 v27, v[33:34], v[31:32] offset1:8
	ds_store_b8 v25, v30
	ds_store_b8 v25, v29 offset:8
.LBB22_35:
	s_or_b32 exec_lo, exec_lo, s4
	s_wait_loadcnt_dscnt 0x0
	s_barrier_signal -1
	s_barrier_wait -1
	global_inv scope:SCOPE_SE
	ds_load_u8 v30, v21
	ds_load_2addr_b32 v[3:4], v22 offset1:4
	ds_load_u8 v31, v21 offset:4
	v_lshrrev_b32_e32 v28, 3, v28
	v_cndmask_b32_e64 v29, 0, 1, s2
	s_wait_dscnt 0x2
	v_and_b32_e32 v32, 1, v30
	s_wait_dscnt 0x1
	v_cmp_lt_i32_e64 s2, v3, v4
	s_wait_dscnt 0x0
	v_cmp_ne_u16_e64 s4, v31, v28
	v_cmp_eq_u32_e64 s3, 1, v32
	s_wait_alu 0xf1ff
	s_delay_alu instid0(VALU_DEP_2) | instskip(SKIP_3) | instid1(VALU_DEP_1)
	v_cndmask_b32_e64 v32, 0, 1, s4
	s_and_b32 s2, s2, s3
	s_mov_b32 s3, exec_lo
	s_wait_alu 0xfffe
	v_cndmask_b32_e64 v32, v32, v29, s2
	s_delay_alu instid0(VALU_DEP_1) | instskip(NEXT) | instid1(VALU_DEP_1)
	v_and_b32_e32 v32, 1, v32
	v_cmpx_eq_u32_e32 1, v32
	s_cbranch_execz .LBB22_37
; %bb.36:
	ds_load_2addr_b64 v[32:35], v24 offset1:4
	ds_store_2addr_b32 v22, v4, v3 offset1:4
	s_wait_dscnt 0x1
	ds_store_2addr_b64 v24, v[34:35], v[32:33] offset1:4
	ds_store_b8 v21, v31
	ds_store_b8 v21, v30 offset:4
.LBB22_37:
	s_or_b32 exec_lo, exec_lo, s3
	s_wait_loadcnt_dscnt 0x0
	s_barrier_signal -1
	s_barrier_wait -1
	global_inv scope:SCOPE_SE
	ds_load_u8 v30, v16
	ds_load_2addr_b32 v[3:4], v17 offset1:2
	ds_load_u8 v31, v16 offset:2
	s_wait_dscnt 0x2
	v_and_b32_e32 v32, 1, v30
	s_wait_dscnt 0x1
	v_cmp_lt_i32_e64 s2, v3, v4
	s_wait_dscnt 0x0
	v_cmp_ne_u16_e64 s4, v31, v28
	v_cmp_eq_u32_e64 s3, 1, v32
	s_wait_alu 0xf1ff
	s_delay_alu instid0(VALU_DEP_2) | instskip(SKIP_3) | instid1(VALU_DEP_1)
	v_cndmask_b32_e64 v32, 0, 1, s4
	s_and_b32 s2, s2, s3
	s_mov_b32 s3, exec_lo
	s_wait_alu 0xfffe
	v_cndmask_b32_e64 v32, v32, v29, s2
	s_delay_alu instid0(VALU_DEP_1) | instskip(NEXT) | instid1(VALU_DEP_1)
	v_and_b32_e32 v32, 1, v32
	v_cmpx_eq_u32_e32 1, v32
	s_cbranch_execz .LBB22_39
; %bb.38:
	ds_load_2addr_b64 v[32:35], v19 offset1:2
	ds_store_2addr_b32 v17, v4, v3 offset1:2
	s_wait_dscnt 0x1
	ds_store_2addr_b64 v19, v[34:35], v[32:33] offset1:2
	ds_store_b8 v16, v31
	ds_store_b8 v16, v30 offset:2
.LBB22_39:
	s_or_b32 exec_lo, exec_lo, s3
	s_wait_loadcnt_dscnt 0x0
	s_barrier_signal -1
	s_barrier_wait -1
	global_inv scope:SCOPE_SE
	ds_load_u16 v31, v1
	ds_load_b64 v[3:4], v5
	s_wait_dscnt 0x1
	v_lshrrev_b16 v30, 8, v31
	v_and_b32_e32 v32, 1, v31
	s_wait_dscnt 0x0
	v_cmp_lt_i32_e64 s2, v3, v4
	s_delay_alu instid0(VALU_DEP_3) | instskip(NEXT) | instid1(VALU_DEP_3)
	v_cmp_ne_u16_e64 s4, v30, v28
	v_cmp_eq_u32_e64 s3, 1, v32
	s_wait_alu 0xf1ff
	s_delay_alu instid0(VALU_DEP_2) | instskip(SKIP_3) | instid1(VALU_DEP_1)
	v_cndmask_b32_e64 v28, 0, 1, s4
	s_and_b32 s2, s2, s3
	s_mov_b32 s3, exec_lo
	s_wait_alu 0xfffe
	v_cndmask_b32_e64 v28, v28, v29, s2
	s_delay_alu instid0(VALU_DEP_1) | instskip(NEXT) | instid1(VALU_DEP_1)
	v_and_b32_e32 v28, 1, v28
	v_cmpx_eq_u32_e32 1, v28
	s_cbranch_execz .LBB22_41
; %bb.40:
	ds_load_b128 v[32:35], v23
	v_mov_b32_e32 v28, v4
	v_lshlrev_b16 v4, 8, v31
	v_mov_b32_e32 v29, v3
	s_delay_alu instid0(VALU_DEP_2)
	v_or_b32_e32 v3, v30, v4
	s_wait_dscnt 0x0
	v_dual_mov_b32 v36, v32 :: v_dual_mov_b32 v37, v33
	ds_store_b128 v23, v[34:37]
	ds_store_b64 v5, v[28:29]
	ds_store_b16 v1, v3
.LBB22_41:
	s_or_b32 exec_lo, exec_lo, s3
	v_and_b32_e32 v3, 15, v2
	s_wait_loadcnt_dscnt 0x0
	s_barrier_signal -1
	s_barrier_wait -1
	global_inv scope:SCOPE_SE
	v_sub_nc_u32_e32 v20, v20, v3
	s_delay_alu instid0(VALU_DEP_1)
	v_add_nc_u32_e32 v18, v18, v20
	v_lshl_add_u32 v15, v20, 2, v15
	ds_load_u8 v28, v18
	ds_load_u8 v29, v18 offset:16
	ds_load_2addr_b32 v[3:4], v15 offset1:16
	s_wait_dscnt 0x1
	v_and_b32_e32 v29, 0xff, v29
	v_and_b32_e32 v30, 1, v28
	s_wait_dscnt 0x0
	v_cmp_ge_i32_e64 s3, v3, v4
	s_delay_alu instid0(VALU_DEP_3) | instskip(NEXT) | instid1(VALU_DEP_3)
	v_cmp_ne_u16_e64 s4, 0, v29
	v_cmp_eq_u32_e64 s2, 1, v30
	s_xor_b32 s2, s2, -1
	s_wait_alu 0xfffe
	s_or_b32 s2, s3, s2
	s_wait_alu 0xfffe
	s_and_b32 s3, s2, s4
	s_wait_alu 0xfffe
	s_and_saveexec_b32 s2, s3
	s_cbranch_execz .LBB22_43
; %bb.42:
	v_lshl_add_u32 v14, v20, 3, v14
	v_mov_b32_e32 v20, 1
	ds_load_2addr_b64 v[29:32], v14 offset1:16
	ds_store_2addr_b32 v15, v4, v3 offset1:16
	s_wait_dscnt 0x1
	ds_store_2addr_b64 v14, v[31:32], v[29:30] offset1:16
	ds_store_b8 v18, v20
	ds_store_b8 v18, v28 offset:16
.LBB22_43:
	s_wait_alu 0xfffe
	s_or_b32 exec_lo, exec_lo, s2
	s_wait_loadcnt_dscnt 0x0
	s_barrier_signal -1
	s_barrier_wait -1
	global_inv scope:SCOPE_SE
	ds_load_u8 v14, v25
	ds_load_u8 v15, v25 offset:8
	ds_load_2addr_b32 v[3:4], v26 offset1:8
	s_wait_dscnt 0x2
	v_and_b32_e32 v18, 1, v14
	s_wait_dscnt 0x1
	v_and_b32_e32 v15, 0xff, v15
	s_wait_dscnt 0x0
	v_cmp_ge_i32_e64 s3, v3, v4
	v_cmp_eq_u32_e64 s2, 1, v18
	s_delay_alu instid0(VALU_DEP_3)
	v_cmp_ne_u16_e64 s4, 0, v15
	s_xor_b32 s2, s2, -1
	s_wait_alu 0xfffe
	s_or_b32 s2, s3, s2
	s_wait_alu 0xfffe
	s_and_b32 s3, s2, s4
	s_wait_alu 0xfffe
	s_and_saveexec_b32 s2, s3
	s_cbranch_execz .LBB22_45
; %bb.44:
	ds_load_2addr_b64 v[28:31], v27 offset1:8
	v_mov_b32_e32 v15, 1
	ds_store_2addr_b32 v26, v4, v3 offset1:8
	s_wait_dscnt 0x1
	ds_store_2addr_b64 v27, v[30:31], v[28:29] offset1:8
	ds_store_b8 v25, v15
	ds_store_b8 v25, v14 offset:8
.LBB22_45:
	s_wait_alu 0xfffe
	s_or_b32 exec_lo, exec_lo, s2
	s_wait_loadcnt_dscnt 0x0
	s_barrier_signal -1
	s_barrier_wait -1
	global_inv scope:SCOPE_SE
	ds_load_u8 v14, v21
	ds_load_u8 v15, v21 offset:4
	ds_load_2addr_b32 v[3:4], v22 offset1:4
	s_wait_dscnt 0x2
	v_and_b32_e32 v18, 1, v14
	s_wait_dscnt 0x1
	v_and_b32_e32 v15, 0xff, v15
	s_wait_dscnt 0x0
	v_cmp_ge_i32_e64 s3, v3, v4
	v_cmp_eq_u32_e64 s2, 1, v18
	s_delay_alu instid0(VALU_DEP_3)
	v_cmp_ne_u16_e64 s4, 0, v15
	s_xor_b32 s2, s2, -1
	s_wait_alu 0xfffe
	s_or_b32 s2, s3, s2
	s_wait_alu 0xfffe
	s_and_b32 s3, s2, s4
	s_wait_alu 0xfffe
	s_and_saveexec_b32 s2, s3
	s_cbranch_execz .LBB22_47
; %bb.46:
	ds_load_2addr_b64 v[25:28], v24 offset1:4
	v_mov_b32_e32 v15, 1
	ds_store_2addr_b32 v22, v4, v3 offset1:4
	s_wait_dscnt 0x1
	ds_store_2addr_b64 v24, v[27:28], v[25:26] offset1:4
	ds_store_b8 v21, v15
	ds_store_b8 v21, v14 offset:4
.LBB22_47:
	;; [unrolled: 35-line block ×3, first 2 shown]
	s_wait_alu 0xfffe
	s_or_b32 exec_lo, exec_lo, s2
	s_wait_loadcnt_dscnt 0x0
	s_barrier_signal -1
	s_barrier_wait -1
	global_inv scope:SCOPE_SE
	ds_load_u16 v14, v1
	ds_load_b64 v[3:4], v5
	s_wait_dscnt 0x1
	v_and_b32_e32 v15, 1, v14
	v_lshrrev_b16 v16, 8, v14
	s_wait_dscnt 0x0
	v_cmp_ge_i32_e64 s3, v3, v4
	s_delay_alu instid0(VALU_DEP_3) | instskip(NEXT) | instid1(VALU_DEP_3)
	v_cmp_eq_u32_e64 s2, 1, v15
	v_cmp_ne_u16_e64 s4, 0, v16
	s_xor_b32 s2, s2, -1
	s_wait_alu 0xfffe
	s_or_b32 s2, s3, s2
	s_wait_alu 0xfffe
	s_and_b32 s3, s2, s4
	s_wait_alu 0xfffe
	s_and_saveexec_b32 s2, s3
	s_cbranch_execz .LBB22_51
; %bb.50:
	ds_load_b128 v[15:18], v23
	v_mov_b32_e32 v21, v4
	v_lshlrev_b16 v4, 8, v14
	v_mov_b32_e32 v22, v3
	s_delay_alu instid0(VALU_DEP_2)
	v_or_b32_e32 v3, 1, v4
	s_wait_dscnt 0x0
	v_dual_mov_b32 v19, v15 :: v_dual_mov_b32 v20, v16
	ds_store_b128 v23, v[17:20]
	ds_store_b64 v5, v[21:22]
	ds_store_b16 v1, v3
.LBB22_51:
	s_wait_alu 0xfffe
	s_or_b32 exec_lo, exec_lo, s2
	s_wait_loadcnt_dscnt 0x0
	s_barrier_signal -1
	s_barrier_wait -1
	global_inv scope:SCOPE_SE
	s_and_saveexec_b32 s2, vcc_lo
	s_cbranch_execz .LBB22_56
; %bb.52:
	s_and_saveexec_b32 s2, s0
	s_cbranch_execz .LBB22_54
; %bb.53:
	v_mad_co_u64_u32 v[3:4], null, s8, v2, 0
	v_mad_co_u64_u32 v[14:15], null, s10, v2, 0
	s_delay_alu instid0(VALU_DEP_1) | instskip(NEXT) | instid1(VALU_DEP_1)
	v_dual_mov_b32 v1, v4 :: v_dual_mov_b32 v4, v15
	v_mad_co_u64_u32 v[15:16], null, s9, v2, v[1:2]
	s_delay_alu instid0(VALU_DEP_2) | instskip(SKIP_3) | instid1(VALU_DEP_1)
	v_mad_co_u64_u32 v[1:2], null, s11, v2, v[4:5]
	ds_load_b32 v5, v12
	ds_load_b64 v[12:13], v13
	v_dual_mov_b32 v4, v15 :: v_dual_mov_b32 v15, v1
	v_lshlrev_b64_e32 v[1:2], 2, v[3:4]
	s_delay_alu instid0(VALU_DEP_2) | instskip(NEXT) | instid1(VALU_DEP_2)
	v_lshlrev_b64_e32 v[3:4], 3, v[14:15]
	v_add_co_u32 v1, vcc_lo, v8, v1
	s_wait_alu 0xfffd
	s_delay_alu instid0(VALU_DEP_3) | instskip(NEXT) | instid1(VALU_DEP_3)
	v_add_co_ci_u32_e64 v2, null, v9, v2, vcc_lo
	v_add_co_u32 v3, vcc_lo, v10, v3
	s_wait_alu 0xfffd
	v_add_co_ci_u32_e64 v4, null, v11, v4, vcc_lo
	s_wait_dscnt 0x1
	global_store_b32 v[1:2], v5, off
	s_wait_dscnt 0x0
	global_store_b64 v[3:4], v[12:13], off
.LBB22_54:
	s_wait_alu 0xfffe
	s_or_b32 exec_lo, exec_lo, s2
	s_delay_alu instid0(SALU_CYCLE_1)
	s_and_b32 exec_lo, exec_lo, s1
	s_cbranch_execz .LBB22_56
; %bb.55:
	v_mad_co_u64_u32 v[1:2], null, s8, v0, 0
	v_mad_co_u64_u32 v[3:4], null, s10, v0, 0
	s_delay_alu instid0(VALU_DEP_1) | instskip(NEXT) | instid1(VALU_DEP_2)
	v_mad_co_u64_u32 v[12:13], null, s9, v0, v[2:3]
	v_mad_co_u64_u32 v[4:5], null, s11, v0, v[4:5]
	s_delay_alu instid0(VALU_DEP_2) | instskip(SKIP_4) | instid1(VALU_DEP_2)
	v_mov_b32_e32 v2, v12
	ds_load_b32 v12, v6
	ds_load_b64 v[5:6], v7
	v_lshlrev_b64_e32 v[0:1], 2, v[1:2]
	v_lshlrev_b64_e32 v[2:3], 3, v[3:4]
	v_add_co_u32 v0, vcc_lo, v8, v0
	s_wait_alu 0xfffd
	s_delay_alu instid0(VALU_DEP_3) | instskip(NEXT) | instid1(VALU_DEP_3)
	v_add_co_ci_u32_e64 v1, null, v9, v1, vcc_lo
	v_add_co_u32 v2, vcc_lo, v10, v2
	s_wait_alu 0xfffd
	v_add_co_ci_u32_e64 v3, null, v11, v3, vcc_lo
	s_wait_dscnt 0x1
	global_store_b32 v[0:1], v12, off
	s_wait_dscnt 0x0
	global_store_b64 v[2:3], v[5:6], off
.LBB22_56:
	s_endpgm
	.section	.rodata,"a",@progbits
	.p2align	6, 0x0
	.amdhsa_kernel _ZN2at6native20bitonicSortKVInPlaceILin1ELin1ELi16ELi16EilNS0_4LTOpIiLb1EEEmEEvNS_4cuda6detail10TensorInfoIT3_T6_EES8_S8_S8_NS6_IT4_S8_EES8_T5_
		.amdhsa_group_segment_fixed_size 6656
		.amdhsa_private_segment_fixed_size 0
		.amdhsa_kernarg_size 1128
		.amdhsa_user_sgpr_count 2
		.amdhsa_user_sgpr_dispatch_ptr 0
		.amdhsa_user_sgpr_queue_ptr 0
		.amdhsa_user_sgpr_kernarg_segment_ptr 1
		.amdhsa_user_sgpr_dispatch_id 0
		.amdhsa_user_sgpr_private_segment_size 0
		.amdhsa_wavefront_size32 1
		.amdhsa_uses_dynamic_stack 0
		.amdhsa_enable_private_segment 0
		.amdhsa_system_sgpr_workgroup_id_x 1
		.amdhsa_system_sgpr_workgroup_id_y 1
		.amdhsa_system_sgpr_workgroup_id_z 1
		.amdhsa_system_sgpr_workgroup_info 0
		.amdhsa_system_vgpr_workitem_id 1
		.amdhsa_next_free_vgpr 38
		.amdhsa_next_free_sgpr 31
		.amdhsa_reserve_vcc 1
		.amdhsa_float_round_mode_32 0
		.amdhsa_float_round_mode_16_64 0
		.amdhsa_float_denorm_mode_32 3
		.amdhsa_float_denorm_mode_16_64 3
		.amdhsa_fp16_overflow 0
		.amdhsa_workgroup_processor_mode 1
		.amdhsa_memory_ordered 1
		.amdhsa_forward_progress 1
		.amdhsa_inst_pref_size 53
		.amdhsa_round_robin_scheduling 0
		.amdhsa_exception_fp_ieee_invalid_op 0
		.amdhsa_exception_fp_denorm_src 0
		.amdhsa_exception_fp_ieee_div_zero 0
		.amdhsa_exception_fp_ieee_overflow 0
		.amdhsa_exception_fp_ieee_underflow 0
		.amdhsa_exception_fp_ieee_inexact 0
		.amdhsa_exception_int_div_zero 0
	.end_amdhsa_kernel
	.section	.text._ZN2at6native20bitonicSortKVInPlaceILin1ELin1ELi16ELi16EilNS0_4LTOpIiLb1EEEmEEvNS_4cuda6detail10TensorInfoIT3_T6_EES8_S8_S8_NS6_IT4_S8_EES8_T5_,"axG",@progbits,_ZN2at6native20bitonicSortKVInPlaceILin1ELin1ELi16ELi16EilNS0_4LTOpIiLb1EEEmEEvNS_4cuda6detail10TensorInfoIT3_T6_EES8_S8_S8_NS6_IT4_S8_EES8_T5_,comdat
.Lfunc_end22:
	.size	_ZN2at6native20bitonicSortKVInPlaceILin1ELin1ELi16ELi16EilNS0_4LTOpIiLb1EEEmEEvNS_4cuda6detail10TensorInfoIT3_T6_EES8_S8_S8_NS6_IT4_S8_EES8_T5_, .Lfunc_end22-_ZN2at6native20bitonicSortKVInPlaceILin1ELin1ELi16ELi16EilNS0_4LTOpIiLb1EEEmEEvNS_4cuda6detail10TensorInfoIT3_T6_EES8_S8_S8_NS6_IT4_S8_EES8_T5_
                                        ; -- End function
	.set _ZN2at6native20bitonicSortKVInPlaceILin1ELin1ELi16ELi16EilNS0_4LTOpIiLb1EEEmEEvNS_4cuda6detail10TensorInfoIT3_T6_EES8_S8_S8_NS6_IT4_S8_EES8_T5_.num_vgpr, 38
	.set _ZN2at6native20bitonicSortKVInPlaceILin1ELin1ELi16ELi16EilNS0_4LTOpIiLb1EEEmEEvNS_4cuda6detail10TensorInfoIT3_T6_EES8_S8_S8_NS6_IT4_S8_EES8_T5_.num_agpr, 0
	.set _ZN2at6native20bitonicSortKVInPlaceILin1ELin1ELi16ELi16EilNS0_4LTOpIiLb1EEEmEEvNS_4cuda6detail10TensorInfoIT3_T6_EES8_S8_S8_NS6_IT4_S8_EES8_T5_.numbered_sgpr, 31
	.set _ZN2at6native20bitonicSortKVInPlaceILin1ELin1ELi16ELi16EilNS0_4LTOpIiLb1EEEmEEvNS_4cuda6detail10TensorInfoIT3_T6_EES8_S8_S8_NS6_IT4_S8_EES8_T5_.num_named_barrier, 0
	.set _ZN2at6native20bitonicSortKVInPlaceILin1ELin1ELi16ELi16EilNS0_4LTOpIiLb1EEEmEEvNS_4cuda6detail10TensorInfoIT3_T6_EES8_S8_S8_NS6_IT4_S8_EES8_T5_.private_seg_size, 0
	.set _ZN2at6native20bitonicSortKVInPlaceILin1ELin1ELi16ELi16EilNS0_4LTOpIiLb1EEEmEEvNS_4cuda6detail10TensorInfoIT3_T6_EES8_S8_S8_NS6_IT4_S8_EES8_T5_.uses_vcc, 1
	.set _ZN2at6native20bitonicSortKVInPlaceILin1ELin1ELi16ELi16EilNS0_4LTOpIiLb1EEEmEEvNS_4cuda6detail10TensorInfoIT3_T6_EES8_S8_S8_NS6_IT4_S8_EES8_T5_.uses_flat_scratch, 0
	.set _ZN2at6native20bitonicSortKVInPlaceILin1ELin1ELi16ELi16EilNS0_4LTOpIiLb1EEEmEEvNS_4cuda6detail10TensorInfoIT3_T6_EES8_S8_S8_NS6_IT4_S8_EES8_T5_.has_dyn_sized_stack, 0
	.set _ZN2at6native20bitonicSortKVInPlaceILin1ELin1ELi16ELi16EilNS0_4LTOpIiLb1EEEmEEvNS_4cuda6detail10TensorInfoIT3_T6_EES8_S8_S8_NS6_IT4_S8_EES8_T5_.has_recursion, 0
	.set _ZN2at6native20bitonicSortKVInPlaceILin1ELin1ELi16ELi16EilNS0_4LTOpIiLb1EEEmEEvNS_4cuda6detail10TensorInfoIT3_T6_EES8_S8_S8_NS6_IT4_S8_EES8_T5_.has_indirect_call, 0
	.section	.AMDGPU.csdata,"",@progbits
; Kernel info:
; codeLenInByte = 6768
; TotalNumSgprs: 33
; NumVgprs: 38
; ScratchSize: 0
; MemoryBound: 0
; FloatMode: 240
; IeeeMode: 1
; LDSByteSize: 6656 bytes/workgroup (compile time only)
; SGPRBlocks: 0
; VGPRBlocks: 4
; NumSGPRsForWavesPerEU: 33
; NumVGPRsForWavesPerEU: 38
; Occupancy: 16
; WaveLimiterHint : 1
; COMPUTE_PGM_RSRC2:SCRATCH_EN: 0
; COMPUTE_PGM_RSRC2:USER_SGPR: 2
; COMPUTE_PGM_RSRC2:TRAP_HANDLER: 0
; COMPUTE_PGM_RSRC2:TGID_X_EN: 1
; COMPUTE_PGM_RSRC2:TGID_Y_EN: 1
; COMPUTE_PGM_RSRC2:TGID_Z_EN: 1
; COMPUTE_PGM_RSRC2:TIDIG_COMP_CNT: 1
	.section	.text._ZN2at6native20bitonicSortKVInPlaceILin1ELin1ELi16ELi16EilNS0_4GTOpIiLb1EEEmEEvNS_4cuda6detail10TensorInfoIT3_T6_EES8_S8_S8_NS6_IT4_S8_EES8_T5_,"axG",@progbits,_ZN2at6native20bitonicSortKVInPlaceILin1ELin1ELi16ELi16EilNS0_4GTOpIiLb1EEEmEEvNS_4cuda6detail10TensorInfoIT3_T6_EES8_S8_S8_NS6_IT4_S8_EES8_T5_,comdat
	.protected	_ZN2at6native20bitonicSortKVInPlaceILin1ELin1ELi16ELi16EilNS0_4GTOpIiLb1EEEmEEvNS_4cuda6detail10TensorInfoIT3_T6_EES8_S8_S8_NS6_IT4_S8_EES8_T5_ ; -- Begin function _ZN2at6native20bitonicSortKVInPlaceILin1ELin1ELi16ELi16EilNS0_4GTOpIiLb1EEEmEEvNS_4cuda6detail10TensorInfoIT3_T6_EES8_S8_S8_NS6_IT4_S8_EES8_T5_
	.globl	_ZN2at6native20bitonicSortKVInPlaceILin1ELin1ELi16ELi16EilNS0_4GTOpIiLb1EEEmEEvNS_4cuda6detail10TensorInfoIT3_T6_EES8_S8_S8_NS6_IT4_S8_EES8_T5_
	.p2align	8
	.type	_ZN2at6native20bitonicSortKVInPlaceILin1ELin1ELi16ELi16EilNS0_4GTOpIiLb1EEEmEEvNS_4cuda6detail10TensorInfoIT3_T6_EES8_S8_S8_NS6_IT4_S8_EES8_T5_,@function
_ZN2at6native20bitonicSortKVInPlaceILin1ELin1ELi16ELi16EilNS0_4GTOpIiLb1EEEmEEvNS_4cuda6detail10TensorInfoIT3_T6_EES8_S8_S8_NS6_IT4_S8_EES8_T5_: ; @_ZN2at6native20bitonicSortKVInPlaceILin1ELin1ELi16ELi16EilNS0_4GTOpIiLb1EEEmEEvNS_4cuda6detail10TensorInfoIT3_T6_EES8_S8_S8_NS6_IT4_S8_EES8_T5_
; %bb.0:
	v_mov_b32_e32 v1, 0
	s_lshr_b32 s8, ttmp7, 16
	s_and_b32 s9, ttmp7, 0xffff
	global_load_u16 v1, v1, s[0:1] offset:886
	s_clause 0x1
	s_load_b64 s[2:3], s[0:1], 0x368
	s_load_b128 s[4:7], s[0:1], 0x1a0
	s_wait_kmcnt 0x0
	s_mul_i32 s3, s3, s8
	s_delay_alu instid0(SALU_CYCLE_1) | instskip(NEXT) | instid1(SALU_CYCLE_1)
	s_add_co_i32 s3, s3, s9
	s_mul_i32 s2, s3, s2
	s_delay_alu instid0(SALU_CYCLE_1) | instskip(SKIP_2) | instid1(VALU_DEP_1)
	s_add_co_i32 s2, s2, ttmp9
	s_wait_loadcnt 0x0
	v_and_b32_e32 v1, 0xffff, v1
	v_mul_hi_u32 v2, v1, s2
	v_mul_lo_u32 v1, v1, s2
	s_delay_alu instid0(VALU_DEP_1)
	v_cmp_le_u64_e32 vcc_lo, s[4:5], v[1:2]
	s_cbranch_vccnz .LBB23_56
; %bb.1:
	s_clause 0x1
	s_load_b32 s10, s[0:1], 0x198
	s_load_b64 s[8:9], s[0:1], 0x1b0
	v_bfe_u32 v16, v0, 10, 10
	s_delay_alu instid0(VALU_DEP_1) | instskip(NEXT) | instid1(VALU_DEP_1)
	v_add_co_u32 v4, vcc_lo, v1, v16
	v_add_co_ci_u32_e64 v5, null, 0, v2, vcc_lo
	v_mov_b32_e32 v2, 0
	v_mov_b32_e32 v3, 0
	s_delay_alu instid0(VALU_DEP_3)
	v_dual_mov_b32 v7, v5 :: v_dual_mov_b32 v6, v4
	s_wait_kmcnt 0x0
	s_cmp_lt_i32 s10, 2
	s_cbranch_scc1 .LBB23_9
; %bb.2:
	s_add_co_i32 s2, s10, -1
	s_mov_b32 s3, 0
	v_dual_mov_b32 v2, 0 :: v_dual_mov_b32 v11, v5
	s_wait_alu 0xfffe
	s_lshl_b64 s[12:13], s[2:3], 3
	v_dual_mov_b32 v3, 0 :: v_dual_mov_b32 v8, 0
	v_mov_b32_e32 v10, v4
	s_add_nc_u64 s[12:13], s[0:1], s[12:13]
	s_add_co_i32 s14, s10, 1
	s_add_nc_u64 s[10:11], s[12:13], 8
.LBB23_3:                               ; =>This Inner Loop Header: Depth=1
	s_load_b64 s[12:13], s[10:11], 0x0
                                        ; implicit-def: $vgpr6_vgpr7
	s_mov_b32 s2, exec_lo
	s_wait_kmcnt 0x0
	v_or_b32_e32 v9, s13, v11
	s_delay_alu instid0(VALU_DEP_1)
	v_cmpx_ne_u64_e32 0, v[8:9]
	s_wait_alu 0xfffe
	s_xor_b32 s15, exec_lo, s2
	s_cbranch_execz .LBB23_5
; %bb.4:                                ;   in Loop: Header=BB23_3 Depth=1
	s_cvt_f32_u32 s2, s12
	s_cvt_f32_u32 s16, s13
	s_sub_nc_u64 s[18:19], 0, s[12:13]
	s_wait_alu 0xfffe
	s_delay_alu instid0(SALU_CYCLE_1) | instskip(SKIP_1) | instid1(SALU_CYCLE_2)
	s_fmamk_f32 s2, s16, 0x4f800000, s2
	s_wait_alu 0xfffe
	v_s_rcp_f32 s2, s2
	s_delay_alu instid0(TRANS32_DEP_1) | instskip(SKIP_1) | instid1(SALU_CYCLE_2)
	s_mul_f32 s2, s2, 0x5f7ffffc
	s_wait_alu 0xfffe
	s_mul_f32 s16, s2, 0x2f800000
	s_wait_alu 0xfffe
	s_delay_alu instid0(SALU_CYCLE_2) | instskip(SKIP_1) | instid1(SALU_CYCLE_2)
	s_trunc_f32 s16, s16
	s_wait_alu 0xfffe
	s_fmamk_f32 s2, s16, 0xcf800000, s2
	s_cvt_u32_f32 s17, s16
	s_wait_alu 0xfffe
	s_delay_alu instid0(SALU_CYCLE_1) | instskip(SKIP_1) | instid1(SALU_CYCLE_2)
	s_cvt_u32_f32 s16, s2
	s_wait_alu 0xfffe
	s_mul_u64 s[20:21], s[18:19], s[16:17]
	s_delay_alu instid0(SALU_CYCLE_1)
	s_mul_hi_u32 s23, s16, s21
	s_mul_i32 s22, s16, s21
	s_mul_hi_u32 s2, s16, s20
	s_mul_i32 s25, s17, s20
	s_wait_alu 0xfffe
	s_add_nc_u64 s[22:23], s[2:3], s[22:23]
	s_mul_hi_u32 s24, s17, s20
	s_mul_hi_u32 s26, s17, s21
	s_add_co_u32 s2, s22, s25
	s_add_co_ci_u32 s2, s23, s24
	s_mul_i32 s20, s17, s21
	s_add_co_ci_u32 s21, s26, 0
	s_wait_alu 0xfffe
	s_add_nc_u64 s[20:21], s[2:3], s[20:21]
	s_delay_alu instid0(SALU_CYCLE_1)
	s_add_co_u32 s16, s16, s20
	s_cselect_b32 s2, -1, 0
	s_wait_alu 0xfffe
	s_cmp_lg_u32 s2, 0
	s_add_co_ci_u32 s17, s17, s21
	s_wait_alu 0xfffe
	s_mul_u64 s[18:19], s[18:19], s[16:17]
	s_delay_alu instid0(SALU_CYCLE_1)
	s_mul_hi_u32 s21, s16, s19
	s_mul_i32 s20, s16, s19
	s_mul_hi_u32 s2, s16, s18
	s_mul_i32 s23, s17, s18
	s_wait_alu 0xfffe
	s_add_nc_u64 s[20:21], s[2:3], s[20:21]
	s_mul_hi_u32 s22, s17, s18
	s_mul_hi_u32 s24, s17, s19
	s_add_co_u32 s2, s20, s23
	s_add_co_ci_u32 s2, s21, s22
	s_mul_i32 s18, s17, s19
	s_add_co_ci_u32 s19, s24, 0
	s_wait_alu 0xfffe
	s_add_nc_u64 s[18:19], s[2:3], s[18:19]
	s_delay_alu instid0(SALU_CYCLE_1)
	s_add_co_u32 s2, s16, s18
	s_cselect_b32 s16, -1, 0
	s_wait_alu 0xfffe
	v_mul_hi_u32 v1, v10, s2
	s_cmp_lg_u32 s16, 0
	v_mad_co_u64_u32 v[12:13], null, v11, s2, 0
	s_add_co_ci_u32 s16, s17, s19
	s_wait_alu 0xfffe
	v_mad_co_u64_u32 v[6:7], null, v10, s16, 0
	v_mad_co_u64_u32 v[14:15], null, v11, s16, 0
	s_delay_alu instid0(VALU_DEP_2) | instskip(SKIP_1) | instid1(VALU_DEP_3)
	v_add_co_u32 v1, vcc_lo, v1, v6
	s_wait_alu 0xfffd
	v_add_co_ci_u32_e64 v6, null, 0, v7, vcc_lo
	s_delay_alu instid0(VALU_DEP_2) | instskip(SKIP_1) | instid1(VALU_DEP_2)
	v_add_co_u32 v1, vcc_lo, v1, v12
	s_wait_alu 0xfffd
	v_add_co_ci_u32_e32 v1, vcc_lo, v6, v13, vcc_lo
	s_wait_alu 0xfffd
	v_add_co_ci_u32_e32 v6, vcc_lo, 0, v15, vcc_lo
	s_delay_alu instid0(VALU_DEP_2) | instskip(SKIP_1) | instid1(VALU_DEP_2)
	v_add_co_u32 v1, vcc_lo, v1, v14
	s_wait_alu 0xfffd
	v_add_co_ci_u32_e64 v9, null, 0, v6, vcc_lo
	s_delay_alu instid0(VALU_DEP_2) | instskip(SKIP_1) | instid1(VALU_DEP_3)
	v_mul_lo_u32 v12, s13, v1
	v_mad_co_u64_u32 v[6:7], null, s12, v1, 0
	v_mul_lo_u32 v13, s12, v9
	s_delay_alu instid0(VALU_DEP_2) | instskip(NEXT) | instid1(VALU_DEP_2)
	v_sub_co_u32 v6, vcc_lo, v10, v6
	v_add3_u32 v7, v7, v13, v12
	v_add_co_u32 v13, s2, v1, 2
	s_wait_alu 0xf1ff
	v_add_co_ci_u32_e64 v14, null, 0, v9, s2
	s_delay_alu instid0(VALU_DEP_3) | instskip(SKIP_3) | instid1(VALU_DEP_3)
	v_sub_nc_u32_e32 v12, v11, v7
	v_sub_co_u32 v15, s2, v6, s12
	s_wait_alu 0xfffd
	v_sub_co_ci_u32_e64 v7, null, v11, v7, vcc_lo
	v_subrev_co_ci_u32_e64 v12, null, s13, v12, vcc_lo
	s_delay_alu instid0(VALU_DEP_3) | instskip(SKIP_1) | instid1(VALU_DEP_2)
	v_cmp_le_u32_e32 vcc_lo, s12, v15
	s_wait_alu 0xf1ff
	v_subrev_co_ci_u32_e64 v12, null, 0, v12, s2
	s_wait_alu 0xfffd
	v_cndmask_b32_e64 v15, 0, -1, vcc_lo
	v_cmp_eq_u32_e64 s2, s13, v7
	s_delay_alu instid0(VALU_DEP_3)
	v_cmp_le_u32_e32 vcc_lo, s13, v12
	s_wait_alu 0xfffd
	v_cndmask_b32_e64 v17, 0, -1, vcc_lo
	v_cmp_le_u32_e32 vcc_lo, s12, v6
	s_wait_alu 0xfffd
	v_cndmask_b32_e64 v6, 0, -1, vcc_lo
	;; [unrolled: 3-line block ×3, first 2 shown]
	v_cmp_eq_u32_e32 vcc_lo, s13, v12
	s_wait_alu 0xf1ff
	s_delay_alu instid0(VALU_DEP_2)
	v_cndmask_b32_e64 v6, v18, v6, s2
	s_wait_alu 0xfffd
	v_cndmask_b32_e32 v12, v17, v15, vcc_lo
	v_add_co_u32 v15, vcc_lo, v1, 1
	s_wait_alu 0xfffd
	v_add_co_ci_u32_e64 v17, null, 0, v9, vcc_lo
	s_delay_alu instid0(VALU_DEP_3) | instskip(SKIP_1) | instid1(VALU_DEP_2)
	v_cmp_ne_u32_e32 vcc_lo, 0, v12
	s_wait_alu 0xfffd
	v_dual_cndmask_b32 v7, v17, v14 :: v_dual_cndmask_b32 v12, v15, v13
	v_cmp_ne_u32_e32 vcc_lo, 0, v6
	s_wait_alu 0xfffd
	s_delay_alu instid0(VALU_DEP_2) | instskip(NEXT) | instid1(VALU_DEP_3)
	v_cndmask_b32_e32 v7, v9, v7, vcc_lo
	v_cndmask_b32_e32 v6, v1, v12, vcc_lo
.LBB23_5:                               ;   in Loop: Header=BB23_3 Depth=1
	s_wait_alu 0xfffe
	s_and_not1_saveexec_b32 s2, s15
	s_cbranch_execz .LBB23_7
; %bb.6:                                ;   in Loop: Header=BB23_3 Depth=1
	v_cvt_f32_u32_e32 v1, s12
	s_sub_co_i32 s15, 0, s12
	s_delay_alu instid0(VALU_DEP_1) | instskip(NEXT) | instid1(TRANS32_DEP_1)
	v_rcp_iflag_f32_e32 v1, v1
	v_mul_f32_e32 v1, 0x4f7ffffe, v1
	s_delay_alu instid0(VALU_DEP_1) | instskip(SKIP_1) | instid1(VALU_DEP_1)
	v_cvt_u32_f32_e32 v1, v1
	s_wait_alu 0xfffe
	v_mul_lo_u32 v6, s15, v1
	s_delay_alu instid0(VALU_DEP_1) | instskip(NEXT) | instid1(VALU_DEP_1)
	v_mul_hi_u32 v6, v1, v6
	v_add_nc_u32_e32 v1, v1, v6
	s_delay_alu instid0(VALU_DEP_1) | instskip(NEXT) | instid1(VALU_DEP_1)
	v_mul_hi_u32 v1, v10, v1
	v_mul_lo_u32 v6, v1, s12
	v_add_nc_u32_e32 v7, 1, v1
	s_delay_alu instid0(VALU_DEP_2) | instskip(NEXT) | instid1(VALU_DEP_1)
	v_sub_nc_u32_e32 v6, v10, v6
	v_subrev_nc_u32_e32 v9, s12, v6
	v_cmp_le_u32_e32 vcc_lo, s12, v6
	s_wait_alu 0xfffd
	s_delay_alu instid0(VALU_DEP_2) | instskip(NEXT) | instid1(VALU_DEP_1)
	v_dual_cndmask_b32 v6, v6, v9 :: v_dual_cndmask_b32 v1, v1, v7
	v_cmp_le_u32_e32 vcc_lo, s12, v6
	s_delay_alu instid0(VALU_DEP_2) | instskip(SKIP_1) | instid1(VALU_DEP_1)
	v_add_nc_u32_e32 v7, 1, v1
	s_wait_alu 0xfffd
	v_dual_cndmask_b32 v6, v1, v7 :: v_dual_mov_b32 v7, v8
.LBB23_7:                               ;   in Loop: Header=BB23_3 Depth=1
	s_wait_alu 0xfffe
	s_or_b32 exec_lo, exec_lo, s2
	s_load_b64 s[16:17], s[10:11], 0xc8
	s_delay_alu instid0(VALU_DEP_1)
	v_mul_lo_u32 v1, v7, s12
	v_mul_lo_u32 v9, v6, s13
	v_mad_co_u64_u32 v[12:13], null, v6, s12, 0
	s_add_co_i32 s14, s14, -1
	s_add_nc_u64 s[10:11], s[10:11], -8
	s_wait_alu 0xfffe
	s_cmp_gt_u32 s14, 2
	v_add3_u32 v1, v13, v9, v1
	v_sub_co_u32 v9, vcc_lo, v10, v12
	s_wait_alu 0xfffd
	s_delay_alu instid0(VALU_DEP_2) | instskip(SKIP_1) | instid1(VALU_DEP_2)
	v_sub_co_ci_u32_e64 v1, null, v11, v1, vcc_lo
	s_wait_kmcnt 0x0
	v_mul_lo_u32 v10, s17, v9
	s_delay_alu instid0(VALU_DEP_2) | instskip(SKIP_1) | instid1(VALU_DEP_1)
	v_mul_lo_u32 v1, s16, v1
	v_mad_co_u64_u32 v[2:3], null, s16, v9, v[2:3]
	v_add3_u32 v3, v10, v3, v1
	s_cbranch_scc0 .LBB23_9
; %bb.8:                                ;   in Loop: Header=BB23_3 Depth=1
	v_dual_mov_b32 v11, v7 :: v_dual_mov_b32 v10, v6
	s_branch .LBB23_3
.LBB23_9:
	s_clause 0x1
	s_load_b32 s14, s[0:1], 0x350
	s_load_b64 s[10:11], s[0:1], 0xd0
	v_dual_mov_b32 v8, 0 :: v_dual_mov_b32 v15, v5
	v_dual_mov_b32 v9, 0 :: v_dual_mov_b32 v14, v4
	s_add_nc_u64 s[12:13], s[0:1], 0x368
	s_wait_kmcnt 0x0
	s_cmp_lt_i32 s14, 2
	s_cbranch_scc1 .LBB23_17
; %bb.10:
	s_add_co_i32 s2, s14, -1
	s_mov_b32 s3, 0
	v_dual_mov_b32 v8, 0 :: v_dual_mov_b32 v13, v5
	s_wait_alu 0xfffe
	s_lshl_b64 s[16:17], s[2:3], 3
	v_dual_mov_b32 v9, 0 :: v_dual_mov_b32 v10, 0
	v_mov_b32_e32 v12, v4
	s_wait_alu 0xfffe
	s_add_nc_u64 s[16:17], s[0:1], s[16:17]
	s_add_co_i32 s18, s14, 1
	s_wait_alu 0xfffe
	s_add_nc_u64 s[14:15], s[16:17], 0x1c0
.LBB23_11:                              ; =>This Inner Loop Header: Depth=1
	s_load_b64 s[16:17], s[14:15], 0x0
                                        ; implicit-def: $vgpr14_vgpr15
	s_mov_b32 s2, exec_lo
	s_wait_kmcnt 0x0
	v_or_b32_e32 v11, s17, v13
	s_delay_alu instid0(VALU_DEP_1)
	v_cmpx_ne_u64_e32 0, v[10:11]
	s_wait_alu 0xfffe
	s_xor_b32 s19, exec_lo, s2
	s_cbranch_execz .LBB23_13
; %bb.12:                               ;   in Loop: Header=BB23_11 Depth=1
	s_cvt_f32_u32 s2, s16
	s_cvt_f32_u32 s20, s17
	s_sub_nc_u64 s[22:23], 0, s[16:17]
	s_wait_alu 0xfffe
	s_delay_alu instid0(SALU_CYCLE_1) | instskip(SKIP_1) | instid1(SALU_CYCLE_2)
	s_fmamk_f32 s2, s20, 0x4f800000, s2
	s_wait_alu 0xfffe
	v_s_rcp_f32 s2, s2
	s_delay_alu instid0(TRANS32_DEP_1) | instskip(SKIP_1) | instid1(SALU_CYCLE_2)
	s_mul_f32 s2, s2, 0x5f7ffffc
	s_wait_alu 0xfffe
	s_mul_f32 s20, s2, 0x2f800000
	s_wait_alu 0xfffe
	s_delay_alu instid0(SALU_CYCLE_2) | instskip(SKIP_1) | instid1(SALU_CYCLE_2)
	s_trunc_f32 s20, s20
	s_wait_alu 0xfffe
	s_fmamk_f32 s2, s20, 0xcf800000, s2
	s_cvt_u32_f32 s21, s20
	s_wait_alu 0xfffe
	s_delay_alu instid0(SALU_CYCLE_1) | instskip(SKIP_1) | instid1(SALU_CYCLE_2)
	s_cvt_u32_f32 s20, s2
	s_wait_alu 0xfffe
	s_mul_u64 s[24:25], s[22:23], s[20:21]
	s_delay_alu instid0(SALU_CYCLE_1)
	s_mul_hi_u32 s27, s20, s25
	s_mul_i32 s26, s20, s25
	s_mul_hi_u32 s2, s20, s24
	s_mul_i32 s29, s21, s24
	s_wait_alu 0xfffe
	s_add_nc_u64 s[26:27], s[2:3], s[26:27]
	s_mul_hi_u32 s28, s21, s24
	s_mul_hi_u32 s30, s21, s25
	s_add_co_u32 s2, s26, s29
	s_add_co_ci_u32 s2, s27, s28
	s_mul_i32 s24, s21, s25
	s_add_co_ci_u32 s25, s30, 0
	s_wait_alu 0xfffe
	s_add_nc_u64 s[24:25], s[2:3], s[24:25]
	s_delay_alu instid0(SALU_CYCLE_1)
	s_add_co_u32 s20, s20, s24
	s_cselect_b32 s2, -1, 0
	s_wait_alu 0xfffe
	s_cmp_lg_u32 s2, 0
	s_add_co_ci_u32 s21, s21, s25
	s_wait_alu 0xfffe
	s_mul_u64 s[22:23], s[22:23], s[20:21]
	s_delay_alu instid0(SALU_CYCLE_1)
	s_mul_hi_u32 s25, s20, s23
	s_mul_i32 s24, s20, s23
	s_mul_hi_u32 s2, s20, s22
	s_mul_i32 s27, s21, s22
	s_wait_alu 0xfffe
	s_add_nc_u64 s[24:25], s[2:3], s[24:25]
	s_mul_hi_u32 s26, s21, s22
	s_mul_hi_u32 s28, s21, s23
	s_add_co_u32 s2, s24, s27
	s_add_co_ci_u32 s2, s25, s26
	s_mul_i32 s22, s21, s23
	s_add_co_ci_u32 s23, s28, 0
	s_wait_alu 0xfffe
	s_add_nc_u64 s[22:23], s[2:3], s[22:23]
	s_delay_alu instid0(SALU_CYCLE_1)
	s_add_co_u32 s2, s20, s22
	s_cselect_b32 s20, -1, 0
	s_wait_alu 0xfffe
	v_mul_hi_u32 v1, v12, s2
	s_cmp_lg_u32 s20, 0
	v_mad_co_u64_u32 v[17:18], null, v13, s2, 0
	s_add_co_ci_u32 s20, s21, s23
	s_wait_alu 0xfffe
	v_mad_co_u64_u32 v[14:15], null, v12, s20, 0
	v_mad_co_u64_u32 v[19:20], null, v13, s20, 0
	s_delay_alu instid0(VALU_DEP_2) | instskip(SKIP_1) | instid1(VALU_DEP_3)
	v_add_co_u32 v1, vcc_lo, v1, v14
	s_wait_alu 0xfffd
	v_add_co_ci_u32_e64 v11, null, 0, v15, vcc_lo
	s_delay_alu instid0(VALU_DEP_2) | instskip(SKIP_1) | instid1(VALU_DEP_2)
	v_add_co_u32 v1, vcc_lo, v1, v17
	s_wait_alu 0xfffd
	v_add_co_ci_u32_e32 v1, vcc_lo, v11, v18, vcc_lo
	s_wait_alu 0xfffd
	v_add_co_ci_u32_e32 v11, vcc_lo, 0, v20, vcc_lo
	s_delay_alu instid0(VALU_DEP_2) | instskip(SKIP_1) | instid1(VALU_DEP_2)
	v_add_co_u32 v1, vcc_lo, v1, v19
	s_wait_alu 0xfffd
	v_add_co_ci_u32_e64 v11, null, 0, v11, vcc_lo
	s_delay_alu instid0(VALU_DEP_2) | instskip(SKIP_1) | instid1(VALU_DEP_3)
	v_mul_lo_u32 v17, s17, v1
	v_mad_co_u64_u32 v[14:15], null, s16, v1, 0
	v_mul_lo_u32 v18, s16, v11
	s_delay_alu instid0(VALU_DEP_2) | instskip(NEXT) | instid1(VALU_DEP_2)
	v_sub_co_u32 v14, vcc_lo, v12, v14
	v_add3_u32 v15, v15, v18, v17
	v_add_co_u32 v18, s2, v1, 2
	s_wait_alu 0xf1ff
	v_add_co_ci_u32_e64 v19, null, 0, v11, s2
	s_delay_alu instid0(VALU_DEP_3) | instskip(SKIP_3) | instid1(VALU_DEP_3)
	v_sub_nc_u32_e32 v17, v13, v15
	v_sub_co_u32 v20, s2, v14, s16
	s_wait_alu 0xfffd
	v_sub_co_ci_u32_e64 v15, null, v13, v15, vcc_lo
	v_subrev_co_ci_u32_e64 v17, null, s17, v17, vcc_lo
	s_delay_alu instid0(VALU_DEP_3) | instskip(SKIP_1) | instid1(VALU_DEP_2)
	v_cmp_le_u32_e32 vcc_lo, s16, v20
	s_wait_alu 0xf1ff
	v_subrev_co_ci_u32_e64 v17, null, 0, v17, s2
	s_wait_alu 0xfffd
	v_cndmask_b32_e64 v20, 0, -1, vcc_lo
	v_cmp_eq_u32_e64 s2, s17, v15
	s_delay_alu instid0(VALU_DEP_3)
	v_cmp_le_u32_e32 vcc_lo, s17, v17
	s_wait_alu 0xfffd
	v_cndmask_b32_e64 v21, 0, -1, vcc_lo
	v_cmp_le_u32_e32 vcc_lo, s16, v14
	s_wait_alu 0xfffd
	v_cndmask_b32_e64 v14, 0, -1, vcc_lo
	;; [unrolled: 3-line block ×3, first 2 shown]
	v_cmp_eq_u32_e32 vcc_lo, s17, v17
	s_wait_alu 0xf1ff
	s_delay_alu instid0(VALU_DEP_2)
	v_cndmask_b32_e64 v14, v22, v14, s2
	s_wait_alu 0xfffd
	v_cndmask_b32_e32 v17, v21, v20, vcc_lo
	v_add_co_u32 v20, vcc_lo, v1, 1
	s_wait_alu 0xfffd
	v_add_co_ci_u32_e64 v21, null, 0, v11, vcc_lo
	s_delay_alu instid0(VALU_DEP_3) | instskip(SKIP_1) | instid1(VALU_DEP_2)
	v_cmp_ne_u32_e32 vcc_lo, 0, v17
	s_wait_alu 0xfffd
	v_cndmask_b32_e32 v15, v21, v19, vcc_lo
	v_cndmask_b32_e32 v17, v20, v18, vcc_lo
	v_cmp_ne_u32_e32 vcc_lo, 0, v14
	s_wait_alu 0xfffd
	s_delay_alu instid0(VALU_DEP_2)
	v_dual_cndmask_b32 v15, v11, v15 :: v_dual_cndmask_b32 v14, v1, v17
.LBB23_13:                              ;   in Loop: Header=BB23_11 Depth=1
	s_wait_alu 0xfffe
	s_and_not1_saveexec_b32 s2, s19
	s_cbranch_execz .LBB23_15
; %bb.14:                               ;   in Loop: Header=BB23_11 Depth=1
	v_cvt_f32_u32_e32 v1, s16
	s_sub_co_i32 s19, 0, s16
	s_delay_alu instid0(VALU_DEP_1) | instskip(NEXT) | instid1(TRANS32_DEP_1)
	v_rcp_iflag_f32_e32 v1, v1
	v_mul_f32_e32 v1, 0x4f7ffffe, v1
	s_delay_alu instid0(VALU_DEP_1) | instskip(SKIP_1) | instid1(VALU_DEP_1)
	v_cvt_u32_f32_e32 v1, v1
	s_wait_alu 0xfffe
	v_mul_lo_u32 v11, s19, v1
	s_delay_alu instid0(VALU_DEP_1) | instskip(NEXT) | instid1(VALU_DEP_1)
	v_mul_hi_u32 v11, v1, v11
	v_add_nc_u32_e32 v1, v1, v11
	s_delay_alu instid0(VALU_DEP_1) | instskip(NEXT) | instid1(VALU_DEP_1)
	v_mul_hi_u32 v1, v12, v1
	v_mul_lo_u32 v11, v1, s16
	s_delay_alu instid0(VALU_DEP_1) | instskip(NEXT) | instid1(VALU_DEP_1)
	v_sub_nc_u32_e32 v11, v12, v11
	v_subrev_nc_u32_e32 v15, s16, v11
	v_cmp_le_u32_e32 vcc_lo, s16, v11
	s_wait_alu 0xfffd
	s_delay_alu instid0(VALU_DEP_2) | instskip(NEXT) | instid1(VALU_DEP_1)
	v_dual_cndmask_b32 v11, v11, v15 :: v_dual_add_nc_u32 v14, 1, v1
	v_cndmask_b32_e32 v1, v1, v14, vcc_lo
	v_mov_b32_e32 v15, v10
	s_delay_alu instid0(VALU_DEP_3) | instskip(NEXT) | instid1(VALU_DEP_3)
	v_cmp_le_u32_e32 vcc_lo, s16, v11
	v_add_nc_u32_e32 v14, 1, v1
	s_wait_alu 0xfffd
	s_delay_alu instid0(VALU_DEP_1)
	v_cndmask_b32_e32 v14, v1, v14, vcc_lo
.LBB23_15:                              ;   in Loop: Header=BB23_11 Depth=1
	s_wait_alu 0xfffe
	s_or_b32 exec_lo, exec_lo, s2
	s_load_b64 s[20:21], s[14:15], 0xc8
	v_mul_lo_u32 v1, v15, s16
	v_mul_lo_u32 v11, v14, s17
	v_mad_co_u64_u32 v[17:18], null, v14, s16, 0
	s_add_co_i32 s18, s18, -1
	s_add_nc_u64 s[14:15], s[14:15], -8
	s_wait_alu 0xfffe
	s_cmp_gt_u32 s18, 2
	v_add3_u32 v1, v18, v11, v1
	v_sub_co_u32 v11, vcc_lo, v12, v17
	s_wait_alu 0xfffd
	s_delay_alu instid0(VALU_DEP_2) | instskip(SKIP_1) | instid1(VALU_DEP_2)
	v_sub_co_ci_u32_e64 v1, null, v13, v1, vcc_lo
	s_wait_kmcnt 0x0
	v_mul_lo_u32 v12, s21, v11
	s_delay_alu instid0(VALU_DEP_2) | instskip(SKIP_1) | instid1(VALU_DEP_1)
	v_mul_lo_u32 v1, s20, v1
	v_mad_co_u64_u32 v[8:9], null, s20, v11, v[8:9]
	v_add3_u32 v9, v12, v9, v1
	s_cbranch_scc0 .LBB23_17
; %bb.16:                               ;   in Loop: Header=BB23_11 Depth=1
	v_dual_mov_b32 v12, v14 :: v_dual_mov_b32 v13, v15
	s_branch .LBB23_11
.LBB23_17:
	s_load_b64 s[2:3], s[0:1], 0x288
	v_mul_lo_u32 v17, s11, v6
	v_mul_lo_u32 v18, s10, v7
	v_mad_co_u64_u32 v[6:7], null, s10, v6, 0
	v_cmp_gt_u64_e32 vcc_lo, s[4:5], v[4:5]
	s_clause 0x2
	s_load_b64 s[10:11], s[0:1], 0x358
	s_load_b64 s[4:5], s[0:1], 0x0
	;; [unrolled: 1-line block ×3, first 2 shown]
	v_mov_b32_e32 v1, 0
	v_lshlrev_b64_e32 v[12:13], 2, v[2:3]
	v_and_b32_e32 v2, 0x3ff, v0
	v_add3_u32 v7, v7, v18, v17
	s_delay_alu instid0(VALU_DEP_4)
	v_mov_b32_e32 v3, v1
	s_wait_kmcnt 0x0
	v_mul_lo_u32 v4, s3, v14
	v_mul_lo_u32 v5, s2, v15
	v_mad_co_u64_u32 v[10:11], null, s2, v14, 0
	s_load_b32 s2, s[12:13], 0xc
	v_lshlrev_b64_e32 v[14:15], 3, v[8:9]
	v_lshlrev_b64_e32 v[8:9], 2, v[6:7]
	v_mov_b32_e32 v6, 0
	v_mov_b32_e32 v7, 0
	v_add3_u32 v11, v11, v5, v4
	v_mov_b32_e32 v4, 0
	v_add_co_u32 v0, s1, s4, v8
	v_cmp_gt_u64_e64 s0, s[6:7], v[2:3]
	s_delay_alu instid0(VALU_DEP_4) | instskip(SKIP_2) | instid1(VALU_DEP_4)
	v_lshlrev_b64_e32 v[10:11], 3, v[10:11]
	v_add_co_ci_u32_e64 v3, null, s5, v9, s1
	v_mov_b32_e32 v5, 0
	s_and_b32 s4, vcc_lo, s0
	s_delay_alu instid0(VALU_DEP_3)
	v_add_co_u32 v10, s1, s14, v10
	s_wait_alu 0xf1ff
	v_add_co_ci_u32_e64 v11, null, s15, v11, s1
	v_add_co_u32 v8, s1, v0, v12
	s_wait_alu 0xf1ff
	v_add_co_ci_u32_e64 v9, null, v3, v13, s1
	;; [unrolled: 3-line block ×3, first 2 shown]
	v_mov_b32_e32 v3, 0
	s_wait_alu 0xfffe
	s_and_saveexec_b32 s3, s4
	s_cbranch_execz .LBB23_19
; %bb.18:
	v_mad_co_u64_u32 v[6:7], null, s8, v2, 0
	v_mad_co_u64_u32 v[12:13], null, s10, v2, 0
	s_delay_alu instid0(VALU_DEP_1) | instskip(NEXT) | instid1(VALU_DEP_1)
	v_dual_mov_b32 v0, v7 :: v_dual_mov_b32 v3, v13
	v_mad_co_u64_u32 v[13:14], null, s9, v2, v[0:1]
	s_delay_alu instid0(VALU_DEP_2) | instskip(NEXT) | instid1(VALU_DEP_2)
	v_mad_co_u64_u32 v[14:15], null, s11, v2, v[3:4]
	v_mov_b32_e32 v7, v13
	s_delay_alu instid0(VALU_DEP_2) | instskip(NEXT) | instid1(VALU_DEP_2)
	v_mov_b32_e32 v13, v14
	v_lshlrev_b64_e32 v[6:7], 2, v[6:7]
	s_delay_alu instid0(VALU_DEP_2) | instskip(NEXT) | instid1(VALU_DEP_2)
	v_lshlrev_b64_e32 v[12:13], 3, v[12:13]
	v_add_co_u32 v6, s1, v8, v6
	s_wait_alu 0xf1ff
	s_delay_alu instid0(VALU_DEP_3) | instskip(NEXT) | instid1(VALU_DEP_3)
	v_add_co_ci_u32_e64 v7, null, v9, v7, s1
	v_add_co_u32 v12, s1, v10, v12
	s_wait_alu 0xf1ff
	v_add_co_ci_u32_e64 v13, null, v11, v13, s1
	global_load_b32 v3, v[6:7], off
	global_load_b64 v[6:7], v[12:13], off
.LBB23_19:
	s_wait_alu 0xfffe
	s_or_b32 exec_lo, exec_lo, s3
	s_wait_kmcnt 0x0
	s_and_b32 s3, 0xffff, s2
	v_lshl_add_u32 v15, v16, 7, 0x1000
	s_wait_alu 0xfffe
	v_add_nc_u32_e32 v0, s3, v2
	v_lshlrev_b32_e32 v14, 8, v16
	v_lshl_add_u32 v18, v16, 5, 0x1800
	v_cndmask_b32_e64 v16, 0, 1, s4
	v_lshl_add_u32 v12, v2, 2, v15
	v_cmp_gt_u64_e64 s1, s[6:7], v[0:1]
	v_lshl_add_u32 v13, v2, 3, v14
	v_add_nc_u32_e32 v17, v18, v2
	s_wait_loadcnt 0x1
	ds_store_b32 v12, v3
	s_wait_loadcnt 0x0
	ds_store_b64 v13, v[6:7]
	ds_store_b8 v17, v16
	s_and_b32 s4, vcc_lo, s1
	s_wait_alu 0xfffe
	s_and_saveexec_b32 s5, s4
	s_cbranch_execz .LBB23_21
; %bb.20:
	v_mad_co_u64_u32 v[3:4], null, s8, v0, 0
	v_mad_co_u64_u32 v[5:6], null, s10, v0, 0
	s_delay_alu instid0(VALU_DEP_1) | instskip(NEXT) | instid1(VALU_DEP_1)
	v_dual_mov_b32 v1, v4 :: v_dual_mov_b32 v4, v6
	v_mad_co_u64_u32 v[6:7], null, s9, v0, v[1:2]
	s_delay_alu instid0(VALU_DEP_2) | instskip(NEXT) | instid1(VALU_DEP_2)
	v_mad_co_u64_u32 v[16:17], null, s11, v0, v[4:5]
	v_mov_b32_e32 v4, v6
	s_delay_alu instid0(VALU_DEP_2) | instskip(NEXT) | instid1(VALU_DEP_2)
	v_mov_b32_e32 v6, v16
	v_lshlrev_b64_e32 v[3:4], 2, v[3:4]
	s_delay_alu instid0(VALU_DEP_2) | instskip(NEXT) | instid1(VALU_DEP_2)
	v_lshlrev_b64_e32 v[5:6], 3, v[5:6]
	v_add_co_u32 v3, s2, v8, v3
	s_wait_alu 0xf1ff
	s_delay_alu instid0(VALU_DEP_3) | instskip(NEXT) | instid1(VALU_DEP_3)
	v_add_co_ci_u32_e64 v4, null, v9, v4, s2
	v_add_co_u32 v5, s2, v10, v5
	s_wait_alu 0xf1ff
	v_add_co_ci_u32_e64 v6, null, v11, v6, s2
	global_load_b32 v1, v[3:4], off
	global_load_b64 v[4:5], v[5:6], off
.LBB23_21:
	s_wait_alu 0xfffe
	s_or_b32 exec_lo, exec_lo, s5
	v_lshl_add_u32 v6, s3, 2, v12
	v_lshl_add_u32 v7, s3, 3, v13
	v_cndmask_b32_e64 v3, 0, 1, s4
	v_add_nc_u32_e32 v16, v18, v0
	v_lshlrev_b32_e32 v20, 1, v2
	s_wait_loadcnt 0x1
	ds_store_b32 v6, v1
	s_wait_loadcnt 0x0
	ds_store_b64 v7, v[4:5]
	ds_store_b8 v16, v3
	v_lshlrev_b32_e32 v3, 2, v2
	s_wait_dscnt 0x0
	v_add_nc_u32_e32 v1, v18, v20
	s_barrier_signal -1
	s_barrier_wait -1
	v_add_nc_u32_e32 v5, v12, v3
	global_inv scope:SCOPE_SE
	ds_load_u16 v19, v1
	ds_load_b64 v[3:4], v5
	v_and_b32_e32 v16, 1, v2
	s_wait_dscnt 0x1
	v_lshrrev_b16 v17, 8, v19
	v_and_b32_e32 v21, 1, v19
	s_wait_dscnt 0x0
	v_cmp_gt_i32_e64 s2, v3, v4
	s_delay_alu instid0(VALU_DEP_3) | instskip(NEXT) | instid1(VALU_DEP_3)
	v_cmp_ne_u16_e64 s4, v17, v16
	v_cmp_eq_u32_e64 s3, 1, v21
	s_wait_alu 0xf1ff
	s_delay_alu instid0(VALU_DEP_2) | instskip(SKIP_2) | instid1(VALU_DEP_1)
	v_cndmask_b32_e64 v21, 0, 1, s4
	s_and_b32 s2, s2, s3
	s_wait_alu 0xfffe
	v_cndmask_b32_e64 v21, v21, v2, s2
	s_delay_alu instid0(VALU_DEP_1) | instskip(NEXT) | instid1(VALU_DEP_1)
	v_and_b32_e32 v21, 1, v21
	v_cmp_eq_u32_e64 s2, 1, v21
	v_lshl_add_u32 v21, v2, 3, v13
	s_and_saveexec_b32 s3, s2
	s_wait_alu 0xfffe
	s_xor_b32 s2, exec_lo, s3
	s_cbranch_execz .LBB23_23
; %bb.22:
	ds_load_b128 v[22:25], v21
	v_mov_b32_e32 v28, v4
	v_lshlrev_b16 v4, 8, v19
	v_mov_b32_e32 v29, v3
	s_delay_alu instid0(VALU_DEP_2)
	v_or_b32_e32 v3, v17, v4
	s_wait_dscnt 0x0
	v_dual_mov_b32 v26, v22 :: v_dual_mov_b32 v27, v23
	ds_store_b128 v21, v[24:27]
	ds_store_b64 v5, v[28:29]
	ds_store_b16 v1, v3
.LBB23_23:
	s_wait_alu 0xfffe
	s_or_b32 exec_lo, exec_lo, s2
	v_sub_nc_u32_e32 v19, v20, v16
	s_wait_loadcnt_dscnt 0x0
	s_barrier_signal -1
	s_barrier_wait -1
	global_inv scope:SCOPE_SE
	v_add_nc_u32_e32 v16, v18, v19
	v_lshl_add_u32 v17, v19, 2, v15
	v_bfe_u32 v25, v2, 1, 1
	v_lshl_add_u32 v19, v19, 3, v14
	ds_load_u8 v23, v16
	ds_load_2addr_b32 v[3:4], v17 offset1:2
	ds_load_u8 v24, v16 offset:2
	s_wait_dscnt 0x2
	v_and_b32_e32 v22, 1, v23
	s_wait_dscnt 0x1
	v_cmp_gt_i32_e64 s2, v3, v4
	s_wait_dscnt 0x0
	v_cmp_ne_u16_e64 s4, v24, v25
	v_cmp_eq_u32_e64 s3, 1, v22
	s_wait_alu 0xf1ff
	s_delay_alu instid0(VALU_DEP_2) | instskip(SKIP_2) | instid1(VALU_DEP_1)
	v_cndmask_b32_e64 v22, 0, 1, s4
	s_and_b32 s2, s2, s3
	s_wait_alu 0xfffe
	v_cndmask_b32_e64 v25, v22, v25, s2
	v_and_b32_e32 v22, 2, v2
	s_delay_alu instid0(VALU_DEP_2) | instskip(NEXT) | instid1(VALU_DEP_2)
	v_and_b32_e32 v25, 1, v25
	v_cmp_ne_u32_e64 s2, 0, v22
	s_delay_alu instid0(VALU_DEP_2)
	v_cmp_eq_u32_e64 s3, 1, v25
	s_and_saveexec_b32 s4, s3
	s_wait_alu 0xfffe
	s_xor_b32 s3, exec_lo, s4
	s_cbranch_execz .LBB23_25
; %bb.24:
	ds_load_2addr_b64 v[25:28], v19 offset1:2
	ds_store_2addr_b32 v17, v4, v3 offset1:2
	s_wait_dscnt 0x1
	ds_store_2addr_b64 v19, v[27:28], v[25:26] offset1:2
	ds_store_b8 v16, v24
	ds_store_b8 v16, v23 offset:2
.LBB23_25:
	s_wait_alu 0xfffe
	s_or_b32 exec_lo, exec_lo, s3
	s_wait_loadcnt_dscnt 0x0
	s_barrier_signal -1
	s_barrier_wait -1
	global_inv scope:SCOPE_SE
	ds_load_u16 v23, v1
	ds_load_b64 v[3:4], v5
	v_lshrrev_b32_e32 v24, 1, v22
	v_cndmask_b32_e64 v26, 0, 1, s2
	s_wait_dscnt 0x1
	v_lshrrev_b16 v22, 8, v23
	v_and_b32_e32 v25, 1, v23
	s_wait_dscnt 0x0
	v_cmp_gt_i32_e64 s2, v3, v4
	s_delay_alu instid0(VALU_DEP_3) | instskip(NEXT) | instid1(VALU_DEP_3)
	v_cmp_ne_u16_e64 s4, v22, v24
	v_cmp_eq_u32_e64 s3, 1, v25
	s_wait_alu 0xf1ff
	s_delay_alu instid0(VALU_DEP_2) | instskip(SKIP_3) | instid1(VALU_DEP_1)
	v_cndmask_b32_e64 v24, 0, 1, s4
	s_and_b32 s2, s2, s3
	s_mov_b32 s3, exec_lo
	s_wait_alu 0xfffe
	v_cndmask_b32_e64 v24, v24, v26, s2
	s_delay_alu instid0(VALU_DEP_1) | instskip(NEXT) | instid1(VALU_DEP_1)
	v_and_b32_e32 v24, 1, v24
	v_cmpx_eq_u32_e32 1, v24
	s_cbranch_execz .LBB23_27
; %bb.26:
	ds_load_b128 v[24:27], v21
	v_mov_b32_e32 v30, v4
	v_lshlrev_b16 v4, 8, v23
	v_mov_b32_e32 v31, v3
	s_delay_alu instid0(VALU_DEP_2)
	v_or_b32_e32 v3, v22, v4
	s_wait_dscnt 0x0
	v_dual_mov_b32 v28, v24 :: v_dual_mov_b32 v29, v25
	ds_store_b128 v21, v[26:29]
	ds_store_b64 v5, v[30:31]
	ds_store_b16 v1, v3
.LBB23_27:
	s_or_b32 exec_lo, exec_lo, s3
	v_and_b32_e32 v3, 3, v2
	s_wait_loadcnt_dscnt 0x0
	s_barrier_signal -1
	s_barrier_wait -1
	global_inv scope:SCOPE_SE
	v_sub_nc_u32_e32 v24, v20, v3
	v_bfe_u32 v27, v2, 2, 1
	s_delay_alu instid0(VALU_DEP_2)
	v_add_nc_u32_e32 v21, v18, v24
	v_lshl_add_u32 v22, v24, 2, v15
	v_lshl_add_u32 v24, v24, 3, v14
	ds_load_u8 v25, v21
	ds_load_2addr_b32 v[3:4], v22 offset1:4
	ds_load_u8 v26, v21 offset:4
	s_wait_dscnt 0x2
	v_and_b32_e32 v23, 1, v25
	s_wait_dscnt 0x1
	v_cmp_gt_i32_e64 s2, v3, v4
	s_wait_dscnt 0x0
	v_cmp_ne_u16_e64 s4, v26, v27
	v_cmp_eq_u32_e64 s3, 1, v23
	s_wait_alu 0xf1ff
	s_delay_alu instid0(VALU_DEP_2) | instskip(SKIP_3) | instid1(VALU_DEP_1)
	v_cndmask_b32_e64 v23, 0, 1, s4
	s_mov_b32 s4, exec_lo
	s_and_b32 s2, s2, s3
	s_wait_alu 0xfffe
	v_cndmask_b32_e64 v27, v23, v27, s2
	v_and_b32_e32 v23, 4, v2
	s_delay_alu instid0(VALU_DEP_2) | instskip(NEXT) | instid1(VALU_DEP_2)
	v_and_b32_e32 v27, 1, v27
	v_cmp_ne_u32_e64 s2, 0, v23
	s_delay_alu instid0(VALU_DEP_2)
	v_cmpx_eq_u32_e32 1, v27
	s_cbranch_execz .LBB23_29
; %bb.28:
	ds_load_2addr_b64 v[27:30], v24 offset1:4
	ds_store_2addr_b32 v22, v4, v3 offset1:4
	s_wait_dscnt 0x1
	ds_store_2addr_b64 v24, v[29:30], v[27:28] offset1:4
	ds_store_b8 v21, v26
	ds_store_b8 v21, v25 offset:4
.LBB23_29:
	s_or_b32 exec_lo, exec_lo, s4
	s_wait_loadcnt_dscnt 0x0
	s_barrier_signal -1
	s_barrier_wait -1
	global_inv scope:SCOPE_SE
	ds_load_u8 v26, v16
	ds_load_2addr_b32 v[3:4], v17 offset1:2
	ds_load_u8 v27, v16 offset:2
	v_lshrrev_b32_e32 v23, 2, v23
	v_cndmask_b32_e64 v25, 0, 1, s2
	s_wait_dscnt 0x2
	v_and_b32_e32 v28, 1, v26
	s_wait_dscnt 0x1
	v_cmp_gt_i32_e64 s2, v3, v4
	s_wait_dscnt 0x0
	v_cmp_ne_u16_e64 s4, v27, v23
	v_cmp_eq_u32_e64 s3, 1, v28
	s_wait_alu 0xf1ff
	s_delay_alu instid0(VALU_DEP_2) | instskip(SKIP_3) | instid1(VALU_DEP_1)
	v_cndmask_b32_e64 v28, 0, 1, s4
	s_and_b32 s2, s2, s3
	s_mov_b32 s3, exec_lo
	s_wait_alu 0xfffe
	v_cndmask_b32_e64 v28, v28, v25, s2
	s_delay_alu instid0(VALU_DEP_1) | instskip(NEXT) | instid1(VALU_DEP_1)
	v_and_b32_e32 v28, 1, v28
	v_cmpx_eq_u32_e32 1, v28
	s_cbranch_execz .LBB23_31
; %bb.30:
	ds_load_2addr_b64 v[28:31], v19 offset1:2
	ds_store_2addr_b32 v17, v4, v3 offset1:2
	s_wait_dscnt 0x1
	ds_store_2addr_b64 v19, v[30:31], v[28:29] offset1:2
	ds_store_b8 v16, v27
	ds_store_b8 v16, v26 offset:2
.LBB23_31:
	s_or_b32 exec_lo, exec_lo, s3
	s_wait_loadcnt_dscnt 0x0
	s_barrier_signal -1
	s_barrier_wait -1
	global_inv scope:SCOPE_SE
	ds_load_u16 v27, v1
	ds_load_b64 v[3:4], v5
	s_wait_dscnt 0x1
	v_lshrrev_b16 v26, 8, v27
	v_and_b32_e32 v28, 1, v27
	s_wait_dscnt 0x0
	v_cmp_gt_i32_e64 s2, v3, v4
	s_delay_alu instid0(VALU_DEP_3) | instskip(NEXT) | instid1(VALU_DEP_3)
	v_cmp_ne_u16_e64 s4, v26, v23
	v_cmp_eq_u32_e64 s3, 1, v28
	s_wait_alu 0xf1ff
	s_delay_alu instid0(VALU_DEP_2) | instskip(SKIP_2) | instid1(VALU_DEP_1)
	v_cndmask_b32_e64 v23, 0, 1, s4
	s_and_b32 s2, s2, s3
	s_wait_alu 0xfffe
	v_cndmask_b32_e64 v23, v23, v25, s2
	s_delay_alu instid0(VALU_DEP_1) | instskip(NEXT) | instid1(VALU_DEP_1)
	v_and_b32_e32 v23, 1, v23
	v_cmp_eq_u32_e64 s2, 1, v23
	v_lshl_add_u32 v23, v20, 3, v14
	s_and_saveexec_b32 s3, s2
	s_cbranch_execz .LBB23_33
; %bb.32:
	ds_load_b128 v[28:31], v23
	v_mov_b32_e32 v34, v4
	v_lshlrev_b16 v4, 8, v27
	v_mov_b32_e32 v35, v3
	s_delay_alu instid0(VALU_DEP_2)
	v_or_b32_e32 v3, v26, v4
	s_wait_dscnt 0x0
	v_dual_mov_b32 v32, v28 :: v_dual_mov_b32 v33, v29
	ds_store_b128 v23, v[30:33]
	ds_store_b64 v5, v[34:35]
	ds_store_b16 v1, v3
.LBB23_33:
	s_wait_alu 0xfffe
	s_or_b32 exec_lo, exec_lo, s3
	v_and_b32_e32 v3, 7, v2
	s_wait_loadcnt_dscnt 0x0
	s_barrier_signal -1
	s_barrier_wait -1
	global_inv scope:SCOPE_SE
	v_sub_nc_u32_e32 v27, v20, v3
	v_bfe_u32 v31, v2, 3, 1
	s_delay_alu instid0(VALU_DEP_2)
	v_add_nc_u32_e32 v25, v18, v27
	v_lshl_add_u32 v26, v27, 2, v15
	v_lshl_add_u32 v27, v27, 3, v14
	ds_load_u8 v29, v25
	ds_load_2addr_b32 v[3:4], v26 offset1:8
	ds_load_u8 v30, v25 offset:8
	s_wait_dscnt 0x2
	v_and_b32_e32 v28, 1, v29
	s_wait_dscnt 0x1
	v_cmp_gt_i32_e64 s2, v3, v4
	s_wait_dscnt 0x0
	v_cmp_ne_u16_e64 s4, v30, v31
	v_cmp_eq_u32_e64 s3, 1, v28
	s_wait_alu 0xf1ff
	s_delay_alu instid0(VALU_DEP_2) | instskip(SKIP_3) | instid1(VALU_DEP_1)
	v_cndmask_b32_e64 v28, 0, 1, s4
	s_mov_b32 s4, exec_lo
	s_and_b32 s2, s2, s3
	s_wait_alu 0xfffe
	v_cndmask_b32_e64 v31, v28, v31, s2
	v_and_b32_e32 v28, 8, v2
	s_delay_alu instid0(VALU_DEP_2) | instskip(NEXT) | instid1(VALU_DEP_2)
	v_and_b32_e32 v31, 1, v31
	v_cmp_ne_u32_e64 s2, 0, v28
	s_delay_alu instid0(VALU_DEP_2)
	v_cmpx_eq_u32_e32 1, v31
	s_cbranch_execz .LBB23_35
; %bb.34:
	ds_load_2addr_b64 v[31:34], v27 offset1:8
	ds_store_2addr_b32 v26, v4, v3 offset1:8
	s_wait_dscnt 0x1
	ds_store_2addr_b64 v27, v[33:34], v[31:32] offset1:8
	ds_store_b8 v25, v30
	ds_store_b8 v25, v29 offset:8
.LBB23_35:
	s_or_b32 exec_lo, exec_lo, s4
	s_wait_loadcnt_dscnt 0x0
	s_barrier_signal -1
	s_barrier_wait -1
	global_inv scope:SCOPE_SE
	ds_load_u8 v30, v21
	ds_load_2addr_b32 v[3:4], v22 offset1:4
	ds_load_u8 v31, v21 offset:4
	v_lshrrev_b32_e32 v28, 3, v28
	v_cndmask_b32_e64 v29, 0, 1, s2
	s_wait_dscnt 0x2
	v_and_b32_e32 v32, 1, v30
	s_wait_dscnt 0x1
	v_cmp_gt_i32_e64 s2, v3, v4
	s_wait_dscnt 0x0
	v_cmp_ne_u16_e64 s4, v31, v28
	v_cmp_eq_u32_e64 s3, 1, v32
	s_wait_alu 0xf1ff
	s_delay_alu instid0(VALU_DEP_2) | instskip(SKIP_3) | instid1(VALU_DEP_1)
	v_cndmask_b32_e64 v32, 0, 1, s4
	s_and_b32 s2, s2, s3
	s_mov_b32 s3, exec_lo
	s_wait_alu 0xfffe
	v_cndmask_b32_e64 v32, v32, v29, s2
	s_delay_alu instid0(VALU_DEP_1) | instskip(NEXT) | instid1(VALU_DEP_1)
	v_and_b32_e32 v32, 1, v32
	v_cmpx_eq_u32_e32 1, v32
	s_cbranch_execz .LBB23_37
; %bb.36:
	ds_load_2addr_b64 v[32:35], v24 offset1:4
	ds_store_2addr_b32 v22, v4, v3 offset1:4
	s_wait_dscnt 0x1
	ds_store_2addr_b64 v24, v[34:35], v[32:33] offset1:4
	ds_store_b8 v21, v31
	ds_store_b8 v21, v30 offset:4
.LBB23_37:
	s_or_b32 exec_lo, exec_lo, s3
	s_wait_loadcnt_dscnt 0x0
	s_barrier_signal -1
	s_barrier_wait -1
	global_inv scope:SCOPE_SE
	ds_load_u8 v30, v16
	ds_load_2addr_b32 v[3:4], v17 offset1:2
	ds_load_u8 v31, v16 offset:2
	s_wait_dscnt 0x2
	v_and_b32_e32 v32, 1, v30
	s_wait_dscnt 0x1
	v_cmp_gt_i32_e64 s2, v3, v4
	s_wait_dscnt 0x0
	v_cmp_ne_u16_e64 s4, v31, v28
	v_cmp_eq_u32_e64 s3, 1, v32
	s_wait_alu 0xf1ff
	s_delay_alu instid0(VALU_DEP_2) | instskip(SKIP_3) | instid1(VALU_DEP_1)
	v_cndmask_b32_e64 v32, 0, 1, s4
	s_and_b32 s2, s2, s3
	s_mov_b32 s3, exec_lo
	s_wait_alu 0xfffe
	v_cndmask_b32_e64 v32, v32, v29, s2
	s_delay_alu instid0(VALU_DEP_1) | instskip(NEXT) | instid1(VALU_DEP_1)
	v_and_b32_e32 v32, 1, v32
	v_cmpx_eq_u32_e32 1, v32
	s_cbranch_execz .LBB23_39
; %bb.38:
	ds_load_2addr_b64 v[32:35], v19 offset1:2
	ds_store_2addr_b32 v17, v4, v3 offset1:2
	s_wait_dscnt 0x1
	ds_store_2addr_b64 v19, v[34:35], v[32:33] offset1:2
	ds_store_b8 v16, v31
	ds_store_b8 v16, v30 offset:2
.LBB23_39:
	s_or_b32 exec_lo, exec_lo, s3
	s_wait_loadcnt_dscnt 0x0
	s_barrier_signal -1
	s_barrier_wait -1
	global_inv scope:SCOPE_SE
	ds_load_u16 v31, v1
	ds_load_b64 v[3:4], v5
	s_wait_dscnt 0x1
	v_lshrrev_b16 v30, 8, v31
	v_and_b32_e32 v32, 1, v31
	s_wait_dscnt 0x0
	v_cmp_gt_i32_e64 s2, v3, v4
	s_delay_alu instid0(VALU_DEP_3) | instskip(NEXT) | instid1(VALU_DEP_3)
	v_cmp_ne_u16_e64 s4, v30, v28
	v_cmp_eq_u32_e64 s3, 1, v32
	s_wait_alu 0xf1ff
	s_delay_alu instid0(VALU_DEP_2) | instskip(SKIP_3) | instid1(VALU_DEP_1)
	v_cndmask_b32_e64 v28, 0, 1, s4
	s_and_b32 s2, s2, s3
	s_mov_b32 s3, exec_lo
	s_wait_alu 0xfffe
	v_cndmask_b32_e64 v28, v28, v29, s2
	s_delay_alu instid0(VALU_DEP_1) | instskip(NEXT) | instid1(VALU_DEP_1)
	v_and_b32_e32 v28, 1, v28
	v_cmpx_eq_u32_e32 1, v28
	s_cbranch_execz .LBB23_41
; %bb.40:
	ds_load_b128 v[32:35], v23
	v_mov_b32_e32 v28, v4
	v_lshlrev_b16 v4, 8, v31
	v_mov_b32_e32 v29, v3
	s_delay_alu instid0(VALU_DEP_2)
	v_or_b32_e32 v3, v30, v4
	s_wait_dscnt 0x0
	v_dual_mov_b32 v36, v32 :: v_dual_mov_b32 v37, v33
	ds_store_b128 v23, v[34:37]
	ds_store_b64 v5, v[28:29]
	ds_store_b16 v1, v3
.LBB23_41:
	s_or_b32 exec_lo, exec_lo, s3
	v_and_b32_e32 v3, 15, v2
	s_wait_loadcnt_dscnt 0x0
	s_barrier_signal -1
	s_barrier_wait -1
	global_inv scope:SCOPE_SE
	v_sub_nc_u32_e32 v20, v20, v3
	s_delay_alu instid0(VALU_DEP_1)
	v_add_nc_u32_e32 v18, v18, v20
	v_lshl_add_u32 v15, v20, 2, v15
	ds_load_u8 v28, v18
	ds_load_u8 v29, v18 offset:16
	ds_load_2addr_b32 v[3:4], v15 offset1:16
	s_wait_dscnt 0x1
	v_and_b32_e32 v29, 0xff, v29
	v_and_b32_e32 v30, 1, v28
	s_wait_dscnt 0x0
	v_cmp_le_i32_e64 s3, v3, v4
	s_delay_alu instid0(VALU_DEP_3) | instskip(NEXT) | instid1(VALU_DEP_3)
	v_cmp_ne_u16_e64 s4, 0, v29
	v_cmp_eq_u32_e64 s2, 1, v30
	s_xor_b32 s2, s2, -1
	s_wait_alu 0xfffe
	s_or_b32 s2, s3, s2
	s_wait_alu 0xfffe
	s_and_b32 s3, s2, s4
	s_wait_alu 0xfffe
	s_and_saveexec_b32 s2, s3
	s_cbranch_execz .LBB23_43
; %bb.42:
	v_lshl_add_u32 v14, v20, 3, v14
	v_mov_b32_e32 v20, 1
	ds_load_2addr_b64 v[29:32], v14 offset1:16
	ds_store_2addr_b32 v15, v4, v3 offset1:16
	s_wait_dscnt 0x1
	ds_store_2addr_b64 v14, v[31:32], v[29:30] offset1:16
	ds_store_b8 v18, v20
	ds_store_b8 v18, v28 offset:16
.LBB23_43:
	s_wait_alu 0xfffe
	s_or_b32 exec_lo, exec_lo, s2
	s_wait_loadcnt_dscnt 0x0
	s_barrier_signal -1
	s_barrier_wait -1
	global_inv scope:SCOPE_SE
	ds_load_u8 v14, v25
	ds_load_u8 v15, v25 offset:8
	ds_load_2addr_b32 v[3:4], v26 offset1:8
	s_wait_dscnt 0x2
	v_and_b32_e32 v18, 1, v14
	s_wait_dscnt 0x1
	v_and_b32_e32 v15, 0xff, v15
	s_wait_dscnt 0x0
	v_cmp_le_i32_e64 s3, v3, v4
	v_cmp_eq_u32_e64 s2, 1, v18
	s_delay_alu instid0(VALU_DEP_3)
	v_cmp_ne_u16_e64 s4, 0, v15
	s_xor_b32 s2, s2, -1
	s_wait_alu 0xfffe
	s_or_b32 s2, s3, s2
	s_wait_alu 0xfffe
	s_and_b32 s3, s2, s4
	s_wait_alu 0xfffe
	s_and_saveexec_b32 s2, s3
	s_cbranch_execz .LBB23_45
; %bb.44:
	ds_load_2addr_b64 v[28:31], v27 offset1:8
	v_mov_b32_e32 v15, 1
	ds_store_2addr_b32 v26, v4, v3 offset1:8
	s_wait_dscnt 0x1
	ds_store_2addr_b64 v27, v[30:31], v[28:29] offset1:8
	ds_store_b8 v25, v15
	ds_store_b8 v25, v14 offset:8
.LBB23_45:
	s_wait_alu 0xfffe
	s_or_b32 exec_lo, exec_lo, s2
	s_wait_loadcnt_dscnt 0x0
	s_barrier_signal -1
	s_barrier_wait -1
	global_inv scope:SCOPE_SE
	ds_load_u8 v14, v21
	ds_load_u8 v15, v21 offset:4
	ds_load_2addr_b32 v[3:4], v22 offset1:4
	s_wait_dscnt 0x2
	v_and_b32_e32 v18, 1, v14
	s_wait_dscnt 0x1
	v_and_b32_e32 v15, 0xff, v15
	s_wait_dscnt 0x0
	v_cmp_le_i32_e64 s3, v3, v4
	v_cmp_eq_u32_e64 s2, 1, v18
	s_delay_alu instid0(VALU_DEP_3)
	v_cmp_ne_u16_e64 s4, 0, v15
	s_xor_b32 s2, s2, -1
	s_wait_alu 0xfffe
	s_or_b32 s2, s3, s2
	s_wait_alu 0xfffe
	s_and_b32 s3, s2, s4
	s_wait_alu 0xfffe
	s_and_saveexec_b32 s2, s3
	s_cbranch_execz .LBB23_47
; %bb.46:
	ds_load_2addr_b64 v[25:28], v24 offset1:4
	v_mov_b32_e32 v15, 1
	ds_store_2addr_b32 v22, v4, v3 offset1:4
	s_wait_dscnt 0x1
	ds_store_2addr_b64 v24, v[27:28], v[25:26] offset1:4
	ds_store_b8 v21, v15
	ds_store_b8 v21, v14 offset:4
.LBB23_47:
	s_wait_alu 0xfffe
	s_or_b32 exec_lo, exec_lo, s2
	s_wait_loadcnt_dscnt 0x0
	s_barrier_signal -1
	s_barrier_wait -1
	global_inv scope:SCOPE_SE
	ds_load_u8 v14, v16
	ds_load_u8 v15, v16 offset:2
	ds_load_2addr_b32 v[3:4], v17 offset1:2
	s_wait_dscnt 0x2
	v_and_b32_e32 v18, 1, v14
	s_wait_dscnt 0x1
	v_and_b32_e32 v15, 0xff, v15
	s_wait_dscnt 0x0
	v_cmp_le_i32_e64 s3, v3, v4
	v_cmp_eq_u32_e64 s2, 1, v18
	s_delay_alu instid0(VALU_DEP_3)
	v_cmp_ne_u16_e64 s4, 0, v15
	s_xor_b32 s2, s2, -1
	s_wait_alu 0xfffe
	s_or_b32 s2, s3, s2
	s_wait_alu 0xfffe
	s_and_b32 s3, s2, s4
	s_wait_alu 0xfffe
	s_and_saveexec_b32 s2, s3
	s_cbranch_execz .LBB23_49
; %bb.48:
	ds_load_2addr_b64 v[24:27], v19 offset1:2
	v_mov_b32_e32 v15, 1
	ds_store_2addr_b32 v17, v4, v3 offset1:2
	s_wait_dscnt 0x1
	ds_store_2addr_b64 v19, v[26:27], v[24:25] offset1:2
	ds_store_b8 v16, v15
	ds_store_b8 v16, v14 offset:2
.LBB23_49:
	s_wait_alu 0xfffe
	s_or_b32 exec_lo, exec_lo, s2
	s_wait_loadcnt_dscnt 0x0
	s_barrier_signal -1
	s_barrier_wait -1
	global_inv scope:SCOPE_SE
	ds_load_u16 v14, v1
	ds_load_b64 v[3:4], v5
	s_wait_dscnt 0x1
	v_and_b32_e32 v15, 1, v14
	v_lshrrev_b16 v16, 8, v14
	s_wait_dscnt 0x0
	v_cmp_le_i32_e64 s3, v3, v4
	s_delay_alu instid0(VALU_DEP_3) | instskip(NEXT) | instid1(VALU_DEP_3)
	v_cmp_eq_u32_e64 s2, 1, v15
	v_cmp_ne_u16_e64 s4, 0, v16
	s_xor_b32 s2, s2, -1
	s_wait_alu 0xfffe
	s_or_b32 s2, s3, s2
	s_wait_alu 0xfffe
	s_and_b32 s3, s2, s4
	s_wait_alu 0xfffe
	s_and_saveexec_b32 s2, s3
	s_cbranch_execz .LBB23_51
; %bb.50:
	ds_load_b128 v[15:18], v23
	v_mov_b32_e32 v21, v4
	v_lshlrev_b16 v4, 8, v14
	v_mov_b32_e32 v22, v3
	s_delay_alu instid0(VALU_DEP_2)
	v_or_b32_e32 v3, 1, v4
	s_wait_dscnt 0x0
	v_dual_mov_b32 v19, v15 :: v_dual_mov_b32 v20, v16
	ds_store_b128 v23, v[17:20]
	ds_store_b64 v5, v[21:22]
	ds_store_b16 v1, v3
.LBB23_51:
	s_wait_alu 0xfffe
	s_or_b32 exec_lo, exec_lo, s2
	s_wait_loadcnt_dscnt 0x0
	s_barrier_signal -1
	s_barrier_wait -1
	global_inv scope:SCOPE_SE
	s_and_saveexec_b32 s2, vcc_lo
	s_cbranch_execz .LBB23_56
; %bb.52:
	s_and_saveexec_b32 s2, s0
	s_cbranch_execz .LBB23_54
; %bb.53:
	v_mad_co_u64_u32 v[3:4], null, s8, v2, 0
	v_mad_co_u64_u32 v[14:15], null, s10, v2, 0
	s_delay_alu instid0(VALU_DEP_1) | instskip(NEXT) | instid1(VALU_DEP_1)
	v_dual_mov_b32 v1, v4 :: v_dual_mov_b32 v4, v15
	v_mad_co_u64_u32 v[15:16], null, s9, v2, v[1:2]
	s_delay_alu instid0(VALU_DEP_2) | instskip(SKIP_3) | instid1(VALU_DEP_1)
	v_mad_co_u64_u32 v[1:2], null, s11, v2, v[4:5]
	ds_load_b32 v5, v12
	ds_load_b64 v[12:13], v13
	v_dual_mov_b32 v4, v15 :: v_dual_mov_b32 v15, v1
	v_lshlrev_b64_e32 v[1:2], 2, v[3:4]
	s_delay_alu instid0(VALU_DEP_2) | instskip(NEXT) | instid1(VALU_DEP_2)
	v_lshlrev_b64_e32 v[3:4], 3, v[14:15]
	v_add_co_u32 v1, vcc_lo, v8, v1
	s_wait_alu 0xfffd
	s_delay_alu instid0(VALU_DEP_3) | instskip(NEXT) | instid1(VALU_DEP_3)
	v_add_co_ci_u32_e64 v2, null, v9, v2, vcc_lo
	v_add_co_u32 v3, vcc_lo, v10, v3
	s_wait_alu 0xfffd
	v_add_co_ci_u32_e64 v4, null, v11, v4, vcc_lo
	s_wait_dscnt 0x1
	global_store_b32 v[1:2], v5, off
	s_wait_dscnt 0x0
	global_store_b64 v[3:4], v[12:13], off
.LBB23_54:
	s_wait_alu 0xfffe
	s_or_b32 exec_lo, exec_lo, s2
	s_delay_alu instid0(SALU_CYCLE_1)
	s_and_b32 exec_lo, exec_lo, s1
	s_cbranch_execz .LBB23_56
; %bb.55:
	v_mad_co_u64_u32 v[1:2], null, s8, v0, 0
	v_mad_co_u64_u32 v[3:4], null, s10, v0, 0
	s_delay_alu instid0(VALU_DEP_1) | instskip(NEXT) | instid1(VALU_DEP_2)
	v_mad_co_u64_u32 v[12:13], null, s9, v0, v[2:3]
	v_mad_co_u64_u32 v[4:5], null, s11, v0, v[4:5]
	s_delay_alu instid0(VALU_DEP_2) | instskip(SKIP_4) | instid1(VALU_DEP_2)
	v_mov_b32_e32 v2, v12
	ds_load_b32 v12, v6
	ds_load_b64 v[5:6], v7
	v_lshlrev_b64_e32 v[0:1], 2, v[1:2]
	v_lshlrev_b64_e32 v[2:3], 3, v[3:4]
	v_add_co_u32 v0, vcc_lo, v8, v0
	s_wait_alu 0xfffd
	s_delay_alu instid0(VALU_DEP_3) | instskip(NEXT) | instid1(VALU_DEP_3)
	v_add_co_ci_u32_e64 v1, null, v9, v1, vcc_lo
	v_add_co_u32 v2, vcc_lo, v10, v2
	s_wait_alu 0xfffd
	v_add_co_ci_u32_e64 v3, null, v11, v3, vcc_lo
	s_wait_dscnt 0x1
	global_store_b32 v[0:1], v12, off
	s_wait_dscnt 0x0
	global_store_b64 v[2:3], v[5:6], off
.LBB23_56:
	s_endpgm
	.section	.rodata,"a",@progbits
	.p2align	6, 0x0
	.amdhsa_kernel _ZN2at6native20bitonicSortKVInPlaceILin1ELin1ELi16ELi16EilNS0_4GTOpIiLb1EEEmEEvNS_4cuda6detail10TensorInfoIT3_T6_EES8_S8_S8_NS6_IT4_S8_EES8_T5_
		.amdhsa_group_segment_fixed_size 6656
		.amdhsa_private_segment_fixed_size 0
		.amdhsa_kernarg_size 1128
		.amdhsa_user_sgpr_count 2
		.amdhsa_user_sgpr_dispatch_ptr 0
		.amdhsa_user_sgpr_queue_ptr 0
		.amdhsa_user_sgpr_kernarg_segment_ptr 1
		.amdhsa_user_sgpr_dispatch_id 0
		.amdhsa_user_sgpr_private_segment_size 0
		.amdhsa_wavefront_size32 1
		.amdhsa_uses_dynamic_stack 0
		.amdhsa_enable_private_segment 0
		.amdhsa_system_sgpr_workgroup_id_x 1
		.amdhsa_system_sgpr_workgroup_id_y 1
		.amdhsa_system_sgpr_workgroup_id_z 1
		.amdhsa_system_sgpr_workgroup_info 0
		.amdhsa_system_vgpr_workitem_id 1
		.amdhsa_next_free_vgpr 38
		.amdhsa_next_free_sgpr 31
		.amdhsa_reserve_vcc 1
		.amdhsa_float_round_mode_32 0
		.amdhsa_float_round_mode_16_64 0
		.amdhsa_float_denorm_mode_32 3
		.amdhsa_float_denorm_mode_16_64 3
		.amdhsa_fp16_overflow 0
		.amdhsa_workgroup_processor_mode 1
		.amdhsa_memory_ordered 1
		.amdhsa_forward_progress 1
		.amdhsa_inst_pref_size 53
		.amdhsa_round_robin_scheduling 0
		.amdhsa_exception_fp_ieee_invalid_op 0
		.amdhsa_exception_fp_denorm_src 0
		.amdhsa_exception_fp_ieee_div_zero 0
		.amdhsa_exception_fp_ieee_overflow 0
		.amdhsa_exception_fp_ieee_underflow 0
		.amdhsa_exception_fp_ieee_inexact 0
		.amdhsa_exception_int_div_zero 0
	.end_amdhsa_kernel
	.section	.text._ZN2at6native20bitonicSortKVInPlaceILin1ELin1ELi16ELi16EilNS0_4GTOpIiLb1EEEmEEvNS_4cuda6detail10TensorInfoIT3_T6_EES8_S8_S8_NS6_IT4_S8_EES8_T5_,"axG",@progbits,_ZN2at6native20bitonicSortKVInPlaceILin1ELin1ELi16ELi16EilNS0_4GTOpIiLb1EEEmEEvNS_4cuda6detail10TensorInfoIT3_T6_EES8_S8_S8_NS6_IT4_S8_EES8_T5_,comdat
.Lfunc_end23:
	.size	_ZN2at6native20bitonicSortKVInPlaceILin1ELin1ELi16ELi16EilNS0_4GTOpIiLb1EEEmEEvNS_4cuda6detail10TensorInfoIT3_T6_EES8_S8_S8_NS6_IT4_S8_EES8_T5_, .Lfunc_end23-_ZN2at6native20bitonicSortKVInPlaceILin1ELin1ELi16ELi16EilNS0_4GTOpIiLb1EEEmEEvNS_4cuda6detail10TensorInfoIT3_T6_EES8_S8_S8_NS6_IT4_S8_EES8_T5_
                                        ; -- End function
	.set _ZN2at6native20bitonicSortKVInPlaceILin1ELin1ELi16ELi16EilNS0_4GTOpIiLb1EEEmEEvNS_4cuda6detail10TensorInfoIT3_T6_EES8_S8_S8_NS6_IT4_S8_EES8_T5_.num_vgpr, 38
	.set _ZN2at6native20bitonicSortKVInPlaceILin1ELin1ELi16ELi16EilNS0_4GTOpIiLb1EEEmEEvNS_4cuda6detail10TensorInfoIT3_T6_EES8_S8_S8_NS6_IT4_S8_EES8_T5_.num_agpr, 0
	.set _ZN2at6native20bitonicSortKVInPlaceILin1ELin1ELi16ELi16EilNS0_4GTOpIiLb1EEEmEEvNS_4cuda6detail10TensorInfoIT3_T6_EES8_S8_S8_NS6_IT4_S8_EES8_T5_.numbered_sgpr, 31
	.set _ZN2at6native20bitonicSortKVInPlaceILin1ELin1ELi16ELi16EilNS0_4GTOpIiLb1EEEmEEvNS_4cuda6detail10TensorInfoIT3_T6_EES8_S8_S8_NS6_IT4_S8_EES8_T5_.num_named_barrier, 0
	.set _ZN2at6native20bitonicSortKVInPlaceILin1ELin1ELi16ELi16EilNS0_4GTOpIiLb1EEEmEEvNS_4cuda6detail10TensorInfoIT3_T6_EES8_S8_S8_NS6_IT4_S8_EES8_T5_.private_seg_size, 0
	.set _ZN2at6native20bitonicSortKVInPlaceILin1ELin1ELi16ELi16EilNS0_4GTOpIiLb1EEEmEEvNS_4cuda6detail10TensorInfoIT3_T6_EES8_S8_S8_NS6_IT4_S8_EES8_T5_.uses_vcc, 1
	.set _ZN2at6native20bitonicSortKVInPlaceILin1ELin1ELi16ELi16EilNS0_4GTOpIiLb1EEEmEEvNS_4cuda6detail10TensorInfoIT3_T6_EES8_S8_S8_NS6_IT4_S8_EES8_T5_.uses_flat_scratch, 0
	.set _ZN2at6native20bitonicSortKVInPlaceILin1ELin1ELi16ELi16EilNS0_4GTOpIiLb1EEEmEEvNS_4cuda6detail10TensorInfoIT3_T6_EES8_S8_S8_NS6_IT4_S8_EES8_T5_.has_dyn_sized_stack, 0
	.set _ZN2at6native20bitonicSortKVInPlaceILin1ELin1ELi16ELi16EilNS0_4GTOpIiLb1EEEmEEvNS_4cuda6detail10TensorInfoIT3_T6_EES8_S8_S8_NS6_IT4_S8_EES8_T5_.has_recursion, 0
	.set _ZN2at6native20bitonicSortKVInPlaceILin1ELin1ELi16ELi16EilNS0_4GTOpIiLb1EEEmEEvNS_4cuda6detail10TensorInfoIT3_T6_EES8_S8_S8_NS6_IT4_S8_EES8_T5_.has_indirect_call, 0
	.section	.AMDGPU.csdata,"",@progbits
; Kernel info:
; codeLenInByte = 6768
; TotalNumSgprs: 33
; NumVgprs: 38
; ScratchSize: 0
; MemoryBound: 0
; FloatMode: 240
; IeeeMode: 1
; LDSByteSize: 6656 bytes/workgroup (compile time only)
; SGPRBlocks: 0
; VGPRBlocks: 4
; NumSGPRsForWavesPerEU: 33
; NumVGPRsForWavesPerEU: 38
; Occupancy: 16
; WaveLimiterHint : 1
; COMPUTE_PGM_RSRC2:SCRATCH_EN: 0
; COMPUTE_PGM_RSRC2:USER_SGPR: 2
; COMPUTE_PGM_RSRC2:TRAP_HANDLER: 0
; COMPUTE_PGM_RSRC2:TGID_X_EN: 1
; COMPUTE_PGM_RSRC2:TGID_Y_EN: 1
; COMPUTE_PGM_RSRC2:TGID_Z_EN: 1
; COMPUTE_PGM_RSRC2:TIDIG_COMP_CNT: 1
	.section	.text._ZN2at6native20bitonicSortKVInPlaceILin2ELin1ELi16ELi16EllNS0_4LTOpIlLb1EEEjEEvNS_4cuda6detail10TensorInfoIT3_T6_EES8_S8_S8_NS6_IT4_S8_EES8_T5_,"axG",@progbits,_ZN2at6native20bitonicSortKVInPlaceILin2ELin1ELi16ELi16EllNS0_4LTOpIlLb1EEEjEEvNS_4cuda6detail10TensorInfoIT3_T6_EES8_S8_S8_NS6_IT4_S8_EES8_T5_,comdat
	.protected	_ZN2at6native20bitonicSortKVInPlaceILin2ELin1ELi16ELi16EllNS0_4LTOpIlLb1EEEjEEvNS_4cuda6detail10TensorInfoIT3_T6_EES8_S8_S8_NS6_IT4_S8_EES8_T5_ ; -- Begin function _ZN2at6native20bitonicSortKVInPlaceILin2ELin1ELi16ELi16EllNS0_4LTOpIlLb1EEEjEEvNS_4cuda6detail10TensorInfoIT3_T6_EES8_S8_S8_NS6_IT4_S8_EES8_T5_
	.globl	_ZN2at6native20bitonicSortKVInPlaceILin2ELin1ELi16ELi16EllNS0_4LTOpIlLb1EEEjEEvNS_4cuda6detail10TensorInfoIT3_T6_EES8_S8_S8_NS6_IT4_S8_EES8_T5_
	.p2align	8
	.type	_ZN2at6native20bitonicSortKVInPlaceILin2ELin1ELi16ELi16EllNS0_4LTOpIlLb1EEEjEEvNS_4cuda6detail10TensorInfoIT3_T6_EES8_S8_S8_NS6_IT4_S8_EES8_T5_,@function
_ZN2at6native20bitonicSortKVInPlaceILin2ELin1ELi16ELi16EllNS0_4LTOpIlLb1EEEjEEvNS_4cuda6detail10TensorInfoIT3_T6_EES8_S8_S8_NS6_IT4_S8_EES8_T5_: ; @_ZN2at6native20bitonicSortKVInPlaceILin2ELin1ELi16ELi16EllNS0_4LTOpIlLb1EEEjEEvNS_4cuda6detail10TensorInfoIT3_T6_EES8_S8_S8_NS6_IT4_S8_EES8_T5_
; %bb.0:
	s_clause 0x2
	s_load_b64 s[2:3], s[0:1], 0x1c8
	s_load_u16 s7, s[0:1], 0x1d6
	s_load_b96 s[4:6], s[0:1], 0xd8
	s_lshr_b32 s8, ttmp7, 16
	s_wait_kmcnt 0x0
	s_mul_i32 s3, s3, s8
	s_and_b32 s8, ttmp7, 0xffff
	s_delay_alu instid0(SALU_CYCLE_1) | instskip(NEXT) | instid1(SALU_CYCLE_1)
	s_add_co_i32 s3, s3, s8
	s_mul_i32 s2, s3, s2
	s_delay_alu instid0(SALU_CYCLE_1) | instskip(NEXT) | instid1(SALU_CYCLE_1)
	s_add_co_i32 s2, s2, ttmp9
	s_mul_i32 s2, s2, s7
	s_delay_alu instid0(SALU_CYCLE_1)
	s_cmp_ge_u32 s2, s4
	s_cbranch_scc1 .LBB24_43
; %bb.1:
	s_clause 0x1
	s_load_b32 s7, s[0:1], 0x1b8
	s_load_b64 s[8:9], s[0:1], 0x0
	v_bfe_u32 v9, v0, 10, 10
	s_delay_alu instid0(VALU_DEP_1) | instskip(SKIP_2) | instid1(VALU_DEP_2)
	v_add_nc_u32_e32 v3, s2, v9
	v_mov_b32_e32 v1, 0
	s_add_nc_u64 s[2:3], s[0:1], 0xe8
	v_mov_b32_e32 v4, v3
	s_wait_kmcnt 0x0
	s_cmp_lt_i32 s7, 2
	s_cbranch_scc1 .LBB24_4
; %bb.2:
	s_add_co_i32 s10, s7, -1
	s_mov_b32 s11, 0
	v_dual_mov_b32 v1, 0 :: v_dual_mov_b32 v4, v3
	s_lshl_b64 s[10:11], s[10:11], 2
	s_add_co_i32 s7, s7, 1
	s_wait_alu 0xfffe
	s_add_nc_u64 s[10:11], s[2:3], s[10:11]
	s_delay_alu instid0(SALU_CYCLE_1)
	s_add_nc_u64 s[10:11], s[10:11], 8
.LBB24_3:                               ; =>This Inner Loop Header: Depth=1
	s_clause 0x1
	s_load_b32 s12, s[10:11], 0x0
	s_load_b32 s13, s[10:11], 0x64
	s_add_co_i32 s7, s7, -1
	s_add_nc_u64 s[10:11], s[10:11], -4
	s_wait_kmcnt 0x0
	s_cvt_f32_u32 s14, s12
	s_sub_co_i32 s15, 0, s12
	s_wait_alu 0xfffe
	s_delay_alu instid0(SALU_CYCLE_1) | instskip(NEXT) | instid1(TRANS32_DEP_1)
	v_rcp_iflag_f32_e32 v2, s14
	v_readfirstlane_b32 s14, v2
	v_mov_b32_e32 v2, v4
	s_mul_f32 s14, s14, 0x4f7ffffe
	s_wait_alu 0xfffe
	s_delay_alu instid0(SALU_CYCLE_2) | instskip(SKIP_1) | instid1(SALU_CYCLE_2)
	s_cvt_u32_f32 s14, s14
	s_wait_alu 0xfffe
	s_mul_i32 s15, s15, s14
	s_wait_alu 0xfffe
	s_mul_hi_u32 s15, s14, s15
	s_wait_alu 0xfffe
	s_add_co_i32 s14, s14, s15
	s_cmp_gt_u32 s7, 2
	s_wait_alu 0xfffe
	v_mul_hi_u32 v4, v2, s14
	s_delay_alu instid0(VALU_DEP_1) | instskip(SKIP_1) | instid1(VALU_DEP_2)
	v_mul_lo_u32 v5, v4, s12
	v_add_nc_u32_e32 v6, 1, v4
	v_sub_nc_u32_e32 v5, v2, v5
	s_delay_alu instid0(VALU_DEP_1) | instskip(SKIP_2) | instid1(VALU_DEP_2)
	v_subrev_nc_u32_e32 v7, s12, v5
	v_cmp_le_u32_e32 vcc_lo, s12, v5
	s_wait_alu 0xfffd
	v_dual_cndmask_b32 v4, v4, v6 :: v_dual_cndmask_b32 v5, v5, v7
	s_delay_alu instid0(VALU_DEP_1) | instskip(NEXT) | instid1(VALU_DEP_2)
	v_add_nc_u32_e32 v6, 1, v4
	v_cmp_le_u32_e32 vcc_lo, s12, v5
	s_wait_alu 0xfffd
	s_delay_alu instid0(VALU_DEP_2) | instskip(NEXT) | instid1(VALU_DEP_1)
	v_cndmask_b32_e32 v4, v4, v6, vcc_lo
	v_mul_lo_u32 v5, v4, s12
	s_delay_alu instid0(VALU_DEP_1) | instskip(NEXT) | instid1(VALU_DEP_1)
	v_sub_nc_u32_e32 v2, v2, v5
	v_mad_co_u64_u32 v[1:2], null, s13, v2, v[1:2]
	s_cbranch_scc1 .LBB24_3
.LBB24_4:
	s_load_b32 s13, s[0:1], 0x6c
	s_add_nc_u64 s[10:11], s[0:1], 0x1c8
	s_load_b32 s14, s[2:3], 0x6c
	s_load_b32 s12, s[10:11], 0xc
	s_clause 0x1
	s_load_b32 s7, s[0:1], 0x1c0
	s_load_b64 s[10:11], s[2:3], 0x0
	v_and_b32_e32 v11, 0x3ff, v0
	v_cmp_gt_u32_e64 s0, s4, v3
	v_mov_b32_e32 v7, 0
	v_mov_b32_e32 v8, 0
	s_wait_kmcnt 0x0
	v_mad_co_u64_u32 v[4:5], null, s14, v4, v[1:2]
	v_mul_lo_u32 v6, s13, v3
	v_mov_b32_e32 v0, 0
	v_cmp_gt_u32_e32 vcc_lo, s5, v11
	v_dual_mov_b32 v1, 0 :: v_dual_mov_b32 v2, 0
	v_mov_b32_e32 v3, 0
	s_and_b32 s2, s0, vcc_lo
	s_wait_alu 0xfffe
	s_and_saveexec_b32 s3, s2
	s_cbranch_execz .LBB24_6
; %bb.5:
	v_mad_co_u64_u32 v[2:3], null, v11, s6, v[6:7]
	v_mov_b32_e32 v3, 0
	v_mad_co_u64_u32 v[7:8], null, v11, s7, v[4:5]
	s_delay_alu instid0(VALU_DEP_2) | instskip(NEXT) | instid1(VALU_DEP_4)
	v_mov_b32_e32 v8, v3
	v_lshlrev_b64_e32 v[2:3], 3, v[2:3]
	s_delay_alu instid0(VALU_DEP_2) | instskip(NEXT) | instid1(VALU_DEP_2)
	v_lshlrev_b64_e32 v[7:8], 3, v[7:8]
	v_add_co_u32 v2, s1, s8, v2
	s_delay_alu instid0(VALU_DEP_1) | instskip(NEXT) | instid1(VALU_DEP_3)
	v_add_co_ci_u32_e64 v3, null, s9, v3, s1
	v_add_co_u32 v7, s1, s10, v7
	s_wait_alu 0xf1ff
	s_delay_alu instid0(VALU_DEP_4)
	v_add_co_ci_u32_e64 v8, null, s11, v8, s1
	global_load_b64 v[2:3], v[2:3], off
	global_load_b64 v[7:8], v[7:8], off
.LBB24_6:
	s_wait_alu 0xfffe
	s_or_b32 exec_lo, exec_lo, s3
	v_lshlrev_b32_e32 v15, 8, v9
	s_and_b32 s3, 0xffff, s12
	v_lshlrev_b32_e32 v16, 3, v11
	s_wait_alu 0xfffe
	v_add_nc_u32_e32 v5, s3, v11
	v_lshl_add_u32 v17, v9, 5, 0x2000
	v_mov_b32_e32 v9, 0
	v_mov_b32_e32 v10, 0
	v_add_nc_u32_e32 v14, 0x1000, v15
	v_cmp_gt_u32_e64 s1, s5, v5
	v_add_nc_u32_e32 v12, v15, v16
	v_cndmask_b32_e64 v18, 0, 1, s2
	v_add_nc_u32_e32 v19, v17, v11
	v_add_nc_u32_e32 v13, v14, v16
	s_and_b32 s4, s0, s1
	s_wait_loadcnt 0x1
	ds_store_b64 v12, v[2:3]
	s_wait_loadcnt 0x0
	ds_store_b64 v13, v[7:8]
	ds_store_b8 v19, v18
	s_wait_alu 0xfffe
	s_and_saveexec_b32 s5, s4
	s_cbranch_execz .LBB24_8
; %bb.7:
	v_mad_co_u64_u32 v[0:1], null, v5, s6, v[6:7]
	v_mov_b32_e32 v1, 0
	v_mad_co_u64_u32 v[2:3], null, v5, s7, v[4:5]
	s_delay_alu instid0(VALU_DEP_2) | instskip(NEXT) | instid1(VALU_DEP_4)
	v_mov_b32_e32 v3, v1
	v_lshlrev_b64_e32 v[0:1], 3, v[0:1]
	s_delay_alu instid0(VALU_DEP_2) | instskip(NEXT) | instid1(VALU_DEP_2)
	v_lshlrev_b64_e32 v[2:3], 3, v[2:3]
	v_add_co_u32 v0, s2, s8, v0
	s_wait_alu 0xf1ff
	s_delay_alu instid0(VALU_DEP_3) | instskip(NEXT) | instid1(VALU_DEP_3)
	v_add_co_ci_u32_e64 v1, null, s9, v1, s2
	v_add_co_u32 v2, s2, s10, v2
	s_wait_alu 0xf1ff
	v_add_co_ci_u32_e64 v3, null, s11, v3, s2
	global_load_b64 v[0:1], v[0:1], off
	global_load_b64 v[9:10], v[2:3], off
.LBB24_8:
	s_wait_alu 0xfffe
	s_or_b32 exec_lo, exec_lo, s5
	s_lshl_b32 s2, s3, 3
	v_lshlrev_b32_e32 v20, 1, v11
	s_wait_alu 0xfffe
	v_add_nc_u32_e32 v7, s2, v12
	v_add_nc_u32_e32 v8, s2, v13
	v_cndmask_b32_e64 v2, 0, 1, s4
	v_add_nc_u32_e32 v3, v17, v5
	v_and_b32_e32 v18, 1, v11
	s_wait_loadcnt 0x1
	ds_store_b64 v7, v[0:1]
	s_wait_loadcnt 0x0
	ds_store_b64 v8, v[9:10]
	ds_store_b8 v3, v2
	v_add_nc_u32_e32 v9, v17, v20
	v_add_nc_u32_e32 v10, v12, v16
	s_wait_dscnt 0x0
	s_barrier_signal -1
	s_barrier_wait -1
	global_inv scope:SCOPE_SE
	ds_load_u16 v22, v9
	ds_load_b128 v[0:3], v10
	s_wait_dscnt 0x1
	v_lshrrev_b16 v19, 8, v22
	v_and_b32_e32 v21, 1, v22
	s_wait_dscnt 0x0
	v_cmp_lt_i64_e64 s2, v[0:1], v[2:3]
	s_delay_alu instid0(VALU_DEP_3) | instskip(NEXT) | instid1(VALU_DEP_3)
	v_cmp_ne_u16_e64 s4, v19, v18
	v_cmp_eq_u32_e64 s3, 1, v21
	s_wait_alu 0xf1ff
	s_delay_alu instid0(VALU_DEP_2) | instskip(SKIP_2) | instid1(VALU_DEP_1)
	v_cndmask_b32_e64 v21, 0, 1, s4
	s_and_b32 s2, s2, s3
	s_wait_alu 0xfffe
	v_cndmask_b32_e64 v21, v21, v11, s2
	s_delay_alu instid0(VALU_DEP_1) | instskip(NEXT) | instid1(VALU_DEP_1)
	v_and_b32_e32 v21, 1, v21
	v_cmp_eq_u32_e64 s2, 1, v21
	v_add_nc_u32_e32 v21, v13, v16
	s_and_saveexec_b32 s3, s2
	s_wait_alu 0xfffe
	s_xor_b32 s2, exec_lo, s3
	s_cbranch_execz .LBB24_10
; %bb.9:
	ds_load_b128 v[23:26], v21
	v_mov_b32_e32 v29, v0
	v_lshlrev_b16 v0, 8, v22
	v_dual_mov_b32 v27, v2 :: v_dual_mov_b32 v28, v3
	v_mov_b32_e32 v30, v1
	s_delay_alu instid0(VALU_DEP_3)
	v_or_b32_e32 v0, v19, v0
	s_wait_dscnt 0x0
	v_dual_mov_b32 v31, v25 :: v_dual_mov_b32 v34, v24
	v_dual_mov_b32 v32, v26 :: v_dual_mov_b32 v33, v23
	ds_store_b128 v21, v[31:34]
	ds_store_b128 v10, v[27:30]
	ds_store_b16 v9, v0
.LBB24_10:
	s_wait_alu 0xfffe
	s_or_b32 exec_lo, exec_lo, s2
	v_sub_nc_u32_e32 v19, v20, v18
	s_wait_loadcnt_dscnt 0x0
	s_barrier_signal -1
	s_barrier_wait -1
	global_inv scope:SCOPE_SE
	v_add_nc_u32_e32 v16, v17, v19
	v_lshl_add_u32 v18, v19, 3, v15
	v_bfe_u32 v25, v11, 1, 1
	v_lshl_add_u32 v19, v19, 3, v14
	ds_load_u8 v23, v16
	ds_load_2addr_b64 v[0:3], v18 offset1:2
	ds_load_u8 v24, v16 offset:2
	s_wait_dscnt 0x2
	v_and_b32_e32 v22, 1, v23
	s_wait_dscnt 0x1
	v_cmp_lt_i64_e64 s2, v[0:1], v[2:3]
	s_wait_dscnt 0x0
	v_cmp_ne_u16_e64 s4, v24, v25
	v_cmp_eq_u32_e64 s3, 1, v22
	s_wait_alu 0xf1ff
	s_delay_alu instid0(VALU_DEP_2) | instskip(SKIP_2) | instid1(VALU_DEP_1)
	v_cndmask_b32_e64 v22, 0, 1, s4
	s_and_b32 s2, s2, s3
	s_wait_alu 0xfffe
	v_cndmask_b32_e64 v25, v22, v25, s2
	v_and_b32_e32 v22, 2, v11
	s_delay_alu instid0(VALU_DEP_2) | instskip(NEXT) | instid1(VALU_DEP_2)
	v_and_b32_e32 v25, 1, v25
	v_cmp_ne_u32_e64 s2, 0, v22
	s_delay_alu instid0(VALU_DEP_2)
	v_cmp_eq_u32_e64 s3, 1, v25
	s_and_saveexec_b32 s4, s3
	s_wait_alu 0xfffe
	s_xor_b32 s3, exec_lo, s4
	s_cbranch_execz .LBB24_12
; %bb.11:
	ds_load_2addr_b64 v[25:28], v19 offset1:2
	ds_store_2addr_b64 v18, v[2:3], v[0:1] offset1:2
	s_wait_dscnt 0x1
	ds_store_2addr_b64 v19, v[27:28], v[25:26] offset1:2
	ds_store_b8 v16, v24
	ds_store_b8 v16, v23 offset:2
.LBB24_12:
	s_wait_alu 0xfffe
	s_or_b32 exec_lo, exec_lo, s3
	s_wait_loadcnt_dscnt 0x0
	s_barrier_signal -1
	s_barrier_wait -1
	global_inv scope:SCOPE_SE
	ds_load_u16 v23, v9
	ds_load_b128 v[0:3], v10
	v_lshrrev_b32_e32 v24, 1, v22
	v_cndmask_b32_e64 v26, 0, 1, s2
	s_wait_dscnt 0x1
	v_lshrrev_b16 v22, 8, v23
	v_and_b32_e32 v25, 1, v23
	s_wait_dscnt 0x0
	v_cmp_lt_i64_e64 s2, v[0:1], v[2:3]
	s_delay_alu instid0(VALU_DEP_3) | instskip(NEXT) | instid1(VALU_DEP_3)
	v_cmp_ne_u16_e64 s4, v22, v24
	v_cmp_eq_u32_e64 s3, 1, v25
	s_wait_alu 0xf1ff
	s_delay_alu instid0(VALU_DEP_2) | instskip(SKIP_3) | instid1(VALU_DEP_1)
	v_cndmask_b32_e64 v24, 0, 1, s4
	s_and_b32 s2, s2, s3
	s_mov_b32 s3, exec_lo
	s_wait_alu 0xfffe
	v_cndmask_b32_e64 v24, v24, v26, s2
	s_delay_alu instid0(VALU_DEP_1) | instskip(NEXT) | instid1(VALU_DEP_1)
	v_and_b32_e32 v24, 1, v24
	v_cmpx_eq_u32_e32 1, v24
	s_cbranch_execz .LBB24_14
; %bb.13:
	ds_load_b128 v[24:27], v21
	v_mov_b32_e32 v30, v0
	v_lshlrev_b16 v0, 8, v23
	v_dual_mov_b32 v28, v2 :: v_dual_mov_b32 v29, v3
	v_mov_b32_e32 v31, v1
	s_delay_alu instid0(VALU_DEP_3)
	v_or_b32_e32 v0, v22, v0
	s_wait_dscnt 0x0
	v_dual_mov_b32 v32, v26 :: v_dual_mov_b32 v35, v25
	v_dual_mov_b32 v33, v27 :: v_dual_mov_b32 v34, v24
	ds_store_b128 v21, v[32:35]
	ds_store_b128 v10, v[28:31]
	ds_store_b16 v9, v0
.LBB24_14:
	s_or_b32 exec_lo, exec_lo, s3
	v_and_b32_e32 v0, 3, v11
	s_wait_loadcnt_dscnt 0x0
	s_barrier_signal -1
	s_barrier_wait -1
	global_inv scope:SCOPE_SE
	v_sub_nc_u32_e32 v24, v20, v0
	v_bfe_u32 v27, v11, 2, 1
	s_delay_alu instid0(VALU_DEP_2)
	v_add_nc_u32_e32 v21, v17, v24
	v_lshl_add_u32 v22, v24, 3, v15
	v_lshl_add_u32 v24, v24, 3, v14
	ds_load_u8 v25, v21
	ds_load_2addr_b64 v[0:3], v22 offset1:4
	ds_load_u8 v26, v21 offset:4
	s_wait_dscnt 0x2
	v_and_b32_e32 v23, 1, v25
	s_wait_dscnt 0x1
	v_cmp_lt_i64_e64 s2, v[0:1], v[2:3]
	s_wait_dscnt 0x0
	v_cmp_ne_u16_e64 s4, v26, v27
	v_cmp_eq_u32_e64 s3, 1, v23
	s_wait_alu 0xf1ff
	s_delay_alu instid0(VALU_DEP_2) | instskip(SKIP_3) | instid1(VALU_DEP_1)
	v_cndmask_b32_e64 v23, 0, 1, s4
	s_mov_b32 s4, exec_lo
	s_and_b32 s2, s2, s3
	s_wait_alu 0xfffe
	v_cndmask_b32_e64 v27, v23, v27, s2
	v_and_b32_e32 v23, 4, v11
	s_delay_alu instid0(VALU_DEP_2) | instskip(NEXT) | instid1(VALU_DEP_2)
	v_and_b32_e32 v27, 1, v27
	v_cmp_ne_u32_e64 s2, 0, v23
	s_delay_alu instid0(VALU_DEP_2)
	v_cmpx_eq_u32_e32 1, v27
	s_cbranch_execz .LBB24_16
; %bb.15:
	ds_load_2addr_b64 v[27:30], v24 offset1:4
	ds_store_2addr_b64 v22, v[2:3], v[0:1] offset1:4
	s_wait_dscnt 0x1
	ds_store_2addr_b64 v24, v[29:30], v[27:28] offset1:4
	ds_store_b8 v21, v26
	ds_store_b8 v21, v25 offset:4
.LBB24_16:
	s_or_b32 exec_lo, exec_lo, s4
	s_wait_loadcnt_dscnt 0x0
	s_barrier_signal -1
	s_barrier_wait -1
	global_inv scope:SCOPE_SE
	ds_load_u8 v26, v16
	ds_load_2addr_b64 v[0:3], v18 offset1:2
	ds_load_u8 v27, v16 offset:2
	v_lshrrev_b32_e32 v23, 2, v23
	v_cndmask_b32_e64 v25, 0, 1, s2
	s_wait_dscnt 0x2
	v_and_b32_e32 v28, 1, v26
	s_wait_dscnt 0x1
	v_cmp_lt_i64_e64 s2, v[0:1], v[2:3]
	s_wait_dscnt 0x0
	v_cmp_ne_u16_e64 s4, v27, v23
	v_cmp_eq_u32_e64 s3, 1, v28
	s_wait_alu 0xf1ff
	s_delay_alu instid0(VALU_DEP_2) | instskip(SKIP_3) | instid1(VALU_DEP_1)
	v_cndmask_b32_e64 v28, 0, 1, s4
	s_and_b32 s2, s2, s3
	s_mov_b32 s3, exec_lo
	s_wait_alu 0xfffe
	v_cndmask_b32_e64 v28, v28, v25, s2
	s_delay_alu instid0(VALU_DEP_1) | instskip(NEXT) | instid1(VALU_DEP_1)
	v_and_b32_e32 v28, 1, v28
	v_cmpx_eq_u32_e32 1, v28
	s_cbranch_execz .LBB24_18
; %bb.17:
	ds_load_2addr_b64 v[28:31], v19 offset1:2
	ds_store_2addr_b64 v18, v[2:3], v[0:1] offset1:2
	s_wait_dscnt 0x1
	ds_store_2addr_b64 v19, v[30:31], v[28:29] offset1:2
	ds_store_b8 v16, v27
	ds_store_b8 v16, v26 offset:2
.LBB24_18:
	s_or_b32 exec_lo, exec_lo, s3
	s_wait_loadcnt_dscnt 0x0
	s_barrier_signal -1
	s_barrier_wait -1
	global_inv scope:SCOPE_SE
	ds_load_u16 v27, v9
	ds_load_b128 v[0:3], v10
	s_wait_dscnt 0x1
	v_lshrrev_b16 v26, 8, v27
	v_and_b32_e32 v28, 1, v27
	s_wait_dscnt 0x0
	v_cmp_lt_i64_e64 s2, v[0:1], v[2:3]
	s_delay_alu instid0(VALU_DEP_3) | instskip(NEXT) | instid1(VALU_DEP_3)
	v_cmp_ne_u16_e64 s4, v26, v23
	v_cmp_eq_u32_e64 s3, 1, v28
	s_wait_alu 0xf1ff
	s_delay_alu instid0(VALU_DEP_2) | instskip(SKIP_2) | instid1(VALU_DEP_1)
	v_cndmask_b32_e64 v23, 0, 1, s4
	s_and_b32 s2, s2, s3
	s_wait_alu 0xfffe
	v_cndmask_b32_e64 v23, v23, v25, s2
	s_delay_alu instid0(VALU_DEP_1) | instskip(NEXT) | instid1(VALU_DEP_1)
	v_and_b32_e32 v23, 1, v23
	v_cmp_eq_u32_e64 s2, 1, v23
	v_lshl_add_u32 v23, v20, 3, v14
	s_and_saveexec_b32 s3, s2
	s_cbranch_execz .LBB24_20
; %bb.19:
	ds_load_b128 v[28:31], v23
	v_mov_b32_e32 v34, v0
	v_lshlrev_b16 v0, 8, v27
	v_dual_mov_b32 v32, v2 :: v_dual_mov_b32 v33, v3
	v_mov_b32_e32 v35, v1
	s_delay_alu instid0(VALU_DEP_3)
	v_or_b32_e32 v0, v26, v0
	s_wait_dscnt 0x0
	v_dual_mov_b32 v36, v30 :: v_dual_mov_b32 v39, v29
	v_dual_mov_b32 v37, v31 :: v_dual_mov_b32 v38, v28
	ds_store_b128 v23, v[36:39]
	ds_store_b128 v10, v[32:35]
	ds_store_b16 v9, v0
.LBB24_20:
	s_wait_alu 0xfffe
	s_or_b32 exec_lo, exec_lo, s3
	v_and_b32_e32 v0, 7, v11
	s_wait_loadcnt_dscnt 0x0
	s_barrier_signal -1
	s_barrier_wait -1
	global_inv scope:SCOPE_SE
	v_sub_nc_u32_e32 v27, v20, v0
	v_bfe_u32 v31, v11, 3, 1
	s_delay_alu instid0(VALU_DEP_2)
	v_add_nc_u32_e32 v25, v17, v27
	v_lshl_add_u32 v26, v27, 3, v15
	v_lshl_add_u32 v27, v27, 3, v14
	ds_load_u8 v29, v25
	ds_load_2addr_b64 v[0:3], v26 offset1:8
	ds_load_u8 v30, v25 offset:8
	s_wait_dscnt 0x2
	v_and_b32_e32 v28, 1, v29
	s_wait_dscnt 0x1
	v_cmp_lt_i64_e64 s2, v[0:1], v[2:3]
	s_wait_dscnt 0x0
	v_cmp_ne_u16_e64 s4, v30, v31
	v_cmp_eq_u32_e64 s3, 1, v28
	s_wait_alu 0xf1ff
	s_delay_alu instid0(VALU_DEP_2) | instskip(SKIP_3) | instid1(VALU_DEP_1)
	v_cndmask_b32_e64 v28, 0, 1, s4
	s_mov_b32 s4, exec_lo
	s_and_b32 s2, s2, s3
	s_wait_alu 0xfffe
	v_cndmask_b32_e64 v31, v28, v31, s2
	v_and_b32_e32 v28, 8, v11
	s_delay_alu instid0(VALU_DEP_2) | instskip(NEXT) | instid1(VALU_DEP_2)
	v_and_b32_e32 v31, 1, v31
	v_cmp_ne_u32_e64 s2, 0, v28
	s_delay_alu instid0(VALU_DEP_2)
	v_cmpx_eq_u32_e32 1, v31
	s_cbranch_execz .LBB24_22
; %bb.21:
	ds_load_2addr_b64 v[31:34], v27 offset1:8
	ds_store_2addr_b64 v26, v[2:3], v[0:1] offset1:8
	s_wait_dscnt 0x1
	ds_store_2addr_b64 v27, v[33:34], v[31:32] offset1:8
	ds_store_b8 v25, v30
	ds_store_b8 v25, v29 offset:8
.LBB24_22:
	s_or_b32 exec_lo, exec_lo, s4
	s_wait_loadcnt_dscnt 0x0
	s_barrier_signal -1
	s_barrier_wait -1
	global_inv scope:SCOPE_SE
	ds_load_u8 v30, v21
	ds_load_2addr_b64 v[0:3], v22 offset1:4
	ds_load_u8 v31, v21 offset:4
	v_lshrrev_b32_e32 v28, 3, v28
	v_cndmask_b32_e64 v29, 0, 1, s2
	s_wait_dscnt 0x2
	v_and_b32_e32 v32, 1, v30
	s_wait_dscnt 0x1
	v_cmp_lt_i64_e64 s2, v[0:1], v[2:3]
	s_wait_dscnt 0x0
	v_cmp_ne_u16_e64 s4, v31, v28
	v_cmp_eq_u32_e64 s3, 1, v32
	s_wait_alu 0xf1ff
	s_delay_alu instid0(VALU_DEP_2) | instskip(SKIP_3) | instid1(VALU_DEP_1)
	v_cndmask_b32_e64 v32, 0, 1, s4
	s_and_b32 s2, s2, s3
	s_mov_b32 s3, exec_lo
	s_wait_alu 0xfffe
	v_cndmask_b32_e64 v32, v32, v29, s2
	s_delay_alu instid0(VALU_DEP_1) | instskip(NEXT) | instid1(VALU_DEP_1)
	v_and_b32_e32 v32, 1, v32
	v_cmpx_eq_u32_e32 1, v32
	s_cbranch_execz .LBB24_24
; %bb.23:
	ds_load_2addr_b64 v[32:35], v24 offset1:4
	ds_store_2addr_b64 v22, v[2:3], v[0:1] offset1:4
	s_wait_dscnt 0x1
	ds_store_2addr_b64 v24, v[34:35], v[32:33] offset1:4
	ds_store_b8 v21, v31
	ds_store_b8 v21, v30 offset:4
.LBB24_24:
	s_or_b32 exec_lo, exec_lo, s3
	s_wait_loadcnt_dscnt 0x0
	s_barrier_signal -1
	s_barrier_wait -1
	global_inv scope:SCOPE_SE
	ds_load_u8 v30, v16
	ds_load_2addr_b64 v[0:3], v18 offset1:2
	ds_load_u8 v31, v16 offset:2
	s_wait_dscnt 0x2
	v_and_b32_e32 v32, 1, v30
	s_wait_dscnt 0x1
	v_cmp_lt_i64_e64 s2, v[0:1], v[2:3]
	s_wait_dscnt 0x0
	v_cmp_ne_u16_e64 s4, v31, v28
	v_cmp_eq_u32_e64 s3, 1, v32
	s_wait_alu 0xf1ff
	s_delay_alu instid0(VALU_DEP_2) | instskip(SKIP_3) | instid1(VALU_DEP_1)
	v_cndmask_b32_e64 v32, 0, 1, s4
	s_and_b32 s2, s2, s3
	s_mov_b32 s3, exec_lo
	s_wait_alu 0xfffe
	v_cndmask_b32_e64 v32, v32, v29, s2
	s_delay_alu instid0(VALU_DEP_1) | instskip(NEXT) | instid1(VALU_DEP_1)
	v_and_b32_e32 v32, 1, v32
	v_cmpx_eq_u32_e32 1, v32
	s_cbranch_execz .LBB24_26
; %bb.25:
	ds_load_2addr_b64 v[32:35], v19 offset1:2
	ds_store_2addr_b64 v18, v[2:3], v[0:1] offset1:2
	s_wait_dscnt 0x1
	ds_store_2addr_b64 v19, v[34:35], v[32:33] offset1:2
	ds_store_b8 v16, v31
	ds_store_b8 v16, v30 offset:2
.LBB24_26:
	s_or_b32 exec_lo, exec_lo, s3
	s_wait_loadcnt_dscnt 0x0
	s_barrier_signal -1
	s_barrier_wait -1
	global_inv scope:SCOPE_SE
	ds_load_u16 v31, v9
	ds_load_b128 v[0:3], v10
	s_wait_dscnt 0x1
	v_lshrrev_b16 v30, 8, v31
	v_and_b32_e32 v32, 1, v31
	s_wait_dscnt 0x0
	v_cmp_lt_i64_e64 s2, v[0:1], v[2:3]
	s_delay_alu instid0(VALU_DEP_3) | instskip(NEXT) | instid1(VALU_DEP_3)
	v_cmp_ne_u16_e64 s4, v30, v28
	v_cmp_eq_u32_e64 s3, 1, v32
	s_wait_alu 0xf1ff
	s_delay_alu instid0(VALU_DEP_2) | instskip(SKIP_3) | instid1(VALU_DEP_1)
	v_cndmask_b32_e64 v28, 0, 1, s4
	s_and_b32 s2, s2, s3
	s_mov_b32 s3, exec_lo
	s_wait_alu 0xfffe
	v_cndmask_b32_e64 v28, v28, v29, s2
	s_delay_alu instid0(VALU_DEP_1) | instskip(NEXT) | instid1(VALU_DEP_1)
	v_and_b32_e32 v28, 1, v28
	v_cmpx_eq_u32_e32 1, v28
	s_cbranch_execz .LBB24_28
; %bb.27:
	ds_load_b128 v[32:35], v23
	v_mov_b32_e32 v38, v0
	v_lshlrev_b16 v0, 8, v31
	v_dual_mov_b32 v36, v2 :: v_dual_mov_b32 v37, v3
	v_mov_b32_e32 v39, v1
	s_delay_alu instid0(VALU_DEP_3)
	v_or_b32_e32 v0, v30, v0
	s_wait_dscnt 0x0
	v_dual_mov_b32 v40, v34 :: v_dual_mov_b32 v43, v33
	v_dual_mov_b32 v41, v35 :: v_dual_mov_b32 v42, v32
	ds_store_b128 v23, v[40:43]
	ds_store_b128 v10, v[36:39]
	ds_store_b16 v9, v0
.LBB24_28:
	s_or_b32 exec_lo, exec_lo, s3
	v_and_b32_e32 v0, 15, v11
	s_wait_loadcnt_dscnt 0x0
	s_barrier_signal -1
	s_barrier_wait -1
	global_inv scope:SCOPE_SE
	v_sub_nc_u32_e32 v20, v20, v0
	s_delay_alu instid0(VALU_DEP_1)
	v_add_nc_u32_e32 v17, v17, v20
	v_lshl_add_u32 v15, v20, 3, v15
	ds_load_u8 v28, v17
	ds_load_u8 v29, v17 offset:16
	ds_load_2addr_b64 v[0:3], v15 offset1:16
	s_wait_dscnt 0x1
	v_and_b32_e32 v29, 0xff, v29
	v_and_b32_e32 v30, 1, v28
	s_wait_dscnt 0x0
	v_cmp_ge_i64_e64 s3, v[0:1], v[2:3]
	s_delay_alu instid0(VALU_DEP_3) | instskip(NEXT) | instid1(VALU_DEP_3)
	v_cmp_ne_u16_e64 s4, 0, v29
	v_cmp_eq_u32_e64 s2, 1, v30
	s_xor_b32 s2, s2, -1
	s_wait_alu 0xfffe
	s_or_b32 s2, s3, s2
	s_wait_alu 0xfffe
	s_and_b32 s3, s2, s4
	s_wait_alu 0xfffe
	s_and_saveexec_b32 s2, s3
	s_cbranch_execz .LBB24_30
; %bb.29:
	v_lshl_add_u32 v14, v20, 3, v14
	v_mov_b32_e32 v20, 1
	ds_load_2addr_b64 v[29:32], v14 offset1:16
	ds_store_2addr_b64 v15, v[2:3], v[0:1] offset1:16
	s_wait_dscnt 0x1
	ds_store_2addr_b64 v14, v[31:32], v[29:30] offset1:16
	ds_store_b8 v17, v20
	ds_store_b8 v17, v28 offset:16
.LBB24_30:
	s_wait_alu 0xfffe
	s_or_b32 exec_lo, exec_lo, s2
	s_wait_loadcnt_dscnt 0x0
	s_barrier_signal -1
	s_barrier_wait -1
	global_inv scope:SCOPE_SE
	ds_load_u8 v14, v25
	ds_load_u8 v15, v25 offset:8
	ds_load_2addr_b64 v[0:3], v26 offset1:8
	s_wait_dscnt 0x2
	v_and_b32_e32 v17, 1, v14
	s_wait_dscnt 0x1
	v_and_b32_e32 v15, 0xff, v15
	s_wait_dscnt 0x0
	v_cmp_ge_i64_e64 s3, v[0:1], v[2:3]
	v_cmp_eq_u32_e64 s2, 1, v17
	s_delay_alu instid0(VALU_DEP_3)
	v_cmp_ne_u16_e64 s4, 0, v15
	s_xor_b32 s2, s2, -1
	s_wait_alu 0xfffe
	s_or_b32 s2, s3, s2
	s_wait_alu 0xfffe
	s_and_b32 s3, s2, s4
	s_wait_alu 0xfffe
	s_and_saveexec_b32 s2, s3
	s_cbranch_execz .LBB24_32
; %bb.31:
	ds_load_2addr_b64 v[28:31], v27 offset1:8
	v_mov_b32_e32 v15, 1
	ds_store_2addr_b64 v26, v[2:3], v[0:1] offset1:8
	s_wait_dscnt 0x1
	ds_store_2addr_b64 v27, v[30:31], v[28:29] offset1:8
	ds_store_b8 v25, v15
	ds_store_b8 v25, v14 offset:8
.LBB24_32:
	s_wait_alu 0xfffe
	s_or_b32 exec_lo, exec_lo, s2
	s_wait_loadcnt_dscnt 0x0
	s_barrier_signal -1
	s_barrier_wait -1
	global_inv scope:SCOPE_SE
	ds_load_u8 v14, v21
	ds_load_u8 v15, v21 offset:4
	ds_load_2addr_b64 v[0:3], v22 offset1:4
	s_wait_dscnt 0x2
	v_and_b32_e32 v17, 1, v14
	s_wait_dscnt 0x1
	v_and_b32_e32 v15, 0xff, v15
	s_wait_dscnt 0x0
	v_cmp_ge_i64_e64 s3, v[0:1], v[2:3]
	v_cmp_eq_u32_e64 s2, 1, v17
	s_delay_alu instid0(VALU_DEP_3)
	v_cmp_ne_u16_e64 s4, 0, v15
	s_xor_b32 s2, s2, -1
	s_wait_alu 0xfffe
	s_or_b32 s2, s3, s2
	s_wait_alu 0xfffe
	s_and_b32 s3, s2, s4
	s_wait_alu 0xfffe
	s_and_saveexec_b32 s2, s3
	s_cbranch_execz .LBB24_34
; %bb.33:
	ds_load_2addr_b64 v[25:28], v24 offset1:4
	v_mov_b32_e32 v15, 1
	ds_store_2addr_b64 v22, v[2:3], v[0:1] offset1:4
	s_wait_dscnt 0x1
	ds_store_2addr_b64 v24, v[27:28], v[25:26] offset1:4
	ds_store_b8 v21, v15
	ds_store_b8 v21, v14 offset:4
.LBB24_34:
	;; [unrolled: 35-line block ×3, first 2 shown]
	s_wait_alu 0xfffe
	s_or_b32 exec_lo, exec_lo, s2
	s_wait_loadcnt_dscnt 0x0
	s_barrier_signal -1
	s_barrier_wait -1
	global_inv scope:SCOPE_SE
	ds_load_u16 v14, v9
	ds_load_b128 v[0:3], v10
	s_wait_dscnt 0x1
	v_and_b32_e32 v15, 1, v14
	v_lshrrev_b16 v16, 8, v14
	s_wait_dscnt 0x0
	v_cmp_ge_i64_e64 s3, v[0:1], v[2:3]
	s_delay_alu instid0(VALU_DEP_3) | instskip(NEXT) | instid1(VALU_DEP_3)
	v_cmp_eq_u32_e64 s2, 1, v15
	v_cmp_ne_u16_e64 s4, 0, v16
	s_xor_b32 s2, s2, -1
	s_wait_alu 0xfffe
	s_or_b32 s2, s3, s2
	s_wait_alu 0xfffe
	s_and_b32 s3, s2, s4
	s_wait_alu 0xfffe
	s_and_saveexec_b32 s2, s3
	s_cbranch_execz .LBB24_38
; %bb.37:
	ds_load_b128 v[15:18], v23
	v_mov_b32_e32 v21, v0
	v_lshlrev_b16 v0, 8, v14
	v_dual_mov_b32 v19, v2 :: v_dual_mov_b32 v20, v3
	v_mov_b32_e32 v22, v1
	s_delay_alu instid0(VALU_DEP_3)
	v_or_b32_e32 v0, 1, v0
	s_wait_dscnt 0x0
	v_dual_mov_b32 v24, v17 :: v_dual_mov_b32 v25, v18
	v_dual_mov_b32 v26, v15 :: v_dual_mov_b32 v27, v16
	ds_store_b128 v23, v[24:27]
	ds_store_b128 v10, v[19:22]
	ds_store_b16 v9, v0
.LBB24_38:
	s_wait_alu 0xfffe
	s_or_b32 exec_lo, exec_lo, s2
	s_wait_loadcnt_dscnt 0x0
	s_barrier_signal -1
	s_barrier_wait -1
	global_inv scope:SCOPE_SE
	s_and_saveexec_b32 s2, s0
	s_cbranch_execz .LBB24_43
; %bb.39:
	s_and_saveexec_b32 s0, vcc_lo
	s_cbranch_execz .LBB24_41
; %bb.40:
	v_mad_co_u64_u32 v[0:1], null, v11, s6, v[6:7]
	v_mov_b32_e32 v1, 0
	v_mad_co_u64_u32 v[2:3], null, v11, s7, v[4:5]
	ds_load_b64 v[9:10], v12
	ds_load_b64 v[11:12], v13
	v_mov_b32_e32 v3, v1
	v_lshlrev_b64_e32 v[0:1], 3, v[0:1]
	s_delay_alu instid0(VALU_DEP_2) | instskip(NEXT) | instid1(VALU_DEP_2)
	v_lshlrev_b64_e32 v[2:3], 3, v[2:3]
	v_add_co_u32 v0, vcc_lo, s8, v0
	s_wait_alu 0xfffd
	s_delay_alu instid0(VALU_DEP_3) | instskip(NEXT) | instid1(VALU_DEP_3)
	v_add_co_ci_u32_e64 v1, null, s9, v1, vcc_lo
	v_add_co_u32 v2, vcc_lo, s10, v2
	s_wait_alu 0xfffd
	v_add_co_ci_u32_e64 v3, null, s11, v3, vcc_lo
	s_wait_dscnt 0x1
	global_store_b64 v[0:1], v[9:10], off
	s_wait_dscnt 0x0
	global_store_b64 v[2:3], v[11:12], off
.LBB24_41:
	s_wait_alu 0xfffe
	s_or_b32 exec_lo, exec_lo, s0
	s_delay_alu instid0(SALU_CYCLE_1)
	s_and_b32 exec_lo, exec_lo, s1
	s_cbranch_execz .LBB24_43
; %bb.42:
	v_mad_co_u64_u32 v[0:1], null, v5, s6, v[6:7]
	v_mov_b32_e32 v1, 0
	v_mad_co_u64_u32 v[2:3], null, v5, s7, v[4:5]
	ds_load_b64 v[4:5], v7
	ds_load_b64 v[6:7], v8
	v_mov_b32_e32 v3, v1
	v_lshlrev_b64_e32 v[0:1], 3, v[0:1]
	s_delay_alu instid0(VALU_DEP_2) | instskip(NEXT) | instid1(VALU_DEP_2)
	v_lshlrev_b64_e32 v[2:3], 3, v[2:3]
	v_add_co_u32 v0, vcc_lo, s8, v0
	s_wait_alu 0xfffd
	s_delay_alu instid0(VALU_DEP_3) | instskip(NEXT) | instid1(VALU_DEP_3)
	v_add_co_ci_u32_e64 v1, null, s9, v1, vcc_lo
	v_add_co_u32 v2, vcc_lo, s10, v2
	s_wait_alu 0xfffd
	v_add_co_ci_u32_e64 v3, null, s11, v3, vcc_lo
	s_wait_dscnt 0x1
	global_store_b64 v[0:1], v[4:5], off
	s_wait_dscnt 0x0
	global_store_b64 v[2:3], v[6:7], off
.LBB24_43:
	s_endpgm
	.section	.rodata,"a",@progbits
	.p2align	6, 0x0
	.amdhsa_kernel _ZN2at6native20bitonicSortKVInPlaceILin2ELin1ELi16ELi16EllNS0_4LTOpIlLb1EEEjEEvNS_4cuda6detail10TensorInfoIT3_T6_EES8_S8_S8_NS6_IT4_S8_EES8_T5_
		.amdhsa_group_segment_fixed_size 8704
		.amdhsa_private_segment_fixed_size 0
		.amdhsa_kernarg_size 712
		.amdhsa_user_sgpr_count 2
		.amdhsa_user_sgpr_dispatch_ptr 0
		.amdhsa_user_sgpr_queue_ptr 0
		.amdhsa_user_sgpr_kernarg_segment_ptr 1
		.amdhsa_user_sgpr_dispatch_id 0
		.amdhsa_user_sgpr_private_segment_size 0
		.amdhsa_wavefront_size32 1
		.amdhsa_uses_dynamic_stack 0
		.amdhsa_enable_private_segment 0
		.amdhsa_system_sgpr_workgroup_id_x 1
		.amdhsa_system_sgpr_workgroup_id_y 1
		.amdhsa_system_sgpr_workgroup_id_z 1
		.amdhsa_system_sgpr_workgroup_info 0
		.amdhsa_system_vgpr_workitem_id 1
		.amdhsa_next_free_vgpr 44
		.amdhsa_next_free_sgpr 16
		.amdhsa_reserve_vcc 1
		.amdhsa_float_round_mode_32 0
		.amdhsa_float_round_mode_16_64 0
		.amdhsa_float_denorm_mode_32 3
		.amdhsa_float_denorm_mode_16_64 3
		.amdhsa_fp16_overflow 0
		.amdhsa_workgroup_processor_mode 1
		.amdhsa_memory_ordered 1
		.amdhsa_forward_progress 1
		.amdhsa_inst_pref_size 36
		.amdhsa_round_robin_scheduling 0
		.amdhsa_exception_fp_ieee_invalid_op 0
		.amdhsa_exception_fp_denorm_src 0
		.amdhsa_exception_fp_ieee_div_zero 0
		.amdhsa_exception_fp_ieee_overflow 0
		.amdhsa_exception_fp_ieee_underflow 0
		.amdhsa_exception_fp_ieee_inexact 0
		.amdhsa_exception_int_div_zero 0
	.end_amdhsa_kernel
	.section	.text._ZN2at6native20bitonicSortKVInPlaceILin2ELin1ELi16ELi16EllNS0_4LTOpIlLb1EEEjEEvNS_4cuda6detail10TensorInfoIT3_T6_EES8_S8_S8_NS6_IT4_S8_EES8_T5_,"axG",@progbits,_ZN2at6native20bitonicSortKVInPlaceILin2ELin1ELi16ELi16EllNS0_4LTOpIlLb1EEEjEEvNS_4cuda6detail10TensorInfoIT3_T6_EES8_S8_S8_NS6_IT4_S8_EES8_T5_,comdat
.Lfunc_end24:
	.size	_ZN2at6native20bitonicSortKVInPlaceILin2ELin1ELi16ELi16EllNS0_4LTOpIlLb1EEEjEEvNS_4cuda6detail10TensorInfoIT3_T6_EES8_S8_S8_NS6_IT4_S8_EES8_T5_, .Lfunc_end24-_ZN2at6native20bitonicSortKVInPlaceILin2ELin1ELi16ELi16EllNS0_4LTOpIlLb1EEEjEEvNS_4cuda6detail10TensorInfoIT3_T6_EES8_S8_S8_NS6_IT4_S8_EES8_T5_
                                        ; -- End function
	.set _ZN2at6native20bitonicSortKVInPlaceILin2ELin1ELi16ELi16EllNS0_4LTOpIlLb1EEEjEEvNS_4cuda6detail10TensorInfoIT3_T6_EES8_S8_S8_NS6_IT4_S8_EES8_T5_.num_vgpr, 44
	.set _ZN2at6native20bitonicSortKVInPlaceILin2ELin1ELi16ELi16EllNS0_4LTOpIlLb1EEEjEEvNS_4cuda6detail10TensorInfoIT3_T6_EES8_S8_S8_NS6_IT4_S8_EES8_T5_.num_agpr, 0
	.set _ZN2at6native20bitonicSortKVInPlaceILin2ELin1ELi16ELi16EllNS0_4LTOpIlLb1EEEjEEvNS_4cuda6detail10TensorInfoIT3_T6_EES8_S8_S8_NS6_IT4_S8_EES8_T5_.numbered_sgpr, 16
	.set _ZN2at6native20bitonicSortKVInPlaceILin2ELin1ELi16ELi16EllNS0_4LTOpIlLb1EEEjEEvNS_4cuda6detail10TensorInfoIT3_T6_EES8_S8_S8_NS6_IT4_S8_EES8_T5_.num_named_barrier, 0
	.set _ZN2at6native20bitonicSortKVInPlaceILin2ELin1ELi16ELi16EllNS0_4LTOpIlLb1EEEjEEvNS_4cuda6detail10TensorInfoIT3_T6_EES8_S8_S8_NS6_IT4_S8_EES8_T5_.private_seg_size, 0
	.set _ZN2at6native20bitonicSortKVInPlaceILin2ELin1ELi16ELi16EllNS0_4LTOpIlLb1EEEjEEvNS_4cuda6detail10TensorInfoIT3_T6_EES8_S8_S8_NS6_IT4_S8_EES8_T5_.uses_vcc, 1
	.set _ZN2at6native20bitonicSortKVInPlaceILin2ELin1ELi16ELi16EllNS0_4LTOpIlLb1EEEjEEvNS_4cuda6detail10TensorInfoIT3_T6_EES8_S8_S8_NS6_IT4_S8_EES8_T5_.uses_flat_scratch, 0
	.set _ZN2at6native20bitonicSortKVInPlaceILin2ELin1ELi16ELi16EllNS0_4LTOpIlLb1EEEjEEvNS_4cuda6detail10TensorInfoIT3_T6_EES8_S8_S8_NS6_IT4_S8_EES8_T5_.has_dyn_sized_stack, 0
	.set _ZN2at6native20bitonicSortKVInPlaceILin2ELin1ELi16ELi16EllNS0_4LTOpIlLb1EEEjEEvNS_4cuda6detail10TensorInfoIT3_T6_EES8_S8_S8_NS6_IT4_S8_EES8_T5_.has_recursion, 0
	.set _ZN2at6native20bitonicSortKVInPlaceILin2ELin1ELi16ELi16EllNS0_4LTOpIlLb1EEEjEEvNS_4cuda6detail10TensorInfoIT3_T6_EES8_S8_S8_NS6_IT4_S8_EES8_T5_.has_indirect_call, 0
	.section	.AMDGPU.csdata,"",@progbits
; Kernel info:
; codeLenInByte = 4572
; TotalNumSgprs: 18
; NumVgprs: 44
; ScratchSize: 0
; MemoryBound: 0
; FloatMode: 240
; IeeeMode: 1
; LDSByteSize: 8704 bytes/workgroup (compile time only)
; SGPRBlocks: 0
; VGPRBlocks: 5
; NumSGPRsForWavesPerEU: 18
; NumVGPRsForWavesPerEU: 44
; Occupancy: 16
; WaveLimiterHint : 1
; COMPUTE_PGM_RSRC2:SCRATCH_EN: 0
; COMPUTE_PGM_RSRC2:USER_SGPR: 2
; COMPUTE_PGM_RSRC2:TRAP_HANDLER: 0
; COMPUTE_PGM_RSRC2:TGID_X_EN: 1
; COMPUTE_PGM_RSRC2:TGID_Y_EN: 1
; COMPUTE_PGM_RSRC2:TGID_Z_EN: 1
; COMPUTE_PGM_RSRC2:TIDIG_COMP_CNT: 1
	.section	.text._ZN2at6native20bitonicSortKVInPlaceILin2ELin1ELi16ELi16EllNS0_4GTOpIlLb1EEEjEEvNS_4cuda6detail10TensorInfoIT3_T6_EES8_S8_S8_NS6_IT4_S8_EES8_T5_,"axG",@progbits,_ZN2at6native20bitonicSortKVInPlaceILin2ELin1ELi16ELi16EllNS0_4GTOpIlLb1EEEjEEvNS_4cuda6detail10TensorInfoIT3_T6_EES8_S8_S8_NS6_IT4_S8_EES8_T5_,comdat
	.protected	_ZN2at6native20bitonicSortKVInPlaceILin2ELin1ELi16ELi16EllNS0_4GTOpIlLb1EEEjEEvNS_4cuda6detail10TensorInfoIT3_T6_EES8_S8_S8_NS6_IT4_S8_EES8_T5_ ; -- Begin function _ZN2at6native20bitonicSortKVInPlaceILin2ELin1ELi16ELi16EllNS0_4GTOpIlLb1EEEjEEvNS_4cuda6detail10TensorInfoIT3_T6_EES8_S8_S8_NS6_IT4_S8_EES8_T5_
	.globl	_ZN2at6native20bitonicSortKVInPlaceILin2ELin1ELi16ELi16EllNS0_4GTOpIlLb1EEEjEEvNS_4cuda6detail10TensorInfoIT3_T6_EES8_S8_S8_NS6_IT4_S8_EES8_T5_
	.p2align	8
	.type	_ZN2at6native20bitonicSortKVInPlaceILin2ELin1ELi16ELi16EllNS0_4GTOpIlLb1EEEjEEvNS_4cuda6detail10TensorInfoIT3_T6_EES8_S8_S8_NS6_IT4_S8_EES8_T5_,@function
_ZN2at6native20bitonicSortKVInPlaceILin2ELin1ELi16ELi16EllNS0_4GTOpIlLb1EEEjEEvNS_4cuda6detail10TensorInfoIT3_T6_EES8_S8_S8_NS6_IT4_S8_EES8_T5_: ; @_ZN2at6native20bitonicSortKVInPlaceILin2ELin1ELi16ELi16EllNS0_4GTOpIlLb1EEEjEEvNS_4cuda6detail10TensorInfoIT3_T6_EES8_S8_S8_NS6_IT4_S8_EES8_T5_
; %bb.0:
	s_clause 0x2
	s_load_b64 s[2:3], s[0:1], 0x1c8
	s_load_u16 s7, s[0:1], 0x1d6
	s_load_b96 s[4:6], s[0:1], 0xd8
	s_lshr_b32 s8, ttmp7, 16
	s_wait_kmcnt 0x0
	s_mul_i32 s3, s3, s8
	s_and_b32 s8, ttmp7, 0xffff
	s_delay_alu instid0(SALU_CYCLE_1) | instskip(NEXT) | instid1(SALU_CYCLE_1)
	s_add_co_i32 s3, s3, s8
	s_mul_i32 s2, s3, s2
	s_delay_alu instid0(SALU_CYCLE_1) | instskip(NEXT) | instid1(SALU_CYCLE_1)
	s_add_co_i32 s2, s2, ttmp9
	s_mul_i32 s2, s2, s7
	s_delay_alu instid0(SALU_CYCLE_1)
	s_cmp_ge_u32 s2, s4
	s_cbranch_scc1 .LBB25_43
; %bb.1:
	s_clause 0x1
	s_load_b32 s7, s[0:1], 0x1b8
	s_load_b64 s[8:9], s[0:1], 0x0
	v_bfe_u32 v9, v0, 10, 10
	s_delay_alu instid0(VALU_DEP_1) | instskip(SKIP_2) | instid1(VALU_DEP_2)
	v_add_nc_u32_e32 v3, s2, v9
	v_mov_b32_e32 v1, 0
	s_add_nc_u64 s[2:3], s[0:1], 0xe8
	v_mov_b32_e32 v4, v3
	s_wait_kmcnt 0x0
	s_cmp_lt_i32 s7, 2
	s_cbranch_scc1 .LBB25_4
; %bb.2:
	s_add_co_i32 s10, s7, -1
	s_mov_b32 s11, 0
	v_dual_mov_b32 v1, 0 :: v_dual_mov_b32 v4, v3
	s_lshl_b64 s[10:11], s[10:11], 2
	s_add_co_i32 s7, s7, 1
	s_wait_alu 0xfffe
	s_add_nc_u64 s[10:11], s[2:3], s[10:11]
	s_delay_alu instid0(SALU_CYCLE_1)
	s_add_nc_u64 s[10:11], s[10:11], 8
.LBB25_3:                               ; =>This Inner Loop Header: Depth=1
	s_clause 0x1
	s_load_b32 s12, s[10:11], 0x0
	s_load_b32 s13, s[10:11], 0x64
	s_add_co_i32 s7, s7, -1
	s_add_nc_u64 s[10:11], s[10:11], -4
	s_wait_kmcnt 0x0
	s_cvt_f32_u32 s14, s12
	s_sub_co_i32 s15, 0, s12
	s_wait_alu 0xfffe
	s_delay_alu instid0(SALU_CYCLE_1) | instskip(NEXT) | instid1(TRANS32_DEP_1)
	v_rcp_iflag_f32_e32 v2, s14
	v_readfirstlane_b32 s14, v2
	v_mov_b32_e32 v2, v4
	s_mul_f32 s14, s14, 0x4f7ffffe
	s_wait_alu 0xfffe
	s_delay_alu instid0(SALU_CYCLE_2) | instskip(SKIP_1) | instid1(SALU_CYCLE_2)
	s_cvt_u32_f32 s14, s14
	s_wait_alu 0xfffe
	s_mul_i32 s15, s15, s14
	s_wait_alu 0xfffe
	s_mul_hi_u32 s15, s14, s15
	s_wait_alu 0xfffe
	s_add_co_i32 s14, s14, s15
	s_cmp_gt_u32 s7, 2
	s_wait_alu 0xfffe
	v_mul_hi_u32 v4, v2, s14
	s_delay_alu instid0(VALU_DEP_1) | instskip(SKIP_1) | instid1(VALU_DEP_2)
	v_mul_lo_u32 v5, v4, s12
	v_add_nc_u32_e32 v6, 1, v4
	v_sub_nc_u32_e32 v5, v2, v5
	s_delay_alu instid0(VALU_DEP_1) | instskip(SKIP_2) | instid1(VALU_DEP_2)
	v_subrev_nc_u32_e32 v7, s12, v5
	v_cmp_le_u32_e32 vcc_lo, s12, v5
	s_wait_alu 0xfffd
	v_dual_cndmask_b32 v4, v4, v6 :: v_dual_cndmask_b32 v5, v5, v7
	s_delay_alu instid0(VALU_DEP_1) | instskip(NEXT) | instid1(VALU_DEP_2)
	v_add_nc_u32_e32 v6, 1, v4
	v_cmp_le_u32_e32 vcc_lo, s12, v5
	s_wait_alu 0xfffd
	s_delay_alu instid0(VALU_DEP_2) | instskip(NEXT) | instid1(VALU_DEP_1)
	v_cndmask_b32_e32 v4, v4, v6, vcc_lo
	v_mul_lo_u32 v5, v4, s12
	s_delay_alu instid0(VALU_DEP_1) | instskip(NEXT) | instid1(VALU_DEP_1)
	v_sub_nc_u32_e32 v2, v2, v5
	v_mad_co_u64_u32 v[1:2], null, s13, v2, v[1:2]
	s_cbranch_scc1 .LBB25_3
.LBB25_4:
	s_load_b32 s13, s[0:1], 0x6c
	s_add_nc_u64 s[10:11], s[0:1], 0x1c8
	s_load_b32 s14, s[2:3], 0x6c
	s_load_b32 s12, s[10:11], 0xc
	s_clause 0x1
	s_load_b32 s7, s[0:1], 0x1c0
	s_load_b64 s[10:11], s[2:3], 0x0
	v_and_b32_e32 v11, 0x3ff, v0
	v_cmp_gt_u32_e64 s0, s4, v3
	v_mov_b32_e32 v7, 0
	v_mov_b32_e32 v8, 0
	s_wait_kmcnt 0x0
	v_mad_co_u64_u32 v[4:5], null, s14, v4, v[1:2]
	v_mul_lo_u32 v6, s13, v3
	v_mov_b32_e32 v0, 0
	v_cmp_gt_u32_e32 vcc_lo, s5, v11
	v_dual_mov_b32 v1, 0 :: v_dual_mov_b32 v2, 0
	v_mov_b32_e32 v3, 0
	s_and_b32 s2, s0, vcc_lo
	s_wait_alu 0xfffe
	s_and_saveexec_b32 s3, s2
	s_cbranch_execz .LBB25_6
; %bb.5:
	v_mad_co_u64_u32 v[2:3], null, v11, s6, v[6:7]
	v_mov_b32_e32 v3, 0
	v_mad_co_u64_u32 v[7:8], null, v11, s7, v[4:5]
	s_delay_alu instid0(VALU_DEP_2) | instskip(NEXT) | instid1(VALU_DEP_4)
	v_mov_b32_e32 v8, v3
	v_lshlrev_b64_e32 v[2:3], 3, v[2:3]
	s_delay_alu instid0(VALU_DEP_2) | instskip(NEXT) | instid1(VALU_DEP_2)
	v_lshlrev_b64_e32 v[7:8], 3, v[7:8]
	v_add_co_u32 v2, s1, s8, v2
	s_delay_alu instid0(VALU_DEP_1) | instskip(NEXT) | instid1(VALU_DEP_3)
	v_add_co_ci_u32_e64 v3, null, s9, v3, s1
	v_add_co_u32 v7, s1, s10, v7
	s_wait_alu 0xf1ff
	s_delay_alu instid0(VALU_DEP_4)
	v_add_co_ci_u32_e64 v8, null, s11, v8, s1
	global_load_b64 v[2:3], v[2:3], off
	global_load_b64 v[7:8], v[7:8], off
.LBB25_6:
	s_wait_alu 0xfffe
	s_or_b32 exec_lo, exec_lo, s3
	v_lshlrev_b32_e32 v15, 8, v9
	s_and_b32 s3, 0xffff, s12
	v_lshlrev_b32_e32 v16, 3, v11
	s_wait_alu 0xfffe
	v_add_nc_u32_e32 v5, s3, v11
	v_lshl_add_u32 v17, v9, 5, 0x2000
	v_mov_b32_e32 v9, 0
	v_mov_b32_e32 v10, 0
	v_add_nc_u32_e32 v14, 0x1000, v15
	v_cmp_gt_u32_e64 s1, s5, v5
	v_add_nc_u32_e32 v12, v15, v16
	v_cndmask_b32_e64 v18, 0, 1, s2
	v_add_nc_u32_e32 v19, v17, v11
	v_add_nc_u32_e32 v13, v14, v16
	s_and_b32 s4, s0, s1
	s_wait_loadcnt 0x1
	ds_store_b64 v12, v[2:3]
	s_wait_loadcnt 0x0
	ds_store_b64 v13, v[7:8]
	ds_store_b8 v19, v18
	s_wait_alu 0xfffe
	s_and_saveexec_b32 s5, s4
	s_cbranch_execz .LBB25_8
; %bb.7:
	v_mad_co_u64_u32 v[0:1], null, v5, s6, v[6:7]
	v_mov_b32_e32 v1, 0
	v_mad_co_u64_u32 v[2:3], null, v5, s7, v[4:5]
	s_delay_alu instid0(VALU_DEP_2) | instskip(NEXT) | instid1(VALU_DEP_4)
	v_mov_b32_e32 v3, v1
	v_lshlrev_b64_e32 v[0:1], 3, v[0:1]
	s_delay_alu instid0(VALU_DEP_2) | instskip(NEXT) | instid1(VALU_DEP_2)
	v_lshlrev_b64_e32 v[2:3], 3, v[2:3]
	v_add_co_u32 v0, s2, s8, v0
	s_wait_alu 0xf1ff
	s_delay_alu instid0(VALU_DEP_3) | instskip(NEXT) | instid1(VALU_DEP_3)
	v_add_co_ci_u32_e64 v1, null, s9, v1, s2
	v_add_co_u32 v2, s2, s10, v2
	s_wait_alu 0xf1ff
	v_add_co_ci_u32_e64 v3, null, s11, v3, s2
	global_load_b64 v[0:1], v[0:1], off
	global_load_b64 v[9:10], v[2:3], off
.LBB25_8:
	s_wait_alu 0xfffe
	s_or_b32 exec_lo, exec_lo, s5
	s_lshl_b32 s2, s3, 3
	v_lshlrev_b32_e32 v20, 1, v11
	s_wait_alu 0xfffe
	v_add_nc_u32_e32 v7, s2, v12
	v_add_nc_u32_e32 v8, s2, v13
	v_cndmask_b32_e64 v2, 0, 1, s4
	v_add_nc_u32_e32 v3, v17, v5
	v_and_b32_e32 v18, 1, v11
	s_wait_loadcnt 0x1
	ds_store_b64 v7, v[0:1]
	s_wait_loadcnt 0x0
	ds_store_b64 v8, v[9:10]
	ds_store_b8 v3, v2
	v_add_nc_u32_e32 v9, v17, v20
	v_add_nc_u32_e32 v10, v12, v16
	s_wait_dscnt 0x0
	s_barrier_signal -1
	s_barrier_wait -1
	global_inv scope:SCOPE_SE
	ds_load_u16 v22, v9
	ds_load_b128 v[0:3], v10
	s_wait_dscnt 0x1
	v_lshrrev_b16 v19, 8, v22
	v_and_b32_e32 v21, 1, v22
	s_wait_dscnt 0x0
	v_cmp_gt_i64_e64 s2, v[0:1], v[2:3]
	s_delay_alu instid0(VALU_DEP_3) | instskip(NEXT) | instid1(VALU_DEP_3)
	v_cmp_ne_u16_e64 s4, v19, v18
	v_cmp_eq_u32_e64 s3, 1, v21
	s_wait_alu 0xf1ff
	s_delay_alu instid0(VALU_DEP_2) | instskip(SKIP_2) | instid1(VALU_DEP_1)
	v_cndmask_b32_e64 v21, 0, 1, s4
	s_and_b32 s2, s2, s3
	s_wait_alu 0xfffe
	v_cndmask_b32_e64 v21, v21, v11, s2
	s_delay_alu instid0(VALU_DEP_1) | instskip(NEXT) | instid1(VALU_DEP_1)
	v_and_b32_e32 v21, 1, v21
	v_cmp_eq_u32_e64 s2, 1, v21
	v_add_nc_u32_e32 v21, v13, v16
	s_and_saveexec_b32 s3, s2
	s_wait_alu 0xfffe
	s_xor_b32 s2, exec_lo, s3
	s_cbranch_execz .LBB25_10
; %bb.9:
	ds_load_b128 v[23:26], v21
	v_mov_b32_e32 v29, v0
	v_lshlrev_b16 v0, 8, v22
	v_dual_mov_b32 v27, v2 :: v_dual_mov_b32 v28, v3
	v_mov_b32_e32 v30, v1
	s_delay_alu instid0(VALU_DEP_3)
	v_or_b32_e32 v0, v19, v0
	s_wait_dscnt 0x0
	v_dual_mov_b32 v31, v25 :: v_dual_mov_b32 v34, v24
	v_dual_mov_b32 v32, v26 :: v_dual_mov_b32 v33, v23
	ds_store_b128 v21, v[31:34]
	ds_store_b128 v10, v[27:30]
	ds_store_b16 v9, v0
.LBB25_10:
	s_wait_alu 0xfffe
	s_or_b32 exec_lo, exec_lo, s2
	v_sub_nc_u32_e32 v19, v20, v18
	s_wait_loadcnt_dscnt 0x0
	s_barrier_signal -1
	s_barrier_wait -1
	global_inv scope:SCOPE_SE
	v_add_nc_u32_e32 v16, v17, v19
	v_lshl_add_u32 v18, v19, 3, v15
	v_bfe_u32 v25, v11, 1, 1
	v_lshl_add_u32 v19, v19, 3, v14
	ds_load_u8 v23, v16
	ds_load_2addr_b64 v[0:3], v18 offset1:2
	ds_load_u8 v24, v16 offset:2
	s_wait_dscnt 0x2
	v_and_b32_e32 v22, 1, v23
	s_wait_dscnt 0x1
	v_cmp_gt_i64_e64 s2, v[0:1], v[2:3]
	s_wait_dscnt 0x0
	v_cmp_ne_u16_e64 s4, v24, v25
	v_cmp_eq_u32_e64 s3, 1, v22
	s_wait_alu 0xf1ff
	s_delay_alu instid0(VALU_DEP_2) | instskip(SKIP_2) | instid1(VALU_DEP_1)
	v_cndmask_b32_e64 v22, 0, 1, s4
	s_and_b32 s2, s2, s3
	s_wait_alu 0xfffe
	v_cndmask_b32_e64 v25, v22, v25, s2
	v_and_b32_e32 v22, 2, v11
	s_delay_alu instid0(VALU_DEP_2) | instskip(NEXT) | instid1(VALU_DEP_2)
	v_and_b32_e32 v25, 1, v25
	v_cmp_ne_u32_e64 s2, 0, v22
	s_delay_alu instid0(VALU_DEP_2)
	v_cmp_eq_u32_e64 s3, 1, v25
	s_and_saveexec_b32 s4, s3
	s_wait_alu 0xfffe
	s_xor_b32 s3, exec_lo, s4
	s_cbranch_execz .LBB25_12
; %bb.11:
	ds_load_2addr_b64 v[25:28], v19 offset1:2
	ds_store_2addr_b64 v18, v[2:3], v[0:1] offset1:2
	s_wait_dscnt 0x1
	ds_store_2addr_b64 v19, v[27:28], v[25:26] offset1:2
	ds_store_b8 v16, v24
	ds_store_b8 v16, v23 offset:2
.LBB25_12:
	s_wait_alu 0xfffe
	s_or_b32 exec_lo, exec_lo, s3
	s_wait_loadcnt_dscnt 0x0
	s_barrier_signal -1
	s_barrier_wait -1
	global_inv scope:SCOPE_SE
	ds_load_u16 v23, v9
	ds_load_b128 v[0:3], v10
	v_lshrrev_b32_e32 v24, 1, v22
	v_cndmask_b32_e64 v26, 0, 1, s2
	s_wait_dscnt 0x1
	v_lshrrev_b16 v22, 8, v23
	v_and_b32_e32 v25, 1, v23
	s_wait_dscnt 0x0
	v_cmp_gt_i64_e64 s2, v[0:1], v[2:3]
	s_delay_alu instid0(VALU_DEP_3) | instskip(NEXT) | instid1(VALU_DEP_3)
	v_cmp_ne_u16_e64 s4, v22, v24
	v_cmp_eq_u32_e64 s3, 1, v25
	s_wait_alu 0xf1ff
	s_delay_alu instid0(VALU_DEP_2) | instskip(SKIP_3) | instid1(VALU_DEP_1)
	v_cndmask_b32_e64 v24, 0, 1, s4
	s_and_b32 s2, s2, s3
	s_mov_b32 s3, exec_lo
	s_wait_alu 0xfffe
	v_cndmask_b32_e64 v24, v24, v26, s2
	s_delay_alu instid0(VALU_DEP_1) | instskip(NEXT) | instid1(VALU_DEP_1)
	v_and_b32_e32 v24, 1, v24
	v_cmpx_eq_u32_e32 1, v24
	s_cbranch_execz .LBB25_14
; %bb.13:
	ds_load_b128 v[24:27], v21
	v_mov_b32_e32 v30, v0
	v_lshlrev_b16 v0, 8, v23
	v_dual_mov_b32 v28, v2 :: v_dual_mov_b32 v29, v3
	v_mov_b32_e32 v31, v1
	s_delay_alu instid0(VALU_DEP_3)
	v_or_b32_e32 v0, v22, v0
	s_wait_dscnt 0x0
	v_dual_mov_b32 v32, v26 :: v_dual_mov_b32 v35, v25
	v_dual_mov_b32 v33, v27 :: v_dual_mov_b32 v34, v24
	ds_store_b128 v21, v[32:35]
	ds_store_b128 v10, v[28:31]
	ds_store_b16 v9, v0
.LBB25_14:
	s_or_b32 exec_lo, exec_lo, s3
	v_and_b32_e32 v0, 3, v11
	s_wait_loadcnt_dscnt 0x0
	s_barrier_signal -1
	s_barrier_wait -1
	global_inv scope:SCOPE_SE
	v_sub_nc_u32_e32 v24, v20, v0
	v_bfe_u32 v27, v11, 2, 1
	s_delay_alu instid0(VALU_DEP_2)
	v_add_nc_u32_e32 v21, v17, v24
	v_lshl_add_u32 v22, v24, 3, v15
	v_lshl_add_u32 v24, v24, 3, v14
	ds_load_u8 v25, v21
	ds_load_2addr_b64 v[0:3], v22 offset1:4
	ds_load_u8 v26, v21 offset:4
	s_wait_dscnt 0x2
	v_and_b32_e32 v23, 1, v25
	s_wait_dscnt 0x1
	v_cmp_gt_i64_e64 s2, v[0:1], v[2:3]
	s_wait_dscnt 0x0
	v_cmp_ne_u16_e64 s4, v26, v27
	v_cmp_eq_u32_e64 s3, 1, v23
	s_wait_alu 0xf1ff
	s_delay_alu instid0(VALU_DEP_2) | instskip(SKIP_3) | instid1(VALU_DEP_1)
	v_cndmask_b32_e64 v23, 0, 1, s4
	s_mov_b32 s4, exec_lo
	s_and_b32 s2, s2, s3
	s_wait_alu 0xfffe
	v_cndmask_b32_e64 v27, v23, v27, s2
	v_and_b32_e32 v23, 4, v11
	s_delay_alu instid0(VALU_DEP_2) | instskip(NEXT) | instid1(VALU_DEP_2)
	v_and_b32_e32 v27, 1, v27
	v_cmp_ne_u32_e64 s2, 0, v23
	s_delay_alu instid0(VALU_DEP_2)
	v_cmpx_eq_u32_e32 1, v27
	s_cbranch_execz .LBB25_16
; %bb.15:
	ds_load_2addr_b64 v[27:30], v24 offset1:4
	ds_store_2addr_b64 v22, v[2:3], v[0:1] offset1:4
	s_wait_dscnt 0x1
	ds_store_2addr_b64 v24, v[29:30], v[27:28] offset1:4
	ds_store_b8 v21, v26
	ds_store_b8 v21, v25 offset:4
.LBB25_16:
	s_or_b32 exec_lo, exec_lo, s4
	s_wait_loadcnt_dscnt 0x0
	s_barrier_signal -1
	s_barrier_wait -1
	global_inv scope:SCOPE_SE
	ds_load_u8 v26, v16
	ds_load_2addr_b64 v[0:3], v18 offset1:2
	ds_load_u8 v27, v16 offset:2
	v_lshrrev_b32_e32 v23, 2, v23
	v_cndmask_b32_e64 v25, 0, 1, s2
	s_wait_dscnt 0x2
	v_and_b32_e32 v28, 1, v26
	s_wait_dscnt 0x1
	v_cmp_gt_i64_e64 s2, v[0:1], v[2:3]
	s_wait_dscnt 0x0
	v_cmp_ne_u16_e64 s4, v27, v23
	v_cmp_eq_u32_e64 s3, 1, v28
	s_wait_alu 0xf1ff
	s_delay_alu instid0(VALU_DEP_2) | instskip(SKIP_3) | instid1(VALU_DEP_1)
	v_cndmask_b32_e64 v28, 0, 1, s4
	s_and_b32 s2, s2, s3
	s_mov_b32 s3, exec_lo
	s_wait_alu 0xfffe
	v_cndmask_b32_e64 v28, v28, v25, s2
	s_delay_alu instid0(VALU_DEP_1) | instskip(NEXT) | instid1(VALU_DEP_1)
	v_and_b32_e32 v28, 1, v28
	v_cmpx_eq_u32_e32 1, v28
	s_cbranch_execz .LBB25_18
; %bb.17:
	ds_load_2addr_b64 v[28:31], v19 offset1:2
	ds_store_2addr_b64 v18, v[2:3], v[0:1] offset1:2
	s_wait_dscnt 0x1
	ds_store_2addr_b64 v19, v[30:31], v[28:29] offset1:2
	ds_store_b8 v16, v27
	ds_store_b8 v16, v26 offset:2
.LBB25_18:
	s_or_b32 exec_lo, exec_lo, s3
	s_wait_loadcnt_dscnt 0x0
	s_barrier_signal -1
	s_barrier_wait -1
	global_inv scope:SCOPE_SE
	ds_load_u16 v27, v9
	ds_load_b128 v[0:3], v10
	s_wait_dscnt 0x1
	v_lshrrev_b16 v26, 8, v27
	v_and_b32_e32 v28, 1, v27
	s_wait_dscnt 0x0
	v_cmp_gt_i64_e64 s2, v[0:1], v[2:3]
	s_delay_alu instid0(VALU_DEP_3) | instskip(NEXT) | instid1(VALU_DEP_3)
	v_cmp_ne_u16_e64 s4, v26, v23
	v_cmp_eq_u32_e64 s3, 1, v28
	s_wait_alu 0xf1ff
	s_delay_alu instid0(VALU_DEP_2) | instskip(SKIP_2) | instid1(VALU_DEP_1)
	v_cndmask_b32_e64 v23, 0, 1, s4
	s_and_b32 s2, s2, s3
	s_wait_alu 0xfffe
	v_cndmask_b32_e64 v23, v23, v25, s2
	s_delay_alu instid0(VALU_DEP_1) | instskip(NEXT) | instid1(VALU_DEP_1)
	v_and_b32_e32 v23, 1, v23
	v_cmp_eq_u32_e64 s2, 1, v23
	v_lshl_add_u32 v23, v20, 3, v14
	s_and_saveexec_b32 s3, s2
	s_cbranch_execz .LBB25_20
; %bb.19:
	ds_load_b128 v[28:31], v23
	v_mov_b32_e32 v34, v0
	v_lshlrev_b16 v0, 8, v27
	v_dual_mov_b32 v32, v2 :: v_dual_mov_b32 v33, v3
	v_mov_b32_e32 v35, v1
	s_delay_alu instid0(VALU_DEP_3)
	v_or_b32_e32 v0, v26, v0
	s_wait_dscnt 0x0
	v_dual_mov_b32 v36, v30 :: v_dual_mov_b32 v39, v29
	v_dual_mov_b32 v37, v31 :: v_dual_mov_b32 v38, v28
	ds_store_b128 v23, v[36:39]
	ds_store_b128 v10, v[32:35]
	ds_store_b16 v9, v0
.LBB25_20:
	s_wait_alu 0xfffe
	s_or_b32 exec_lo, exec_lo, s3
	v_and_b32_e32 v0, 7, v11
	s_wait_loadcnt_dscnt 0x0
	s_barrier_signal -1
	s_barrier_wait -1
	global_inv scope:SCOPE_SE
	v_sub_nc_u32_e32 v27, v20, v0
	v_bfe_u32 v31, v11, 3, 1
	s_delay_alu instid0(VALU_DEP_2)
	v_add_nc_u32_e32 v25, v17, v27
	v_lshl_add_u32 v26, v27, 3, v15
	v_lshl_add_u32 v27, v27, 3, v14
	ds_load_u8 v29, v25
	ds_load_2addr_b64 v[0:3], v26 offset1:8
	ds_load_u8 v30, v25 offset:8
	s_wait_dscnt 0x2
	v_and_b32_e32 v28, 1, v29
	s_wait_dscnt 0x1
	v_cmp_gt_i64_e64 s2, v[0:1], v[2:3]
	s_wait_dscnt 0x0
	v_cmp_ne_u16_e64 s4, v30, v31
	v_cmp_eq_u32_e64 s3, 1, v28
	s_wait_alu 0xf1ff
	s_delay_alu instid0(VALU_DEP_2) | instskip(SKIP_3) | instid1(VALU_DEP_1)
	v_cndmask_b32_e64 v28, 0, 1, s4
	s_mov_b32 s4, exec_lo
	s_and_b32 s2, s2, s3
	s_wait_alu 0xfffe
	v_cndmask_b32_e64 v31, v28, v31, s2
	v_and_b32_e32 v28, 8, v11
	s_delay_alu instid0(VALU_DEP_2) | instskip(NEXT) | instid1(VALU_DEP_2)
	v_and_b32_e32 v31, 1, v31
	v_cmp_ne_u32_e64 s2, 0, v28
	s_delay_alu instid0(VALU_DEP_2)
	v_cmpx_eq_u32_e32 1, v31
	s_cbranch_execz .LBB25_22
; %bb.21:
	ds_load_2addr_b64 v[31:34], v27 offset1:8
	ds_store_2addr_b64 v26, v[2:3], v[0:1] offset1:8
	s_wait_dscnt 0x1
	ds_store_2addr_b64 v27, v[33:34], v[31:32] offset1:8
	ds_store_b8 v25, v30
	ds_store_b8 v25, v29 offset:8
.LBB25_22:
	s_or_b32 exec_lo, exec_lo, s4
	s_wait_loadcnt_dscnt 0x0
	s_barrier_signal -1
	s_barrier_wait -1
	global_inv scope:SCOPE_SE
	ds_load_u8 v30, v21
	ds_load_2addr_b64 v[0:3], v22 offset1:4
	ds_load_u8 v31, v21 offset:4
	v_lshrrev_b32_e32 v28, 3, v28
	v_cndmask_b32_e64 v29, 0, 1, s2
	s_wait_dscnt 0x2
	v_and_b32_e32 v32, 1, v30
	s_wait_dscnt 0x1
	v_cmp_gt_i64_e64 s2, v[0:1], v[2:3]
	s_wait_dscnt 0x0
	v_cmp_ne_u16_e64 s4, v31, v28
	v_cmp_eq_u32_e64 s3, 1, v32
	s_wait_alu 0xf1ff
	s_delay_alu instid0(VALU_DEP_2) | instskip(SKIP_3) | instid1(VALU_DEP_1)
	v_cndmask_b32_e64 v32, 0, 1, s4
	s_and_b32 s2, s2, s3
	s_mov_b32 s3, exec_lo
	s_wait_alu 0xfffe
	v_cndmask_b32_e64 v32, v32, v29, s2
	s_delay_alu instid0(VALU_DEP_1) | instskip(NEXT) | instid1(VALU_DEP_1)
	v_and_b32_e32 v32, 1, v32
	v_cmpx_eq_u32_e32 1, v32
	s_cbranch_execz .LBB25_24
; %bb.23:
	ds_load_2addr_b64 v[32:35], v24 offset1:4
	ds_store_2addr_b64 v22, v[2:3], v[0:1] offset1:4
	s_wait_dscnt 0x1
	ds_store_2addr_b64 v24, v[34:35], v[32:33] offset1:4
	ds_store_b8 v21, v31
	ds_store_b8 v21, v30 offset:4
.LBB25_24:
	s_or_b32 exec_lo, exec_lo, s3
	s_wait_loadcnt_dscnt 0x0
	s_barrier_signal -1
	s_barrier_wait -1
	global_inv scope:SCOPE_SE
	ds_load_u8 v30, v16
	ds_load_2addr_b64 v[0:3], v18 offset1:2
	ds_load_u8 v31, v16 offset:2
	s_wait_dscnt 0x2
	v_and_b32_e32 v32, 1, v30
	s_wait_dscnt 0x1
	v_cmp_gt_i64_e64 s2, v[0:1], v[2:3]
	s_wait_dscnt 0x0
	v_cmp_ne_u16_e64 s4, v31, v28
	v_cmp_eq_u32_e64 s3, 1, v32
	s_wait_alu 0xf1ff
	s_delay_alu instid0(VALU_DEP_2) | instskip(SKIP_3) | instid1(VALU_DEP_1)
	v_cndmask_b32_e64 v32, 0, 1, s4
	s_and_b32 s2, s2, s3
	s_mov_b32 s3, exec_lo
	s_wait_alu 0xfffe
	v_cndmask_b32_e64 v32, v32, v29, s2
	s_delay_alu instid0(VALU_DEP_1) | instskip(NEXT) | instid1(VALU_DEP_1)
	v_and_b32_e32 v32, 1, v32
	v_cmpx_eq_u32_e32 1, v32
	s_cbranch_execz .LBB25_26
; %bb.25:
	ds_load_2addr_b64 v[32:35], v19 offset1:2
	ds_store_2addr_b64 v18, v[2:3], v[0:1] offset1:2
	s_wait_dscnt 0x1
	ds_store_2addr_b64 v19, v[34:35], v[32:33] offset1:2
	ds_store_b8 v16, v31
	ds_store_b8 v16, v30 offset:2
.LBB25_26:
	s_or_b32 exec_lo, exec_lo, s3
	s_wait_loadcnt_dscnt 0x0
	s_barrier_signal -1
	s_barrier_wait -1
	global_inv scope:SCOPE_SE
	ds_load_u16 v31, v9
	ds_load_b128 v[0:3], v10
	s_wait_dscnt 0x1
	v_lshrrev_b16 v30, 8, v31
	v_and_b32_e32 v32, 1, v31
	s_wait_dscnt 0x0
	v_cmp_gt_i64_e64 s2, v[0:1], v[2:3]
	s_delay_alu instid0(VALU_DEP_3) | instskip(NEXT) | instid1(VALU_DEP_3)
	v_cmp_ne_u16_e64 s4, v30, v28
	v_cmp_eq_u32_e64 s3, 1, v32
	s_wait_alu 0xf1ff
	s_delay_alu instid0(VALU_DEP_2) | instskip(SKIP_3) | instid1(VALU_DEP_1)
	v_cndmask_b32_e64 v28, 0, 1, s4
	s_and_b32 s2, s2, s3
	s_mov_b32 s3, exec_lo
	s_wait_alu 0xfffe
	v_cndmask_b32_e64 v28, v28, v29, s2
	s_delay_alu instid0(VALU_DEP_1) | instskip(NEXT) | instid1(VALU_DEP_1)
	v_and_b32_e32 v28, 1, v28
	v_cmpx_eq_u32_e32 1, v28
	s_cbranch_execz .LBB25_28
; %bb.27:
	ds_load_b128 v[32:35], v23
	v_mov_b32_e32 v38, v0
	v_lshlrev_b16 v0, 8, v31
	v_dual_mov_b32 v36, v2 :: v_dual_mov_b32 v37, v3
	v_mov_b32_e32 v39, v1
	s_delay_alu instid0(VALU_DEP_3)
	v_or_b32_e32 v0, v30, v0
	s_wait_dscnt 0x0
	v_dual_mov_b32 v40, v34 :: v_dual_mov_b32 v43, v33
	v_dual_mov_b32 v41, v35 :: v_dual_mov_b32 v42, v32
	ds_store_b128 v23, v[40:43]
	ds_store_b128 v10, v[36:39]
	ds_store_b16 v9, v0
.LBB25_28:
	s_or_b32 exec_lo, exec_lo, s3
	v_and_b32_e32 v0, 15, v11
	s_wait_loadcnt_dscnt 0x0
	s_barrier_signal -1
	s_barrier_wait -1
	global_inv scope:SCOPE_SE
	v_sub_nc_u32_e32 v20, v20, v0
	s_delay_alu instid0(VALU_DEP_1)
	v_add_nc_u32_e32 v17, v17, v20
	v_lshl_add_u32 v15, v20, 3, v15
	ds_load_u8 v28, v17
	ds_load_u8 v29, v17 offset:16
	ds_load_2addr_b64 v[0:3], v15 offset1:16
	s_wait_dscnt 0x1
	v_and_b32_e32 v29, 0xff, v29
	v_and_b32_e32 v30, 1, v28
	s_wait_dscnt 0x0
	v_cmp_le_i64_e64 s3, v[0:1], v[2:3]
	s_delay_alu instid0(VALU_DEP_3) | instskip(NEXT) | instid1(VALU_DEP_3)
	v_cmp_ne_u16_e64 s4, 0, v29
	v_cmp_eq_u32_e64 s2, 1, v30
	s_xor_b32 s2, s2, -1
	s_wait_alu 0xfffe
	s_or_b32 s2, s3, s2
	s_wait_alu 0xfffe
	s_and_b32 s3, s2, s4
	s_wait_alu 0xfffe
	s_and_saveexec_b32 s2, s3
	s_cbranch_execz .LBB25_30
; %bb.29:
	v_lshl_add_u32 v14, v20, 3, v14
	v_mov_b32_e32 v20, 1
	ds_load_2addr_b64 v[29:32], v14 offset1:16
	ds_store_2addr_b64 v15, v[2:3], v[0:1] offset1:16
	s_wait_dscnt 0x1
	ds_store_2addr_b64 v14, v[31:32], v[29:30] offset1:16
	ds_store_b8 v17, v20
	ds_store_b8 v17, v28 offset:16
.LBB25_30:
	s_wait_alu 0xfffe
	s_or_b32 exec_lo, exec_lo, s2
	s_wait_loadcnt_dscnt 0x0
	s_barrier_signal -1
	s_barrier_wait -1
	global_inv scope:SCOPE_SE
	ds_load_u8 v14, v25
	ds_load_u8 v15, v25 offset:8
	ds_load_2addr_b64 v[0:3], v26 offset1:8
	s_wait_dscnt 0x2
	v_and_b32_e32 v17, 1, v14
	s_wait_dscnt 0x1
	v_and_b32_e32 v15, 0xff, v15
	s_wait_dscnt 0x0
	v_cmp_le_i64_e64 s3, v[0:1], v[2:3]
	v_cmp_eq_u32_e64 s2, 1, v17
	s_delay_alu instid0(VALU_DEP_3)
	v_cmp_ne_u16_e64 s4, 0, v15
	s_xor_b32 s2, s2, -1
	s_wait_alu 0xfffe
	s_or_b32 s2, s3, s2
	s_wait_alu 0xfffe
	s_and_b32 s3, s2, s4
	s_wait_alu 0xfffe
	s_and_saveexec_b32 s2, s3
	s_cbranch_execz .LBB25_32
; %bb.31:
	ds_load_2addr_b64 v[28:31], v27 offset1:8
	v_mov_b32_e32 v15, 1
	ds_store_2addr_b64 v26, v[2:3], v[0:1] offset1:8
	s_wait_dscnt 0x1
	ds_store_2addr_b64 v27, v[30:31], v[28:29] offset1:8
	ds_store_b8 v25, v15
	ds_store_b8 v25, v14 offset:8
.LBB25_32:
	s_wait_alu 0xfffe
	s_or_b32 exec_lo, exec_lo, s2
	s_wait_loadcnt_dscnt 0x0
	s_barrier_signal -1
	s_barrier_wait -1
	global_inv scope:SCOPE_SE
	ds_load_u8 v14, v21
	ds_load_u8 v15, v21 offset:4
	ds_load_2addr_b64 v[0:3], v22 offset1:4
	s_wait_dscnt 0x2
	v_and_b32_e32 v17, 1, v14
	s_wait_dscnt 0x1
	v_and_b32_e32 v15, 0xff, v15
	s_wait_dscnt 0x0
	v_cmp_le_i64_e64 s3, v[0:1], v[2:3]
	v_cmp_eq_u32_e64 s2, 1, v17
	s_delay_alu instid0(VALU_DEP_3)
	v_cmp_ne_u16_e64 s4, 0, v15
	s_xor_b32 s2, s2, -1
	s_wait_alu 0xfffe
	s_or_b32 s2, s3, s2
	s_wait_alu 0xfffe
	s_and_b32 s3, s2, s4
	s_wait_alu 0xfffe
	s_and_saveexec_b32 s2, s3
	s_cbranch_execz .LBB25_34
; %bb.33:
	ds_load_2addr_b64 v[25:28], v24 offset1:4
	v_mov_b32_e32 v15, 1
	ds_store_2addr_b64 v22, v[2:3], v[0:1] offset1:4
	s_wait_dscnt 0x1
	ds_store_2addr_b64 v24, v[27:28], v[25:26] offset1:4
	ds_store_b8 v21, v15
	ds_store_b8 v21, v14 offset:4
.LBB25_34:
	;; [unrolled: 35-line block ×3, first 2 shown]
	s_wait_alu 0xfffe
	s_or_b32 exec_lo, exec_lo, s2
	s_wait_loadcnt_dscnt 0x0
	s_barrier_signal -1
	s_barrier_wait -1
	global_inv scope:SCOPE_SE
	ds_load_u16 v14, v9
	ds_load_b128 v[0:3], v10
	s_wait_dscnt 0x1
	v_and_b32_e32 v15, 1, v14
	v_lshrrev_b16 v16, 8, v14
	s_wait_dscnt 0x0
	v_cmp_le_i64_e64 s3, v[0:1], v[2:3]
	s_delay_alu instid0(VALU_DEP_3) | instskip(NEXT) | instid1(VALU_DEP_3)
	v_cmp_eq_u32_e64 s2, 1, v15
	v_cmp_ne_u16_e64 s4, 0, v16
	s_xor_b32 s2, s2, -1
	s_wait_alu 0xfffe
	s_or_b32 s2, s3, s2
	s_wait_alu 0xfffe
	s_and_b32 s3, s2, s4
	s_wait_alu 0xfffe
	s_and_saveexec_b32 s2, s3
	s_cbranch_execz .LBB25_38
; %bb.37:
	ds_load_b128 v[15:18], v23
	v_mov_b32_e32 v21, v0
	v_lshlrev_b16 v0, 8, v14
	v_dual_mov_b32 v19, v2 :: v_dual_mov_b32 v20, v3
	v_mov_b32_e32 v22, v1
	s_delay_alu instid0(VALU_DEP_3)
	v_or_b32_e32 v0, 1, v0
	s_wait_dscnt 0x0
	v_dual_mov_b32 v24, v17 :: v_dual_mov_b32 v25, v18
	v_dual_mov_b32 v26, v15 :: v_dual_mov_b32 v27, v16
	ds_store_b128 v23, v[24:27]
	ds_store_b128 v10, v[19:22]
	ds_store_b16 v9, v0
.LBB25_38:
	s_wait_alu 0xfffe
	s_or_b32 exec_lo, exec_lo, s2
	s_wait_loadcnt_dscnt 0x0
	s_barrier_signal -1
	s_barrier_wait -1
	global_inv scope:SCOPE_SE
	s_and_saveexec_b32 s2, s0
	s_cbranch_execz .LBB25_43
; %bb.39:
	s_and_saveexec_b32 s0, vcc_lo
	s_cbranch_execz .LBB25_41
; %bb.40:
	v_mad_co_u64_u32 v[0:1], null, v11, s6, v[6:7]
	v_mov_b32_e32 v1, 0
	v_mad_co_u64_u32 v[2:3], null, v11, s7, v[4:5]
	ds_load_b64 v[9:10], v12
	ds_load_b64 v[11:12], v13
	v_mov_b32_e32 v3, v1
	v_lshlrev_b64_e32 v[0:1], 3, v[0:1]
	s_delay_alu instid0(VALU_DEP_2) | instskip(NEXT) | instid1(VALU_DEP_2)
	v_lshlrev_b64_e32 v[2:3], 3, v[2:3]
	v_add_co_u32 v0, vcc_lo, s8, v0
	s_wait_alu 0xfffd
	s_delay_alu instid0(VALU_DEP_3) | instskip(NEXT) | instid1(VALU_DEP_3)
	v_add_co_ci_u32_e64 v1, null, s9, v1, vcc_lo
	v_add_co_u32 v2, vcc_lo, s10, v2
	s_wait_alu 0xfffd
	v_add_co_ci_u32_e64 v3, null, s11, v3, vcc_lo
	s_wait_dscnt 0x1
	global_store_b64 v[0:1], v[9:10], off
	s_wait_dscnt 0x0
	global_store_b64 v[2:3], v[11:12], off
.LBB25_41:
	s_wait_alu 0xfffe
	s_or_b32 exec_lo, exec_lo, s0
	s_delay_alu instid0(SALU_CYCLE_1)
	s_and_b32 exec_lo, exec_lo, s1
	s_cbranch_execz .LBB25_43
; %bb.42:
	v_mad_co_u64_u32 v[0:1], null, v5, s6, v[6:7]
	v_mov_b32_e32 v1, 0
	v_mad_co_u64_u32 v[2:3], null, v5, s7, v[4:5]
	ds_load_b64 v[4:5], v7
	ds_load_b64 v[6:7], v8
	v_mov_b32_e32 v3, v1
	v_lshlrev_b64_e32 v[0:1], 3, v[0:1]
	s_delay_alu instid0(VALU_DEP_2) | instskip(NEXT) | instid1(VALU_DEP_2)
	v_lshlrev_b64_e32 v[2:3], 3, v[2:3]
	v_add_co_u32 v0, vcc_lo, s8, v0
	s_wait_alu 0xfffd
	s_delay_alu instid0(VALU_DEP_3) | instskip(NEXT) | instid1(VALU_DEP_3)
	v_add_co_ci_u32_e64 v1, null, s9, v1, vcc_lo
	v_add_co_u32 v2, vcc_lo, s10, v2
	s_wait_alu 0xfffd
	v_add_co_ci_u32_e64 v3, null, s11, v3, vcc_lo
	s_wait_dscnt 0x1
	global_store_b64 v[0:1], v[4:5], off
	s_wait_dscnt 0x0
	global_store_b64 v[2:3], v[6:7], off
.LBB25_43:
	s_endpgm
	.section	.rodata,"a",@progbits
	.p2align	6, 0x0
	.amdhsa_kernel _ZN2at6native20bitonicSortKVInPlaceILin2ELin1ELi16ELi16EllNS0_4GTOpIlLb1EEEjEEvNS_4cuda6detail10TensorInfoIT3_T6_EES8_S8_S8_NS6_IT4_S8_EES8_T5_
		.amdhsa_group_segment_fixed_size 8704
		.amdhsa_private_segment_fixed_size 0
		.amdhsa_kernarg_size 712
		.amdhsa_user_sgpr_count 2
		.amdhsa_user_sgpr_dispatch_ptr 0
		.amdhsa_user_sgpr_queue_ptr 0
		.amdhsa_user_sgpr_kernarg_segment_ptr 1
		.amdhsa_user_sgpr_dispatch_id 0
		.amdhsa_user_sgpr_private_segment_size 0
		.amdhsa_wavefront_size32 1
		.amdhsa_uses_dynamic_stack 0
		.amdhsa_enable_private_segment 0
		.amdhsa_system_sgpr_workgroup_id_x 1
		.amdhsa_system_sgpr_workgroup_id_y 1
		.amdhsa_system_sgpr_workgroup_id_z 1
		.amdhsa_system_sgpr_workgroup_info 0
		.amdhsa_system_vgpr_workitem_id 1
		.amdhsa_next_free_vgpr 44
		.amdhsa_next_free_sgpr 16
		.amdhsa_reserve_vcc 1
		.amdhsa_float_round_mode_32 0
		.amdhsa_float_round_mode_16_64 0
		.amdhsa_float_denorm_mode_32 3
		.amdhsa_float_denorm_mode_16_64 3
		.amdhsa_fp16_overflow 0
		.amdhsa_workgroup_processor_mode 1
		.amdhsa_memory_ordered 1
		.amdhsa_forward_progress 1
		.amdhsa_inst_pref_size 36
		.amdhsa_round_robin_scheduling 0
		.amdhsa_exception_fp_ieee_invalid_op 0
		.amdhsa_exception_fp_denorm_src 0
		.amdhsa_exception_fp_ieee_div_zero 0
		.amdhsa_exception_fp_ieee_overflow 0
		.amdhsa_exception_fp_ieee_underflow 0
		.amdhsa_exception_fp_ieee_inexact 0
		.amdhsa_exception_int_div_zero 0
	.end_amdhsa_kernel
	.section	.text._ZN2at6native20bitonicSortKVInPlaceILin2ELin1ELi16ELi16EllNS0_4GTOpIlLb1EEEjEEvNS_4cuda6detail10TensorInfoIT3_T6_EES8_S8_S8_NS6_IT4_S8_EES8_T5_,"axG",@progbits,_ZN2at6native20bitonicSortKVInPlaceILin2ELin1ELi16ELi16EllNS0_4GTOpIlLb1EEEjEEvNS_4cuda6detail10TensorInfoIT3_T6_EES8_S8_S8_NS6_IT4_S8_EES8_T5_,comdat
.Lfunc_end25:
	.size	_ZN2at6native20bitonicSortKVInPlaceILin2ELin1ELi16ELi16EllNS0_4GTOpIlLb1EEEjEEvNS_4cuda6detail10TensorInfoIT3_T6_EES8_S8_S8_NS6_IT4_S8_EES8_T5_, .Lfunc_end25-_ZN2at6native20bitonicSortKVInPlaceILin2ELin1ELi16ELi16EllNS0_4GTOpIlLb1EEEjEEvNS_4cuda6detail10TensorInfoIT3_T6_EES8_S8_S8_NS6_IT4_S8_EES8_T5_
                                        ; -- End function
	.set _ZN2at6native20bitonicSortKVInPlaceILin2ELin1ELi16ELi16EllNS0_4GTOpIlLb1EEEjEEvNS_4cuda6detail10TensorInfoIT3_T6_EES8_S8_S8_NS6_IT4_S8_EES8_T5_.num_vgpr, 44
	.set _ZN2at6native20bitonicSortKVInPlaceILin2ELin1ELi16ELi16EllNS0_4GTOpIlLb1EEEjEEvNS_4cuda6detail10TensorInfoIT3_T6_EES8_S8_S8_NS6_IT4_S8_EES8_T5_.num_agpr, 0
	.set _ZN2at6native20bitonicSortKVInPlaceILin2ELin1ELi16ELi16EllNS0_4GTOpIlLb1EEEjEEvNS_4cuda6detail10TensorInfoIT3_T6_EES8_S8_S8_NS6_IT4_S8_EES8_T5_.numbered_sgpr, 16
	.set _ZN2at6native20bitonicSortKVInPlaceILin2ELin1ELi16ELi16EllNS0_4GTOpIlLb1EEEjEEvNS_4cuda6detail10TensorInfoIT3_T6_EES8_S8_S8_NS6_IT4_S8_EES8_T5_.num_named_barrier, 0
	.set _ZN2at6native20bitonicSortKVInPlaceILin2ELin1ELi16ELi16EllNS0_4GTOpIlLb1EEEjEEvNS_4cuda6detail10TensorInfoIT3_T6_EES8_S8_S8_NS6_IT4_S8_EES8_T5_.private_seg_size, 0
	.set _ZN2at6native20bitonicSortKVInPlaceILin2ELin1ELi16ELi16EllNS0_4GTOpIlLb1EEEjEEvNS_4cuda6detail10TensorInfoIT3_T6_EES8_S8_S8_NS6_IT4_S8_EES8_T5_.uses_vcc, 1
	.set _ZN2at6native20bitonicSortKVInPlaceILin2ELin1ELi16ELi16EllNS0_4GTOpIlLb1EEEjEEvNS_4cuda6detail10TensorInfoIT3_T6_EES8_S8_S8_NS6_IT4_S8_EES8_T5_.uses_flat_scratch, 0
	.set _ZN2at6native20bitonicSortKVInPlaceILin2ELin1ELi16ELi16EllNS0_4GTOpIlLb1EEEjEEvNS_4cuda6detail10TensorInfoIT3_T6_EES8_S8_S8_NS6_IT4_S8_EES8_T5_.has_dyn_sized_stack, 0
	.set _ZN2at6native20bitonicSortKVInPlaceILin2ELin1ELi16ELi16EllNS0_4GTOpIlLb1EEEjEEvNS_4cuda6detail10TensorInfoIT3_T6_EES8_S8_S8_NS6_IT4_S8_EES8_T5_.has_recursion, 0
	.set _ZN2at6native20bitonicSortKVInPlaceILin2ELin1ELi16ELi16EllNS0_4GTOpIlLb1EEEjEEvNS_4cuda6detail10TensorInfoIT3_T6_EES8_S8_S8_NS6_IT4_S8_EES8_T5_.has_indirect_call, 0
	.section	.AMDGPU.csdata,"",@progbits
; Kernel info:
; codeLenInByte = 4572
; TotalNumSgprs: 18
; NumVgprs: 44
; ScratchSize: 0
; MemoryBound: 0
; FloatMode: 240
; IeeeMode: 1
; LDSByteSize: 8704 bytes/workgroup (compile time only)
; SGPRBlocks: 0
; VGPRBlocks: 5
; NumSGPRsForWavesPerEU: 18
; NumVGPRsForWavesPerEU: 44
; Occupancy: 16
; WaveLimiterHint : 1
; COMPUTE_PGM_RSRC2:SCRATCH_EN: 0
; COMPUTE_PGM_RSRC2:USER_SGPR: 2
; COMPUTE_PGM_RSRC2:TRAP_HANDLER: 0
; COMPUTE_PGM_RSRC2:TGID_X_EN: 1
; COMPUTE_PGM_RSRC2:TGID_Y_EN: 1
; COMPUTE_PGM_RSRC2:TGID_Z_EN: 1
; COMPUTE_PGM_RSRC2:TIDIG_COMP_CNT: 1
	.section	.text._ZN2at6native20bitonicSortKVInPlaceILi2ELin1ELi16ELi16EllNS0_4LTOpIlLb1EEEjEEvNS_4cuda6detail10TensorInfoIT3_T6_EES8_S8_S8_NS6_IT4_S8_EES8_T5_,"axG",@progbits,_ZN2at6native20bitonicSortKVInPlaceILi2ELin1ELi16ELi16EllNS0_4LTOpIlLb1EEEjEEvNS_4cuda6detail10TensorInfoIT3_T6_EES8_S8_S8_NS6_IT4_S8_EES8_T5_,comdat
	.protected	_ZN2at6native20bitonicSortKVInPlaceILi2ELin1ELi16ELi16EllNS0_4LTOpIlLb1EEEjEEvNS_4cuda6detail10TensorInfoIT3_T6_EES8_S8_S8_NS6_IT4_S8_EES8_T5_ ; -- Begin function _ZN2at6native20bitonicSortKVInPlaceILi2ELin1ELi16ELi16EllNS0_4LTOpIlLb1EEEjEEvNS_4cuda6detail10TensorInfoIT3_T6_EES8_S8_S8_NS6_IT4_S8_EES8_T5_
	.globl	_ZN2at6native20bitonicSortKVInPlaceILi2ELin1ELi16ELi16EllNS0_4LTOpIlLb1EEEjEEvNS_4cuda6detail10TensorInfoIT3_T6_EES8_S8_S8_NS6_IT4_S8_EES8_T5_
	.p2align	8
	.type	_ZN2at6native20bitonicSortKVInPlaceILi2ELin1ELi16ELi16EllNS0_4LTOpIlLb1EEEjEEvNS_4cuda6detail10TensorInfoIT3_T6_EES8_S8_S8_NS6_IT4_S8_EES8_T5_,@function
_ZN2at6native20bitonicSortKVInPlaceILi2ELin1ELi16ELi16EllNS0_4LTOpIlLb1EEEjEEvNS_4cuda6detail10TensorInfoIT3_T6_EES8_S8_S8_NS6_IT4_S8_EES8_T5_: ; @_ZN2at6native20bitonicSortKVInPlaceILi2ELin1ELi16ELi16EllNS0_4LTOpIlLb1EEEjEEvNS_4cuda6detail10TensorInfoIT3_T6_EES8_S8_S8_NS6_IT4_S8_EES8_T5_
; %bb.0:
	s_clause 0x2
	s_load_b64 s[2:3], s[0:1], 0x1c8
	s_load_u16 s7, s[0:1], 0x1d6
	s_load_b96 s[4:6], s[0:1], 0xd8
	s_lshr_b32 s8, ttmp7, 16
	s_wait_kmcnt 0x0
	s_mul_i32 s3, s3, s8
	s_and_b32 s8, ttmp7, 0xffff
	s_delay_alu instid0(SALU_CYCLE_1) | instskip(NEXT) | instid1(SALU_CYCLE_1)
	s_add_co_i32 s3, s3, s8
	s_mul_i32 s2, s3, s2
	s_delay_alu instid0(SALU_CYCLE_1) | instskip(NEXT) | instid1(SALU_CYCLE_1)
	s_add_co_i32 s10, s2, ttmp9
	s_mul_i32 s10, s10, s7
	s_delay_alu instid0(SALU_CYCLE_1)
	s_cmp_ge_u32 s10, s4
	s_cbranch_scc1 .LBB26_44
; %bb.1:
	s_clause 0x2
	s_load_b32 s7, s[0:1], 0xc
	s_load_b64 s[2:3], s[0:1], 0x6c
	s_load_b32 s14, s[0:1], 0x1b8
	v_bfe_u32 v8, v0, 10, 10
	s_mov_b32 s13, 0
	s_delay_alu instid0(VALU_DEP_1) | instskip(SKIP_3) | instid1(SALU_CYCLE_2)
	v_add_nc_u32_e32 v4, s10, v8
	s_wait_kmcnt 0x0
	s_cvt_f32_u32 s8, s7
	s_sub_co_i32 s12, 0, s7
	v_rcp_iflag_f32_e32 v1, s8
	s_delay_alu instid0(TRANS32_DEP_1) | instskip(SKIP_3) | instid1(SALU_CYCLE_2)
	v_readfirstlane_b32 s8, v1
	v_mov_b32_e32 v1, 0
	s_mul_f32 s11, s8, 0x4f7ffffe
	s_load_b64 s[8:9], s[0:1], 0x0
	s_cvt_u32_f32 s11, s11
	s_wait_alu 0xfffe
	s_delay_alu instid0(SALU_CYCLE_2) | instskip(NEXT) | instid1(SALU_CYCLE_1)
	s_mul_i32 s12, s12, s11
	s_mul_hi_u32 s10, s11, s12
	s_wait_alu 0xfffe
	s_add_co_i32 s11, s11, s10
	s_cmp_lt_i32 s14, 2
	s_wait_alu 0xfffe
	v_mad_co_u64_u32 v[2:3], null, v4, s11, 0
	s_add_nc_u64 s[10:11], s[0:1], 0xe8
	s_cbranch_scc1 .LBB26_4
; %bb.2:
	s_add_co_i32 s12, s14, -1
	v_mov_b32_e32 v1, 0
	s_lshl_b64 s[12:13], s[12:13], 2
	v_mov_b32_e32 v5, v4
	s_wait_alu 0xfffe
	s_add_nc_u64 s[12:13], s[10:11], s[12:13]
	s_add_co_i32 s14, s14, 1
	s_add_nc_u64 s[12:13], s[12:13], 8
.LBB26_3:                               ; =>This Inner Loop Header: Depth=1
	s_clause 0x1
	s_load_b32 s15, s[12:13], 0x0
	s_load_b32 s16, s[12:13], 0x64
	s_add_co_i32 s14, s14, -1
	s_add_nc_u64 s[12:13], s[12:13], -4
	s_wait_kmcnt 0x0
	s_cvt_f32_u32 s17, s15
	s_sub_co_i32 s18, 0, s15
	s_wait_alu 0xfffe
	s_delay_alu instid0(SALU_CYCLE_1) | instskip(NEXT) | instid1(TRANS32_DEP_1)
	v_rcp_iflag_f32_e32 v2, s17
	v_readfirstlane_b32 s17, v2
	v_mov_b32_e32 v2, v5
	s_mul_f32 s17, s17, 0x4f7ffffe
	s_wait_alu 0xfffe
	s_delay_alu instid0(SALU_CYCLE_2) | instskip(SKIP_1) | instid1(SALU_CYCLE_2)
	s_cvt_u32_f32 s17, s17
	s_wait_alu 0xfffe
	s_mul_i32 s18, s18, s17
	s_delay_alu instid0(SALU_CYCLE_1) | instskip(NEXT) | instid1(SALU_CYCLE_1)
	s_mul_hi_u32 s18, s17, s18
	s_add_co_i32 s17, s17, s18
	s_cmp_gt_u32 s14, 2
	s_wait_alu 0xfffe
	v_mul_hi_u32 v5, v2, s17
	s_delay_alu instid0(VALU_DEP_1) | instskip(SKIP_1) | instid1(VALU_DEP_2)
	v_mul_lo_u32 v6, v5, s15
	v_add_nc_u32_e32 v7, 1, v5
	v_sub_nc_u32_e32 v6, v2, v6
	s_delay_alu instid0(VALU_DEP_1) | instskip(SKIP_2) | instid1(VALU_DEP_2)
	v_subrev_nc_u32_e32 v9, s15, v6
	v_cmp_le_u32_e32 vcc_lo, s15, v6
	s_wait_alu 0xfffd
	v_dual_cndmask_b32 v5, v5, v7 :: v_dual_cndmask_b32 v6, v6, v9
	s_delay_alu instid0(VALU_DEP_1) | instskip(NEXT) | instid1(VALU_DEP_2)
	v_add_nc_u32_e32 v7, 1, v5
	v_cmp_le_u32_e32 vcc_lo, s15, v6
	s_wait_alu 0xfffd
	s_delay_alu instid0(VALU_DEP_2) | instskip(NEXT) | instid1(VALU_DEP_1)
	v_cndmask_b32_e32 v5, v5, v7, vcc_lo
	v_mul_lo_u32 v6, v5, s15
	s_delay_alu instid0(VALU_DEP_1) | instskip(NEXT) | instid1(VALU_DEP_1)
	v_sub_nc_u32_e32 v2, v2, v6
	v_mad_co_u64_u32 v[1:2], null, s16, v2, v[1:2]
	s_cbranch_scc1 .LBB26_3
	s_branch .LBB26_5
.LBB26_4:
	v_mov_b32_e32 v5, v4
.LBB26_5:
	v_mul_lo_u32 v2, v3, s7
	v_add_nc_u32_e32 v6, 1, v3
	s_load_b32 s14, s[10:11], 0x6c
	s_add_nc_u64 s[12:13], s[0:1], 0x1c8
	v_and_b32_e32 v10, 0x3ff, v0
	s_load_b32 s12, s[12:13], 0xc
	s_delay_alu instid0(VALU_DEP_3) | instskip(NEXT) | instid1(VALU_DEP_1)
	v_sub_nc_u32_e32 v2, v4, v2
	v_subrev_nc_u32_e32 v7, s7, v2
	v_cmp_le_u32_e32 vcc_lo, s7, v2
	s_wait_alu 0xfffd
	s_delay_alu instid0(VALU_DEP_2) | instskip(NEXT) | instid1(VALU_DEP_1)
	v_dual_cndmask_b32 v3, v3, v6 :: v_dual_cndmask_b32 v2, v2, v7
	v_add_nc_u32_e32 v6, 1, v3
	s_delay_alu instid0(VALU_DEP_2) | instskip(SKIP_1) | instid1(VALU_DEP_2)
	v_cmp_le_u32_e32 vcc_lo, s7, v2
	s_wait_alu 0xfffd
	v_cndmask_b32_e32 v2, v3, v6, vcc_lo
	v_cmp_gt_u32_e32 vcc_lo, s5, v10
	s_delay_alu instid0(VALU_DEP_2) | instskip(SKIP_4) | instid1(VALU_DEP_2)
	v_mul_lo_u32 v3, v2, s7
	s_clause 0x1
	s_load_b32 s7, s[0:1], 0x1c0
	s_load_b64 s[10:11], s[10:11], 0x0
	v_cmp_gt_u32_e64 s0, s4, v4
	v_sub_nc_u32_e32 v3, v4, v3
	s_wait_kmcnt 0x0
	v_mad_co_u64_u32 v[4:5], null, s14, v5, v[1:2]
	s_delay_alu instid0(VALU_DEP_2) | instskip(NEXT) | instid1(VALU_DEP_1)
	v_mul_lo_u32 v0, v3, s3
	v_mad_co_u64_u32 v[5:6], null, v2, s2, v[0:1]
	v_mov_b32_e32 v0, 0
	v_mov_b32_e32 v2, 0
	v_dual_mov_b32 v6, 0 :: v_dual_mov_b32 v1, 0
	v_mov_b32_e32 v3, 0
	v_mov_b32_e32 v7, 0
	s_and_b32 s2, s0, vcc_lo
	s_wait_alu 0xfffe
	s_and_saveexec_b32 s3, s2
	s_cbranch_execz .LBB26_7
; %bb.6:
	v_mad_co_u64_u32 v[2:3], null, v10, s6, v[5:6]
	v_mov_b32_e32 v3, 0
	v_mad_co_u64_u32 v[6:7], null, v10, s7, v[4:5]
	s_delay_alu instid0(VALU_DEP_2) | instskip(NEXT) | instid1(VALU_DEP_4)
	v_mov_b32_e32 v7, v3
	v_lshlrev_b64_e32 v[2:3], 3, v[2:3]
	s_delay_alu instid0(VALU_DEP_2) | instskip(NEXT) | instid1(VALU_DEP_2)
	v_lshlrev_b64_e32 v[6:7], 3, v[6:7]
	v_add_co_u32 v2, s1, s8, v2
	s_delay_alu instid0(VALU_DEP_1) | instskip(NEXT) | instid1(VALU_DEP_3)
	v_add_co_ci_u32_e64 v3, null, s9, v3, s1
	v_add_co_u32 v6, s1, s10, v6
	s_wait_alu 0xf1ff
	s_delay_alu instid0(VALU_DEP_4)
	v_add_co_ci_u32_e64 v7, null, s11, v7, s1
	global_load_b64 v[2:3], v[2:3], off
	global_load_b64 v[6:7], v[6:7], off
.LBB26_7:
	s_wait_alu 0xfffe
	s_or_b32 exec_lo, exec_lo, s3
	v_lshlrev_b32_e32 v15, 8, v8
	s_and_b32 s3, 0xffff, s12
	v_lshlrev_b32_e32 v16, 3, v10
	s_wait_alu 0xfffe
	v_add_nc_u32_e32 v11, s3, v10
	v_lshl_add_u32 v17, v8, 5, 0x2000
	v_mov_b32_e32 v8, 0
	v_dual_mov_b32 v9, 0 :: v_dual_add_nc_u32 v14, 0x1000, v15
	s_delay_alu instid0(VALU_DEP_4) | instskip(SKIP_2) | instid1(VALU_DEP_4)
	v_cmp_gt_u32_e64 s1, s5, v11
	v_add_nc_u32_e32 v12, v15, v16
	v_cndmask_b32_e64 v18, 0, 1, s2
	v_add_nc_u32_e32 v13, v14, v16
	v_add_nc_u32_e32 v19, v17, v10
	s_and_b32 s4, s0, s1
	s_wait_loadcnt 0x1
	ds_store_b64 v12, v[2:3]
	s_wait_loadcnt 0x0
	ds_store_b64 v13, v[6:7]
	ds_store_b8 v19, v18
	s_wait_alu 0xfffe
	s_and_saveexec_b32 s5, s4
	s_cbranch_execz .LBB26_9
; %bb.8:
	v_mad_co_u64_u32 v[0:1], null, v11, s6, v[5:6]
	v_mov_b32_e32 v1, 0
	v_mad_co_u64_u32 v[2:3], null, v11, s7, v[4:5]
	s_delay_alu instid0(VALU_DEP_2) | instskip(NEXT) | instid1(VALU_DEP_4)
	v_mov_b32_e32 v3, v1
	v_lshlrev_b64_e32 v[0:1], 3, v[0:1]
	s_delay_alu instid0(VALU_DEP_2) | instskip(NEXT) | instid1(VALU_DEP_2)
	v_lshlrev_b64_e32 v[2:3], 3, v[2:3]
	v_add_co_u32 v0, s2, s8, v0
	s_wait_alu 0xf1ff
	s_delay_alu instid0(VALU_DEP_3) | instskip(NEXT) | instid1(VALU_DEP_3)
	v_add_co_ci_u32_e64 v1, null, s9, v1, s2
	v_add_co_u32 v2, s2, s10, v2
	s_wait_alu 0xf1ff
	v_add_co_ci_u32_e64 v3, null, s11, v3, s2
	global_load_b64 v[0:1], v[0:1], off
	global_load_b64 v[8:9], v[2:3], off
.LBB26_9:
	s_wait_alu 0xfffe
	s_or_b32 exec_lo, exec_lo, s5
	s_lshl_b32 s2, s3, 3
	v_lshlrev_b32_e32 v20, 1, v10
	s_wait_alu 0xfffe
	v_add_nc_u32_e32 v6, s2, v12
	v_add_nc_u32_e32 v7, s2, v13
	v_cndmask_b32_e64 v2, 0, 1, s4
	v_add_nc_u32_e32 v3, v17, v11
	v_and_b32_e32 v18, 1, v10
	s_wait_loadcnt 0x1
	ds_store_b64 v6, v[0:1]
	s_wait_loadcnt 0x0
	ds_store_b64 v7, v[8:9]
	ds_store_b8 v3, v2
	v_add_nc_u32_e32 v8, v17, v20
	v_add_nc_u32_e32 v9, v12, v16
	s_wait_dscnt 0x0
	s_barrier_signal -1
	s_barrier_wait -1
	global_inv scope:SCOPE_SE
	ds_load_u16 v22, v8
	ds_load_b128 v[0:3], v9
	s_wait_dscnt 0x1
	v_lshrrev_b16 v19, 8, v22
	v_and_b32_e32 v21, 1, v22
	s_wait_dscnt 0x0
	v_cmp_lt_i64_e64 s2, v[0:1], v[2:3]
	s_delay_alu instid0(VALU_DEP_3) | instskip(NEXT) | instid1(VALU_DEP_3)
	v_cmp_ne_u16_e64 s4, v19, v18
	v_cmp_eq_u32_e64 s3, 1, v21
	s_wait_alu 0xf1ff
	s_delay_alu instid0(VALU_DEP_2) | instskip(SKIP_2) | instid1(VALU_DEP_1)
	v_cndmask_b32_e64 v21, 0, 1, s4
	s_and_b32 s2, s2, s3
	s_wait_alu 0xfffe
	v_cndmask_b32_e64 v21, v21, v10, s2
	s_delay_alu instid0(VALU_DEP_1) | instskip(NEXT) | instid1(VALU_DEP_1)
	v_and_b32_e32 v21, 1, v21
	v_cmp_eq_u32_e64 s2, 1, v21
	v_add_nc_u32_e32 v21, v13, v16
	s_and_saveexec_b32 s3, s2
	s_wait_alu 0xfffe
	s_xor_b32 s2, exec_lo, s3
	s_cbranch_execz .LBB26_11
; %bb.10:
	ds_load_b128 v[23:26], v21
	v_mov_b32_e32 v29, v0
	v_lshlrev_b16 v0, 8, v22
	v_dual_mov_b32 v27, v2 :: v_dual_mov_b32 v28, v3
	v_mov_b32_e32 v30, v1
	s_delay_alu instid0(VALU_DEP_3)
	v_or_b32_e32 v0, v19, v0
	s_wait_dscnt 0x0
	v_dual_mov_b32 v31, v25 :: v_dual_mov_b32 v34, v24
	v_dual_mov_b32 v32, v26 :: v_dual_mov_b32 v33, v23
	ds_store_b128 v21, v[31:34]
	ds_store_b128 v9, v[27:30]
	ds_store_b16 v8, v0
.LBB26_11:
	s_wait_alu 0xfffe
	s_or_b32 exec_lo, exec_lo, s2
	v_sub_nc_u32_e32 v19, v20, v18
	s_wait_loadcnt_dscnt 0x0
	s_barrier_signal -1
	s_barrier_wait -1
	global_inv scope:SCOPE_SE
	v_add_nc_u32_e32 v16, v17, v19
	v_lshl_add_u32 v18, v19, 3, v15
	v_bfe_u32 v25, v10, 1, 1
	v_lshl_add_u32 v19, v19, 3, v14
	ds_load_u8 v23, v16
	ds_load_2addr_b64 v[0:3], v18 offset1:2
	ds_load_u8 v24, v16 offset:2
	s_wait_dscnt 0x2
	v_and_b32_e32 v22, 1, v23
	s_wait_dscnt 0x1
	v_cmp_lt_i64_e64 s2, v[0:1], v[2:3]
	s_wait_dscnt 0x0
	v_cmp_ne_u16_e64 s4, v24, v25
	v_cmp_eq_u32_e64 s3, 1, v22
	s_wait_alu 0xf1ff
	s_delay_alu instid0(VALU_DEP_2) | instskip(SKIP_2) | instid1(VALU_DEP_1)
	v_cndmask_b32_e64 v22, 0, 1, s4
	s_and_b32 s2, s2, s3
	s_wait_alu 0xfffe
	v_cndmask_b32_e64 v25, v22, v25, s2
	v_and_b32_e32 v22, 2, v10
	s_delay_alu instid0(VALU_DEP_2) | instskip(NEXT) | instid1(VALU_DEP_2)
	v_and_b32_e32 v25, 1, v25
	v_cmp_ne_u32_e64 s2, 0, v22
	s_delay_alu instid0(VALU_DEP_2)
	v_cmp_eq_u32_e64 s3, 1, v25
	s_and_saveexec_b32 s4, s3
	s_wait_alu 0xfffe
	s_xor_b32 s3, exec_lo, s4
	s_cbranch_execz .LBB26_13
; %bb.12:
	ds_load_2addr_b64 v[25:28], v19 offset1:2
	ds_store_2addr_b64 v18, v[2:3], v[0:1] offset1:2
	s_wait_dscnt 0x1
	ds_store_2addr_b64 v19, v[27:28], v[25:26] offset1:2
	ds_store_b8 v16, v24
	ds_store_b8 v16, v23 offset:2
.LBB26_13:
	s_wait_alu 0xfffe
	s_or_b32 exec_lo, exec_lo, s3
	s_wait_loadcnt_dscnt 0x0
	s_barrier_signal -1
	s_barrier_wait -1
	global_inv scope:SCOPE_SE
	ds_load_u16 v23, v8
	ds_load_b128 v[0:3], v9
	v_lshrrev_b32_e32 v24, 1, v22
	v_cndmask_b32_e64 v26, 0, 1, s2
	s_wait_dscnt 0x1
	v_lshrrev_b16 v22, 8, v23
	v_and_b32_e32 v25, 1, v23
	s_wait_dscnt 0x0
	v_cmp_lt_i64_e64 s2, v[0:1], v[2:3]
	s_delay_alu instid0(VALU_DEP_3) | instskip(NEXT) | instid1(VALU_DEP_3)
	v_cmp_ne_u16_e64 s4, v22, v24
	v_cmp_eq_u32_e64 s3, 1, v25
	s_wait_alu 0xf1ff
	s_delay_alu instid0(VALU_DEP_2) | instskip(SKIP_3) | instid1(VALU_DEP_1)
	v_cndmask_b32_e64 v24, 0, 1, s4
	s_and_b32 s2, s2, s3
	s_mov_b32 s3, exec_lo
	s_wait_alu 0xfffe
	v_cndmask_b32_e64 v24, v24, v26, s2
	s_delay_alu instid0(VALU_DEP_1) | instskip(NEXT) | instid1(VALU_DEP_1)
	v_and_b32_e32 v24, 1, v24
	v_cmpx_eq_u32_e32 1, v24
	s_cbranch_execz .LBB26_15
; %bb.14:
	ds_load_b128 v[24:27], v21
	v_mov_b32_e32 v30, v0
	v_lshlrev_b16 v0, 8, v23
	v_dual_mov_b32 v28, v2 :: v_dual_mov_b32 v29, v3
	v_mov_b32_e32 v31, v1
	s_delay_alu instid0(VALU_DEP_3)
	v_or_b32_e32 v0, v22, v0
	s_wait_dscnt 0x0
	v_dual_mov_b32 v32, v26 :: v_dual_mov_b32 v35, v25
	v_dual_mov_b32 v33, v27 :: v_dual_mov_b32 v34, v24
	ds_store_b128 v21, v[32:35]
	ds_store_b128 v9, v[28:31]
	ds_store_b16 v8, v0
.LBB26_15:
	s_or_b32 exec_lo, exec_lo, s3
	v_and_b32_e32 v0, 3, v10
	s_wait_loadcnt_dscnt 0x0
	s_barrier_signal -1
	s_barrier_wait -1
	global_inv scope:SCOPE_SE
	v_sub_nc_u32_e32 v24, v20, v0
	v_bfe_u32 v27, v10, 2, 1
	s_delay_alu instid0(VALU_DEP_2)
	v_add_nc_u32_e32 v21, v17, v24
	v_lshl_add_u32 v22, v24, 3, v15
	v_lshl_add_u32 v24, v24, 3, v14
	ds_load_u8 v25, v21
	ds_load_2addr_b64 v[0:3], v22 offset1:4
	ds_load_u8 v26, v21 offset:4
	s_wait_dscnt 0x2
	v_and_b32_e32 v23, 1, v25
	s_wait_dscnt 0x1
	v_cmp_lt_i64_e64 s2, v[0:1], v[2:3]
	s_wait_dscnt 0x0
	v_cmp_ne_u16_e64 s4, v26, v27
	v_cmp_eq_u32_e64 s3, 1, v23
	s_wait_alu 0xf1ff
	s_delay_alu instid0(VALU_DEP_2) | instskip(SKIP_3) | instid1(VALU_DEP_1)
	v_cndmask_b32_e64 v23, 0, 1, s4
	s_mov_b32 s4, exec_lo
	s_and_b32 s2, s2, s3
	s_wait_alu 0xfffe
	v_cndmask_b32_e64 v27, v23, v27, s2
	v_and_b32_e32 v23, 4, v10
	s_delay_alu instid0(VALU_DEP_2) | instskip(NEXT) | instid1(VALU_DEP_2)
	v_and_b32_e32 v27, 1, v27
	v_cmp_ne_u32_e64 s2, 0, v23
	s_delay_alu instid0(VALU_DEP_2)
	v_cmpx_eq_u32_e32 1, v27
	s_cbranch_execz .LBB26_17
; %bb.16:
	ds_load_2addr_b64 v[27:30], v24 offset1:4
	ds_store_2addr_b64 v22, v[2:3], v[0:1] offset1:4
	s_wait_dscnt 0x1
	ds_store_2addr_b64 v24, v[29:30], v[27:28] offset1:4
	ds_store_b8 v21, v26
	ds_store_b8 v21, v25 offset:4
.LBB26_17:
	s_or_b32 exec_lo, exec_lo, s4
	s_wait_loadcnt_dscnt 0x0
	s_barrier_signal -1
	s_barrier_wait -1
	global_inv scope:SCOPE_SE
	ds_load_u8 v26, v16
	ds_load_2addr_b64 v[0:3], v18 offset1:2
	ds_load_u8 v27, v16 offset:2
	v_lshrrev_b32_e32 v23, 2, v23
	v_cndmask_b32_e64 v25, 0, 1, s2
	s_wait_dscnt 0x2
	v_and_b32_e32 v28, 1, v26
	s_wait_dscnt 0x1
	v_cmp_lt_i64_e64 s2, v[0:1], v[2:3]
	s_wait_dscnt 0x0
	v_cmp_ne_u16_e64 s4, v27, v23
	v_cmp_eq_u32_e64 s3, 1, v28
	s_wait_alu 0xf1ff
	s_delay_alu instid0(VALU_DEP_2) | instskip(SKIP_3) | instid1(VALU_DEP_1)
	v_cndmask_b32_e64 v28, 0, 1, s4
	s_and_b32 s2, s2, s3
	s_mov_b32 s3, exec_lo
	s_wait_alu 0xfffe
	v_cndmask_b32_e64 v28, v28, v25, s2
	s_delay_alu instid0(VALU_DEP_1) | instskip(NEXT) | instid1(VALU_DEP_1)
	v_and_b32_e32 v28, 1, v28
	v_cmpx_eq_u32_e32 1, v28
	s_cbranch_execz .LBB26_19
; %bb.18:
	ds_load_2addr_b64 v[28:31], v19 offset1:2
	ds_store_2addr_b64 v18, v[2:3], v[0:1] offset1:2
	s_wait_dscnt 0x1
	ds_store_2addr_b64 v19, v[30:31], v[28:29] offset1:2
	ds_store_b8 v16, v27
	ds_store_b8 v16, v26 offset:2
.LBB26_19:
	s_or_b32 exec_lo, exec_lo, s3
	s_wait_loadcnt_dscnt 0x0
	s_barrier_signal -1
	s_barrier_wait -1
	global_inv scope:SCOPE_SE
	ds_load_u16 v27, v8
	ds_load_b128 v[0:3], v9
	s_wait_dscnt 0x1
	v_lshrrev_b16 v26, 8, v27
	v_and_b32_e32 v28, 1, v27
	s_wait_dscnt 0x0
	v_cmp_lt_i64_e64 s2, v[0:1], v[2:3]
	s_delay_alu instid0(VALU_DEP_3) | instskip(NEXT) | instid1(VALU_DEP_3)
	v_cmp_ne_u16_e64 s4, v26, v23
	v_cmp_eq_u32_e64 s3, 1, v28
	s_wait_alu 0xf1ff
	s_delay_alu instid0(VALU_DEP_2) | instskip(SKIP_2) | instid1(VALU_DEP_1)
	v_cndmask_b32_e64 v23, 0, 1, s4
	s_and_b32 s2, s2, s3
	s_wait_alu 0xfffe
	v_cndmask_b32_e64 v23, v23, v25, s2
	s_delay_alu instid0(VALU_DEP_1) | instskip(NEXT) | instid1(VALU_DEP_1)
	v_and_b32_e32 v23, 1, v23
	v_cmp_eq_u32_e64 s2, 1, v23
	v_lshl_add_u32 v23, v20, 3, v14
	s_and_saveexec_b32 s3, s2
	s_cbranch_execz .LBB26_21
; %bb.20:
	ds_load_b128 v[28:31], v23
	v_mov_b32_e32 v34, v0
	v_lshlrev_b16 v0, 8, v27
	v_dual_mov_b32 v32, v2 :: v_dual_mov_b32 v33, v3
	v_mov_b32_e32 v35, v1
	s_delay_alu instid0(VALU_DEP_3)
	v_or_b32_e32 v0, v26, v0
	s_wait_dscnt 0x0
	v_dual_mov_b32 v36, v30 :: v_dual_mov_b32 v39, v29
	v_dual_mov_b32 v37, v31 :: v_dual_mov_b32 v38, v28
	ds_store_b128 v23, v[36:39]
	ds_store_b128 v9, v[32:35]
	ds_store_b16 v8, v0
.LBB26_21:
	s_wait_alu 0xfffe
	s_or_b32 exec_lo, exec_lo, s3
	v_and_b32_e32 v0, 7, v10
	s_wait_loadcnt_dscnt 0x0
	s_barrier_signal -1
	s_barrier_wait -1
	global_inv scope:SCOPE_SE
	v_sub_nc_u32_e32 v27, v20, v0
	v_bfe_u32 v31, v10, 3, 1
	s_delay_alu instid0(VALU_DEP_2)
	v_add_nc_u32_e32 v25, v17, v27
	v_lshl_add_u32 v26, v27, 3, v15
	v_lshl_add_u32 v27, v27, 3, v14
	ds_load_u8 v29, v25
	ds_load_2addr_b64 v[0:3], v26 offset1:8
	ds_load_u8 v30, v25 offset:8
	s_wait_dscnt 0x2
	v_and_b32_e32 v28, 1, v29
	s_wait_dscnt 0x1
	v_cmp_lt_i64_e64 s2, v[0:1], v[2:3]
	s_wait_dscnt 0x0
	v_cmp_ne_u16_e64 s4, v30, v31
	v_cmp_eq_u32_e64 s3, 1, v28
	s_wait_alu 0xf1ff
	s_delay_alu instid0(VALU_DEP_2) | instskip(SKIP_3) | instid1(VALU_DEP_1)
	v_cndmask_b32_e64 v28, 0, 1, s4
	s_mov_b32 s4, exec_lo
	s_and_b32 s2, s2, s3
	s_wait_alu 0xfffe
	v_cndmask_b32_e64 v31, v28, v31, s2
	v_and_b32_e32 v28, 8, v10
	s_delay_alu instid0(VALU_DEP_2) | instskip(NEXT) | instid1(VALU_DEP_2)
	v_and_b32_e32 v31, 1, v31
	v_cmp_ne_u32_e64 s2, 0, v28
	s_delay_alu instid0(VALU_DEP_2)
	v_cmpx_eq_u32_e32 1, v31
	s_cbranch_execz .LBB26_23
; %bb.22:
	ds_load_2addr_b64 v[31:34], v27 offset1:8
	ds_store_2addr_b64 v26, v[2:3], v[0:1] offset1:8
	s_wait_dscnt 0x1
	ds_store_2addr_b64 v27, v[33:34], v[31:32] offset1:8
	ds_store_b8 v25, v30
	ds_store_b8 v25, v29 offset:8
.LBB26_23:
	s_or_b32 exec_lo, exec_lo, s4
	s_wait_loadcnt_dscnt 0x0
	s_barrier_signal -1
	s_barrier_wait -1
	global_inv scope:SCOPE_SE
	ds_load_u8 v30, v21
	ds_load_2addr_b64 v[0:3], v22 offset1:4
	ds_load_u8 v31, v21 offset:4
	v_lshrrev_b32_e32 v28, 3, v28
	v_cndmask_b32_e64 v29, 0, 1, s2
	s_wait_dscnt 0x2
	v_and_b32_e32 v32, 1, v30
	s_wait_dscnt 0x1
	v_cmp_lt_i64_e64 s2, v[0:1], v[2:3]
	s_wait_dscnt 0x0
	v_cmp_ne_u16_e64 s4, v31, v28
	v_cmp_eq_u32_e64 s3, 1, v32
	s_wait_alu 0xf1ff
	s_delay_alu instid0(VALU_DEP_2) | instskip(SKIP_3) | instid1(VALU_DEP_1)
	v_cndmask_b32_e64 v32, 0, 1, s4
	s_and_b32 s2, s2, s3
	s_mov_b32 s3, exec_lo
	s_wait_alu 0xfffe
	v_cndmask_b32_e64 v32, v32, v29, s2
	s_delay_alu instid0(VALU_DEP_1) | instskip(NEXT) | instid1(VALU_DEP_1)
	v_and_b32_e32 v32, 1, v32
	v_cmpx_eq_u32_e32 1, v32
	s_cbranch_execz .LBB26_25
; %bb.24:
	ds_load_2addr_b64 v[32:35], v24 offset1:4
	ds_store_2addr_b64 v22, v[2:3], v[0:1] offset1:4
	s_wait_dscnt 0x1
	ds_store_2addr_b64 v24, v[34:35], v[32:33] offset1:4
	ds_store_b8 v21, v31
	ds_store_b8 v21, v30 offset:4
.LBB26_25:
	s_or_b32 exec_lo, exec_lo, s3
	s_wait_loadcnt_dscnt 0x0
	s_barrier_signal -1
	s_barrier_wait -1
	global_inv scope:SCOPE_SE
	ds_load_u8 v30, v16
	ds_load_2addr_b64 v[0:3], v18 offset1:2
	ds_load_u8 v31, v16 offset:2
	s_wait_dscnt 0x2
	v_and_b32_e32 v32, 1, v30
	s_wait_dscnt 0x1
	v_cmp_lt_i64_e64 s2, v[0:1], v[2:3]
	s_wait_dscnt 0x0
	v_cmp_ne_u16_e64 s4, v31, v28
	v_cmp_eq_u32_e64 s3, 1, v32
	s_wait_alu 0xf1ff
	s_delay_alu instid0(VALU_DEP_2) | instskip(SKIP_3) | instid1(VALU_DEP_1)
	v_cndmask_b32_e64 v32, 0, 1, s4
	s_and_b32 s2, s2, s3
	s_mov_b32 s3, exec_lo
	s_wait_alu 0xfffe
	v_cndmask_b32_e64 v32, v32, v29, s2
	s_delay_alu instid0(VALU_DEP_1) | instskip(NEXT) | instid1(VALU_DEP_1)
	v_and_b32_e32 v32, 1, v32
	v_cmpx_eq_u32_e32 1, v32
	s_cbranch_execz .LBB26_27
; %bb.26:
	ds_load_2addr_b64 v[32:35], v19 offset1:2
	ds_store_2addr_b64 v18, v[2:3], v[0:1] offset1:2
	s_wait_dscnt 0x1
	ds_store_2addr_b64 v19, v[34:35], v[32:33] offset1:2
	ds_store_b8 v16, v31
	ds_store_b8 v16, v30 offset:2
.LBB26_27:
	s_or_b32 exec_lo, exec_lo, s3
	s_wait_loadcnt_dscnt 0x0
	s_barrier_signal -1
	s_barrier_wait -1
	global_inv scope:SCOPE_SE
	ds_load_u16 v31, v8
	ds_load_b128 v[0:3], v9
	s_wait_dscnt 0x1
	v_lshrrev_b16 v30, 8, v31
	v_and_b32_e32 v32, 1, v31
	s_wait_dscnt 0x0
	v_cmp_lt_i64_e64 s2, v[0:1], v[2:3]
	s_delay_alu instid0(VALU_DEP_3) | instskip(NEXT) | instid1(VALU_DEP_3)
	v_cmp_ne_u16_e64 s4, v30, v28
	v_cmp_eq_u32_e64 s3, 1, v32
	s_wait_alu 0xf1ff
	s_delay_alu instid0(VALU_DEP_2) | instskip(SKIP_3) | instid1(VALU_DEP_1)
	v_cndmask_b32_e64 v28, 0, 1, s4
	s_and_b32 s2, s2, s3
	s_mov_b32 s3, exec_lo
	s_wait_alu 0xfffe
	v_cndmask_b32_e64 v28, v28, v29, s2
	s_delay_alu instid0(VALU_DEP_1) | instskip(NEXT) | instid1(VALU_DEP_1)
	v_and_b32_e32 v28, 1, v28
	v_cmpx_eq_u32_e32 1, v28
	s_cbranch_execz .LBB26_29
; %bb.28:
	ds_load_b128 v[32:35], v23
	v_mov_b32_e32 v38, v0
	v_lshlrev_b16 v0, 8, v31
	v_dual_mov_b32 v36, v2 :: v_dual_mov_b32 v37, v3
	v_mov_b32_e32 v39, v1
	s_delay_alu instid0(VALU_DEP_3)
	v_or_b32_e32 v0, v30, v0
	s_wait_dscnt 0x0
	v_dual_mov_b32 v40, v34 :: v_dual_mov_b32 v43, v33
	v_dual_mov_b32 v41, v35 :: v_dual_mov_b32 v42, v32
	ds_store_b128 v23, v[40:43]
	ds_store_b128 v9, v[36:39]
	ds_store_b16 v8, v0
.LBB26_29:
	s_or_b32 exec_lo, exec_lo, s3
	v_and_b32_e32 v0, 15, v10
	s_wait_loadcnt_dscnt 0x0
	s_barrier_signal -1
	s_barrier_wait -1
	global_inv scope:SCOPE_SE
	v_sub_nc_u32_e32 v20, v20, v0
	s_delay_alu instid0(VALU_DEP_1)
	v_add_nc_u32_e32 v17, v17, v20
	v_lshl_add_u32 v15, v20, 3, v15
	ds_load_u8 v28, v17
	ds_load_u8 v29, v17 offset:16
	ds_load_2addr_b64 v[0:3], v15 offset1:16
	s_wait_dscnt 0x1
	v_and_b32_e32 v29, 0xff, v29
	v_and_b32_e32 v30, 1, v28
	s_wait_dscnt 0x0
	v_cmp_ge_i64_e64 s3, v[0:1], v[2:3]
	s_delay_alu instid0(VALU_DEP_3) | instskip(NEXT) | instid1(VALU_DEP_3)
	v_cmp_ne_u16_e64 s4, 0, v29
	v_cmp_eq_u32_e64 s2, 1, v30
	s_xor_b32 s2, s2, -1
	s_wait_alu 0xfffe
	s_or_b32 s2, s3, s2
	s_wait_alu 0xfffe
	s_and_b32 s3, s2, s4
	s_wait_alu 0xfffe
	s_and_saveexec_b32 s2, s3
	s_cbranch_execz .LBB26_31
; %bb.30:
	v_lshl_add_u32 v14, v20, 3, v14
	v_mov_b32_e32 v20, 1
	ds_load_2addr_b64 v[29:32], v14 offset1:16
	ds_store_2addr_b64 v15, v[2:3], v[0:1] offset1:16
	s_wait_dscnt 0x1
	ds_store_2addr_b64 v14, v[31:32], v[29:30] offset1:16
	ds_store_b8 v17, v20
	ds_store_b8 v17, v28 offset:16
.LBB26_31:
	s_wait_alu 0xfffe
	s_or_b32 exec_lo, exec_lo, s2
	s_wait_loadcnt_dscnt 0x0
	s_barrier_signal -1
	s_barrier_wait -1
	global_inv scope:SCOPE_SE
	ds_load_u8 v14, v25
	ds_load_u8 v15, v25 offset:8
	ds_load_2addr_b64 v[0:3], v26 offset1:8
	s_wait_dscnt 0x2
	v_and_b32_e32 v17, 1, v14
	s_wait_dscnt 0x1
	v_and_b32_e32 v15, 0xff, v15
	s_wait_dscnt 0x0
	v_cmp_ge_i64_e64 s3, v[0:1], v[2:3]
	v_cmp_eq_u32_e64 s2, 1, v17
	s_delay_alu instid0(VALU_DEP_3)
	v_cmp_ne_u16_e64 s4, 0, v15
	s_xor_b32 s2, s2, -1
	s_wait_alu 0xfffe
	s_or_b32 s2, s3, s2
	s_wait_alu 0xfffe
	s_and_b32 s3, s2, s4
	s_wait_alu 0xfffe
	s_and_saveexec_b32 s2, s3
	s_cbranch_execz .LBB26_33
; %bb.32:
	ds_load_2addr_b64 v[28:31], v27 offset1:8
	v_mov_b32_e32 v15, 1
	ds_store_2addr_b64 v26, v[2:3], v[0:1] offset1:8
	s_wait_dscnt 0x1
	ds_store_2addr_b64 v27, v[30:31], v[28:29] offset1:8
	ds_store_b8 v25, v15
	ds_store_b8 v25, v14 offset:8
.LBB26_33:
	s_wait_alu 0xfffe
	s_or_b32 exec_lo, exec_lo, s2
	s_wait_loadcnt_dscnt 0x0
	s_barrier_signal -1
	s_barrier_wait -1
	global_inv scope:SCOPE_SE
	ds_load_u8 v14, v21
	ds_load_u8 v15, v21 offset:4
	ds_load_2addr_b64 v[0:3], v22 offset1:4
	s_wait_dscnt 0x2
	v_and_b32_e32 v17, 1, v14
	s_wait_dscnt 0x1
	v_and_b32_e32 v15, 0xff, v15
	s_wait_dscnt 0x0
	v_cmp_ge_i64_e64 s3, v[0:1], v[2:3]
	v_cmp_eq_u32_e64 s2, 1, v17
	s_delay_alu instid0(VALU_DEP_3)
	v_cmp_ne_u16_e64 s4, 0, v15
	s_xor_b32 s2, s2, -1
	s_wait_alu 0xfffe
	s_or_b32 s2, s3, s2
	s_wait_alu 0xfffe
	s_and_b32 s3, s2, s4
	s_wait_alu 0xfffe
	s_and_saveexec_b32 s2, s3
	s_cbranch_execz .LBB26_35
; %bb.34:
	ds_load_2addr_b64 v[25:28], v24 offset1:4
	v_mov_b32_e32 v15, 1
	ds_store_2addr_b64 v22, v[2:3], v[0:1] offset1:4
	s_wait_dscnt 0x1
	ds_store_2addr_b64 v24, v[27:28], v[25:26] offset1:4
	ds_store_b8 v21, v15
	ds_store_b8 v21, v14 offset:4
.LBB26_35:
	;; [unrolled: 35-line block ×3, first 2 shown]
	s_wait_alu 0xfffe
	s_or_b32 exec_lo, exec_lo, s2
	s_wait_loadcnt_dscnt 0x0
	s_barrier_signal -1
	s_barrier_wait -1
	global_inv scope:SCOPE_SE
	ds_load_u16 v14, v8
	ds_load_b128 v[0:3], v9
	s_wait_dscnt 0x1
	v_and_b32_e32 v15, 1, v14
	v_lshrrev_b16 v16, 8, v14
	s_wait_dscnt 0x0
	v_cmp_ge_i64_e64 s3, v[0:1], v[2:3]
	s_delay_alu instid0(VALU_DEP_3) | instskip(NEXT) | instid1(VALU_DEP_3)
	v_cmp_eq_u32_e64 s2, 1, v15
	v_cmp_ne_u16_e64 s4, 0, v16
	s_xor_b32 s2, s2, -1
	s_wait_alu 0xfffe
	s_or_b32 s2, s3, s2
	s_wait_alu 0xfffe
	s_and_b32 s3, s2, s4
	s_wait_alu 0xfffe
	s_and_saveexec_b32 s2, s3
	s_cbranch_execz .LBB26_39
; %bb.38:
	ds_load_b128 v[15:18], v23
	v_mov_b32_e32 v21, v0
	v_lshlrev_b16 v0, 8, v14
	v_dual_mov_b32 v19, v2 :: v_dual_mov_b32 v20, v3
	v_mov_b32_e32 v22, v1
	s_delay_alu instid0(VALU_DEP_3)
	v_or_b32_e32 v0, 1, v0
	s_wait_dscnt 0x0
	v_dual_mov_b32 v24, v17 :: v_dual_mov_b32 v25, v18
	v_dual_mov_b32 v26, v15 :: v_dual_mov_b32 v27, v16
	ds_store_b128 v23, v[24:27]
	ds_store_b128 v9, v[19:22]
	ds_store_b16 v8, v0
.LBB26_39:
	s_wait_alu 0xfffe
	s_or_b32 exec_lo, exec_lo, s2
	s_wait_loadcnt_dscnt 0x0
	s_barrier_signal -1
	s_barrier_wait -1
	global_inv scope:SCOPE_SE
	s_and_saveexec_b32 s2, s0
	s_cbranch_execz .LBB26_44
; %bb.40:
	s_and_saveexec_b32 s0, vcc_lo
	s_cbranch_execz .LBB26_42
; %bb.41:
	v_mad_co_u64_u32 v[0:1], null, v10, s6, v[5:6]
	v_mov_b32_e32 v1, 0
	v_mad_co_u64_u32 v[2:3], null, v10, s7, v[4:5]
	ds_load_b64 v[8:9], v12
	ds_load_b64 v[12:13], v13
	v_mov_b32_e32 v3, v1
	v_lshlrev_b64_e32 v[0:1], 3, v[0:1]
	s_delay_alu instid0(VALU_DEP_2) | instskip(NEXT) | instid1(VALU_DEP_2)
	v_lshlrev_b64_e32 v[2:3], 3, v[2:3]
	v_add_co_u32 v0, vcc_lo, s8, v0
	s_wait_alu 0xfffd
	s_delay_alu instid0(VALU_DEP_3) | instskip(NEXT) | instid1(VALU_DEP_3)
	v_add_co_ci_u32_e64 v1, null, s9, v1, vcc_lo
	v_add_co_u32 v2, vcc_lo, s10, v2
	s_wait_alu 0xfffd
	v_add_co_ci_u32_e64 v3, null, s11, v3, vcc_lo
	s_wait_dscnt 0x1
	global_store_b64 v[0:1], v[8:9], off
	s_wait_dscnt 0x0
	global_store_b64 v[2:3], v[12:13], off
.LBB26_42:
	s_wait_alu 0xfffe
	s_or_b32 exec_lo, exec_lo, s0
	s_delay_alu instid0(SALU_CYCLE_1)
	s_and_b32 exec_lo, exec_lo, s1
	s_cbranch_execz .LBB26_44
; %bb.43:
	v_mad_co_u64_u32 v[0:1], null, v11, s6, v[5:6]
	v_mov_b32_e32 v1, 0
	v_mad_co_u64_u32 v[2:3], null, v11, s7, v[4:5]
	ds_load_b64 v[4:5], v6
	ds_load_b64 v[6:7], v7
	v_mov_b32_e32 v3, v1
	v_lshlrev_b64_e32 v[0:1], 3, v[0:1]
	s_delay_alu instid0(VALU_DEP_2) | instskip(NEXT) | instid1(VALU_DEP_2)
	v_lshlrev_b64_e32 v[2:3], 3, v[2:3]
	v_add_co_u32 v0, vcc_lo, s8, v0
	s_wait_alu 0xfffd
	s_delay_alu instid0(VALU_DEP_3) | instskip(NEXT) | instid1(VALU_DEP_3)
	v_add_co_ci_u32_e64 v1, null, s9, v1, vcc_lo
	v_add_co_u32 v2, vcc_lo, s10, v2
	s_wait_alu 0xfffd
	v_add_co_ci_u32_e64 v3, null, s11, v3, vcc_lo
	s_wait_dscnt 0x1
	global_store_b64 v[0:1], v[4:5], off
	s_wait_dscnt 0x0
	global_store_b64 v[2:3], v[6:7], off
.LBB26_44:
	s_endpgm
	.section	.rodata,"a",@progbits
	.p2align	6, 0x0
	.amdhsa_kernel _ZN2at6native20bitonicSortKVInPlaceILi2ELin1ELi16ELi16EllNS0_4LTOpIlLb1EEEjEEvNS_4cuda6detail10TensorInfoIT3_T6_EES8_S8_S8_NS6_IT4_S8_EES8_T5_
		.amdhsa_group_segment_fixed_size 8704
		.amdhsa_private_segment_fixed_size 0
		.amdhsa_kernarg_size 712
		.amdhsa_user_sgpr_count 2
		.amdhsa_user_sgpr_dispatch_ptr 0
		.amdhsa_user_sgpr_queue_ptr 0
		.amdhsa_user_sgpr_kernarg_segment_ptr 1
		.amdhsa_user_sgpr_dispatch_id 0
		.amdhsa_user_sgpr_private_segment_size 0
		.amdhsa_wavefront_size32 1
		.amdhsa_uses_dynamic_stack 0
		.amdhsa_enable_private_segment 0
		.amdhsa_system_sgpr_workgroup_id_x 1
		.amdhsa_system_sgpr_workgroup_id_y 1
		.amdhsa_system_sgpr_workgroup_id_z 1
		.amdhsa_system_sgpr_workgroup_info 0
		.amdhsa_system_vgpr_workitem_id 1
		.amdhsa_next_free_vgpr 44
		.amdhsa_next_free_sgpr 19
		.amdhsa_reserve_vcc 1
		.amdhsa_float_round_mode_32 0
		.amdhsa_float_round_mode_16_64 0
		.amdhsa_float_denorm_mode_32 3
		.amdhsa_float_denorm_mode_16_64 3
		.amdhsa_fp16_overflow 0
		.amdhsa_workgroup_processor_mode 1
		.amdhsa_memory_ordered 1
		.amdhsa_forward_progress 1
		.amdhsa_inst_pref_size 38
		.amdhsa_round_robin_scheduling 0
		.amdhsa_exception_fp_ieee_invalid_op 0
		.amdhsa_exception_fp_denorm_src 0
		.amdhsa_exception_fp_ieee_div_zero 0
		.amdhsa_exception_fp_ieee_overflow 0
		.amdhsa_exception_fp_ieee_underflow 0
		.amdhsa_exception_fp_ieee_inexact 0
		.amdhsa_exception_int_div_zero 0
	.end_amdhsa_kernel
	.section	.text._ZN2at6native20bitonicSortKVInPlaceILi2ELin1ELi16ELi16EllNS0_4LTOpIlLb1EEEjEEvNS_4cuda6detail10TensorInfoIT3_T6_EES8_S8_S8_NS6_IT4_S8_EES8_T5_,"axG",@progbits,_ZN2at6native20bitonicSortKVInPlaceILi2ELin1ELi16ELi16EllNS0_4LTOpIlLb1EEEjEEvNS_4cuda6detail10TensorInfoIT3_T6_EES8_S8_S8_NS6_IT4_S8_EES8_T5_,comdat
.Lfunc_end26:
	.size	_ZN2at6native20bitonicSortKVInPlaceILi2ELin1ELi16ELi16EllNS0_4LTOpIlLb1EEEjEEvNS_4cuda6detail10TensorInfoIT3_T6_EES8_S8_S8_NS6_IT4_S8_EES8_T5_, .Lfunc_end26-_ZN2at6native20bitonicSortKVInPlaceILi2ELin1ELi16ELi16EllNS0_4LTOpIlLb1EEEjEEvNS_4cuda6detail10TensorInfoIT3_T6_EES8_S8_S8_NS6_IT4_S8_EES8_T5_
                                        ; -- End function
	.set _ZN2at6native20bitonicSortKVInPlaceILi2ELin1ELi16ELi16EllNS0_4LTOpIlLb1EEEjEEvNS_4cuda6detail10TensorInfoIT3_T6_EES8_S8_S8_NS6_IT4_S8_EES8_T5_.num_vgpr, 44
	.set _ZN2at6native20bitonicSortKVInPlaceILi2ELin1ELi16ELi16EllNS0_4LTOpIlLb1EEEjEEvNS_4cuda6detail10TensorInfoIT3_T6_EES8_S8_S8_NS6_IT4_S8_EES8_T5_.num_agpr, 0
	.set _ZN2at6native20bitonicSortKVInPlaceILi2ELin1ELi16ELi16EllNS0_4LTOpIlLb1EEEjEEvNS_4cuda6detail10TensorInfoIT3_T6_EES8_S8_S8_NS6_IT4_S8_EES8_T5_.numbered_sgpr, 19
	.set _ZN2at6native20bitonicSortKVInPlaceILi2ELin1ELi16ELi16EllNS0_4LTOpIlLb1EEEjEEvNS_4cuda6detail10TensorInfoIT3_T6_EES8_S8_S8_NS6_IT4_S8_EES8_T5_.num_named_barrier, 0
	.set _ZN2at6native20bitonicSortKVInPlaceILi2ELin1ELi16ELi16EllNS0_4LTOpIlLb1EEEjEEvNS_4cuda6detail10TensorInfoIT3_T6_EES8_S8_S8_NS6_IT4_S8_EES8_T5_.private_seg_size, 0
	.set _ZN2at6native20bitonicSortKVInPlaceILi2ELin1ELi16ELi16EllNS0_4LTOpIlLb1EEEjEEvNS_4cuda6detail10TensorInfoIT3_T6_EES8_S8_S8_NS6_IT4_S8_EES8_T5_.uses_vcc, 1
	.set _ZN2at6native20bitonicSortKVInPlaceILi2ELin1ELi16ELi16EllNS0_4LTOpIlLb1EEEjEEvNS_4cuda6detail10TensorInfoIT3_T6_EES8_S8_S8_NS6_IT4_S8_EES8_T5_.uses_flat_scratch, 0
	.set _ZN2at6native20bitonicSortKVInPlaceILi2ELin1ELi16ELi16EllNS0_4LTOpIlLb1EEEjEEvNS_4cuda6detail10TensorInfoIT3_T6_EES8_S8_S8_NS6_IT4_S8_EES8_T5_.has_dyn_sized_stack, 0
	.set _ZN2at6native20bitonicSortKVInPlaceILi2ELin1ELi16ELi16EllNS0_4LTOpIlLb1EEEjEEvNS_4cuda6detail10TensorInfoIT3_T6_EES8_S8_S8_NS6_IT4_S8_EES8_T5_.has_recursion, 0
	.set _ZN2at6native20bitonicSortKVInPlaceILi2ELin1ELi16ELi16EllNS0_4LTOpIlLb1EEEjEEvNS_4cuda6detail10TensorInfoIT3_T6_EES8_S8_S8_NS6_IT4_S8_EES8_T5_.has_indirect_call, 0
	.section	.AMDGPU.csdata,"",@progbits
; Kernel info:
; codeLenInByte = 4740
; TotalNumSgprs: 21
; NumVgprs: 44
; ScratchSize: 0
; MemoryBound: 0
; FloatMode: 240
; IeeeMode: 1
; LDSByteSize: 8704 bytes/workgroup (compile time only)
; SGPRBlocks: 0
; VGPRBlocks: 5
; NumSGPRsForWavesPerEU: 21
; NumVGPRsForWavesPerEU: 44
; Occupancy: 16
; WaveLimiterHint : 1
; COMPUTE_PGM_RSRC2:SCRATCH_EN: 0
; COMPUTE_PGM_RSRC2:USER_SGPR: 2
; COMPUTE_PGM_RSRC2:TRAP_HANDLER: 0
; COMPUTE_PGM_RSRC2:TGID_X_EN: 1
; COMPUTE_PGM_RSRC2:TGID_Y_EN: 1
; COMPUTE_PGM_RSRC2:TGID_Z_EN: 1
; COMPUTE_PGM_RSRC2:TIDIG_COMP_CNT: 1
	.section	.text._ZN2at6native20bitonicSortKVInPlaceILi2ELin1ELi16ELi16EllNS0_4GTOpIlLb1EEEjEEvNS_4cuda6detail10TensorInfoIT3_T6_EES8_S8_S8_NS6_IT4_S8_EES8_T5_,"axG",@progbits,_ZN2at6native20bitonicSortKVInPlaceILi2ELin1ELi16ELi16EllNS0_4GTOpIlLb1EEEjEEvNS_4cuda6detail10TensorInfoIT3_T6_EES8_S8_S8_NS6_IT4_S8_EES8_T5_,comdat
	.protected	_ZN2at6native20bitonicSortKVInPlaceILi2ELin1ELi16ELi16EllNS0_4GTOpIlLb1EEEjEEvNS_4cuda6detail10TensorInfoIT3_T6_EES8_S8_S8_NS6_IT4_S8_EES8_T5_ ; -- Begin function _ZN2at6native20bitonicSortKVInPlaceILi2ELin1ELi16ELi16EllNS0_4GTOpIlLb1EEEjEEvNS_4cuda6detail10TensorInfoIT3_T6_EES8_S8_S8_NS6_IT4_S8_EES8_T5_
	.globl	_ZN2at6native20bitonicSortKVInPlaceILi2ELin1ELi16ELi16EllNS0_4GTOpIlLb1EEEjEEvNS_4cuda6detail10TensorInfoIT3_T6_EES8_S8_S8_NS6_IT4_S8_EES8_T5_
	.p2align	8
	.type	_ZN2at6native20bitonicSortKVInPlaceILi2ELin1ELi16ELi16EllNS0_4GTOpIlLb1EEEjEEvNS_4cuda6detail10TensorInfoIT3_T6_EES8_S8_S8_NS6_IT4_S8_EES8_T5_,@function
_ZN2at6native20bitonicSortKVInPlaceILi2ELin1ELi16ELi16EllNS0_4GTOpIlLb1EEEjEEvNS_4cuda6detail10TensorInfoIT3_T6_EES8_S8_S8_NS6_IT4_S8_EES8_T5_: ; @_ZN2at6native20bitonicSortKVInPlaceILi2ELin1ELi16ELi16EllNS0_4GTOpIlLb1EEEjEEvNS_4cuda6detail10TensorInfoIT3_T6_EES8_S8_S8_NS6_IT4_S8_EES8_T5_
; %bb.0:
	s_clause 0x2
	s_load_b64 s[2:3], s[0:1], 0x1c8
	s_load_u16 s7, s[0:1], 0x1d6
	s_load_b96 s[4:6], s[0:1], 0xd8
	s_lshr_b32 s8, ttmp7, 16
	s_wait_kmcnt 0x0
	s_mul_i32 s3, s3, s8
	s_and_b32 s8, ttmp7, 0xffff
	s_delay_alu instid0(SALU_CYCLE_1) | instskip(NEXT) | instid1(SALU_CYCLE_1)
	s_add_co_i32 s3, s3, s8
	s_mul_i32 s2, s3, s2
	s_delay_alu instid0(SALU_CYCLE_1) | instskip(NEXT) | instid1(SALU_CYCLE_1)
	s_add_co_i32 s10, s2, ttmp9
	s_mul_i32 s10, s10, s7
	s_delay_alu instid0(SALU_CYCLE_1)
	s_cmp_ge_u32 s10, s4
	s_cbranch_scc1 .LBB27_44
; %bb.1:
	s_clause 0x2
	s_load_b32 s7, s[0:1], 0xc
	s_load_b64 s[2:3], s[0:1], 0x6c
	s_load_b32 s14, s[0:1], 0x1b8
	v_bfe_u32 v8, v0, 10, 10
	s_mov_b32 s13, 0
	s_delay_alu instid0(VALU_DEP_1) | instskip(SKIP_3) | instid1(SALU_CYCLE_2)
	v_add_nc_u32_e32 v4, s10, v8
	s_wait_kmcnt 0x0
	s_cvt_f32_u32 s8, s7
	s_sub_co_i32 s12, 0, s7
	v_rcp_iflag_f32_e32 v1, s8
	s_delay_alu instid0(TRANS32_DEP_1) | instskip(SKIP_3) | instid1(SALU_CYCLE_2)
	v_readfirstlane_b32 s8, v1
	v_mov_b32_e32 v1, 0
	s_mul_f32 s11, s8, 0x4f7ffffe
	s_load_b64 s[8:9], s[0:1], 0x0
	s_cvt_u32_f32 s11, s11
	s_wait_alu 0xfffe
	s_delay_alu instid0(SALU_CYCLE_2) | instskip(NEXT) | instid1(SALU_CYCLE_1)
	s_mul_i32 s12, s12, s11
	s_mul_hi_u32 s10, s11, s12
	s_wait_alu 0xfffe
	s_add_co_i32 s11, s11, s10
	s_cmp_lt_i32 s14, 2
	s_wait_alu 0xfffe
	v_mad_co_u64_u32 v[2:3], null, v4, s11, 0
	s_add_nc_u64 s[10:11], s[0:1], 0xe8
	s_cbranch_scc1 .LBB27_4
; %bb.2:
	s_add_co_i32 s12, s14, -1
	v_mov_b32_e32 v1, 0
	s_lshl_b64 s[12:13], s[12:13], 2
	v_mov_b32_e32 v5, v4
	s_wait_alu 0xfffe
	s_add_nc_u64 s[12:13], s[10:11], s[12:13]
	s_add_co_i32 s14, s14, 1
	s_add_nc_u64 s[12:13], s[12:13], 8
.LBB27_3:                               ; =>This Inner Loop Header: Depth=1
	s_clause 0x1
	s_load_b32 s15, s[12:13], 0x0
	s_load_b32 s16, s[12:13], 0x64
	s_add_co_i32 s14, s14, -1
	s_add_nc_u64 s[12:13], s[12:13], -4
	s_wait_kmcnt 0x0
	s_cvt_f32_u32 s17, s15
	s_sub_co_i32 s18, 0, s15
	s_wait_alu 0xfffe
	s_delay_alu instid0(SALU_CYCLE_1) | instskip(NEXT) | instid1(TRANS32_DEP_1)
	v_rcp_iflag_f32_e32 v2, s17
	v_readfirstlane_b32 s17, v2
	v_mov_b32_e32 v2, v5
	s_mul_f32 s17, s17, 0x4f7ffffe
	s_wait_alu 0xfffe
	s_delay_alu instid0(SALU_CYCLE_2) | instskip(SKIP_1) | instid1(SALU_CYCLE_2)
	s_cvt_u32_f32 s17, s17
	s_wait_alu 0xfffe
	s_mul_i32 s18, s18, s17
	s_delay_alu instid0(SALU_CYCLE_1) | instskip(NEXT) | instid1(SALU_CYCLE_1)
	s_mul_hi_u32 s18, s17, s18
	s_add_co_i32 s17, s17, s18
	s_cmp_gt_u32 s14, 2
	s_wait_alu 0xfffe
	v_mul_hi_u32 v5, v2, s17
	s_delay_alu instid0(VALU_DEP_1) | instskip(SKIP_1) | instid1(VALU_DEP_2)
	v_mul_lo_u32 v6, v5, s15
	v_add_nc_u32_e32 v7, 1, v5
	v_sub_nc_u32_e32 v6, v2, v6
	s_delay_alu instid0(VALU_DEP_1) | instskip(SKIP_2) | instid1(VALU_DEP_2)
	v_subrev_nc_u32_e32 v9, s15, v6
	v_cmp_le_u32_e32 vcc_lo, s15, v6
	s_wait_alu 0xfffd
	v_dual_cndmask_b32 v5, v5, v7 :: v_dual_cndmask_b32 v6, v6, v9
	s_delay_alu instid0(VALU_DEP_1) | instskip(NEXT) | instid1(VALU_DEP_2)
	v_add_nc_u32_e32 v7, 1, v5
	v_cmp_le_u32_e32 vcc_lo, s15, v6
	s_wait_alu 0xfffd
	s_delay_alu instid0(VALU_DEP_2) | instskip(NEXT) | instid1(VALU_DEP_1)
	v_cndmask_b32_e32 v5, v5, v7, vcc_lo
	v_mul_lo_u32 v6, v5, s15
	s_delay_alu instid0(VALU_DEP_1) | instskip(NEXT) | instid1(VALU_DEP_1)
	v_sub_nc_u32_e32 v2, v2, v6
	v_mad_co_u64_u32 v[1:2], null, s16, v2, v[1:2]
	s_cbranch_scc1 .LBB27_3
	s_branch .LBB27_5
.LBB27_4:
	v_mov_b32_e32 v5, v4
.LBB27_5:
	v_mul_lo_u32 v2, v3, s7
	v_add_nc_u32_e32 v6, 1, v3
	s_load_b32 s14, s[10:11], 0x6c
	s_add_nc_u64 s[12:13], s[0:1], 0x1c8
	v_and_b32_e32 v10, 0x3ff, v0
	s_load_b32 s12, s[12:13], 0xc
	s_delay_alu instid0(VALU_DEP_3) | instskip(NEXT) | instid1(VALU_DEP_1)
	v_sub_nc_u32_e32 v2, v4, v2
	v_subrev_nc_u32_e32 v7, s7, v2
	v_cmp_le_u32_e32 vcc_lo, s7, v2
	s_wait_alu 0xfffd
	s_delay_alu instid0(VALU_DEP_2) | instskip(NEXT) | instid1(VALU_DEP_1)
	v_dual_cndmask_b32 v3, v3, v6 :: v_dual_cndmask_b32 v2, v2, v7
	v_add_nc_u32_e32 v6, 1, v3
	s_delay_alu instid0(VALU_DEP_2) | instskip(SKIP_1) | instid1(VALU_DEP_2)
	v_cmp_le_u32_e32 vcc_lo, s7, v2
	s_wait_alu 0xfffd
	v_cndmask_b32_e32 v2, v3, v6, vcc_lo
	v_cmp_gt_u32_e32 vcc_lo, s5, v10
	s_delay_alu instid0(VALU_DEP_2) | instskip(SKIP_4) | instid1(VALU_DEP_2)
	v_mul_lo_u32 v3, v2, s7
	s_clause 0x1
	s_load_b32 s7, s[0:1], 0x1c0
	s_load_b64 s[10:11], s[10:11], 0x0
	v_cmp_gt_u32_e64 s0, s4, v4
	v_sub_nc_u32_e32 v3, v4, v3
	s_wait_kmcnt 0x0
	v_mad_co_u64_u32 v[4:5], null, s14, v5, v[1:2]
	s_delay_alu instid0(VALU_DEP_2) | instskip(NEXT) | instid1(VALU_DEP_1)
	v_mul_lo_u32 v0, v3, s3
	v_mad_co_u64_u32 v[5:6], null, v2, s2, v[0:1]
	v_mov_b32_e32 v0, 0
	v_mov_b32_e32 v2, 0
	v_dual_mov_b32 v6, 0 :: v_dual_mov_b32 v1, 0
	v_mov_b32_e32 v3, 0
	v_mov_b32_e32 v7, 0
	s_and_b32 s2, s0, vcc_lo
	s_wait_alu 0xfffe
	s_and_saveexec_b32 s3, s2
	s_cbranch_execz .LBB27_7
; %bb.6:
	v_mad_co_u64_u32 v[2:3], null, v10, s6, v[5:6]
	v_mov_b32_e32 v3, 0
	v_mad_co_u64_u32 v[6:7], null, v10, s7, v[4:5]
	s_delay_alu instid0(VALU_DEP_2) | instskip(NEXT) | instid1(VALU_DEP_4)
	v_mov_b32_e32 v7, v3
	v_lshlrev_b64_e32 v[2:3], 3, v[2:3]
	s_delay_alu instid0(VALU_DEP_2) | instskip(NEXT) | instid1(VALU_DEP_2)
	v_lshlrev_b64_e32 v[6:7], 3, v[6:7]
	v_add_co_u32 v2, s1, s8, v2
	s_delay_alu instid0(VALU_DEP_1) | instskip(NEXT) | instid1(VALU_DEP_3)
	v_add_co_ci_u32_e64 v3, null, s9, v3, s1
	v_add_co_u32 v6, s1, s10, v6
	s_wait_alu 0xf1ff
	s_delay_alu instid0(VALU_DEP_4)
	v_add_co_ci_u32_e64 v7, null, s11, v7, s1
	global_load_b64 v[2:3], v[2:3], off
	global_load_b64 v[6:7], v[6:7], off
.LBB27_7:
	s_wait_alu 0xfffe
	s_or_b32 exec_lo, exec_lo, s3
	v_lshlrev_b32_e32 v15, 8, v8
	s_and_b32 s3, 0xffff, s12
	v_lshlrev_b32_e32 v16, 3, v10
	s_wait_alu 0xfffe
	v_add_nc_u32_e32 v11, s3, v10
	v_lshl_add_u32 v17, v8, 5, 0x2000
	v_mov_b32_e32 v8, 0
	v_dual_mov_b32 v9, 0 :: v_dual_add_nc_u32 v14, 0x1000, v15
	s_delay_alu instid0(VALU_DEP_4) | instskip(SKIP_2) | instid1(VALU_DEP_4)
	v_cmp_gt_u32_e64 s1, s5, v11
	v_add_nc_u32_e32 v12, v15, v16
	v_cndmask_b32_e64 v18, 0, 1, s2
	v_add_nc_u32_e32 v13, v14, v16
	v_add_nc_u32_e32 v19, v17, v10
	s_and_b32 s4, s0, s1
	s_wait_loadcnt 0x1
	ds_store_b64 v12, v[2:3]
	s_wait_loadcnt 0x0
	ds_store_b64 v13, v[6:7]
	ds_store_b8 v19, v18
	s_wait_alu 0xfffe
	s_and_saveexec_b32 s5, s4
	s_cbranch_execz .LBB27_9
; %bb.8:
	v_mad_co_u64_u32 v[0:1], null, v11, s6, v[5:6]
	v_mov_b32_e32 v1, 0
	v_mad_co_u64_u32 v[2:3], null, v11, s7, v[4:5]
	s_delay_alu instid0(VALU_DEP_2) | instskip(NEXT) | instid1(VALU_DEP_4)
	v_mov_b32_e32 v3, v1
	v_lshlrev_b64_e32 v[0:1], 3, v[0:1]
	s_delay_alu instid0(VALU_DEP_2) | instskip(NEXT) | instid1(VALU_DEP_2)
	v_lshlrev_b64_e32 v[2:3], 3, v[2:3]
	v_add_co_u32 v0, s2, s8, v0
	s_wait_alu 0xf1ff
	s_delay_alu instid0(VALU_DEP_3) | instskip(NEXT) | instid1(VALU_DEP_3)
	v_add_co_ci_u32_e64 v1, null, s9, v1, s2
	v_add_co_u32 v2, s2, s10, v2
	s_wait_alu 0xf1ff
	v_add_co_ci_u32_e64 v3, null, s11, v3, s2
	global_load_b64 v[0:1], v[0:1], off
	global_load_b64 v[8:9], v[2:3], off
.LBB27_9:
	s_wait_alu 0xfffe
	s_or_b32 exec_lo, exec_lo, s5
	s_lshl_b32 s2, s3, 3
	v_lshlrev_b32_e32 v20, 1, v10
	s_wait_alu 0xfffe
	v_add_nc_u32_e32 v6, s2, v12
	v_add_nc_u32_e32 v7, s2, v13
	v_cndmask_b32_e64 v2, 0, 1, s4
	v_add_nc_u32_e32 v3, v17, v11
	v_and_b32_e32 v18, 1, v10
	s_wait_loadcnt 0x1
	ds_store_b64 v6, v[0:1]
	s_wait_loadcnt 0x0
	ds_store_b64 v7, v[8:9]
	ds_store_b8 v3, v2
	v_add_nc_u32_e32 v8, v17, v20
	v_add_nc_u32_e32 v9, v12, v16
	s_wait_dscnt 0x0
	s_barrier_signal -1
	s_barrier_wait -1
	global_inv scope:SCOPE_SE
	ds_load_u16 v22, v8
	ds_load_b128 v[0:3], v9
	s_wait_dscnt 0x1
	v_lshrrev_b16 v19, 8, v22
	v_and_b32_e32 v21, 1, v22
	s_wait_dscnt 0x0
	v_cmp_gt_i64_e64 s2, v[0:1], v[2:3]
	s_delay_alu instid0(VALU_DEP_3) | instskip(NEXT) | instid1(VALU_DEP_3)
	v_cmp_ne_u16_e64 s4, v19, v18
	v_cmp_eq_u32_e64 s3, 1, v21
	s_wait_alu 0xf1ff
	s_delay_alu instid0(VALU_DEP_2) | instskip(SKIP_2) | instid1(VALU_DEP_1)
	v_cndmask_b32_e64 v21, 0, 1, s4
	s_and_b32 s2, s2, s3
	s_wait_alu 0xfffe
	v_cndmask_b32_e64 v21, v21, v10, s2
	s_delay_alu instid0(VALU_DEP_1) | instskip(NEXT) | instid1(VALU_DEP_1)
	v_and_b32_e32 v21, 1, v21
	v_cmp_eq_u32_e64 s2, 1, v21
	v_add_nc_u32_e32 v21, v13, v16
	s_and_saveexec_b32 s3, s2
	s_wait_alu 0xfffe
	s_xor_b32 s2, exec_lo, s3
	s_cbranch_execz .LBB27_11
; %bb.10:
	ds_load_b128 v[23:26], v21
	v_mov_b32_e32 v29, v0
	v_lshlrev_b16 v0, 8, v22
	v_dual_mov_b32 v27, v2 :: v_dual_mov_b32 v28, v3
	v_mov_b32_e32 v30, v1
	s_delay_alu instid0(VALU_DEP_3)
	v_or_b32_e32 v0, v19, v0
	s_wait_dscnt 0x0
	v_dual_mov_b32 v31, v25 :: v_dual_mov_b32 v34, v24
	v_dual_mov_b32 v32, v26 :: v_dual_mov_b32 v33, v23
	ds_store_b128 v21, v[31:34]
	ds_store_b128 v9, v[27:30]
	ds_store_b16 v8, v0
.LBB27_11:
	s_wait_alu 0xfffe
	s_or_b32 exec_lo, exec_lo, s2
	v_sub_nc_u32_e32 v19, v20, v18
	s_wait_loadcnt_dscnt 0x0
	s_barrier_signal -1
	s_barrier_wait -1
	global_inv scope:SCOPE_SE
	v_add_nc_u32_e32 v16, v17, v19
	v_lshl_add_u32 v18, v19, 3, v15
	v_bfe_u32 v25, v10, 1, 1
	v_lshl_add_u32 v19, v19, 3, v14
	ds_load_u8 v23, v16
	ds_load_2addr_b64 v[0:3], v18 offset1:2
	ds_load_u8 v24, v16 offset:2
	s_wait_dscnt 0x2
	v_and_b32_e32 v22, 1, v23
	s_wait_dscnt 0x1
	v_cmp_gt_i64_e64 s2, v[0:1], v[2:3]
	s_wait_dscnt 0x0
	v_cmp_ne_u16_e64 s4, v24, v25
	v_cmp_eq_u32_e64 s3, 1, v22
	s_wait_alu 0xf1ff
	s_delay_alu instid0(VALU_DEP_2) | instskip(SKIP_2) | instid1(VALU_DEP_1)
	v_cndmask_b32_e64 v22, 0, 1, s4
	s_and_b32 s2, s2, s3
	s_wait_alu 0xfffe
	v_cndmask_b32_e64 v25, v22, v25, s2
	v_and_b32_e32 v22, 2, v10
	s_delay_alu instid0(VALU_DEP_2) | instskip(NEXT) | instid1(VALU_DEP_2)
	v_and_b32_e32 v25, 1, v25
	v_cmp_ne_u32_e64 s2, 0, v22
	s_delay_alu instid0(VALU_DEP_2)
	v_cmp_eq_u32_e64 s3, 1, v25
	s_and_saveexec_b32 s4, s3
	s_wait_alu 0xfffe
	s_xor_b32 s3, exec_lo, s4
	s_cbranch_execz .LBB27_13
; %bb.12:
	ds_load_2addr_b64 v[25:28], v19 offset1:2
	ds_store_2addr_b64 v18, v[2:3], v[0:1] offset1:2
	s_wait_dscnt 0x1
	ds_store_2addr_b64 v19, v[27:28], v[25:26] offset1:2
	ds_store_b8 v16, v24
	ds_store_b8 v16, v23 offset:2
.LBB27_13:
	s_wait_alu 0xfffe
	s_or_b32 exec_lo, exec_lo, s3
	s_wait_loadcnt_dscnt 0x0
	s_barrier_signal -1
	s_barrier_wait -1
	global_inv scope:SCOPE_SE
	ds_load_u16 v23, v8
	ds_load_b128 v[0:3], v9
	v_lshrrev_b32_e32 v24, 1, v22
	v_cndmask_b32_e64 v26, 0, 1, s2
	s_wait_dscnt 0x1
	v_lshrrev_b16 v22, 8, v23
	v_and_b32_e32 v25, 1, v23
	s_wait_dscnt 0x0
	v_cmp_gt_i64_e64 s2, v[0:1], v[2:3]
	s_delay_alu instid0(VALU_DEP_3) | instskip(NEXT) | instid1(VALU_DEP_3)
	v_cmp_ne_u16_e64 s4, v22, v24
	v_cmp_eq_u32_e64 s3, 1, v25
	s_wait_alu 0xf1ff
	s_delay_alu instid0(VALU_DEP_2) | instskip(SKIP_3) | instid1(VALU_DEP_1)
	v_cndmask_b32_e64 v24, 0, 1, s4
	s_and_b32 s2, s2, s3
	s_mov_b32 s3, exec_lo
	s_wait_alu 0xfffe
	v_cndmask_b32_e64 v24, v24, v26, s2
	s_delay_alu instid0(VALU_DEP_1) | instskip(NEXT) | instid1(VALU_DEP_1)
	v_and_b32_e32 v24, 1, v24
	v_cmpx_eq_u32_e32 1, v24
	s_cbranch_execz .LBB27_15
; %bb.14:
	ds_load_b128 v[24:27], v21
	v_mov_b32_e32 v30, v0
	v_lshlrev_b16 v0, 8, v23
	v_dual_mov_b32 v28, v2 :: v_dual_mov_b32 v29, v3
	v_mov_b32_e32 v31, v1
	s_delay_alu instid0(VALU_DEP_3)
	v_or_b32_e32 v0, v22, v0
	s_wait_dscnt 0x0
	v_dual_mov_b32 v32, v26 :: v_dual_mov_b32 v35, v25
	v_dual_mov_b32 v33, v27 :: v_dual_mov_b32 v34, v24
	ds_store_b128 v21, v[32:35]
	ds_store_b128 v9, v[28:31]
	ds_store_b16 v8, v0
.LBB27_15:
	s_or_b32 exec_lo, exec_lo, s3
	v_and_b32_e32 v0, 3, v10
	s_wait_loadcnt_dscnt 0x0
	s_barrier_signal -1
	s_barrier_wait -1
	global_inv scope:SCOPE_SE
	v_sub_nc_u32_e32 v24, v20, v0
	v_bfe_u32 v27, v10, 2, 1
	s_delay_alu instid0(VALU_DEP_2)
	v_add_nc_u32_e32 v21, v17, v24
	v_lshl_add_u32 v22, v24, 3, v15
	v_lshl_add_u32 v24, v24, 3, v14
	ds_load_u8 v25, v21
	ds_load_2addr_b64 v[0:3], v22 offset1:4
	ds_load_u8 v26, v21 offset:4
	s_wait_dscnt 0x2
	v_and_b32_e32 v23, 1, v25
	s_wait_dscnt 0x1
	v_cmp_gt_i64_e64 s2, v[0:1], v[2:3]
	s_wait_dscnt 0x0
	v_cmp_ne_u16_e64 s4, v26, v27
	v_cmp_eq_u32_e64 s3, 1, v23
	s_wait_alu 0xf1ff
	s_delay_alu instid0(VALU_DEP_2) | instskip(SKIP_3) | instid1(VALU_DEP_1)
	v_cndmask_b32_e64 v23, 0, 1, s4
	s_mov_b32 s4, exec_lo
	s_and_b32 s2, s2, s3
	s_wait_alu 0xfffe
	v_cndmask_b32_e64 v27, v23, v27, s2
	v_and_b32_e32 v23, 4, v10
	s_delay_alu instid0(VALU_DEP_2) | instskip(NEXT) | instid1(VALU_DEP_2)
	v_and_b32_e32 v27, 1, v27
	v_cmp_ne_u32_e64 s2, 0, v23
	s_delay_alu instid0(VALU_DEP_2)
	v_cmpx_eq_u32_e32 1, v27
	s_cbranch_execz .LBB27_17
; %bb.16:
	ds_load_2addr_b64 v[27:30], v24 offset1:4
	ds_store_2addr_b64 v22, v[2:3], v[0:1] offset1:4
	s_wait_dscnt 0x1
	ds_store_2addr_b64 v24, v[29:30], v[27:28] offset1:4
	ds_store_b8 v21, v26
	ds_store_b8 v21, v25 offset:4
.LBB27_17:
	s_or_b32 exec_lo, exec_lo, s4
	s_wait_loadcnt_dscnt 0x0
	s_barrier_signal -1
	s_barrier_wait -1
	global_inv scope:SCOPE_SE
	ds_load_u8 v26, v16
	ds_load_2addr_b64 v[0:3], v18 offset1:2
	ds_load_u8 v27, v16 offset:2
	v_lshrrev_b32_e32 v23, 2, v23
	v_cndmask_b32_e64 v25, 0, 1, s2
	s_wait_dscnt 0x2
	v_and_b32_e32 v28, 1, v26
	s_wait_dscnt 0x1
	v_cmp_gt_i64_e64 s2, v[0:1], v[2:3]
	s_wait_dscnt 0x0
	v_cmp_ne_u16_e64 s4, v27, v23
	v_cmp_eq_u32_e64 s3, 1, v28
	s_wait_alu 0xf1ff
	s_delay_alu instid0(VALU_DEP_2) | instskip(SKIP_3) | instid1(VALU_DEP_1)
	v_cndmask_b32_e64 v28, 0, 1, s4
	s_and_b32 s2, s2, s3
	s_mov_b32 s3, exec_lo
	s_wait_alu 0xfffe
	v_cndmask_b32_e64 v28, v28, v25, s2
	s_delay_alu instid0(VALU_DEP_1) | instskip(NEXT) | instid1(VALU_DEP_1)
	v_and_b32_e32 v28, 1, v28
	v_cmpx_eq_u32_e32 1, v28
	s_cbranch_execz .LBB27_19
; %bb.18:
	ds_load_2addr_b64 v[28:31], v19 offset1:2
	ds_store_2addr_b64 v18, v[2:3], v[0:1] offset1:2
	s_wait_dscnt 0x1
	ds_store_2addr_b64 v19, v[30:31], v[28:29] offset1:2
	ds_store_b8 v16, v27
	ds_store_b8 v16, v26 offset:2
.LBB27_19:
	s_or_b32 exec_lo, exec_lo, s3
	s_wait_loadcnt_dscnt 0x0
	s_barrier_signal -1
	s_barrier_wait -1
	global_inv scope:SCOPE_SE
	ds_load_u16 v27, v8
	ds_load_b128 v[0:3], v9
	s_wait_dscnt 0x1
	v_lshrrev_b16 v26, 8, v27
	v_and_b32_e32 v28, 1, v27
	s_wait_dscnt 0x0
	v_cmp_gt_i64_e64 s2, v[0:1], v[2:3]
	s_delay_alu instid0(VALU_DEP_3) | instskip(NEXT) | instid1(VALU_DEP_3)
	v_cmp_ne_u16_e64 s4, v26, v23
	v_cmp_eq_u32_e64 s3, 1, v28
	s_wait_alu 0xf1ff
	s_delay_alu instid0(VALU_DEP_2) | instskip(SKIP_2) | instid1(VALU_DEP_1)
	v_cndmask_b32_e64 v23, 0, 1, s4
	s_and_b32 s2, s2, s3
	s_wait_alu 0xfffe
	v_cndmask_b32_e64 v23, v23, v25, s2
	s_delay_alu instid0(VALU_DEP_1) | instskip(NEXT) | instid1(VALU_DEP_1)
	v_and_b32_e32 v23, 1, v23
	v_cmp_eq_u32_e64 s2, 1, v23
	v_lshl_add_u32 v23, v20, 3, v14
	s_and_saveexec_b32 s3, s2
	s_cbranch_execz .LBB27_21
; %bb.20:
	ds_load_b128 v[28:31], v23
	v_mov_b32_e32 v34, v0
	v_lshlrev_b16 v0, 8, v27
	v_dual_mov_b32 v32, v2 :: v_dual_mov_b32 v33, v3
	v_mov_b32_e32 v35, v1
	s_delay_alu instid0(VALU_DEP_3)
	v_or_b32_e32 v0, v26, v0
	s_wait_dscnt 0x0
	v_dual_mov_b32 v36, v30 :: v_dual_mov_b32 v39, v29
	v_dual_mov_b32 v37, v31 :: v_dual_mov_b32 v38, v28
	ds_store_b128 v23, v[36:39]
	ds_store_b128 v9, v[32:35]
	ds_store_b16 v8, v0
.LBB27_21:
	s_wait_alu 0xfffe
	s_or_b32 exec_lo, exec_lo, s3
	v_and_b32_e32 v0, 7, v10
	s_wait_loadcnt_dscnt 0x0
	s_barrier_signal -1
	s_barrier_wait -1
	global_inv scope:SCOPE_SE
	v_sub_nc_u32_e32 v27, v20, v0
	v_bfe_u32 v31, v10, 3, 1
	s_delay_alu instid0(VALU_DEP_2)
	v_add_nc_u32_e32 v25, v17, v27
	v_lshl_add_u32 v26, v27, 3, v15
	v_lshl_add_u32 v27, v27, 3, v14
	ds_load_u8 v29, v25
	ds_load_2addr_b64 v[0:3], v26 offset1:8
	ds_load_u8 v30, v25 offset:8
	s_wait_dscnt 0x2
	v_and_b32_e32 v28, 1, v29
	s_wait_dscnt 0x1
	v_cmp_gt_i64_e64 s2, v[0:1], v[2:3]
	s_wait_dscnt 0x0
	v_cmp_ne_u16_e64 s4, v30, v31
	v_cmp_eq_u32_e64 s3, 1, v28
	s_wait_alu 0xf1ff
	s_delay_alu instid0(VALU_DEP_2) | instskip(SKIP_3) | instid1(VALU_DEP_1)
	v_cndmask_b32_e64 v28, 0, 1, s4
	s_mov_b32 s4, exec_lo
	s_and_b32 s2, s2, s3
	s_wait_alu 0xfffe
	v_cndmask_b32_e64 v31, v28, v31, s2
	v_and_b32_e32 v28, 8, v10
	s_delay_alu instid0(VALU_DEP_2) | instskip(NEXT) | instid1(VALU_DEP_2)
	v_and_b32_e32 v31, 1, v31
	v_cmp_ne_u32_e64 s2, 0, v28
	s_delay_alu instid0(VALU_DEP_2)
	v_cmpx_eq_u32_e32 1, v31
	s_cbranch_execz .LBB27_23
; %bb.22:
	ds_load_2addr_b64 v[31:34], v27 offset1:8
	ds_store_2addr_b64 v26, v[2:3], v[0:1] offset1:8
	s_wait_dscnt 0x1
	ds_store_2addr_b64 v27, v[33:34], v[31:32] offset1:8
	ds_store_b8 v25, v30
	ds_store_b8 v25, v29 offset:8
.LBB27_23:
	s_or_b32 exec_lo, exec_lo, s4
	s_wait_loadcnt_dscnt 0x0
	s_barrier_signal -1
	s_barrier_wait -1
	global_inv scope:SCOPE_SE
	ds_load_u8 v30, v21
	ds_load_2addr_b64 v[0:3], v22 offset1:4
	ds_load_u8 v31, v21 offset:4
	v_lshrrev_b32_e32 v28, 3, v28
	v_cndmask_b32_e64 v29, 0, 1, s2
	s_wait_dscnt 0x2
	v_and_b32_e32 v32, 1, v30
	s_wait_dscnt 0x1
	v_cmp_gt_i64_e64 s2, v[0:1], v[2:3]
	s_wait_dscnt 0x0
	v_cmp_ne_u16_e64 s4, v31, v28
	v_cmp_eq_u32_e64 s3, 1, v32
	s_wait_alu 0xf1ff
	s_delay_alu instid0(VALU_DEP_2) | instskip(SKIP_3) | instid1(VALU_DEP_1)
	v_cndmask_b32_e64 v32, 0, 1, s4
	s_and_b32 s2, s2, s3
	s_mov_b32 s3, exec_lo
	s_wait_alu 0xfffe
	v_cndmask_b32_e64 v32, v32, v29, s2
	s_delay_alu instid0(VALU_DEP_1) | instskip(NEXT) | instid1(VALU_DEP_1)
	v_and_b32_e32 v32, 1, v32
	v_cmpx_eq_u32_e32 1, v32
	s_cbranch_execz .LBB27_25
; %bb.24:
	ds_load_2addr_b64 v[32:35], v24 offset1:4
	ds_store_2addr_b64 v22, v[2:3], v[0:1] offset1:4
	s_wait_dscnt 0x1
	ds_store_2addr_b64 v24, v[34:35], v[32:33] offset1:4
	ds_store_b8 v21, v31
	ds_store_b8 v21, v30 offset:4
.LBB27_25:
	s_or_b32 exec_lo, exec_lo, s3
	s_wait_loadcnt_dscnt 0x0
	s_barrier_signal -1
	s_barrier_wait -1
	global_inv scope:SCOPE_SE
	ds_load_u8 v30, v16
	ds_load_2addr_b64 v[0:3], v18 offset1:2
	ds_load_u8 v31, v16 offset:2
	s_wait_dscnt 0x2
	v_and_b32_e32 v32, 1, v30
	s_wait_dscnt 0x1
	v_cmp_gt_i64_e64 s2, v[0:1], v[2:3]
	s_wait_dscnt 0x0
	v_cmp_ne_u16_e64 s4, v31, v28
	v_cmp_eq_u32_e64 s3, 1, v32
	s_wait_alu 0xf1ff
	s_delay_alu instid0(VALU_DEP_2) | instskip(SKIP_3) | instid1(VALU_DEP_1)
	v_cndmask_b32_e64 v32, 0, 1, s4
	s_and_b32 s2, s2, s3
	s_mov_b32 s3, exec_lo
	s_wait_alu 0xfffe
	v_cndmask_b32_e64 v32, v32, v29, s2
	s_delay_alu instid0(VALU_DEP_1) | instskip(NEXT) | instid1(VALU_DEP_1)
	v_and_b32_e32 v32, 1, v32
	v_cmpx_eq_u32_e32 1, v32
	s_cbranch_execz .LBB27_27
; %bb.26:
	ds_load_2addr_b64 v[32:35], v19 offset1:2
	ds_store_2addr_b64 v18, v[2:3], v[0:1] offset1:2
	s_wait_dscnt 0x1
	ds_store_2addr_b64 v19, v[34:35], v[32:33] offset1:2
	ds_store_b8 v16, v31
	ds_store_b8 v16, v30 offset:2
.LBB27_27:
	s_or_b32 exec_lo, exec_lo, s3
	s_wait_loadcnt_dscnt 0x0
	s_barrier_signal -1
	s_barrier_wait -1
	global_inv scope:SCOPE_SE
	ds_load_u16 v31, v8
	ds_load_b128 v[0:3], v9
	s_wait_dscnt 0x1
	v_lshrrev_b16 v30, 8, v31
	v_and_b32_e32 v32, 1, v31
	s_wait_dscnt 0x0
	v_cmp_gt_i64_e64 s2, v[0:1], v[2:3]
	s_delay_alu instid0(VALU_DEP_3) | instskip(NEXT) | instid1(VALU_DEP_3)
	v_cmp_ne_u16_e64 s4, v30, v28
	v_cmp_eq_u32_e64 s3, 1, v32
	s_wait_alu 0xf1ff
	s_delay_alu instid0(VALU_DEP_2) | instskip(SKIP_3) | instid1(VALU_DEP_1)
	v_cndmask_b32_e64 v28, 0, 1, s4
	s_and_b32 s2, s2, s3
	s_mov_b32 s3, exec_lo
	s_wait_alu 0xfffe
	v_cndmask_b32_e64 v28, v28, v29, s2
	s_delay_alu instid0(VALU_DEP_1) | instskip(NEXT) | instid1(VALU_DEP_1)
	v_and_b32_e32 v28, 1, v28
	v_cmpx_eq_u32_e32 1, v28
	s_cbranch_execz .LBB27_29
; %bb.28:
	ds_load_b128 v[32:35], v23
	v_mov_b32_e32 v38, v0
	v_lshlrev_b16 v0, 8, v31
	v_dual_mov_b32 v36, v2 :: v_dual_mov_b32 v37, v3
	v_mov_b32_e32 v39, v1
	s_delay_alu instid0(VALU_DEP_3)
	v_or_b32_e32 v0, v30, v0
	s_wait_dscnt 0x0
	v_dual_mov_b32 v40, v34 :: v_dual_mov_b32 v43, v33
	v_dual_mov_b32 v41, v35 :: v_dual_mov_b32 v42, v32
	ds_store_b128 v23, v[40:43]
	ds_store_b128 v9, v[36:39]
	ds_store_b16 v8, v0
.LBB27_29:
	s_or_b32 exec_lo, exec_lo, s3
	v_and_b32_e32 v0, 15, v10
	s_wait_loadcnt_dscnt 0x0
	s_barrier_signal -1
	s_barrier_wait -1
	global_inv scope:SCOPE_SE
	v_sub_nc_u32_e32 v20, v20, v0
	s_delay_alu instid0(VALU_DEP_1)
	v_add_nc_u32_e32 v17, v17, v20
	v_lshl_add_u32 v15, v20, 3, v15
	ds_load_u8 v28, v17
	ds_load_u8 v29, v17 offset:16
	ds_load_2addr_b64 v[0:3], v15 offset1:16
	s_wait_dscnt 0x1
	v_and_b32_e32 v29, 0xff, v29
	v_and_b32_e32 v30, 1, v28
	s_wait_dscnt 0x0
	v_cmp_le_i64_e64 s3, v[0:1], v[2:3]
	s_delay_alu instid0(VALU_DEP_3) | instskip(NEXT) | instid1(VALU_DEP_3)
	v_cmp_ne_u16_e64 s4, 0, v29
	v_cmp_eq_u32_e64 s2, 1, v30
	s_xor_b32 s2, s2, -1
	s_wait_alu 0xfffe
	s_or_b32 s2, s3, s2
	s_wait_alu 0xfffe
	s_and_b32 s3, s2, s4
	s_wait_alu 0xfffe
	s_and_saveexec_b32 s2, s3
	s_cbranch_execz .LBB27_31
; %bb.30:
	v_lshl_add_u32 v14, v20, 3, v14
	v_mov_b32_e32 v20, 1
	ds_load_2addr_b64 v[29:32], v14 offset1:16
	ds_store_2addr_b64 v15, v[2:3], v[0:1] offset1:16
	s_wait_dscnt 0x1
	ds_store_2addr_b64 v14, v[31:32], v[29:30] offset1:16
	ds_store_b8 v17, v20
	ds_store_b8 v17, v28 offset:16
.LBB27_31:
	s_wait_alu 0xfffe
	s_or_b32 exec_lo, exec_lo, s2
	s_wait_loadcnt_dscnt 0x0
	s_barrier_signal -1
	s_barrier_wait -1
	global_inv scope:SCOPE_SE
	ds_load_u8 v14, v25
	ds_load_u8 v15, v25 offset:8
	ds_load_2addr_b64 v[0:3], v26 offset1:8
	s_wait_dscnt 0x2
	v_and_b32_e32 v17, 1, v14
	s_wait_dscnt 0x1
	v_and_b32_e32 v15, 0xff, v15
	s_wait_dscnt 0x0
	v_cmp_le_i64_e64 s3, v[0:1], v[2:3]
	v_cmp_eq_u32_e64 s2, 1, v17
	s_delay_alu instid0(VALU_DEP_3)
	v_cmp_ne_u16_e64 s4, 0, v15
	s_xor_b32 s2, s2, -1
	s_wait_alu 0xfffe
	s_or_b32 s2, s3, s2
	s_wait_alu 0xfffe
	s_and_b32 s3, s2, s4
	s_wait_alu 0xfffe
	s_and_saveexec_b32 s2, s3
	s_cbranch_execz .LBB27_33
; %bb.32:
	ds_load_2addr_b64 v[28:31], v27 offset1:8
	v_mov_b32_e32 v15, 1
	ds_store_2addr_b64 v26, v[2:3], v[0:1] offset1:8
	s_wait_dscnt 0x1
	ds_store_2addr_b64 v27, v[30:31], v[28:29] offset1:8
	ds_store_b8 v25, v15
	ds_store_b8 v25, v14 offset:8
.LBB27_33:
	s_wait_alu 0xfffe
	s_or_b32 exec_lo, exec_lo, s2
	s_wait_loadcnt_dscnt 0x0
	s_barrier_signal -1
	s_barrier_wait -1
	global_inv scope:SCOPE_SE
	ds_load_u8 v14, v21
	ds_load_u8 v15, v21 offset:4
	ds_load_2addr_b64 v[0:3], v22 offset1:4
	s_wait_dscnt 0x2
	v_and_b32_e32 v17, 1, v14
	s_wait_dscnt 0x1
	v_and_b32_e32 v15, 0xff, v15
	s_wait_dscnt 0x0
	v_cmp_le_i64_e64 s3, v[0:1], v[2:3]
	v_cmp_eq_u32_e64 s2, 1, v17
	s_delay_alu instid0(VALU_DEP_3)
	v_cmp_ne_u16_e64 s4, 0, v15
	s_xor_b32 s2, s2, -1
	s_wait_alu 0xfffe
	s_or_b32 s2, s3, s2
	s_wait_alu 0xfffe
	s_and_b32 s3, s2, s4
	s_wait_alu 0xfffe
	s_and_saveexec_b32 s2, s3
	s_cbranch_execz .LBB27_35
; %bb.34:
	ds_load_2addr_b64 v[25:28], v24 offset1:4
	v_mov_b32_e32 v15, 1
	ds_store_2addr_b64 v22, v[2:3], v[0:1] offset1:4
	s_wait_dscnt 0x1
	ds_store_2addr_b64 v24, v[27:28], v[25:26] offset1:4
	ds_store_b8 v21, v15
	ds_store_b8 v21, v14 offset:4
.LBB27_35:
	s_wait_alu 0xfffe
	s_or_b32 exec_lo, exec_lo, s2
	s_wait_loadcnt_dscnt 0x0
	s_barrier_signal -1
	s_barrier_wait -1
	global_inv scope:SCOPE_SE
	ds_load_u8 v14, v16
	ds_load_u8 v15, v16 offset:2
	ds_load_2addr_b64 v[0:3], v18 offset1:2
	s_wait_dscnt 0x2
	v_and_b32_e32 v17, 1, v14
	s_wait_dscnt 0x1
	v_and_b32_e32 v15, 0xff, v15
	s_wait_dscnt 0x0
	v_cmp_le_i64_e64 s3, v[0:1], v[2:3]
	v_cmp_eq_u32_e64 s2, 1, v17
	s_delay_alu instid0(VALU_DEP_3)
	v_cmp_ne_u16_e64 s4, 0, v15
	s_xor_b32 s2, s2, -1
	s_wait_alu 0xfffe
	s_or_b32 s2, s3, s2
	s_wait_alu 0xfffe
	s_and_b32 s3, s2, s4
	s_wait_alu 0xfffe
	s_and_saveexec_b32 s2, s3
	s_cbranch_execz .LBB27_37
; %bb.36:
	ds_load_2addr_b64 v[24:27], v19 offset1:2
	v_mov_b32_e32 v15, 1
	ds_store_2addr_b64 v18, v[2:3], v[0:1] offset1:2
	s_wait_dscnt 0x1
	ds_store_2addr_b64 v19, v[26:27], v[24:25] offset1:2
	ds_store_b8 v16, v15
	ds_store_b8 v16, v14 offset:2
.LBB27_37:
	s_wait_alu 0xfffe
	s_or_b32 exec_lo, exec_lo, s2
	s_wait_loadcnt_dscnt 0x0
	s_barrier_signal -1
	s_barrier_wait -1
	global_inv scope:SCOPE_SE
	ds_load_u16 v14, v8
	ds_load_b128 v[0:3], v9
	s_wait_dscnt 0x1
	v_and_b32_e32 v15, 1, v14
	v_lshrrev_b16 v16, 8, v14
	s_wait_dscnt 0x0
	v_cmp_le_i64_e64 s3, v[0:1], v[2:3]
	s_delay_alu instid0(VALU_DEP_3) | instskip(NEXT) | instid1(VALU_DEP_3)
	v_cmp_eq_u32_e64 s2, 1, v15
	v_cmp_ne_u16_e64 s4, 0, v16
	s_xor_b32 s2, s2, -1
	s_wait_alu 0xfffe
	s_or_b32 s2, s3, s2
	s_wait_alu 0xfffe
	s_and_b32 s3, s2, s4
	s_wait_alu 0xfffe
	s_and_saveexec_b32 s2, s3
	s_cbranch_execz .LBB27_39
; %bb.38:
	ds_load_b128 v[15:18], v23
	v_mov_b32_e32 v21, v0
	v_lshlrev_b16 v0, 8, v14
	v_dual_mov_b32 v19, v2 :: v_dual_mov_b32 v20, v3
	v_mov_b32_e32 v22, v1
	s_delay_alu instid0(VALU_DEP_3)
	v_or_b32_e32 v0, 1, v0
	s_wait_dscnt 0x0
	v_dual_mov_b32 v24, v17 :: v_dual_mov_b32 v25, v18
	v_dual_mov_b32 v26, v15 :: v_dual_mov_b32 v27, v16
	ds_store_b128 v23, v[24:27]
	ds_store_b128 v9, v[19:22]
	ds_store_b16 v8, v0
.LBB27_39:
	s_wait_alu 0xfffe
	s_or_b32 exec_lo, exec_lo, s2
	s_wait_loadcnt_dscnt 0x0
	s_barrier_signal -1
	s_barrier_wait -1
	global_inv scope:SCOPE_SE
	s_and_saveexec_b32 s2, s0
	s_cbranch_execz .LBB27_44
; %bb.40:
	s_and_saveexec_b32 s0, vcc_lo
	s_cbranch_execz .LBB27_42
; %bb.41:
	v_mad_co_u64_u32 v[0:1], null, v10, s6, v[5:6]
	v_mov_b32_e32 v1, 0
	v_mad_co_u64_u32 v[2:3], null, v10, s7, v[4:5]
	ds_load_b64 v[8:9], v12
	ds_load_b64 v[12:13], v13
	v_mov_b32_e32 v3, v1
	v_lshlrev_b64_e32 v[0:1], 3, v[0:1]
	s_delay_alu instid0(VALU_DEP_2) | instskip(NEXT) | instid1(VALU_DEP_2)
	v_lshlrev_b64_e32 v[2:3], 3, v[2:3]
	v_add_co_u32 v0, vcc_lo, s8, v0
	s_wait_alu 0xfffd
	s_delay_alu instid0(VALU_DEP_3) | instskip(NEXT) | instid1(VALU_DEP_3)
	v_add_co_ci_u32_e64 v1, null, s9, v1, vcc_lo
	v_add_co_u32 v2, vcc_lo, s10, v2
	s_wait_alu 0xfffd
	v_add_co_ci_u32_e64 v3, null, s11, v3, vcc_lo
	s_wait_dscnt 0x1
	global_store_b64 v[0:1], v[8:9], off
	s_wait_dscnt 0x0
	global_store_b64 v[2:3], v[12:13], off
.LBB27_42:
	s_wait_alu 0xfffe
	s_or_b32 exec_lo, exec_lo, s0
	s_delay_alu instid0(SALU_CYCLE_1)
	s_and_b32 exec_lo, exec_lo, s1
	s_cbranch_execz .LBB27_44
; %bb.43:
	v_mad_co_u64_u32 v[0:1], null, v11, s6, v[5:6]
	v_mov_b32_e32 v1, 0
	v_mad_co_u64_u32 v[2:3], null, v11, s7, v[4:5]
	ds_load_b64 v[4:5], v6
	ds_load_b64 v[6:7], v7
	v_mov_b32_e32 v3, v1
	v_lshlrev_b64_e32 v[0:1], 3, v[0:1]
	s_delay_alu instid0(VALU_DEP_2) | instskip(NEXT) | instid1(VALU_DEP_2)
	v_lshlrev_b64_e32 v[2:3], 3, v[2:3]
	v_add_co_u32 v0, vcc_lo, s8, v0
	s_wait_alu 0xfffd
	s_delay_alu instid0(VALU_DEP_3) | instskip(NEXT) | instid1(VALU_DEP_3)
	v_add_co_ci_u32_e64 v1, null, s9, v1, vcc_lo
	v_add_co_u32 v2, vcc_lo, s10, v2
	s_wait_alu 0xfffd
	v_add_co_ci_u32_e64 v3, null, s11, v3, vcc_lo
	s_wait_dscnt 0x1
	global_store_b64 v[0:1], v[4:5], off
	s_wait_dscnt 0x0
	global_store_b64 v[2:3], v[6:7], off
.LBB27_44:
	s_endpgm
	.section	.rodata,"a",@progbits
	.p2align	6, 0x0
	.amdhsa_kernel _ZN2at6native20bitonicSortKVInPlaceILi2ELin1ELi16ELi16EllNS0_4GTOpIlLb1EEEjEEvNS_4cuda6detail10TensorInfoIT3_T6_EES8_S8_S8_NS6_IT4_S8_EES8_T5_
		.amdhsa_group_segment_fixed_size 8704
		.amdhsa_private_segment_fixed_size 0
		.amdhsa_kernarg_size 712
		.amdhsa_user_sgpr_count 2
		.amdhsa_user_sgpr_dispatch_ptr 0
		.amdhsa_user_sgpr_queue_ptr 0
		.amdhsa_user_sgpr_kernarg_segment_ptr 1
		.amdhsa_user_sgpr_dispatch_id 0
		.amdhsa_user_sgpr_private_segment_size 0
		.amdhsa_wavefront_size32 1
		.amdhsa_uses_dynamic_stack 0
		.amdhsa_enable_private_segment 0
		.amdhsa_system_sgpr_workgroup_id_x 1
		.amdhsa_system_sgpr_workgroup_id_y 1
		.amdhsa_system_sgpr_workgroup_id_z 1
		.amdhsa_system_sgpr_workgroup_info 0
		.amdhsa_system_vgpr_workitem_id 1
		.amdhsa_next_free_vgpr 44
		.amdhsa_next_free_sgpr 19
		.amdhsa_reserve_vcc 1
		.amdhsa_float_round_mode_32 0
		.amdhsa_float_round_mode_16_64 0
		.amdhsa_float_denorm_mode_32 3
		.amdhsa_float_denorm_mode_16_64 3
		.amdhsa_fp16_overflow 0
		.amdhsa_workgroup_processor_mode 1
		.amdhsa_memory_ordered 1
		.amdhsa_forward_progress 1
		.amdhsa_inst_pref_size 38
		.amdhsa_round_robin_scheduling 0
		.amdhsa_exception_fp_ieee_invalid_op 0
		.amdhsa_exception_fp_denorm_src 0
		.amdhsa_exception_fp_ieee_div_zero 0
		.amdhsa_exception_fp_ieee_overflow 0
		.amdhsa_exception_fp_ieee_underflow 0
		.amdhsa_exception_fp_ieee_inexact 0
		.amdhsa_exception_int_div_zero 0
	.end_amdhsa_kernel
	.section	.text._ZN2at6native20bitonicSortKVInPlaceILi2ELin1ELi16ELi16EllNS0_4GTOpIlLb1EEEjEEvNS_4cuda6detail10TensorInfoIT3_T6_EES8_S8_S8_NS6_IT4_S8_EES8_T5_,"axG",@progbits,_ZN2at6native20bitonicSortKVInPlaceILi2ELin1ELi16ELi16EllNS0_4GTOpIlLb1EEEjEEvNS_4cuda6detail10TensorInfoIT3_T6_EES8_S8_S8_NS6_IT4_S8_EES8_T5_,comdat
.Lfunc_end27:
	.size	_ZN2at6native20bitonicSortKVInPlaceILi2ELin1ELi16ELi16EllNS0_4GTOpIlLb1EEEjEEvNS_4cuda6detail10TensorInfoIT3_T6_EES8_S8_S8_NS6_IT4_S8_EES8_T5_, .Lfunc_end27-_ZN2at6native20bitonicSortKVInPlaceILi2ELin1ELi16ELi16EllNS0_4GTOpIlLb1EEEjEEvNS_4cuda6detail10TensorInfoIT3_T6_EES8_S8_S8_NS6_IT4_S8_EES8_T5_
                                        ; -- End function
	.set _ZN2at6native20bitonicSortKVInPlaceILi2ELin1ELi16ELi16EllNS0_4GTOpIlLb1EEEjEEvNS_4cuda6detail10TensorInfoIT3_T6_EES8_S8_S8_NS6_IT4_S8_EES8_T5_.num_vgpr, 44
	.set _ZN2at6native20bitonicSortKVInPlaceILi2ELin1ELi16ELi16EllNS0_4GTOpIlLb1EEEjEEvNS_4cuda6detail10TensorInfoIT3_T6_EES8_S8_S8_NS6_IT4_S8_EES8_T5_.num_agpr, 0
	.set _ZN2at6native20bitonicSortKVInPlaceILi2ELin1ELi16ELi16EllNS0_4GTOpIlLb1EEEjEEvNS_4cuda6detail10TensorInfoIT3_T6_EES8_S8_S8_NS6_IT4_S8_EES8_T5_.numbered_sgpr, 19
	.set _ZN2at6native20bitonicSortKVInPlaceILi2ELin1ELi16ELi16EllNS0_4GTOpIlLb1EEEjEEvNS_4cuda6detail10TensorInfoIT3_T6_EES8_S8_S8_NS6_IT4_S8_EES8_T5_.num_named_barrier, 0
	.set _ZN2at6native20bitonicSortKVInPlaceILi2ELin1ELi16ELi16EllNS0_4GTOpIlLb1EEEjEEvNS_4cuda6detail10TensorInfoIT3_T6_EES8_S8_S8_NS6_IT4_S8_EES8_T5_.private_seg_size, 0
	.set _ZN2at6native20bitonicSortKVInPlaceILi2ELin1ELi16ELi16EllNS0_4GTOpIlLb1EEEjEEvNS_4cuda6detail10TensorInfoIT3_T6_EES8_S8_S8_NS6_IT4_S8_EES8_T5_.uses_vcc, 1
	.set _ZN2at6native20bitonicSortKVInPlaceILi2ELin1ELi16ELi16EllNS0_4GTOpIlLb1EEEjEEvNS_4cuda6detail10TensorInfoIT3_T6_EES8_S8_S8_NS6_IT4_S8_EES8_T5_.uses_flat_scratch, 0
	.set _ZN2at6native20bitonicSortKVInPlaceILi2ELin1ELi16ELi16EllNS0_4GTOpIlLb1EEEjEEvNS_4cuda6detail10TensorInfoIT3_T6_EES8_S8_S8_NS6_IT4_S8_EES8_T5_.has_dyn_sized_stack, 0
	.set _ZN2at6native20bitonicSortKVInPlaceILi2ELin1ELi16ELi16EllNS0_4GTOpIlLb1EEEjEEvNS_4cuda6detail10TensorInfoIT3_T6_EES8_S8_S8_NS6_IT4_S8_EES8_T5_.has_recursion, 0
	.set _ZN2at6native20bitonicSortKVInPlaceILi2ELin1ELi16ELi16EllNS0_4GTOpIlLb1EEEjEEvNS_4cuda6detail10TensorInfoIT3_T6_EES8_S8_S8_NS6_IT4_S8_EES8_T5_.has_indirect_call, 0
	.section	.AMDGPU.csdata,"",@progbits
; Kernel info:
; codeLenInByte = 4740
; TotalNumSgprs: 21
; NumVgprs: 44
; ScratchSize: 0
; MemoryBound: 0
; FloatMode: 240
; IeeeMode: 1
; LDSByteSize: 8704 bytes/workgroup (compile time only)
; SGPRBlocks: 0
; VGPRBlocks: 5
; NumSGPRsForWavesPerEU: 21
; NumVGPRsForWavesPerEU: 44
; Occupancy: 16
; WaveLimiterHint : 1
; COMPUTE_PGM_RSRC2:SCRATCH_EN: 0
; COMPUTE_PGM_RSRC2:USER_SGPR: 2
; COMPUTE_PGM_RSRC2:TRAP_HANDLER: 0
; COMPUTE_PGM_RSRC2:TGID_X_EN: 1
; COMPUTE_PGM_RSRC2:TGID_Y_EN: 1
; COMPUTE_PGM_RSRC2:TGID_Z_EN: 1
; COMPUTE_PGM_RSRC2:TIDIG_COMP_CNT: 1
	.section	.text._ZN2at6native20bitonicSortKVInPlaceILin1ELin1ELi16ELi16EllNS0_4LTOpIlLb1EEEjEEvNS_4cuda6detail10TensorInfoIT3_T6_EES8_S8_S8_NS6_IT4_S8_EES8_T5_,"axG",@progbits,_ZN2at6native20bitonicSortKVInPlaceILin1ELin1ELi16ELi16EllNS0_4LTOpIlLb1EEEjEEvNS_4cuda6detail10TensorInfoIT3_T6_EES8_S8_S8_NS6_IT4_S8_EES8_T5_,comdat
	.protected	_ZN2at6native20bitonicSortKVInPlaceILin1ELin1ELi16ELi16EllNS0_4LTOpIlLb1EEEjEEvNS_4cuda6detail10TensorInfoIT3_T6_EES8_S8_S8_NS6_IT4_S8_EES8_T5_ ; -- Begin function _ZN2at6native20bitonicSortKVInPlaceILin1ELin1ELi16ELi16EllNS0_4LTOpIlLb1EEEjEEvNS_4cuda6detail10TensorInfoIT3_T6_EES8_S8_S8_NS6_IT4_S8_EES8_T5_
	.globl	_ZN2at6native20bitonicSortKVInPlaceILin1ELin1ELi16ELi16EllNS0_4LTOpIlLb1EEEjEEvNS_4cuda6detail10TensorInfoIT3_T6_EES8_S8_S8_NS6_IT4_S8_EES8_T5_
	.p2align	8
	.type	_ZN2at6native20bitonicSortKVInPlaceILin1ELin1ELi16ELi16EllNS0_4LTOpIlLb1EEEjEEvNS_4cuda6detail10TensorInfoIT3_T6_EES8_S8_S8_NS6_IT4_S8_EES8_T5_,@function
_ZN2at6native20bitonicSortKVInPlaceILin1ELin1ELi16ELi16EllNS0_4LTOpIlLb1EEEjEEvNS_4cuda6detail10TensorInfoIT3_T6_EES8_S8_S8_NS6_IT4_S8_EES8_T5_: ; @_ZN2at6native20bitonicSortKVInPlaceILin1ELin1ELi16ELi16EllNS0_4LTOpIlLb1EEEjEEvNS_4cuda6detail10TensorInfoIT3_T6_EES8_S8_S8_NS6_IT4_S8_EES8_T5_
; %bb.0:
	s_clause 0x2
	s_load_b64 s[2:3], s[0:1], 0x1c8
	s_load_u16 s7, s[0:1], 0x1d6
	s_load_b96 s[4:6], s[0:1], 0xd8
	s_lshr_b32 s8, ttmp7, 16
	s_wait_kmcnt 0x0
	s_mul_i32 s3, s3, s8
	s_and_b32 s8, ttmp7, 0xffff
	s_delay_alu instid0(SALU_CYCLE_1) | instskip(NEXT) | instid1(SALU_CYCLE_1)
	s_add_co_i32 s3, s3, s8
	s_mul_i32 s2, s3, s2
	s_delay_alu instid0(SALU_CYCLE_1) | instskip(NEXT) | instid1(SALU_CYCLE_1)
	s_add_co_i32 s3, s2, ttmp9
	s_mul_i32 s3, s3, s7
	s_delay_alu instid0(SALU_CYCLE_1)
	s_cmp_ge_u32 s3, s4
	s_cbranch_scc1 .LBB28_46
; %bb.1:
	s_load_b32 s2, s[0:1], 0xd0
	v_bfe_u32 v9, v0, 10, 10
	s_delay_alu instid0(VALU_DEP_1) | instskip(NEXT) | instid1(VALU_DEP_1)
	v_dual_mov_b32 v1, 0 :: v_dual_add_nc_u32 v4, s3, v9
	v_mov_b32_e32 v5, v4
	s_wait_kmcnt 0x0
	s_cmp_lt_i32 s2, 2
	s_cbranch_scc1 .LBB28_4
; %bb.2:
	s_add_co_i32 s8, s2, -1
	s_mov_b32 s9, 0
	v_mov_b32_e32 v1, 0
	s_lshl_b64 s[8:9], s[8:9], 2
	v_mov_b32_e32 v5, v4
	s_add_nc_u64 s[8:9], s[0:1], s[8:9]
	s_add_co_i32 s7, s2, 1
	s_add_nc_u64 s[2:3], s[8:9], 8
.LBB28_3:                               ; =>This Inner Loop Header: Depth=1
	s_clause 0x1
	s_load_b32 s8, s[2:3], 0x0
	s_load_b32 s9, s[2:3], 0x64
	s_add_co_i32 s7, s7, -1
	s_add_nc_u64 s[2:3], s[2:3], -4
	s_wait_kmcnt 0x0
	s_cvt_f32_u32 s10, s8
	s_sub_co_i32 s11, 0, s8
	s_wait_alu 0xfffe
	s_delay_alu instid0(SALU_CYCLE_1) | instskip(NEXT) | instid1(TRANS32_DEP_1)
	v_rcp_iflag_f32_e32 v2, s10
	v_readfirstlane_b32 s10, v2
	v_mov_b32_e32 v2, v5
	s_mul_f32 s10, s10, 0x4f7ffffe
	s_wait_alu 0xfffe
	s_delay_alu instid0(SALU_CYCLE_2) | instskip(SKIP_1) | instid1(SALU_CYCLE_2)
	s_cvt_u32_f32 s10, s10
	s_wait_alu 0xfffe
	s_mul_i32 s11, s11, s10
	s_wait_alu 0xfffe
	s_mul_hi_u32 s11, s10, s11
	s_wait_alu 0xfffe
	s_add_co_i32 s10, s10, s11
	s_cmp_gt_u32 s7, 2
	s_wait_alu 0xfffe
	v_mul_hi_u32 v3, v2, s10
	s_delay_alu instid0(VALU_DEP_1) | instskip(SKIP_1) | instid1(VALU_DEP_2)
	v_mul_lo_u32 v5, v3, s8
	v_add_nc_u32_e32 v6, 1, v3
	v_sub_nc_u32_e32 v5, v2, v5
	s_delay_alu instid0(VALU_DEP_1) | instskip(SKIP_3) | instid1(VALU_DEP_3)
	v_subrev_nc_u32_e32 v7, s8, v5
	v_cmp_le_u32_e32 vcc_lo, s8, v5
	s_wait_alu 0xfffd
	v_cndmask_b32_e32 v3, v3, v6, vcc_lo
	v_cndmask_b32_e32 v5, v5, v7, vcc_lo
	s_delay_alu instid0(VALU_DEP_2) | instskip(NEXT) | instid1(VALU_DEP_2)
	v_add_nc_u32_e32 v6, 1, v3
	v_cmp_le_u32_e32 vcc_lo, s8, v5
	s_wait_alu 0xfffd
	s_delay_alu instid0(VALU_DEP_2) | instskip(NEXT) | instid1(VALU_DEP_1)
	v_cndmask_b32_e32 v5, v3, v6, vcc_lo
	v_mul_lo_u32 v3, v5, s8
	s_delay_alu instid0(VALU_DEP_1) | instskip(NEXT) | instid1(VALU_DEP_1)
	v_sub_nc_u32_e32 v2, v2, v3
	v_mad_co_u64_u32 v[1:2], null, s9, v2, v[1:2]
	s_cbranch_scc1 .LBB28_3
.LBB28_4:
	s_load_b32 s7, s[0:1], 0x1b8
	v_mov_b32_e32 v2, 0
	v_mov_b32_e32 v8, v4
	s_add_nc_u64 s[2:3], s[0:1], 0x1c8
	s_wait_kmcnt 0x0
	s_cmp_lt_i32 s7, 2
	s_cbranch_scc1 .LBB28_7
; %bb.5:
	s_add_co_i32 s8, s7, -1
	s_mov_b32 s9, 0
	v_mov_b32_e32 v2, 0
	s_wait_alu 0xfffe
	s_lshl_b64 s[8:9], s[8:9], 2
	v_mov_b32_e32 v8, v4
	s_wait_alu 0xfffe
	s_add_nc_u64 s[8:9], s[0:1], s[8:9]
	s_add_co_i32 s7, s7, 1
	s_wait_alu 0xfffe
	s_add_nc_u64 s[8:9], s[8:9], 0xf0
.LBB28_6:                               ; =>This Inner Loop Header: Depth=1
	s_clause 0x1
	s_load_b32 s10, s[8:9], 0x0
	s_load_b32 s11, s[8:9], 0x64
	s_add_co_i32 s7, s7, -1
	s_add_nc_u64 s[8:9], s[8:9], -4
	s_wait_kmcnt 0x0
	s_cvt_f32_u32 s12, s10
	s_sub_co_i32 s13, 0, s10
	s_wait_alu 0xfffe
	s_delay_alu instid0(SALU_CYCLE_1) | instskip(NEXT) | instid1(TRANS32_DEP_1)
	v_rcp_iflag_f32_e32 v3, s12
	v_readfirstlane_b32 s12, v3
	v_mov_b32_e32 v3, v8
	s_mul_f32 s12, s12, 0x4f7ffffe
	s_wait_alu 0xfffe
	s_delay_alu instid0(SALU_CYCLE_2) | instskip(SKIP_1) | instid1(SALU_CYCLE_2)
	s_cvt_u32_f32 s12, s12
	s_wait_alu 0xfffe
	s_mul_i32 s13, s13, s12
	s_wait_alu 0xfffe
	s_mul_hi_u32 s13, s12, s13
	s_wait_alu 0xfffe
	s_add_co_i32 s12, s12, s13
	s_cmp_gt_u32 s7, 2
	s_wait_alu 0xfffe
	v_mul_hi_u32 v6, v3, s12
	s_delay_alu instid0(VALU_DEP_1) | instskip(SKIP_1) | instid1(VALU_DEP_2)
	v_mul_lo_u32 v7, v6, s10
	v_add_nc_u32_e32 v8, 1, v6
	v_sub_nc_u32_e32 v7, v3, v7
	s_delay_alu instid0(VALU_DEP_1) | instskip(SKIP_2) | instid1(VALU_DEP_2)
	v_subrev_nc_u32_e32 v10, s10, v7
	v_cmp_le_u32_e32 vcc_lo, s10, v7
	s_wait_alu 0xfffd
	v_dual_cndmask_b32 v6, v6, v8 :: v_dual_cndmask_b32 v7, v7, v10
	s_delay_alu instid0(VALU_DEP_1) | instskip(NEXT) | instid1(VALU_DEP_2)
	v_add_nc_u32_e32 v8, 1, v6
	v_cmp_le_u32_e32 vcc_lo, s10, v7
	s_wait_alu 0xfffd
	s_delay_alu instid0(VALU_DEP_2) | instskip(NEXT) | instid1(VALU_DEP_1)
	v_cndmask_b32_e32 v8, v6, v8, vcc_lo
	v_mul_lo_u32 v6, v8, s10
	s_delay_alu instid0(VALU_DEP_1) | instskip(NEXT) | instid1(VALU_DEP_1)
	v_sub_nc_u32_e32 v3, v3, v6
	v_mad_co_u64_u32 v[2:3], null, s11, v3, v[2:3]
	s_cbranch_scc1 .LBB28_6
.LBB28_7:
	s_clause 0x1
	s_load_b32 s12, s[0:1], 0x6c
	s_load_b32 s13, s[0:1], 0x154
	;; [unrolled: 1-line block ×3, first 2 shown]
	s_clause 0x2
	s_load_b32 s7, s[0:1], 0x1c0
	s_load_b64 s[10:11], s[0:1], 0x0
	s_load_b64 s[8:9], s[0:1], 0xe8
	v_and_b32_e32 v11, 0x3ff, v0
	v_cmp_gt_u32_e64 s0, s4, v4
	s_wait_kmcnt 0x0
	v_mad_co_u64_u32 v[6:7], null, s12, v5, v[1:2]
	v_mad_co_u64_u32 v[4:5], null, s13, v8, v[2:3]
	v_mov_b32_e32 v0, 0
	v_cmp_gt_u32_e32 vcc_lo, s5, v11
	v_dual_mov_b32 v1, 0 :: v_dual_mov_b32 v2, 0
	v_mov_b32_e32 v7, 0
	v_dual_mov_b32 v3, 0 :: v_dual_mov_b32 v8, 0
	s_and_b32 s4, s0, vcc_lo
	s_wait_alu 0xfffe
	s_and_saveexec_b32 s3, s4
	s_cbranch_execz .LBB28_9
; %bb.8:
	v_mad_co_u64_u32 v[2:3], null, v11, s6, v[6:7]
	v_mov_b32_e32 v3, 0
	v_mad_co_u64_u32 v[7:8], null, v11, s7, v[4:5]
	s_delay_alu instid0(VALU_DEP_2) | instskip(NEXT) | instid1(VALU_DEP_4)
	v_mov_b32_e32 v8, v3
	v_lshlrev_b64_e32 v[2:3], 3, v[2:3]
	s_delay_alu instid0(VALU_DEP_2) | instskip(NEXT) | instid1(VALU_DEP_2)
	v_lshlrev_b64_e32 v[7:8], 3, v[7:8]
	v_add_co_u32 v2, s1, s10, v2
	s_delay_alu instid0(VALU_DEP_1) | instskip(NEXT) | instid1(VALU_DEP_3)
	v_add_co_ci_u32_e64 v3, null, s11, v3, s1
	v_add_co_u32 v7, s1, s8, v7
	s_wait_alu 0xf1ff
	s_delay_alu instid0(VALU_DEP_4)
	v_add_co_ci_u32_e64 v8, null, s9, v8, s1
	global_load_b64 v[2:3], v[2:3], off
	global_load_b64 v[7:8], v[7:8], off
.LBB28_9:
	s_wait_alu 0xfffe
	s_or_b32 exec_lo, exec_lo, s3
	v_lshlrev_b32_e32 v15, 8, v9
	s_and_b32 s3, 0xffff, s2
	v_lshlrev_b32_e32 v16, 3, v11
	s_wait_alu 0xfffe
	v_add_nc_u32_e32 v5, s3, v11
	v_lshl_add_u32 v17, v9, 5, 0x2000
	v_mov_b32_e32 v9, 0
	v_mov_b32_e32 v10, 0
	v_add_nc_u32_e32 v14, 0x1000, v15
	v_cmp_gt_u32_e64 s1, s5, v5
	v_add_nc_u32_e32 v12, v15, v16
	v_cndmask_b32_e64 v18, 0, 1, s4
	v_add_nc_u32_e32 v19, v17, v11
	v_add_nc_u32_e32 v13, v14, v16
	s_and_b32 s4, s0, s1
	s_wait_loadcnt 0x1
	ds_store_b64 v12, v[2:3]
	s_wait_loadcnt 0x0
	ds_store_b64 v13, v[7:8]
	ds_store_b8 v19, v18
	s_wait_alu 0xfffe
	s_and_saveexec_b32 s5, s4
	s_cbranch_execz .LBB28_11
; %bb.10:
	v_mad_co_u64_u32 v[0:1], null, v5, s6, v[6:7]
	v_mov_b32_e32 v1, 0
	v_mad_co_u64_u32 v[2:3], null, v5, s7, v[4:5]
	s_delay_alu instid0(VALU_DEP_2) | instskip(NEXT) | instid1(VALU_DEP_4)
	v_mov_b32_e32 v3, v1
	v_lshlrev_b64_e32 v[0:1], 3, v[0:1]
	s_delay_alu instid0(VALU_DEP_2) | instskip(NEXT) | instid1(VALU_DEP_2)
	v_lshlrev_b64_e32 v[2:3], 3, v[2:3]
	v_add_co_u32 v0, s2, s10, v0
	s_wait_alu 0xf1ff
	s_delay_alu instid0(VALU_DEP_3) | instskip(NEXT) | instid1(VALU_DEP_3)
	v_add_co_ci_u32_e64 v1, null, s11, v1, s2
	v_add_co_u32 v2, s2, s8, v2
	s_wait_alu 0xf1ff
	v_add_co_ci_u32_e64 v3, null, s9, v3, s2
	global_load_b64 v[0:1], v[0:1], off
	global_load_b64 v[9:10], v[2:3], off
.LBB28_11:
	s_wait_alu 0xfffe
	s_or_b32 exec_lo, exec_lo, s5
	s_lshl_b32 s2, s3, 3
	v_lshlrev_b32_e32 v20, 1, v11
	s_wait_alu 0xfffe
	v_add_nc_u32_e32 v7, s2, v12
	v_add_nc_u32_e32 v8, s2, v13
	v_cndmask_b32_e64 v2, 0, 1, s4
	v_add_nc_u32_e32 v3, v17, v5
	v_and_b32_e32 v18, 1, v11
	s_wait_loadcnt 0x1
	ds_store_b64 v7, v[0:1]
	s_wait_loadcnt 0x0
	ds_store_b64 v8, v[9:10]
	ds_store_b8 v3, v2
	v_add_nc_u32_e32 v9, v17, v20
	v_add_nc_u32_e32 v10, v12, v16
	s_wait_dscnt 0x0
	s_barrier_signal -1
	s_barrier_wait -1
	global_inv scope:SCOPE_SE
	ds_load_u16 v22, v9
	ds_load_b128 v[0:3], v10
	s_wait_dscnt 0x1
	v_lshrrev_b16 v19, 8, v22
	v_and_b32_e32 v21, 1, v22
	s_wait_dscnt 0x0
	v_cmp_lt_i64_e64 s2, v[0:1], v[2:3]
	s_delay_alu instid0(VALU_DEP_3) | instskip(NEXT) | instid1(VALU_DEP_3)
	v_cmp_ne_u16_e64 s4, v19, v18
	v_cmp_eq_u32_e64 s3, 1, v21
	s_wait_alu 0xf1ff
	s_delay_alu instid0(VALU_DEP_2) | instskip(SKIP_2) | instid1(VALU_DEP_1)
	v_cndmask_b32_e64 v21, 0, 1, s4
	s_and_b32 s2, s2, s3
	s_wait_alu 0xfffe
	v_cndmask_b32_e64 v21, v21, v11, s2
	s_delay_alu instid0(VALU_DEP_1) | instskip(NEXT) | instid1(VALU_DEP_1)
	v_and_b32_e32 v21, 1, v21
	v_cmp_eq_u32_e64 s2, 1, v21
	v_add_nc_u32_e32 v21, v13, v16
	s_and_saveexec_b32 s3, s2
	s_wait_alu 0xfffe
	s_xor_b32 s2, exec_lo, s3
	s_cbranch_execz .LBB28_13
; %bb.12:
	ds_load_b128 v[23:26], v21
	v_mov_b32_e32 v29, v0
	v_lshlrev_b16 v0, 8, v22
	v_dual_mov_b32 v27, v2 :: v_dual_mov_b32 v28, v3
	v_mov_b32_e32 v30, v1
	s_delay_alu instid0(VALU_DEP_3)
	v_or_b32_e32 v0, v19, v0
	s_wait_dscnt 0x0
	v_dual_mov_b32 v31, v25 :: v_dual_mov_b32 v34, v24
	v_dual_mov_b32 v32, v26 :: v_dual_mov_b32 v33, v23
	ds_store_b128 v21, v[31:34]
	ds_store_b128 v10, v[27:30]
	ds_store_b16 v9, v0
.LBB28_13:
	s_wait_alu 0xfffe
	s_or_b32 exec_lo, exec_lo, s2
	v_sub_nc_u32_e32 v19, v20, v18
	s_wait_loadcnt_dscnt 0x0
	s_barrier_signal -1
	s_barrier_wait -1
	global_inv scope:SCOPE_SE
	v_add_nc_u32_e32 v16, v17, v19
	v_lshl_add_u32 v18, v19, 3, v15
	v_bfe_u32 v25, v11, 1, 1
	v_lshl_add_u32 v19, v19, 3, v14
	ds_load_u8 v23, v16
	ds_load_2addr_b64 v[0:3], v18 offset1:2
	ds_load_u8 v24, v16 offset:2
	s_wait_dscnt 0x2
	v_and_b32_e32 v22, 1, v23
	s_wait_dscnt 0x1
	v_cmp_lt_i64_e64 s2, v[0:1], v[2:3]
	s_wait_dscnt 0x0
	v_cmp_ne_u16_e64 s4, v24, v25
	v_cmp_eq_u32_e64 s3, 1, v22
	s_wait_alu 0xf1ff
	s_delay_alu instid0(VALU_DEP_2) | instskip(SKIP_2) | instid1(VALU_DEP_1)
	v_cndmask_b32_e64 v22, 0, 1, s4
	s_and_b32 s2, s2, s3
	s_wait_alu 0xfffe
	v_cndmask_b32_e64 v25, v22, v25, s2
	v_and_b32_e32 v22, 2, v11
	s_delay_alu instid0(VALU_DEP_2) | instskip(NEXT) | instid1(VALU_DEP_2)
	v_and_b32_e32 v25, 1, v25
	v_cmp_ne_u32_e64 s2, 0, v22
	s_delay_alu instid0(VALU_DEP_2)
	v_cmp_eq_u32_e64 s3, 1, v25
	s_and_saveexec_b32 s4, s3
	s_wait_alu 0xfffe
	s_xor_b32 s3, exec_lo, s4
	s_cbranch_execz .LBB28_15
; %bb.14:
	ds_load_2addr_b64 v[25:28], v19 offset1:2
	ds_store_2addr_b64 v18, v[2:3], v[0:1] offset1:2
	s_wait_dscnt 0x1
	ds_store_2addr_b64 v19, v[27:28], v[25:26] offset1:2
	ds_store_b8 v16, v24
	ds_store_b8 v16, v23 offset:2
.LBB28_15:
	s_wait_alu 0xfffe
	s_or_b32 exec_lo, exec_lo, s3
	s_wait_loadcnt_dscnt 0x0
	s_barrier_signal -1
	s_barrier_wait -1
	global_inv scope:SCOPE_SE
	ds_load_u16 v23, v9
	ds_load_b128 v[0:3], v10
	v_lshrrev_b32_e32 v24, 1, v22
	v_cndmask_b32_e64 v26, 0, 1, s2
	s_wait_dscnt 0x1
	v_lshrrev_b16 v22, 8, v23
	v_and_b32_e32 v25, 1, v23
	s_wait_dscnt 0x0
	v_cmp_lt_i64_e64 s2, v[0:1], v[2:3]
	s_delay_alu instid0(VALU_DEP_3) | instskip(NEXT) | instid1(VALU_DEP_3)
	v_cmp_ne_u16_e64 s4, v22, v24
	v_cmp_eq_u32_e64 s3, 1, v25
	s_wait_alu 0xf1ff
	s_delay_alu instid0(VALU_DEP_2) | instskip(SKIP_3) | instid1(VALU_DEP_1)
	v_cndmask_b32_e64 v24, 0, 1, s4
	s_and_b32 s2, s2, s3
	s_mov_b32 s3, exec_lo
	s_wait_alu 0xfffe
	v_cndmask_b32_e64 v24, v24, v26, s2
	s_delay_alu instid0(VALU_DEP_1) | instskip(NEXT) | instid1(VALU_DEP_1)
	v_and_b32_e32 v24, 1, v24
	v_cmpx_eq_u32_e32 1, v24
	s_cbranch_execz .LBB28_17
; %bb.16:
	ds_load_b128 v[24:27], v21
	v_mov_b32_e32 v30, v0
	v_lshlrev_b16 v0, 8, v23
	v_dual_mov_b32 v28, v2 :: v_dual_mov_b32 v29, v3
	v_mov_b32_e32 v31, v1
	s_delay_alu instid0(VALU_DEP_3)
	v_or_b32_e32 v0, v22, v0
	s_wait_dscnt 0x0
	v_dual_mov_b32 v32, v26 :: v_dual_mov_b32 v35, v25
	v_dual_mov_b32 v33, v27 :: v_dual_mov_b32 v34, v24
	ds_store_b128 v21, v[32:35]
	ds_store_b128 v10, v[28:31]
	ds_store_b16 v9, v0
.LBB28_17:
	s_or_b32 exec_lo, exec_lo, s3
	v_and_b32_e32 v0, 3, v11
	s_wait_loadcnt_dscnt 0x0
	s_barrier_signal -1
	s_barrier_wait -1
	global_inv scope:SCOPE_SE
	v_sub_nc_u32_e32 v24, v20, v0
	v_bfe_u32 v27, v11, 2, 1
	s_delay_alu instid0(VALU_DEP_2)
	v_add_nc_u32_e32 v21, v17, v24
	v_lshl_add_u32 v22, v24, 3, v15
	v_lshl_add_u32 v24, v24, 3, v14
	ds_load_u8 v25, v21
	ds_load_2addr_b64 v[0:3], v22 offset1:4
	ds_load_u8 v26, v21 offset:4
	s_wait_dscnt 0x2
	v_and_b32_e32 v23, 1, v25
	s_wait_dscnt 0x1
	v_cmp_lt_i64_e64 s2, v[0:1], v[2:3]
	s_wait_dscnt 0x0
	v_cmp_ne_u16_e64 s4, v26, v27
	v_cmp_eq_u32_e64 s3, 1, v23
	s_wait_alu 0xf1ff
	s_delay_alu instid0(VALU_DEP_2) | instskip(SKIP_3) | instid1(VALU_DEP_1)
	v_cndmask_b32_e64 v23, 0, 1, s4
	s_mov_b32 s4, exec_lo
	s_and_b32 s2, s2, s3
	s_wait_alu 0xfffe
	v_cndmask_b32_e64 v27, v23, v27, s2
	v_and_b32_e32 v23, 4, v11
	s_delay_alu instid0(VALU_DEP_2) | instskip(NEXT) | instid1(VALU_DEP_2)
	v_and_b32_e32 v27, 1, v27
	v_cmp_ne_u32_e64 s2, 0, v23
	s_delay_alu instid0(VALU_DEP_2)
	v_cmpx_eq_u32_e32 1, v27
	s_cbranch_execz .LBB28_19
; %bb.18:
	ds_load_2addr_b64 v[27:30], v24 offset1:4
	ds_store_2addr_b64 v22, v[2:3], v[0:1] offset1:4
	s_wait_dscnt 0x1
	ds_store_2addr_b64 v24, v[29:30], v[27:28] offset1:4
	ds_store_b8 v21, v26
	ds_store_b8 v21, v25 offset:4
.LBB28_19:
	s_or_b32 exec_lo, exec_lo, s4
	s_wait_loadcnt_dscnt 0x0
	s_barrier_signal -1
	s_barrier_wait -1
	global_inv scope:SCOPE_SE
	ds_load_u8 v26, v16
	ds_load_2addr_b64 v[0:3], v18 offset1:2
	ds_load_u8 v27, v16 offset:2
	v_lshrrev_b32_e32 v23, 2, v23
	v_cndmask_b32_e64 v25, 0, 1, s2
	s_wait_dscnt 0x2
	v_and_b32_e32 v28, 1, v26
	s_wait_dscnt 0x1
	v_cmp_lt_i64_e64 s2, v[0:1], v[2:3]
	s_wait_dscnt 0x0
	v_cmp_ne_u16_e64 s4, v27, v23
	v_cmp_eq_u32_e64 s3, 1, v28
	s_wait_alu 0xf1ff
	s_delay_alu instid0(VALU_DEP_2) | instskip(SKIP_3) | instid1(VALU_DEP_1)
	v_cndmask_b32_e64 v28, 0, 1, s4
	s_and_b32 s2, s2, s3
	s_mov_b32 s3, exec_lo
	s_wait_alu 0xfffe
	v_cndmask_b32_e64 v28, v28, v25, s2
	s_delay_alu instid0(VALU_DEP_1) | instskip(NEXT) | instid1(VALU_DEP_1)
	v_and_b32_e32 v28, 1, v28
	v_cmpx_eq_u32_e32 1, v28
	s_cbranch_execz .LBB28_21
; %bb.20:
	ds_load_2addr_b64 v[28:31], v19 offset1:2
	ds_store_2addr_b64 v18, v[2:3], v[0:1] offset1:2
	s_wait_dscnt 0x1
	ds_store_2addr_b64 v19, v[30:31], v[28:29] offset1:2
	ds_store_b8 v16, v27
	ds_store_b8 v16, v26 offset:2
.LBB28_21:
	s_or_b32 exec_lo, exec_lo, s3
	s_wait_loadcnt_dscnt 0x0
	s_barrier_signal -1
	s_barrier_wait -1
	global_inv scope:SCOPE_SE
	ds_load_u16 v27, v9
	ds_load_b128 v[0:3], v10
	s_wait_dscnt 0x1
	v_lshrrev_b16 v26, 8, v27
	v_and_b32_e32 v28, 1, v27
	s_wait_dscnt 0x0
	v_cmp_lt_i64_e64 s2, v[0:1], v[2:3]
	s_delay_alu instid0(VALU_DEP_3) | instskip(NEXT) | instid1(VALU_DEP_3)
	v_cmp_ne_u16_e64 s4, v26, v23
	v_cmp_eq_u32_e64 s3, 1, v28
	s_wait_alu 0xf1ff
	s_delay_alu instid0(VALU_DEP_2) | instskip(SKIP_2) | instid1(VALU_DEP_1)
	v_cndmask_b32_e64 v23, 0, 1, s4
	s_and_b32 s2, s2, s3
	s_wait_alu 0xfffe
	v_cndmask_b32_e64 v23, v23, v25, s2
	s_delay_alu instid0(VALU_DEP_1) | instskip(NEXT) | instid1(VALU_DEP_1)
	v_and_b32_e32 v23, 1, v23
	v_cmp_eq_u32_e64 s2, 1, v23
	v_lshl_add_u32 v23, v20, 3, v14
	s_and_saveexec_b32 s3, s2
	s_cbranch_execz .LBB28_23
; %bb.22:
	ds_load_b128 v[28:31], v23
	v_mov_b32_e32 v34, v0
	v_lshlrev_b16 v0, 8, v27
	v_dual_mov_b32 v32, v2 :: v_dual_mov_b32 v33, v3
	v_mov_b32_e32 v35, v1
	s_delay_alu instid0(VALU_DEP_3)
	v_or_b32_e32 v0, v26, v0
	s_wait_dscnt 0x0
	v_dual_mov_b32 v36, v30 :: v_dual_mov_b32 v39, v29
	v_dual_mov_b32 v37, v31 :: v_dual_mov_b32 v38, v28
	ds_store_b128 v23, v[36:39]
	ds_store_b128 v10, v[32:35]
	ds_store_b16 v9, v0
.LBB28_23:
	s_wait_alu 0xfffe
	s_or_b32 exec_lo, exec_lo, s3
	v_and_b32_e32 v0, 7, v11
	s_wait_loadcnt_dscnt 0x0
	s_barrier_signal -1
	s_barrier_wait -1
	global_inv scope:SCOPE_SE
	v_sub_nc_u32_e32 v27, v20, v0
	v_bfe_u32 v31, v11, 3, 1
	s_delay_alu instid0(VALU_DEP_2)
	v_add_nc_u32_e32 v25, v17, v27
	v_lshl_add_u32 v26, v27, 3, v15
	v_lshl_add_u32 v27, v27, 3, v14
	ds_load_u8 v29, v25
	ds_load_2addr_b64 v[0:3], v26 offset1:8
	ds_load_u8 v30, v25 offset:8
	s_wait_dscnt 0x2
	v_and_b32_e32 v28, 1, v29
	s_wait_dscnt 0x1
	v_cmp_lt_i64_e64 s2, v[0:1], v[2:3]
	s_wait_dscnt 0x0
	v_cmp_ne_u16_e64 s4, v30, v31
	v_cmp_eq_u32_e64 s3, 1, v28
	s_wait_alu 0xf1ff
	s_delay_alu instid0(VALU_DEP_2) | instskip(SKIP_3) | instid1(VALU_DEP_1)
	v_cndmask_b32_e64 v28, 0, 1, s4
	s_mov_b32 s4, exec_lo
	s_and_b32 s2, s2, s3
	s_wait_alu 0xfffe
	v_cndmask_b32_e64 v31, v28, v31, s2
	v_and_b32_e32 v28, 8, v11
	s_delay_alu instid0(VALU_DEP_2) | instskip(NEXT) | instid1(VALU_DEP_2)
	v_and_b32_e32 v31, 1, v31
	v_cmp_ne_u32_e64 s2, 0, v28
	s_delay_alu instid0(VALU_DEP_2)
	v_cmpx_eq_u32_e32 1, v31
	s_cbranch_execz .LBB28_25
; %bb.24:
	ds_load_2addr_b64 v[31:34], v27 offset1:8
	ds_store_2addr_b64 v26, v[2:3], v[0:1] offset1:8
	s_wait_dscnt 0x1
	ds_store_2addr_b64 v27, v[33:34], v[31:32] offset1:8
	ds_store_b8 v25, v30
	ds_store_b8 v25, v29 offset:8
.LBB28_25:
	s_or_b32 exec_lo, exec_lo, s4
	s_wait_loadcnt_dscnt 0x0
	s_barrier_signal -1
	s_barrier_wait -1
	global_inv scope:SCOPE_SE
	ds_load_u8 v30, v21
	ds_load_2addr_b64 v[0:3], v22 offset1:4
	ds_load_u8 v31, v21 offset:4
	v_lshrrev_b32_e32 v28, 3, v28
	v_cndmask_b32_e64 v29, 0, 1, s2
	s_wait_dscnt 0x2
	v_and_b32_e32 v32, 1, v30
	s_wait_dscnt 0x1
	v_cmp_lt_i64_e64 s2, v[0:1], v[2:3]
	s_wait_dscnt 0x0
	v_cmp_ne_u16_e64 s4, v31, v28
	v_cmp_eq_u32_e64 s3, 1, v32
	s_wait_alu 0xf1ff
	s_delay_alu instid0(VALU_DEP_2) | instskip(SKIP_3) | instid1(VALU_DEP_1)
	v_cndmask_b32_e64 v32, 0, 1, s4
	s_and_b32 s2, s2, s3
	s_mov_b32 s3, exec_lo
	s_wait_alu 0xfffe
	v_cndmask_b32_e64 v32, v32, v29, s2
	s_delay_alu instid0(VALU_DEP_1) | instskip(NEXT) | instid1(VALU_DEP_1)
	v_and_b32_e32 v32, 1, v32
	v_cmpx_eq_u32_e32 1, v32
	s_cbranch_execz .LBB28_27
; %bb.26:
	ds_load_2addr_b64 v[32:35], v24 offset1:4
	ds_store_2addr_b64 v22, v[2:3], v[0:1] offset1:4
	s_wait_dscnt 0x1
	ds_store_2addr_b64 v24, v[34:35], v[32:33] offset1:4
	ds_store_b8 v21, v31
	ds_store_b8 v21, v30 offset:4
.LBB28_27:
	s_or_b32 exec_lo, exec_lo, s3
	s_wait_loadcnt_dscnt 0x0
	s_barrier_signal -1
	s_barrier_wait -1
	global_inv scope:SCOPE_SE
	ds_load_u8 v30, v16
	ds_load_2addr_b64 v[0:3], v18 offset1:2
	ds_load_u8 v31, v16 offset:2
	s_wait_dscnt 0x2
	v_and_b32_e32 v32, 1, v30
	s_wait_dscnt 0x1
	v_cmp_lt_i64_e64 s2, v[0:1], v[2:3]
	s_wait_dscnt 0x0
	v_cmp_ne_u16_e64 s4, v31, v28
	v_cmp_eq_u32_e64 s3, 1, v32
	s_wait_alu 0xf1ff
	s_delay_alu instid0(VALU_DEP_2) | instskip(SKIP_3) | instid1(VALU_DEP_1)
	v_cndmask_b32_e64 v32, 0, 1, s4
	s_and_b32 s2, s2, s3
	s_mov_b32 s3, exec_lo
	s_wait_alu 0xfffe
	v_cndmask_b32_e64 v32, v32, v29, s2
	s_delay_alu instid0(VALU_DEP_1) | instskip(NEXT) | instid1(VALU_DEP_1)
	v_and_b32_e32 v32, 1, v32
	v_cmpx_eq_u32_e32 1, v32
	s_cbranch_execz .LBB28_29
; %bb.28:
	ds_load_2addr_b64 v[32:35], v19 offset1:2
	ds_store_2addr_b64 v18, v[2:3], v[0:1] offset1:2
	s_wait_dscnt 0x1
	ds_store_2addr_b64 v19, v[34:35], v[32:33] offset1:2
	ds_store_b8 v16, v31
	ds_store_b8 v16, v30 offset:2
.LBB28_29:
	s_or_b32 exec_lo, exec_lo, s3
	s_wait_loadcnt_dscnt 0x0
	s_barrier_signal -1
	s_barrier_wait -1
	global_inv scope:SCOPE_SE
	ds_load_u16 v31, v9
	ds_load_b128 v[0:3], v10
	s_wait_dscnt 0x1
	v_lshrrev_b16 v30, 8, v31
	v_and_b32_e32 v32, 1, v31
	s_wait_dscnt 0x0
	v_cmp_lt_i64_e64 s2, v[0:1], v[2:3]
	s_delay_alu instid0(VALU_DEP_3) | instskip(NEXT) | instid1(VALU_DEP_3)
	v_cmp_ne_u16_e64 s4, v30, v28
	v_cmp_eq_u32_e64 s3, 1, v32
	s_wait_alu 0xf1ff
	s_delay_alu instid0(VALU_DEP_2) | instskip(SKIP_3) | instid1(VALU_DEP_1)
	v_cndmask_b32_e64 v28, 0, 1, s4
	s_and_b32 s2, s2, s3
	s_mov_b32 s3, exec_lo
	s_wait_alu 0xfffe
	v_cndmask_b32_e64 v28, v28, v29, s2
	s_delay_alu instid0(VALU_DEP_1) | instskip(NEXT) | instid1(VALU_DEP_1)
	v_and_b32_e32 v28, 1, v28
	v_cmpx_eq_u32_e32 1, v28
	s_cbranch_execz .LBB28_31
; %bb.30:
	ds_load_b128 v[32:35], v23
	v_mov_b32_e32 v38, v0
	v_lshlrev_b16 v0, 8, v31
	v_dual_mov_b32 v36, v2 :: v_dual_mov_b32 v37, v3
	v_mov_b32_e32 v39, v1
	s_delay_alu instid0(VALU_DEP_3)
	v_or_b32_e32 v0, v30, v0
	s_wait_dscnt 0x0
	v_dual_mov_b32 v40, v34 :: v_dual_mov_b32 v43, v33
	v_dual_mov_b32 v41, v35 :: v_dual_mov_b32 v42, v32
	ds_store_b128 v23, v[40:43]
	ds_store_b128 v10, v[36:39]
	ds_store_b16 v9, v0
.LBB28_31:
	s_or_b32 exec_lo, exec_lo, s3
	v_and_b32_e32 v0, 15, v11
	s_wait_loadcnt_dscnt 0x0
	s_barrier_signal -1
	s_barrier_wait -1
	global_inv scope:SCOPE_SE
	v_sub_nc_u32_e32 v20, v20, v0
	s_delay_alu instid0(VALU_DEP_1)
	v_add_nc_u32_e32 v17, v17, v20
	v_lshl_add_u32 v15, v20, 3, v15
	ds_load_u8 v28, v17
	ds_load_u8 v29, v17 offset:16
	ds_load_2addr_b64 v[0:3], v15 offset1:16
	s_wait_dscnt 0x1
	v_and_b32_e32 v29, 0xff, v29
	v_and_b32_e32 v30, 1, v28
	s_wait_dscnt 0x0
	v_cmp_ge_i64_e64 s3, v[0:1], v[2:3]
	s_delay_alu instid0(VALU_DEP_3) | instskip(NEXT) | instid1(VALU_DEP_3)
	v_cmp_ne_u16_e64 s4, 0, v29
	v_cmp_eq_u32_e64 s2, 1, v30
	s_xor_b32 s2, s2, -1
	s_wait_alu 0xfffe
	s_or_b32 s2, s3, s2
	s_wait_alu 0xfffe
	s_and_b32 s3, s2, s4
	s_wait_alu 0xfffe
	s_and_saveexec_b32 s2, s3
	s_cbranch_execz .LBB28_33
; %bb.32:
	v_lshl_add_u32 v14, v20, 3, v14
	v_mov_b32_e32 v20, 1
	ds_load_2addr_b64 v[29:32], v14 offset1:16
	ds_store_2addr_b64 v15, v[2:3], v[0:1] offset1:16
	s_wait_dscnt 0x1
	ds_store_2addr_b64 v14, v[31:32], v[29:30] offset1:16
	ds_store_b8 v17, v20
	ds_store_b8 v17, v28 offset:16
.LBB28_33:
	s_wait_alu 0xfffe
	s_or_b32 exec_lo, exec_lo, s2
	s_wait_loadcnt_dscnt 0x0
	s_barrier_signal -1
	s_barrier_wait -1
	global_inv scope:SCOPE_SE
	ds_load_u8 v14, v25
	ds_load_u8 v15, v25 offset:8
	ds_load_2addr_b64 v[0:3], v26 offset1:8
	s_wait_dscnt 0x2
	v_and_b32_e32 v17, 1, v14
	s_wait_dscnt 0x1
	v_and_b32_e32 v15, 0xff, v15
	s_wait_dscnt 0x0
	v_cmp_ge_i64_e64 s3, v[0:1], v[2:3]
	v_cmp_eq_u32_e64 s2, 1, v17
	s_delay_alu instid0(VALU_DEP_3)
	v_cmp_ne_u16_e64 s4, 0, v15
	s_xor_b32 s2, s2, -1
	s_wait_alu 0xfffe
	s_or_b32 s2, s3, s2
	s_wait_alu 0xfffe
	s_and_b32 s3, s2, s4
	s_wait_alu 0xfffe
	s_and_saveexec_b32 s2, s3
	s_cbranch_execz .LBB28_35
; %bb.34:
	ds_load_2addr_b64 v[28:31], v27 offset1:8
	v_mov_b32_e32 v15, 1
	ds_store_2addr_b64 v26, v[2:3], v[0:1] offset1:8
	s_wait_dscnt 0x1
	ds_store_2addr_b64 v27, v[30:31], v[28:29] offset1:8
	ds_store_b8 v25, v15
	ds_store_b8 v25, v14 offset:8
.LBB28_35:
	s_wait_alu 0xfffe
	s_or_b32 exec_lo, exec_lo, s2
	s_wait_loadcnt_dscnt 0x0
	s_barrier_signal -1
	s_barrier_wait -1
	global_inv scope:SCOPE_SE
	ds_load_u8 v14, v21
	ds_load_u8 v15, v21 offset:4
	ds_load_2addr_b64 v[0:3], v22 offset1:4
	s_wait_dscnt 0x2
	v_and_b32_e32 v17, 1, v14
	s_wait_dscnt 0x1
	v_and_b32_e32 v15, 0xff, v15
	s_wait_dscnt 0x0
	v_cmp_ge_i64_e64 s3, v[0:1], v[2:3]
	v_cmp_eq_u32_e64 s2, 1, v17
	s_delay_alu instid0(VALU_DEP_3)
	v_cmp_ne_u16_e64 s4, 0, v15
	s_xor_b32 s2, s2, -1
	s_wait_alu 0xfffe
	s_or_b32 s2, s3, s2
	s_wait_alu 0xfffe
	s_and_b32 s3, s2, s4
	s_wait_alu 0xfffe
	s_and_saveexec_b32 s2, s3
	s_cbranch_execz .LBB28_37
; %bb.36:
	ds_load_2addr_b64 v[25:28], v24 offset1:4
	v_mov_b32_e32 v15, 1
	ds_store_2addr_b64 v22, v[2:3], v[0:1] offset1:4
	s_wait_dscnt 0x1
	ds_store_2addr_b64 v24, v[27:28], v[25:26] offset1:4
	ds_store_b8 v21, v15
	ds_store_b8 v21, v14 offset:4
.LBB28_37:
	s_wait_alu 0xfffe
	s_or_b32 exec_lo, exec_lo, s2
	s_wait_loadcnt_dscnt 0x0
	s_barrier_signal -1
	s_barrier_wait -1
	global_inv scope:SCOPE_SE
	ds_load_u8 v14, v16
	ds_load_u8 v15, v16 offset:2
	ds_load_2addr_b64 v[0:3], v18 offset1:2
	s_wait_dscnt 0x2
	v_and_b32_e32 v17, 1, v14
	s_wait_dscnt 0x1
	v_and_b32_e32 v15, 0xff, v15
	s_wait_dscnt 0x0
	v_cmp_ge_i64_e64 s3, v[0:1], v[2:3]
	v_cmp_eq_u32_e64 s2, 1, v17
	s_delay_alu instid0(VALU_DEP_3)
	v_cmp_ne_u16_e64 s4, 0, v15
	s_xor_b32 s2, s2, -1
	s_wait_alu 0xfffe
	s_or_b32 s2, s3, s2
	s_wait_alu 0xfffe
	s_and_b32 s3, s2, s4
	s_wait_alu 0xfffe
	s_and_saveexec_b32 s2, s3
	s_cbranch_execz .LBB28_39
; %bb.38:
	ds_load_2addr_b64 v[24:27], v19 offset1:2
	v_mov_b32_e32 v15, 1
	ds_store_2addr_b64 v18, v[2:3], v[0:1] offset1:2
	s_wait_dscnt 0x1
	ds_store_2addr_b64 v19, v[26:27], v[24:25] offset1:2
	ds_store_b8 v16, v15
	ds_store_b8 v16, v14 offset:2
.LBB28_39:
	s_wait_alu 0xfffe
	s_or_b32 exec_lo, exec_lo, s2
	s_wait_loadcnt_dscnt 0x0
	s_barrier_signal -1
	s_barrier_wait -1
	global_inv scope:SCOPE_SE
	ds_load_u16 v14, v9
	ds_load_b128 v[0:3], v10
	s_wait_dscnt 0x1
	v_and_b32_e32 v15, 1, v14
	v_lshrrev_b16 v16, 8, v14
	s_wait_dscnt 0x0
	v_cmp_ge_i64_e64 s3, v[0:1], v[2:3]
	s_delay_alu instid0(VALU_DEP_3) | instskip(NEXT) | instid1(VALU_DEP_3)
	v_cmp_eq_u32_e64 s2, 1, v15
	v_cmp_ne_u16_e64 s4, 0, v16
	s_xor_b32 s2, s2, -1
	s_wait_alu 0xfffe
	s_or_b32 s2, s3, s2
	s_wait_alu 0xfffe
	s_and_b32 s3, s2, s4
	s_wait_alu 0xfffe
	s_and_saveexec_b32 s2, s3
	s_cbranch_execz .LBB28_41
; %bb.40:
	ds_load_b128 v[15:18], v23
	v_mov_b32_e32 v21, v0
	v_lshlrev_b16 v0, 8, v14
	v_dual_mov_b32 v19, v2 :: v_dual_mov_b32 v20, v3
	v_mov_b32_e32 v22, v1
	s_delay_alu instid0(VALU_DEP_3)
	v_or_b32_e32 v0, 1, v0
	s_wait_dscnt 0x0
	v_dual_mov_b32 v24, v17 :: v_dual_mov_b32 v25, v18
	v_dual_mov_b32 v26, v15 :: v_dual_mov_b32 v27, v16
	ds_store_b128 v23, v[24:27]
	ds_store_b128 v10, v[19:22]
	ds_store_b16 v9, v0
.LBB28_41:
	s_wait_alu 0xfffe
	s_or_b32 exec_lo, exec_lo, s2
	s_wait_loadcnt_dscnt 0x0
	s_barrier_signal -1
	s_barrier_wait -1
	global_inv scope:SCOPE_SE
	s_and_saveexec_b32 s2, s0
	s_cbranch_execz .LBB28_46
; %bb.42:
	s_and_saveexec_b32 s0, vcc_lo
	s_cbranch_execz .LBB28_44
; %bb.43:
	v_mad_co_u64_u32 v[0:1], null, v11, s6, v[6:7]
	v_mov_b32_e32 v1, 0
	v_mad_co_u64_u32 v[2:3], null, v11, s7, v[4:5]
	ds_load_b64 v[9:10], v12
	ds_load_b64 v[11:12], v13
	v_mov_b32_e32 v3, v1
	v_lshlrev_b64_e32 v[0:1], 3, v[0:1]
	s_delay_alu instid0(VALU_DEP_2) | instskip(NEXT) | instid1(VALU_DEP_2)
	v_lshlrev_b64_e32 v[2:3], 3, v[2:3]
	v_add_co_u32 v0, vcc_lo, s10, v0
	s_wait_alu 0xfffd
	s_delay_alu instid0(VALU_DEP_3) | instskip(NEXT) | instid1(VALU_DEP_3)
	v_add_co_ci_u32_e64 v1, null, s11, v1, vcc_lo
	v_add_co_u32 v2, vcc_lo, s8, v2
	s_wait_alu 0xfffd
	v_add_co_ci_u32_e64 v3, null, s9, v3, vcc_lo
	s_wait_dscnt 0x1
	global_store_b64 v[0:1], v[9:10], off
	s_wait_dscnt 0x0
	global_store_b64 v[2:3], v[11:12], off
.LBB28_44:
	s_wait_alu 0xfffe
	s_or_b32 exec_lo, exec_lo, s0
	s_delay_alu instid0(SALU_CYCLE_1)
	s_and_b32 exec_lo, exec_lo, s1
	s_cbranch_execz .LBB28_46
; %bb.45:
	v_mad_co_u64_u32 v[0:1], null, v5, s6, v[6:7]
	v_mov_b32_e32 v1, 0
	v_mad_co_u64_u32 v[2:3], null, v5, s7, v[4:5]
	ds_load_b64 v[4:5], v7
	ds_load_b64 v[6:7], v8
	v_mov_b32_e32 v3, v1
	v_lshlrev_b64_e32 v[0:1], 3, v[0:1]
	s_delay_alu instid0(VALU_DEP_2) | instskip(NEXT) | instid1(VALU_DEP_2)
	v_lshlrev_b64_e32 v[2:3], 3, v[2:3]
	v_add_co_u32 v0, vcc_lo, s10, v0
	s_wait_alu 0xfffd
	s_delay_alu instid0(VALU_DEP_3) | instskip(NEXT) | instid1(VALU_DEP_3)
	v_add_co_ci_u32_e64 v1, null, s11, v1, vcc_lo
	v_add_co_u32 v2, vcc_lo, s8, v2
	s_wait_alu 0xfffd
	v_add_co_ci_u32_e64 v3, null, s9, v3, vcc_lo
	s_wait_dscnt 0x1
	global_store_b64 v[0:1], v[4:5], off
	s_wait_dscnt 0x0
	global_store_b64 v[2:3], v[6:7], off
.LBB28_46:
	s_endpgm
	.section	.rodata,"a",@progbits
	.p2align	6, 0x0
	.amdhsa_kernel _ZN2at6native20bitonicSortKVInPlaceILin1ELin1ELi16ELi16EllNS0_4LTOpIlLb1EEEjEEvNS_4cuda6detail10TensorInfoIT3_T6_EES8_S8_S8_NS6_IT4_S8_EES8_T5_
		.amdhsa_group_segment_fixed_size 8704
		.amdhsa_private_segment_fixed_size 0
		.amdhsa_kernarg_size 712
		.amdhsa_user_sgpr_count 2
		.amdhsa_user_sgpr_dispatch_ptr 0
		.amdhsa_user_sgpr_queue_ptr 0
		.amdhsa_user_sgpr_kernarg_segment_ptr 1
		.amdhsa_user_sgpr_dispatch_id 0
		.amdhsa_user_sgpr_private_segment_size 0
		.amdhsa_wavefront_size32 1
		.amdhsa_uses_dynamic_stack 0
		.amdhsa_enable_private_segment 0
		.amdhsa_system_sgpr_workgroup_id_x 1
		.amdhsa_system_sgpr_workgroup_id_y 1
		.amdhsa_system_sgpr_workgroup_id_z 1
		.amdhsa_system_sgpr_workgroup_info 0
		.amdhsa_system_vgpr_workitem_id 1
		.amdhsa_next_free_vgpr 44
		.amdhsa_next_free_sgpr 14
		.amdhsa_reserve_vcc 1
		.amdhsa_float_round_mode_32 0
		.amdhsa_float_round_mode_16_64 0
		.amdhsa_float_denorm_mode_32 3
		.amdhsa_float_denorm_mode_16_64 3
		.amdhsa_fp16_overflow 0
		.amdhsa_workgroup_processor_mode 1
		.amdhsa_memory_ordered 1
		.amdhsa_forward_progress 1
		.amdhsa_inst_pref_size 38
		.amdhsa_round_robin_scheduling 0
		.amdhsa_exception_fp_ieee_invalid_op 0
		.amdhsa_exception_fp_denorm_src 0
		.amdhsa_exception_fp_ieee_div_zero 0
		.amdhsa_exception_fp_ieee_overflow 0
		.amdhsa_exception_fp_ieee_underflow 0
		.amdhsa_exception_fp_ieee_inexact 0
		.amdhsa_exception_int_div_zero 0
	.end_amdhsa_kernel
	.section	.text._ZN2at6native20bitonicSortKVInPlaceILin1ELin1ELi16ELi16EllNS0_4LTOpIlLb1EEEjEEvNS_4cuda6detail10TensorInfoIT3_T6_EES8_S8_S8_NS6_IT4_S8_EES8_T5_,"axG",@progbits,_ZN2at6native20bitonicSortKVInPlaceILin1ELin1ELi16ELi16EllNS0_4LTOpIlLb1EEEjEEvNS_4cuda6detail10TensorInfoIT3_T6_EES8_S8_S8_NS6_IT4_S8_EES8_T5_,comdat
.Lfunc_end28:
	.size	_ZN2at6native20bitonicSortKVInPlaceILin1ELin1ELi16ELi16EllNS0_4LTOpIlLb1EEEjEEvNS_4cuda6detail10TensorInfoIT3_T6_EES8_S8_S8_NS6_IT4_S8_EES8_T5_, .Lfunc_end28-_ZN2at6native20bitonicSortKVInPlaceILin1ELin1ELi16ELi16EllNS0_4LTOpIlLb1EEEjEEvNS_4cuda6detail10TensorInfoIT3_T6_EES8_S8_S8_NS6_IT4_S8_EES8_T5_
                                        ; -- End function
	.set _ZN2at6native20bitonicSortKVInPlaceILin1ELin1ELi16ELi16EllNS0_4LTOpIlLb1EEEjEEvNS_4cuda6detail10TensorInfoIT3_T6_EES8_S8_S8_NS6_IT4_S8_EES8_T5_.num_vgpr, 44
	.set _ZN2at6native20bitonicSortKVInPlaceILin1ELin1ELi16ELi16EllNS0_4LTOpIlLb1EEEjEEvNS_4cuda6detail10TensorInfoIT3_T6_EES8_S8_S8_NS6_IT4_S8_EES8_T5_.num_agpr, 0
	.set _ZN2at6native20bitonicSortKVInPlaceILin1ELin1ELi16ELi16EllNS0_4LTOpIlLb1EEEjEEvNS_4cuda6detail10TensorInfoIT3_T6_EES8_S8_S8_NS6_IT4_S8_EES8_T5_.numbered_sgpr, 14
	.set _ZN2at6native20bitonicSortKVInPlaceILin1ELin1ELi16ELi16EllNS0_4LTOpIlLb1EEEjEEvNS_4cuda6detail10TensorInfoIT3_T6_EES8_S8_S8_NS6_IT4_S8_EES8_T5_.num_named_barrier, 0
	.set _ZN2at6native20bitonicSortKVInPlaceILin1ELin1ELi16ELi16EllNS0_4LTOpIlLb1EEEjEEvNS_4cuda6detail10TensorInfoIT3_T6_EES8_S8_S8_NS6_IT4_S8_EES8_T5_.private_seg_size, 0
	.set _ZN2at6native20bitonicSortKVInPlaceILin1ELin1ELi16ELi16EllNS0_4LTOpIlLb1EEEjEEvNS_4cuda6detail10TensorInfoIT3_T6_EES8_S8_S8_NS6_IT4_S8_EES8_T5_.uses_vcc, 1
	.set _ZN2at6native20bitonicSortKVInPlaceILin1ELin1ELi16ELi16EllNS0_4LTOpIlLb1EEEjEEvNS_4cuda6detail10TensorInfoIT3_T6_EES8_S8_S8_NS6_IT4_S8_EES8_T5_.uses_flat_scratch, 0
	.set _ZN2at6native20bitonicSortKVInPlaceILin1ELin1ELi16ELi16EllNS0_4LTOpIlLb1EEEjEEvNS_4cuda6detail10TensorInfoIT3_T6_EES8_S8_S8_NS6_IT4_S8_EES8_T5_.has_dyn_sized_stack, 0
	.set _ZN2at6native20bitonicSortKVInPlaceILin1ELin1ELi16ELi16EllNS0_4LTOpIlLb1EEEjEEvNS_4cuda6detail10TensorInfoIT3_T6_EES8_S8_S8_NS6_IT4_S8_EES8_T5_.has_recursion, 0
	.set _ZN2at6native20bitonicSortKVInPlaceILin1ELin1ELi16ELi16EllNS0_4LTOpIlLb1EEEjEEvNS_4cuda6detail10TensorInfoIT3_T6_EES8_S8_S8_NS6_IT4_S8_EES8_T5_.has_indirect_call, 0
	.section	.AMDGPU.csdata,"",@progbits
; Kernel info:
; codeLenInByte = 4848
; TotalNumSgprs: 16
; NumVgprs: 44
; ScratchSize: 0
; MemoryBound: 0
; FloatMode: 240
; IeeeMode: 1
; LDSByteSize: 8704 bytes/workgroup (compile time only)
; SGPRBlocks: 0
; VGPRBlocks: 5
; NumSGPRsForWavesPerEU: 16
; NumVGPRsForWavesPerEU: 44
; Occupancy: 16
; WaveLimiterHint : 1
; COMPUTE_PGM_RSRC2:SCRATCH_EN: 0
; COMPUTE_PGM_RSRC2:USER_SGPR: 2
; COMPUTE_PGM_RSRC2:TRAP_HANDLER: 0
; COMPUTE_PGM_RSRC2:TGID_X_EN: 1
; COMPUTE_PGM_RSRC2:TGID_Y_EN: 1
; COMPUTE_PGM_RSRC2:TGID_Z_EN: 1
; COMPUTE_PGM_RSRC2:TIDIG_COMP_CNT: 1
	.section	.text._ZN2at6native20bitonicSortKVInPlaceILin1ELin1ELi16ELi16EllNS0_4GTOpIlLb1EEEjEEvNS_4cuda6detail10TensorInfoIT3_T6_EES8_S8_S8_NS6_IT4_S8_EES8_T5_,"axG",@progbits,_ZN2at6native20bitonicSortKVInPlaceILin1ELin1ELi16ELi16EllNS0_4GTOpIlLb1EEEjEEvNS_4cuda6detail10TensorInfoIT3_T6_EES8_S8_S8_NS6_IT4_S8_EES8_T5_,comdat
	.protected	_ZN2at6native20bitonicSortKVInPlaceILin1ELin1ELi16ELi16EllNS0_4GTOpIlLb1EEEjEEvNS_4cuda6detail10TensorInfoIT3_T6_EES8_S8_S8_NS6_IT4_S8_EES8_T5_ ; -- Begin function _ZN2at6native20bitonicSortKVInPlaceILin1ELin1ELi16ELi16EllNS0_4GTOpIlLb1EEEjEEvNS_4cuda6detail10TensorInfoIT3_T6_EES8_S8_S8_NS6_IT4_S8_EES8_T5_
	.globl	_ZN2at6native20bitonicSortKVInPlaceILin1ELin1ELi16ELi16EllNS0_4GTOpIlLb1EEEjEEvNS_4cuda6detail10TensorInfoIT3_T6_EES8_S8_S8_NS6_IT4_S8_EES8_T5_
	.p2align	8
	.type	_ZN2at6native20bitonicSortKVInPlaceILin1ELin1ELi16ELi16EllNS0_4GTOpIlLb1EEEjEEvNS_4cuda6detail10TensorInfoIT3_T6_EES8_S8_S8_NS6_IT4_S8_EES8_T5_,@function
_ZN2at6native20bitonicSortKVInPlaceILin1ELin1ELi16ELi16EllNS0_4GTOpIlLb1EEEjEEvNS_4cuda6detail10TensorInfoIT3_T6_EES8_S8_S8_NS6_IT4_S8_EES8_T5_: ; @_ZN2at6native20bitonicSortKVInPlaceILin1ELin1ELi16ELi16EllNS0_4GTOpIlLb1EEEjEEvNS_4cuda6detail10TensorInfoIT3_T6_EES8_S8_S8_NS6_IT4_S8_EES8_T5_
; %bb.0:
	s_clause 0x2
	s_load_b64 s[2:3], s[0:1], 0x1c8
	s_load_u16 s7, s[0:1], 0x1d6
	s_load_b96 s[4:6], s[0:1], 0xd8
	s_lshr_b32 s8, ttmp7, 16
	s_wait_kmcnt 0x0
	s_mul_i32 s3, s3, s8
	s_and_b32 s8, ttmp7, 0xffff
	s_delay_alu instid0(SALU_CYCLE_1) | instskip(NEXT) | instid1(SALU_CYCLE_1)
	s_add_co_i32 s3, s3, s8
	s_mul_i32 s2, s3, s2
	s_delay_alu instid0(SALU_CYCLE_1) | instskip(NEXT) | instid1(SALU_CYCLE_1)
	s_add_co_i32 s3, s2, ttmp9
	s_mul_i32 s3, s3, s7
	s_delay_alu instid0(SALU_CYCLE_1)
	s_cmp_ge_u32 s3, s4
	s_cbranch_scc1 .LBB29_46
; %bb.1:
	s_load_b32 s2, s[0:1], 0xd0
	v_bfe_u32 v9, v0, 10, 10
	s_delay_alu instid0(VALU_DEP_1) | instskip(NEXT) | instid1(VALU_DEP_1)
	v_dual_mov_b32 v1, 0 :: v_dual_add_nc_u32 v4, s3, v9
	v_mov_b32_e32 v5, v4
	s_wait_kmcnt 0x0
	s_cmp_lt_i32 s2, 2
	s_cbranch_scc1 .LBB29_4
; %bb.2:
	s_add_co_i32 s8, s2, -1
	s_mov_b32 s9, 0
	v_mov_b32_e32 v1, 0
	s_lshl_b64 s[8:9], s[8:9], 2
	v_mov_b32_e32 v5, v4
	s_add_nc_u64 s[8:9], s[0:1], s[8:9]
	s_add_co_i32 s7, s2, 1
	s_add_nc_u64 s[2:3], s[8:9], 8
.LBB29_3:                               ; =>This Inner Loop Header: Depth=1
	s_clause 0x1
	s_load_b32 s8, s[2:3], 0x0
	s_load_b32 s9, s[2:3], 0x64
	s_add_co_i32 s7, s7, -1
	s_add_nc_u64 s[2:3], s[2:3], -4
	s_wait_kmcnt 0x0
	s_cvt_f32_u32 s10, s8
	s_sub_co_i32 s11, 0, s8
	s_wait_alu 0xfffe
	s_delay_alu instid0(SALU_CYCLE_1) | instskip(NEXT) | instid1(TRANS32_DEP_1)
	v_rcp_iflag_f32_e32 v2, s10
	v_readfirstlane_b32 s10, v2
	v_mov_b32_e32 v2, v5
	s_mul_f32 s10, s10, 0x4f7ffffe
	s_wait_alu 0xfffe
	s_delay_alu instid0(SALU_CYCLE_2) | instskip(SKIP_1) | instid1(SALU_CYCLE_2)
	s_cvt_u32_f32 s10, s10
	s_wait_alu 0xfffe
	s_mul_i32 s11, s11, s10
	s_wait_alu 0xfffe
	s_mul_hi_u32 s11, s10, s11
	s_wait_alu 0xfffe
	s_add_co_i32 s10, s10, s11
	s_cmp_gt_u32 s7, 2
	s_wait_alu 0xfffe
	v_mul_hi_u32 v3, v2, s10
	s_delay_alu instid0(VALU_DEP_1) | instskip(SKIP_1) | instid1(VALU_DEP_2)
	v_mul_lo_u32 v5, v3, s8
	v_add_nc_u32_e32 v6, 1, v3
	v_sub_nc_u32_e32 v5, v2, v5
	s_delay_alu instid0(VALU_DEP_1) | instskip(SKIP_3) | instid1(VALU_DEP_3)
	v_subrev_nc_u32_e32 v7, s8, v5
	v_cmp_le_u32_e32 vcc_lo, s8, v5
	s_wait_alu 0xfffd
	v_cndmask_b32_e32 v3, v3, v6, vcc_lo
	v_cndmask_b32_e32 v5, v5, v7, vcc_lo
	s_delay_alu instid0(VALU_DEP_2) | instskip(NEXT) | instid1(VALU_DEP_2)
	v_add_nc_u32_e32 v6, 1, v3
	v_cmp_le_u32_e32 vcc_lo, s8, v5
	s_wait_alu 0xfffd
	s_delay_alu instid0(VALU_DEP_2) | instskip(NEXT) | instid1(VALU_DEP_1)
	v_cndmask_b32_e32 v5, v3, v6, vcc_lo
	v_mul_lo_u32 v3, v5, s8
	s_delay_alu instid0(VALU_DEP_1) | instskip(NEXT) | instid1(VALU_DEP_1)
	v_sub_nc_u32_e32 v2, v2, v3
	v_mad_co_u64_u32 v[1:2], null, s9, v2, v[1:2]
	s_cbranch_scc1 .LBB29_3
.LBB29_4:
	s_load_b32 s7, s[0:1], 0x1b8
	v_mov_b32_e32 v2, 0
	v_mov_b32_e32 v8, v4
	s_add_nc_u64 s[2:3], s[0:1], 0x1c8
	s_wait_kmcnt 0x0
	s_cmp_lt_i32 s7, 2
	s_cbranch_scc1 .LBB29_7
; %bb.5:
	s_add_co_i32 s8, s7, -1
	s_mov_b32 s9, 0
	v_mov_b32_e32 v2, 0
	s_wait_alu 0xfffe
	s_lshl_b64 s[8:9], s[8:9], 2
	v_mov_b32_e32 v8, v4
	s_wait_alu 0xfffe
	s_add_nc_u64 s[8:9], s[0:1], s[8:9]
	s_add_co_i32 s7, s7, 1
	s_wait_alu 0xfffe
	s_add_nc_u64 s[8:9], s[8:9], 0xf0
.LBB29_6:                               ; =>This Inner Loop Header: Depth=1
	s_clause 0x1
	s_load_b32 s10, s[8:9], 0x0
	s_load_b32 s11, s[8:9], 0x64
	s_add_co_i32 s7, s7, -1
	s_add_nc_u64 s[8:9], s[8:9], -4
	s_wait_kmcnt 0x0
	s_cvt_f32_u32 s12, s10
	s_sub_co_i32 s13, 0, s10
	s_wait_alu 0xfffe
	s_delay_alu instid0(SALU_CYCLE_1) | instskip(NEXT) | instid1(TRANS32_DEP_1)
	v_rcp_iflag_f32_e32 v3, s12
	v_readfirstlane_b32 s12, v3
	v_mov_b32_e32 v3, v8
	s_mul_f32 s12, s12, 0x4f7ffffe
	s_wait_alu 0xfffe
	s_delay_alu instid0(SALU_CYCLE_2) | instskip(SKIP_1) | instid1(SALU_CYCLE_2)
	s_cvt_u32_f32 s12, s12
	s_wait_alu 0xfffe
	s_mul_i32 s13, s13, s12
	s_wait_alu 0xfffe
	s_mul_hi_u32 s13, s12, s13
	s_wait_alu 0xfffe
	s_add_co_i32 s12, s12, s13
	s_cmp_gt_u32 s7, 2
	s_wait_alu 0xfffe
	v_mul_hi_u32 v6, v3, s12
	s_delay_alu instid0(VALU_DEP_1) | instskip(SKIP_1) | instid1(VALU_DEP_2)
	v_mul_lo_u32 v7, v6, s10
	v_add_nc_u32_e32 v8, 1, v6
	v_sub_nc_u32_e32 v7, v3, v7
	s_delay_alu instid0(VALU_DEP_1) | instskip(SKIP_2) | instid1(VALU_DEP_2)
	v_subrev_nc_u32_e32 v10, s10, v7
	v_cmp_le_u32_e32 vcc_lo, s10, v7
	s_wait_alu 0xfffd
	v_dual_cndmask_b32 v6, v6, v8 :: v_dual_cndmask_b32 v7, v7, v10
	s_delay_alu instid0(VALU_DEP_1) | instskip(NEXT) | instid1(VALU_DEP_2)
	v_add_nc_u32_e32 v8, 1, v6
	v_cmp_le_u32_e32 vcc_lo, s10, v7
	s_wait_alu 0xfffd
	s_delay_alu instid0(VALU_DEP_2) | instskip(NEXT) | instid1(VALU_DEP_1)
	v_cndmask_b32_e32 v8, v6, v8, vcc_lo
	v_mul_lo_u32 v6, v8, s10
	s_delay_alu instid0(VALU_DEP_1) | instskip(NEXT) | instid1(VALU_DEP_1)
	v_sub_nc_u32_e32 v3, v3, v6
	v_mad_co_u64_u32 v[2:3], null, s11, v3, v[2:3]
	s_cbranch_scc1 .LBB29_6
.LBB29_7:
	s_clause 0x1
	s_load_b32 s12, s[0:1], 0x6c
	s_load_b32 s13, s[0:1], 0x154
	;; [unrolled: 1-line block ×3, first 2 shown]
	s_clause 0x2
	s_load_b32 s7, s[0:1], 0x1c0
	s_load_b64 s[10:11], s[0:1], 0x0
	s_load_b64 s[8:9], s[0:1], 0xe8
	v_and_b32_e32 v11, 0x3ff, v0
	v_cmp_gt_u32_e64 s0, s4, v4
	s_wait_kmcnt 0x0
	v_mad_co_u64_u32 v[6:7], null, s12, v5, v[1:2]
	v_mad_co_u64_u32 v[4:5], null, s13, v8, v[2:3]
	v_mov_b32_e32 v0, 0
	v_cmp_gt_u32_e32 vcc_lo, s5, v11
	v_dual_mov_b32 v1, 0 :: v_dual_mov_b32 v2, 0
	v_mov_b32_e32 v7, 0
	v_dual_mov_b32 v3, 0 :: v_dual_mov_b32 v8, 0
	s_and_b32 s4, s0, vcc_lo
	s_wait_alu 0xfffe
	s_and_saveexec_b32 s3, s4
	s_cbranch_execz .LBB29_9
; %bb.8:
	v_mad_co_u64_u32 v[2:3], null, v11, s6, v[6:7]
	v_mov_b32_e32 v3, 0
	v_mad_co_u64_u32 v[7:8], null, v11, s7, v[4:5]
	s_delay_alu instid0(VALU_DEP_2) | instskip(NEXT) | instid1(VALU_DEP_4)
	v_mov_b32_e32 v8, v3
	v_lshlrev_b64_e32 v[2:3], 3, v[2:3]
	s_delay_alu instid0(VALU_DEP_2) | instskip(NEXT) | instid1(VALU_DEP_2)
	v_lshlrev_b64_e32 v[7:8], 3, v[7:8]
	v_add_co_u32 v2, s1, s10, v2
	s_delay_alu instid0(VALU_DEP_1) | instskip(NEXT) | instid1(VALU_DEP_3)
	v_add_co_ci_u32_e64 v3, null, s11, v3, s1
	v_add_co_u32 v7, s1, s8, v7
	s_wait_alu 0xf1ff
	s_delay_alu instid0(VALU_DEP_4)
	v_add_co_ci_u32_e64 v8, null, s9, v8, s1
	global_load_b64 v[2:3], v[2:3], off
	global_load_b64 v[7:8], v[7:8], off
.LBB29_9:
	s_wait_alu 0xfffe
	s_or_b32 exec_lo, exec_lo, s3
	v_lshlrev_b32_e32 v15, 8, v9
	s_and_b32 s3, 0xffff, s2
	v_lshlrev_b32_e32 v16, 3, v11
	s_wait_alu 0xfffe
	v_add_nc_u32_e32 v5, s3, v11
	v_lshl_add_u32 v17, v9, 5, 0x2000
	v_mov_b32_e32 v9, 0
	v_mov_b32_e32 v10, 0
	v_add_nc_u32_e32 v14, 0x1000, v15
	v_cmp_gt_u32_e64 s1, s5, v5
	v_add_nc_u32_e32 v12, v15, v16
	v_cndmask_b32_e64 v18, 0, 1, s4
	v_add_nc_u32_e32 v19, v17, v11
	v_add_nc_u32_e32 v13, v14, v16
	s_and_b32 s4, s0, s1
	s_wait_loadcnt 0x1
	ds_store_b64 v12, v[2:3]
	s_wait_loadcnt 0x0
	ds_store_b64 v13, v[7:8]
	ds_store_b8 v19, v18
	s_wait_alu 0xfffe
	s_and_saveexec_b32 s5, s4
	s_cbranch_execz .LBB29_11
; %bb.10:
	v_mad_co_u64_u32 v[0:1], null, v5, s6, v[6:7]
	v_mov_b32_e32 v1, 0
	v_mad_co_u64_u32 v[2:3], null, v5, s7, v[4:5]
	s_delay_alu instid0(VALU_DEP_2) | instskip(NEXT) | instid1(VALU_DEP_4)
	v_mov_b32_e32 v3, v1
	v_lshlrev_b64_e32 v[0:1], 3, v[0:1]
	s_delay_alu instid0(VALU_DEP_2) | instskip(NEXT) | instid1(VALU_DEP_2)
	v_lshlrev_b64_e32 v[2:3], 3, v[2:3]
	v_add_co_u32 v0, s2, s10, v0
	s_wait_alu 0xf1ff
	s_delay_alu instid0(VALU_DEP_3) | instskip(NEXT) | instid1(VALU_DEP_3)
	v_add_co_ci_u32_e64 v1, null, s11, v1, s2
	v_add_co_u32 v2, s2, s8, v2
	s_wait_alu 0xf1ff
	v_add_co_ci_u32_e64 v3, null, s9, v3, s2
	global_load_b64 v[0:1], v[0:1], off
	global_load_b64 v[9:10], v[2:3], off
.LBB29_11:
	s_wait_alu 0xfffe
	s_or_b32 exec_lo, exec_lo, s5
	s_lshl_b32 s2, s3, 3
	v_lshlrev_b32_e32 v20, 1, v11
	s_wait_alu 0xfffe
	v_add_nc_u32_e32 v7, s2, v12
	v_add_nc_u32_e32 v8, s2, v13
	v_cndmask_b32_e64 v2, 0, 1, s4
	v_add_nc_u32_e32 v3, v17, v5
	v_and_b32_e32 v18, 1, v11
	s_wait_loadcnt 0x1
	ds_store_b64 v7, v[0:1]
	s_wait_loadcnt 0x0
	ds_store_b64 v8, v[9:10]
	ds_store_b8 v3, v2
	v_add_nc_u32_e32 v9, v17, v20
	v_add_nc_u32_e32 v10, v12, v16
	s_wait_dscnt 0x0
	s_barrier_signal -1
	s_barrier_wait -1
	global_inv scope:SCOPE_SE
	ds_load_u16 v22, v9
	ds_load_b128 v[0:3], v10
	s_wait_dscnt 0x1
	v_lshrrev_b16 v19, 8, v22
	v_and_b32_e32 v21, 1, v22
	s_wait_dscnt 0x0
	v_cmp_gt_i64_e64 s2, v[0:1], v[2:3]
	s_delay_alu instid0(VALU_DEP_3) | instskip(NEXT) | instid1(VALU_DEP_3)
	v_cmp_ne_u16_e64 s4, v19, v18
	v_cmp_eq_u32_e64 s3, 1, v21
	s_wait_alu 0xf1ff
	s_delay_alu instid0(VALU_DEP_2) | instskip(SKIP_2) | instid1(VALU_DEP_1)
	v_cndmask_b32_e64 v21, 0, 1, s4
	s_and_b32 s2, s2, s3
	s_wait_alu 0xfffe
	v_cndmask_b32_e64 v21, v21, v11, s2
	s_delay_alu instid0(VALU_DEP_1) | instskip(NEXT) | instid1(VALU_DEP_1)
	v_and_b32_e32 v21, 1, v21
	v_cmp_eq_u32_e64 s2, 1, v21
	v_add_nc_u32_e32 v21, v13, v16
	s_and_saveexec_b32 s3, s2
	s_wait_alu 0xfffe
	s_xor_b32 s2, exec_lo, s3
	s_cbranch_execz .LBB29_13
; %bb.12:
	ds_load_b128 v[23:26], v21
	v_mov_b32_e32 v29, v0
	v_lshlrev_b16 v0, 8, v22
	v_dual_mov_b32 v27, v2 :: v_dual_mov_b32 v28, v3
	v_mov_b32_e32 v30, v1
	s_delay_alu instid0(VALU_DEP_3)
	v_or_b32_e32 v0, v19, v0
	s_wait_dscnt 0x0
	v_dual_mov_b32 v31, v25 :: v_dual_mov_b32 v34, v24
	v_dual_mov_b32 v32, v26 :: v_dual_mov_b32 v33, v23
	ds_store_b128 v21, v[31:34]
	ds_store_b128 v10, v[27:30]
	ds_store_b16 v9, v0
.LBB29_13:
	s_wait_alu 0xfffe
	s_or_b32 exec_lo, exec_lo, s2
	v_sub_nc_u32_e32 v19, v20, v18
	s_wait_loadcnt_dscnt 0x0
	s_barrier_signal -1
	s_barrier_wait -1
	global_inv scope:SCOPE_SE
	v_add_nc_u32_e32 v16, v17, v19
	v_lshl_add_u32 v18, v19, 3, v15
	v_bfe_u32 v25, v11, 1, 1
	v_lshl_add_u32 v19, v19, 3, v14
	ds_load_u8 v23, v16
	ds_load_2addr_b64 v[0:3], v18 offset1:2
	ds_load_u8 v24, v16 offset:2
	s_wait_dscnt 0x2
	v_and_b32_e32 v22, 1, v23
	s_wait_dscnt 0x1
	v_cmp_gt_i64_e64 s2, v[0:1], v[2:3]
	s_wait_dscnt 0x0
	v_cmp_ne_u16_e64 s4, v24, v25
	v_cmp_eq_u32_e64 s3, 1, v22
	s_wait_alu 0xf1ff
	s_delay_alu instid0(VALU_DEP_2) | instskip(SKIP_2) | instid1(VALU_DEP_1)
	v_cndmask_b32_e64 v22, 0, 1, s4
	s_and_b32 s2, s2, s3
	s_wait_alu 0xfffe
	v_cndmask_b32_e64 v25, v22, v25, s2
	v_and_b32_e32 v22, 2, v11
	s_delay_alu instid0(VALU_DEP_2) | instskip(NEXT) | instid1(VALU_DEP_2)
	v_and_b32_e32 v25, 1, v25
	v_cmp_ne_u32_e64 s2, 0, v22
	s_delay_alu instid0(VALU_DEP_2)
	v_cmp_eq_u32_e64 s3, 1, v25
	s_and_saveexec_b32 s4, s3
	s_wait_alu 0xfffe
	s_xor_b32 s3, exec_lo, s4
	s_cbranch_execz .LBB29_15
; %bb.14:
	ds_load_2addr_b64 v[25:28], v19 offset1:2
	ds_store_2addr_b64 v18, v[2:3], v[0:1] offset1:2
	s_wait_dscnt 0x1
	ds_store_2addr_b64 v19, v[27:28], v[25:26] offset1:2
	ds_store_b8 v16, v24
	ds_store_b8 v16, v23 offset:2
.LBB29_15:
	s_wait_alu 0xfffe
	s_or_b32 exec_lo, exec_lo, s3
	s_wait_loadcnt_dscnt 0x0
	s_barrier_signal -1
	s_barrier_wait -1
	global_inv scope:SCOPE_SE
	ds_load_u16 v23, v9
	ds_load_b128 v[0:3], v10
	v_lshrrev_b32_e32 v24, 1, v22
	v_cndmask_b32_e64 v26, 0, 1, s2
	s_wait_dscnt 0x1
	v_lshrrev_b16 v22, 8, v23
	v_and_b32_e32 v25, 1, v23
	s_wait_dscnt 0x0
	v_cmp_gt_i64_e64 s2, v[0:1], v[2:3]
	s_delay_alu instid0(VALU_DEP_3) | instskip(NEXT) | instid1(VALU_DEP_3)
	v_cmp_ne_u16_e64 s4, v22, v24
	v_cmp_eq_u32_e64 s3, 1, v25
	s_wait_alu 0xf1ff
	s_delay_alu instid0(VALU_DEP_2) | instskip(SKIP_3) | instid1(VALU_DEP_1)
	v_cndmask_b32_e64 v24, 0, 1, s4
	s_and_b32 s2, s2, s3
	s_mov_b32 s3, exec_lo
	s_wait_alu 0xfffe
	v_cndmask_b32_e64 v24, v24, v26, s2
	s_delay_alu instid0(VALU_DEP_1) | instskip(NEXT) | instid1(VALU_DEP_1)
	v_and_b32_e32 v24, 1, v24
	v_cmpx_eq_u32_e32 1, v24
	s_cbranch_execz .LBB29_17
; %bb.16:
	ds_load_b128 v[24:27], v21
	v_mov_b32_e32 v30, v0
	v_lshlrev_b16 v0, 8, v23
	v_dual_mov_b32 v28, v2 :: v_dual_mov_b32 v29, v3
	v_mov_b32_e32 v31, v1
	s_delay_alu instid0(VALU_DEP_3)
	v_or_b32_e32 v0, v22, v0
	s_wait_dscnt 0x0
	v_dual_mov_b32 v32, v26 :: v_dual_mov_b32 v35, v25
	v_dual_mov_b32 v33, v27 :: v_dual_mov_b32 v34, v24
	ds_store_b128 v21, v[32:35]
	ds_store_b128 v10, v[28:31]
	ds_store_b16 v9, v0
.LBB29_17:
	s_or_b32 exec_lo, exec_lo, s3
	v_and_b32_e32 v0, 3, v11
	s_wait_loadcnt_dscnt 0x0
	s_barrier_signal -1
	s_barrier_wait -1
	global_inv scope:SCOPE_SE
	v_sub_nc_u32_e32 v24, v20, v0
	v_bfe_u32 v27, v11, 2, 1
	s_delay_alu instid0(VALU_DEP_2)
	v_add_nc_u32_e32 v21, v17, v24
	v_lshl_add_u32 v22, v24, 3, v15
	v_lshl_add_u32 v24, v24, 3, v14
	ds_load_u8 v25, v21
	ds_load_2addr_b64 v[0:3], v22 offset1:4
	ds_load_u8 v26, v21 offset:4
	s_wait_dscnt 0x2
	v_and_b32_e32 v23, 1, v25
	s_wait_dscnt 0x1
	v_cmp_gt_i64_e64 s2, v[0:1], v[2:3]
	s_wait_dscnt 0x0
	v_cmp_ne_u16_e64 s4, v26, v27
	v_cmp_eq_u32_e64 s3, 1, v23
	s_wait_alu 0xf1ff
	s_delay_alu instid0(VALU_DEP_2) | instskip(SKIP_3) | instid1(VALU_DEP_1)
	v_cndmask_b32_e64 v23, 0, 1, s4
	s_mov_b32 s4, exec_lo
	s_and_b32 s2, s2, s3
	s_wait_alu 0xfffe
	v_cndmask_b32_e64 v27, v23, v27, s2
	v_and_b32_e32 v23, 4, v11
	s_delay_alu instid0(VALU_DEP_2) | instskip(NEXT) | instid1(VALU_DEP_2)
	v_and_b32_e32 v27, 1, v27
	v_cmp_ne_u32_e64 s2, 0, v23
	s_delay_alu instid0(VALU_DEP_2)
	v_cmpx_eq_u32_e32 1, v27
	s_cbranch_execz .LBB29_19
; %bb.18:
	ds_load_2addr_b64 v[27:30], v24 offset1:4
	ds_store_2addr_b64 v22, v[2:3], v[0:1] offset1:4
	s_wait_dscnt 0x1
	ds_store_2addr_b64 v24, v[29:30], v[27:28] offset1:4
	ds_store_b8 v21, v26
	ds_store_b8 v21, v25 offset:4
.LBB29_19:
	s_or_b32 exec_lo, exec_lo, s4
	s_wait_loadcnt_dscnt 0x0
	s_barrier_signal -1
	s_barrier_wait -1
	global_inv scope:SCOPE_SE
	ds_load_u8 v26, v16
	ds_load_2addr_b64 v[0:3], v18 offset1:2
	ds_load_u8 v27, v16 offset:2
	v_lshrrev_b32_e32 v23, 2, v23
	v_cndmask_b32_e64 v25, 0, 1, s2
	s_wait_dscnt 0x2
	v_and_b32_e32 v28, 1, v26
	s_wait_dscnt 0x1
	v_cmp_gt_i64_e64 s2, v[0:1], v[2:3]
	s_wait_dscnt 0x0
	v_cmp_ne_u16_e64 s4, v27, v23
	v_cmp_eq_u32_e64 s3, 1, v28
	s_wait_alu 0xf1ff
	s_delay_alu instid0(VALU_DEP_2) | instskip(SKIP_3) | instid1(VALU_DEP_1)
	v_cndmask_b32_e64 v28, 0, 1, s4
	s_and_b32 s2, s2, s3
	s_mov_b32 s3, exec_lo
	s_wait_alu 0xfffe
	v_cndmask_b32_e64 v28, v28, v25, s2
	s_delay_alu instid0(VALU_DEP_1) | instskip(NEXT) | instid1(VALU_DEP_1)
	v_and_b32_e32 v28, 1, v28
	v_cmpx_eq_u32_e32 1, v28
	s_cbranch_execz .LBB29_21
; %bb.20:
	ds_load_2addr_b64 v[28:31], v19 offset1:2
	ds_store_2addr_b64 v18, v[2:3], v[0:1] offset1:2
	s_wait_dscnt 0x1
	ds_store_2addr_b64 v19, v[30:31], v[28:29] offset1:2
	ds_store_b8 v16, v27
	ds_store_b8 v16, v26 offset:2
.LBB29_21:
	s_or_b32 exec_lo, exec_lo, s3
	s_wait_loadcnt_dscnt 0x0
	s_barrier_signal -1
	s_barrier_wait -1
	global_inv scope:SCOPE_SE
	ds_load_u16 v27, v9
	ds_load_b128 v[0:3], v10
	s_wait_dscnt 0x1
	v_lshrrev_b16 v26, 8, v27
	v_and_b32_e32 v28, 1, v27
	s_wait_dscnt 0x0
	v_cmp_gt_i64_e64 s2, v[0:1], v[2:3]
	s_delay_alu instid0(VALU_DEP_3) | instskip(NEXT) | instid1(VALU_DEP_3)
	v_cmp_ne_u16_e64 s4, v26, v23
	v_cmp_eq_u32_e64 s3, 1, v28
	s_wait_alu 0xf1ff
	s_delay_alu instid0(VALU_DEP_2) | instskip(SKIP_2) | instid1(VALU_DEP_1)
	v_cndmask_b32_e64 v23, 0, 1, s4
	s_and_b32 s2, s2, s3
	s_wait_alu 0xfffe
	v_cndmask_b32_e64 v23, v23, v25, s2
	s_delay_alu instid0(VALU_DEP_1) | instskip(NEXT) | instid1(VALU_DEP_1)
	v_and_b32_e32 v23, 1, v23
	v_cmp_eq_u32_e64 s2, 1, v23
	v_lshl_add_u32 v23, v20, 3, v14
	s_and_saveexec_b32 s3, s2
	s_cbranch_execz .LBB29_23
; %bb.22:
	ds_load_b128 v[28:31], v23
	v_mov_b32_e32 v34, v0
	v_lshlrev_b16 v0, 8, v27
	v_dual_mov_b32 v32, v2 :: v_dual_mov_b32 v33, v3
	v_mov_b32_e32 v35, v1
	s_delay_alu instid0(VALU_DEP_3)
	v_or_b32_e32 v0, v26, v0
	s_wait_dscnt 0x0
	v_dual_mov_b32 v36, v30 :: v_dual_mov_b32 v39, v29
	v_dual_mov_b32 v37, v31 :: v_dual_mov_b32 v38, v28
	ds_store_b128 v23, v[36:39]
	ds_store_b128 v10, v[32:35]
	ds_store_b16 v9, v0
.LBB29_23:
	s_wait_alu 0xfffe
	s_or_b32 exec_lo, exec_lo, s3
	v_and_b32_e32 v0, 7, v11
	s_wait_loadcnt_dscnt 0x0
	s_barrier_signal -1
	s_barrier_wait -1
	global_inv scope:SCOPE_SE
	v_sub_nc_u32_e32 v27, v20, v0
	v_bfe_u32 v31, v11, 3, 1
	s_delay_alu instid0(VALU_DEP_2)
	v_add_nc_u32_e32 v25, v17, v27
	v_lshl_add_u32 v26, v27, 3, v15
	v_lshl_add_u32 v27, v27, 3, v14
	ds_load_u8 v29, v25
	ds_load_2addr_b64 v[0:3], v26 offset1:8
	ds_load_u8 v30, v25 offset:8
	s_wait_dscnt 0x2
	v_and_b32_e32 v28, 1, v29
	s_wait_dscnt 0x1
	v_cmp_gt_i64_e64 s2, v[0:1], v[2:3]
	s_wait_dscnt 0x0
	v_cmp_ne_u16_e64 s4, v30, v31
	v_cmp_eq_u32_e64 s3, 1, v28
	s_wait_alu 0xf1ff
	s_delay_alu instid0(VALU_DEP_2) | instskip(SKIP_3) | instid1(VALU_DEP_1)
	v_cndmask_b32_e64 v28, 0, 1, s4
	s_mov_b32 s4, exec_lo
	s_and_b32 s2, s2, s3
	s_wait_alu 0xfffe
	v_cndmask_b32_e64 v31, v28, v31, s2
	v_and_b32_e32 v28, 8, v11
	s_delay_alu instid0(VALU_DEP_2) | instskip(NEXT) | instid1(VALU_DEP_2)
	v_and_b32_e32 v31, 1, v31
	v_cmp_ne_u32_e64 s2, 0, v28
	s_delay_alu instid0(VALU_DEP_2)
	v_cmpx_eq_u32_e32 1, v31
	s_cbranch_execz .LBB29_25
; %bb.24:
	ds_load_2addr_b64 v[31:34], v27 offset1:8
	ds_store_2addr_b64 v26, v[2:3], v[0:1] offset1:8
	s_wait_dscnt 0x1
	ds_store_2addr_b64 v27, v[33:34], v[31:32] offset1:8
	ds_store_b8 v25, v30
	ds_store_b8 v25, v29 offset:8
.LBB29_25:
	s_or_b32 exec_lo, exec_lo, s4
	s_wait_loadcnt_dscnt 0x0
	s_barrier_signal -1
	s_barrier_wait -1
	global_inv scope:SCOPE_SE
	ds_load_u8 v30, v21
	ds_load_2addr_b64 v[0:3], v22 offset1:4
	ds_load_u8 v31, v21 offset:4
	v_lshrrev_b32_e32 v28, 3, v28
	v_cndmask_b32_e64 v29, 0, 1, s2
	s_wait_dscnt 0x2
	v_and_b32_e32 v32, 1, v30
	s_wait_dscnt 0x1
	v_cmp_gt_i64_e64 s2, v[0:1], v[2:3]
	s_wait_dscnt 0x0
	v_cmp_ne_u16_e64 s4, v31, v28
	v_cmp_eq_u32_e64 s3, 1, v32
	s_wait_alu 0xf1ff
	s_delay_alu instid0(VALU_DEP_2) | instskip(SKIP_3) | instid1(VALU_DEP_1)
	v_cndmask_b32_e64 v32, 0, 1, s4
	s_and_b32 s2, s2, s3
	s_mov_b32 s3, exec_lo
	s_wait_alu 0xfffe
	v_cndmask_b32_e64 v32, v32, v29, s2
	s_delay_alu instid0(VALU_DEP_1) | instskip(NEXT) | instid1(VALU_DEP_1)
	v_and_b32_e32 v32, 1, v32
	v_cmpx_eq_u32_e32 1, v32
	s_cbranch_execz .LBB29_27
; %bb.26:
	ds_load_2addr_b64 v[32:35], v24 offset1:4
	ds_store_2addr_b64 v22, v[2:3], v[0:1] offset1:4
	s_wait_dscnt 0x1
	ds_store_2addr_b64 v24, v[34:35], v[32:33] offset1:4
	ds_store_b8 v21, v31
	ds_store_b8 v21, v30 offset:4
.LBB29_27:
	s_or_b32 exec_lo, exec_lo, s3
	s_wait_loadcnt_dscnt 0x0
	s_barrier_signal -1
	s_barrier_wait -1
	global_inv scope:SCOPE_SE
	ds_load_u8 v30, v16
	ds_load_2addr_b64 v[0:3], v18 offset1:2
	ds_load_u8 v31, v16 offset:2
	s_wait_dscnt 0x2
	v_and_b32_e32 v32, 1, v30
	s_wait_dscnt 0x1
	v_cmp_gt_i64_e64 s2, v[0:1], v[2:3]
	s_wait_dscnt 0x0
	v_cmp_ne_u16_e64 s4, v31, v28
	v_cmp_eq_u32_e64 s3, 1, v32
	s_wait_alu 0xf1ff
	s_delay_alu instid0(VALU_DEP_2) | instskip(SKIP_3) | instid1(VALU_DEP_1)
	v_cndmask_b32_e64 v32, 0, 1, s4
	s_and_b32 s2, s2, s3
	s_mov_b32 s3, exec_lo
	s_wait_alu 0xfffe
	v_cndmask_b32_e64 v32, v32, v29, s2
	s_delay_alu instid0(VALU_DEP_1) | instskip(NEXT) | instid1(VALU_DEP_1)
	v_and_b32_e32 v32, 1, v32
	v_cmpx_eq_u32_e32 1, v32
	s_cbranch_execz .LBB29_29
; %bb.28:
	ds_load_2addr_b64 v[32:35], v19 offset1:2
	ds_store_2addr_b64 v18, v[2:3], v[0:1] offset1:2
	s_wait_dscnt 0x1
	ds_store_2addr_b64 v19, v[34:35], v[32:33] offset1:2
	ds_store_b8 v16, v31
	ds_store_b8 v16, v30 offset:2
.LBB29_29:
	s_or_b32 exec_lo, exec_lo, s3
	s_wait_loadcnt_dscnt 0x0
	s_barrier_signal -1
	s_barrier_wait -1
	global_inv scope:SCOPE_SE
	ds_load_u16 v31, v9
	ds_load_b128 v[0:3], v10
	s_wait_dscnt 0x1
	v_lshrrev_b16 v30, 8, v31
	v_and_b32_e32 v32, 1, v31
	s_wait_dscnt 0x0
	v_cmp_gt_i64_e64 s2, v[0:1], v[2:3]
	s_delay_alu instid0(VALU_DEP_3) | instskip(NEXT) | instid1(VALU_DEP_3)
	v_cmp_ne_u16_e64 s4, v30, v28
	v_cmp_eq_u32_e64 s3, 1, v32
	s_wait_alu 0xf1ff
	s_delay_alu instid0(VALU_DEP_2) | instskip(SKIP_3) | instid1(VALU_DEP_1)
	v_cndmask_b32_e64 v28, 0, 1, s4
	s_and_b32 s2, s2, s3
	s_mov_b32 s3, exec_lo
	s_wait_alu 0xfffe
	v_cndmask_b32_e64 v28, v28, v29, s2
	s_delay_alu instid0(VALU_DEP_1) | instskip(NEXT) | instid1(VALU_DEP_1)
	v_and_b32_e32 v28, 1, v28
	v_cmpx_eq_u32_e32 1, v28
	s_cbranch_execz .LBB29_31
; %bb.30:
	ds_load_b128 v[32:35], v23
	v_mov_b32_e32 v38, v0
	v_lshlrev_b16 v0, 8, v31
	v_dual_mov_b32 v36, v2 :: v_dual_mov_b32 v37, v3
	v_mov_b32_e32 v39, v1
	s_delay_alu instid0(VALU_DEP_3)
	v_or_b32_e32 v0, v30, v0
	s_wait_dscnt 0x0
	v_dual_mov_b32 v40, v34 :: v_dual_mov_b32 v43, v33
	v_dual_mov_b32 v41, v35 :: v_dual_mov_b32 v42, v32
	ds_store_b128 v23, v[40:43]
	ds_store_b128 v10, v[36:39]
	ds_store_b16 v9, v0
.LBB29_31:
	s_or_b32 exec_lo, exec_lo, s3
	v_and_b32_e32 v0, 15, v11
	s_wait_loadcnt_dscnt 0x0
	s_barrier_signal -1
	s_barrier_wait -1
	global_inv scope:SCOPE_SE
	v_sub_nc_u32_e32 v20, v20, v0
	s_delay_alu instid0(VALU_DEP_1)
	v_add_nc_u32_e32 v17, v17, v20
	v_lshl_add_u32 v15, v20, 3, v15
	ds_load_u8 v28, v17
	ds_load_u8 v29, v17 offset:16
	ds_load_2addr_b64 v[0:3], v15 offset1:16
	s_wait_dscnt 0x1
	v_and_b32_e32 v29, 0xff, v29
	v_and_b32_e32 v30, 1, v28
	s_wait_dscnt 0x0
	v_cmp_le_i64_e64 s3, v[0:1], v[2:3]
	s_delay_alu instid0(VALU_DEP_3) | instskip(NEXT) | instid1(VALU_DEP_3)
	v_cmp_ne_u16_e64 s4, 0, v29
	v_cmp_eq_u32_e64 s2, 1, v30
	s_xor_b32 s2, s2, -1
	s_wait_alu 0xfffe
	s_or_b32 s2, s3, s2
	s_wait_alu 0xfffe
	s_and_b32 s3, s2, s4
	s_wait_alu 0xfffe
	s_and_saveexec_b32 s2, s3
	s_cbranch_execz .LBB29_33
; %bb.32:
	v_lshl_add_u32 v14, v20, 3, v14
	v_mov_b32_e32 v20, 1
	ds_load_2addr_b64 v[29:32], v14 offset1:16
	ds_store_2addr_b64 v15, v[2:3], v[0:1] offset1:16
	s_wait_dscnt 0x1
	ds_store_2addr_b64 v14, v[31:32], v[29:30] offset1:16
	ds_store_b8 v17, v20
	ds_store_b8 v17, v28 offset:16
.LBB29_33:
	s_wait_alu 0xfffe
	s_or_b32 exec_lo, exec_lo, s2
	s_wait_loadcnt_dscnt 0x0
	s_barrier_signal -1
	s_barrier_wait -1
	global_inv scope:SCOPE_SE
	ds_load_u8 v14, v25
	ds_load_u8 v15, v25 offset:8
	ds_load_2addr_b64 v[0:3], v26 offset1:8
	s_wait_dscnt 0x2
	v_and_b32_e32 v17, 1, v14
	s_wait_dscnt 0x1
	v_and_b32_e32 v15, 0xff, v15
	s_wait_dscnt 0x0
	v_cmp_le_i64_e64 s3, v[0:1], v[2:3]
	v_cmp_eq_u32_e64 s2, 1, v17
	s_delay_alu instid0(VALU_DEP_3)
	v_cmp_ne_u16_e64 s4, 0, v15
	s_xor_b32 s2, s2, -1
	s_wait_alu 0xfffe
	s_or_b32 s2, s3, s2
	s_wait_alu 0xfffe
	s_and_b32 s3, s2, s4
	s_wait_alu 0xfffe
	s_and_saveexec_b32 s2, s3
	s_cbranch_execz .LBB29_35
; %bb.34:
	ds_load_2addr_b64 v[28:31], v27 offset1:8
	v_mov_b32_e32 v15, 1
	ds_store_2addr_b64 v26, v[2:3], v[0:1] offset1:8
	s_wait_dscnt 0x1
	ds_store_2addr_b64 v27, v[30:31], v[28:29] offset1:8
	ds_store_b8 v25, v15
	ds_store_b8 v25, v14 offset:8
.LBB29_35:
	s_wait_alu 0xfffe
	s_or_b32 exec_lo, exec_lo, s2
	s_wait_loadcnt_dscnt 0x0
	s_barrier_signal -1
	s_barrier_wait -1
	global_inv scope:SCOPE_SE
	ds_load_u8 v14, v21
	ds_load_u8 v15, v21 offset:4
	ds_load_2addr_b64 v[0:3], v22 offset1:4
	s_wait_dscnt 0x2
	v_and_b32_e32 v17, 1, v14
	s_wait_dscnt 0x1
	v_and_b32_e32 v15, 0xff, v15
	s_wait_dscnt 0x0
	v_cmp_le_i64_e64 s3, v[0:1], v[2:3]
	v_cmp_eq_u32_e64 s2, 1, v17
	s_delay_alu instid0(VALU_DEP_3)
	v_cmp_ne_u16_e64 s4, 0, v15
	s_xor_b32 s2, s2, -1
	s_wait_alu 0xfffe
	s_or_b32 s2, s3, s2
	s_wait_alu 0xfffe
	s_and_b32 s3, s2, s4
	s_wait_alu 0xfffe
	s_and_saveexec_b32 s2, s3
	s_cbranch_execz .LBB29_37
; %bb.36:
	ds_load_2addr_b64 v[25:28], v24 offset1:4
	v_mov_b32_e32 v15, 1
	ds_store_2addr_b64 v22, v[2:3], v[0:1] offset1:4
	s_wait_dscnt 0x1
	ds_store_2addr_b64 v24, v[27:28], v[25:26] offset1:4
	ds_store_b8 v21, v15
	ds_store_b8 v21, v14 offset:4
.LBB29_37:
	;; [unrolled: 35-line block ×3, first 2 shown]
	s_wait_alu 0xfffe
	s_or_b32 exec_lo, exec_lo, s2
	s_wait_loadcnt_dscnt 0x0
	s_barrier_signal -1
	s_barrier_wait -1
	global_inv scope:SCOPE_SE
	ds_load_u16 v14, v9
	ds_load_b128 v[0:3], v10
	s_wait_dscnt 0x1
	v_and_b32_e32 v15, 1, v14
	v_lshrrev_b16 v16, 8, v14
	s_wait_dscnt 0x0
	v_cmp_le_i64_e64 s3, v[0:1], v[2:3]
	s_delay_alu instid0(VALU_DEP_3) | instskip(NEXT) | instid1(VALU_DEP_3)
	v_cmp_eq_u32_e64 s2, 1, v15
	v_cmp_ne_u16_e64 s4, 0, v16
	s_xor_b32 s2, s2, -1
	s_wait_alu 0xfffe
	s_or_b32 s2, s3, s2
	s_wait_alu 0xfffe
	s_and_b32 s3, s2, s4
	s_wait_alu 0xfffe
	s_and_saveexec_b32 s2, s3
	s_cbranch_execz .LBB29_41
; %bb.40:
	ds_load_b128 v[15:18], v23
	v_mov_b32_e32 v21, v0
	v_lshlrev_b16 v0, 8, v14
	v_dual_mov_b32 v19, v2 :: v_dual_mov_b32 v20, v3
	v_mov_b32_e32 v22, v1
	s_delay_alu instid0(VALU_DEP_3)
	v_or_b32_e32 v0, 1, v0
	s_wait_dscnt 0x0
	v_dual_mov_b32 v24, v17 :: v_dual_mov_b32 v25, v18
	v_dual_mov_b32 v26, v15 :: v_dual_mov_b32 v27, v16
	ds_store_b128 v23, v[24:27]
	ds_store_b128 v10, v[19:22]
	ds_store_b16 v9, v0
.LBB29_41:
	s_wait_alu 0xfffe
	s_or_b32 exec_lo, exec_lo, s2
	s_wait_loadcnt_dscnt 0x0
	s_barrier_signal -1
	s_barrier_wait -1
	global_inv scope:SCOPE_SE
	s_and_saveexec_b32 s2, s0
	s_cbranch_execz .LBB29_46
; %bb.42:
	s_and_saveexec_b32 s0, vcc_lo
	s_cbranch_execz .LBB29_44
; %bb.43:
	v_mad_co_u64_u32 v[0:1], null, v11, s6, v[6:7]
	v_mov_b32_e32 v1, 0
	v_mad_co_u64_u32 v[2:3], null, v11, s7, v[4:5]
	ds_load_b64 v[9:10], v12
	ds_load_b64 v[11:12], v13
	v_mov_b32_e32 v3, v1
	v_lshlrev_b64_e32 v[0:1], 3, v[0:1]
	s_delay_alu instid0(VALU_DEP_2) | instskip(NEXT) | instid1(VALU_DEP_2)
	v_lshlrev_b64_e32 v[2:3], 3, v[2:3]
	v_add_co_u32 v0, vcc_lo, s10, v0
	s_wait_alu 0xfffd
	s_delay_alu instid0(VALU_DEP_3) | instskip(NEXT) | instid1(VALU_DEP_3)
	v_add_co_ci_u32_e64 v1, null, s11, v1, vcc_lo
	v_add_co_u32 v2, vcc_lo, s8, v2
	s_wait_alu 0xfffd
	v_add_co_ci_u32_e64 v3, null, s9, v3, vcc_lo
	s_wait_dscnt 0x1
	global_store_b64 v[0:1], v[9:10], off
	s_wait_dscnt 0x0
	global_store_b64 v[2:3], v[11:12], off
.LBB29_44:
	s_wait_alu 0xfffe
	s_or_b32 exec_lo, exec_lo, s0
	s_delay_alu instid0(SALU_CYCLE_1)
	s_and_b32 exec_lo, exec_lo, s1
	s_cbranch_execz .LBB29_46
; %bb.45:
	v_mad_co_u64_u32 v[0:1], null, v5, s6, v[6:7]
	v_mov_b32_e32 v1, 0
	v_mad_co_u64_u32 v[2:3], null, v5, s7, v[4:5]
	ds_load_b64 v[4:5], v7
	ds_load_b64 v[6:7], v8
	v_mov_b32_e32 v3, v1
	v_lshlrev_b64_e32 v[0:1], 3, v[0:1]
	s_delay_alu instid0(VALU_DEP_2) | instskip(NEXT) | instid1(VALU_DEP_2)
	v_lshlrev_b64_e32 v[2:3], 3, v[2:3]
	v_add_co_u32 v0, vcc_lo, s10, v0
	s_wait_alu 0xfffd
	s_delay_alu instid0(VALU_DEP_3) | instskip(NEXT) | instid1(VALU_DEP_3)
	v_add_co_ci_u32_e64 v1, null, s11, v1, vcc_lo
	v_add_co_u32 v2, vcc_lo, s8, v2
	s_wait_alu 0xfffd
	v_add_co_ci_u32_e64 v3, null, s9, v3, vcc_lo
	s_wait_dscnt 0x1
	global_store_b64 v[0:1], v[4:5], off
	s_wait_dscnt 0x0
	global_store_b64 v[2:3], v[6:7], off
.LBB29_46:
	s_endpgm
	.section	.rodata,"a",@progbits
	.p2align	6, 0x0
	.amdhsa_kernel _ZN2at6native20bitonicSortKVInPlaceILin1ELin1ELi16ELi16EllNS0_4GTOpIlLb1EEEjEEvNS_4cuda6detail10TensorInfoIT3_T6_EES8_S8_S8_NS6_IT4_S8_EES8_T5_
		.amdhsa_group_segment_fixed_size 8704
		.amdhsa_private_segment_fixed_size 0
		.amdhsa_kernarg_size 712
		.amdhsa_user_sgpr_count 2
		.amdhsa_user_sgpr_dispatch_ptr 0
		.amdhsa_user_sgpr_queue_ptr 0
		.amdhsa_user_sgpr_kernarg_segment_ptr 1
		.amdhsa_user_sgpr_dispatch_id 0
		.amdhsa_user_sgpr_private_segment_size 0
		.amdhsa_wavefront_size32 1
		.amdhsa_uses_dynamic_stack 0
		.amdhsa_enable_private_segment 0
		.amdhsa_system_sgpr_workgroup_id_x 1
		.amdhsa_system_sgpr_workgroup_id_y 1
		.amdhsa_system_sgpr_workgroup_id_z 1
		.amdhsa_system_sgpr_workgroup_info 0
		.amdhsa_system_vgpr_workitem_id 1
		.amdhsa_next_free_vgpr 44
		.amdhsa_next_free_sgpr 14
		.amdhsa_reserve_vcc 1
		.amdhsa_float_round_mode_32 0
		.amdhsa_float_round_mode_16_64 0
		.amdhsa_float_denorm_mode_32 3
		.amdhsa_float_denorm_mode_16_64 3
		.amdhsa_fp16_overflow 0
		.amdhsa_workgroup_processor_mode 1
		.amdhsa_memory_ordered 1
		.amdhsa_forward_progress 1
		.amdhsa_inst_pref_size 38
		.amdhsa_round_robin_scheduling 0
		.amdhsa_exception_fp_ieee_invalid_op 0
		.amdhsa_exception_fp_denorm_src 0
		.amdhsa_exception_fp_ieee_div_zero 0
		.amdhsa_exception_fp_ieee_overflow 0
		.amdhsa_exception_fp_ieee_underflow 0
		.amdhsa_exception_fp_ieee_inexact 0
		.amdhsa_exception_int_div_zero 0
	.end_amdhsa_kernel
	.section	.text._ZN2at6native20bitonicSortKVInPlaceILin1ELin1ELi16ELi16EllNS0_4GTOpIlLb1EEEjEEvNS_4cuda6detail10TensorInfoIT3_T6_EES8_S8_S8_NS6_IT4_S8_EES8_T5_,"axG",@progbits,_ZN2at6native20bitonicSortKVInPlaceILin1ELin1ELi16ELi16EllNS0_4GTOpIlLb1EEEjEEvNS_4cuda6detail10TensorInfoIT3_T6_EES8_S8_S8_NS6_IT4_S8_EES8_T5_,comdat
.Lfunc_end29:
	.size	_ZN2at6native20bitonicSortKVInPlaceILin1ELin1ELi16ELi16EllNS0_4GTOpIlLb1EEEjEEvNS_4cuda6detail10TensorInfoIT3_T6_EES8_S8_S8_NS6_IT4_S8_EES8_T5_, .Lfunc_end29-_ZN2at6native20bitonicSortKVInPlaceILin1ELin1ELi16ELi16EllNS0_4GTOpIlLb1EEEjEEvNS_4cuda6detail10TensorInfoIT3_T6_EES8_S8_S8_NS6_IT4_S8_EES8_T5_
                                        ; -- End function
	.set _ZN2at6native20bitonicSortKVInPlaceILin1ELin1ELi16ELi16EllNS0_4GTOpIlLb1EEEjEEvNS_4cuda6detail10TensorInfoIT3_T6_EES8_S8_S8_NS6_IT4_S8_EES8_T5_.num_vgpr, 44
	.set _ZN2at6native20bitonicSortKVInPlaceILin1ELin1ELi16ELi16EllNS0_4GTOpIlLb1EEEjEEvNS_4cuda6detail10TensorInfoIT3_T6_EES8_S8_S8_NS6_IT4_S8_EES8_T5_.num_agpr, 0
	.set _ZN2at6native20bitonicSortKVInPlaceILin1ELin1ELi16ELi16EllNS0_4GTOpIlLb1EEEjEEvNS_4cuda6detail10TensorInfoIT3_T6_EES8_S8_S8_NS6_IT4_S8_EES8_T5_.numbered_sgpr, 14
	.set _ZN2at6native20bitonicSortKVInPlaceILin1ELin1ELi16ELi16EllNS0_4GTOpIlLb1EEEjEEvNS_4cuda6detail10TensorInfoIT3_T6_EES8_S8_S8_NS6_IT4_S8_EES8_T5_.num_named_barrier, 0
	.set _ZN2at6native20bitonicSortKVInPlaceILin1ELin1ELi16ELi16EllNS0_4GTOpIlLb1EEEjEEvNS_4cuda6detail10TensorInfoIT3_T6_EES8_S8_S8_NS6_IT4_S8_EES8_T5_.private_seg_size, 0
	.set _ZN2at6native20bitonicSortKVInPlaceILin1ELin1ELi16ELi16EllNS0_4GTOpIlLb1EEEjEEvNS_4cuda6detail10TensorInfoIT3_T6_EES8_S8_S8_NS6_IT4_S8_EES8_T5_.uses_vcc, 1
	.set _ZN2at6native20bitonicSortKVInPlaceILin1ELin1ELi16ELi16EllNS0_4GTOpIlLb1EEEjEEvNS_4cuda6detail10TensorInfoIT3_T6_EES8_S8_S8_NS6_IT4_S8_EES8_T5_.uses_flat_scratch, 0
	.set _ZN2at6native20bitonicSortKVInPlaceILin1ELin1ELi16ELi16EllNS0_4GTOpIlLb1EEEjEEvNS_4cuda6detail10TensorInfoIT3_T6_EES8_S8_S8_NS6_IT4_S8_EES8_T5_.has_dyn_sized_stack, 0
	.set _ZN2at6native20bitonicSortKVInPlaceILin1ELin1ELi16ELi16EllNS0_4GTOpIlLb1EEEjEEvNS_4cuda6detail10TensorInfoIT3_T6_EES8_S8_S8_NS6_IT4_S8_EES8_T5_.has_recursion, 0
	.set _ZN2at6native20bitonicSortKVInPlaceILin1ELin1ELi16ELi16EllNS0_4GTOpIlLb1EEEjEEvNS_4cuda6detail10TensorInfoIT3_T6_EES8_S8_S8_NS6_IT4_S8_EES8_T5_.has_indirect_call, 0
	.section	.AMDGPU.csdata,"",@progbits
; Kernel info:
; codeLenInByte = 4848
; TotalNumSgprs: 16
; NumVgprs: 44
; ScratchSize: 0
; MemoryBound: 0
; FloatMode: 240
; IeeeMode: 1
; LDSByteSize: 8704 bytes/workgroup (compile time only)
; SGPRBlocks: 0
; VGPRBlocks: 5
; NumSGPRsForWavesPerEU: 16
; NumVGPRsForWavesPerEU: 44
; Occupancy: 16
; WaveLimiterHint : 1
; COMPUTE_PGM_RSRC2:SCRATCH_EN: 0
; COMPUTE_PGM_RSRC2:USER_SGPR: 2
; COMPUTE_PGM_RSRC2:TRAP_HANDLER: 0
; COMPUTE_PGM_RSRC2:TGID_X_EN: 1
; COMPUTE_PGM_RSRC2:TGID_Y_EN: 1
; COMPUTE_PGM_RSRC2:TGID_Z_EN: 1
; COMPUTE_PGM_RSRC2:TIDIG_COMP_CNT: 1
	.section	.text._ZN2at6native20bitonicSortKVInPlaceILin1ELin1ELi16ELi16EllNS0_4LTOpIlLb1EEEmEEvNS_4cuda6detail10TensorInfoIT3_T6_EES8_S8_S8_NS6_IT4_S8_EES8_T5_,"axG",@progbits,_ZN2at6native20bitonicSortKVInPlaceILin1ELin1ELi16ELi16EllNS0_4LTOpIlLb1EEEmEEvNS_4cuda6detail10TensorInfoIT3_T6_EES8_S8_S8_NS6_IT4_S8_EES8_T5_,comdat
	.protected	_ZN2at6native20bitonicSortKVInPlaceILin1ELin1ELi16ELi16EllNS0_4LTOpIlLb1EEEmEEvNS_4cuda6detail10TensorInfoIT3_T6_EES8_S8_S8_NS6_IT4_S8_EES8_T5_ ; -- Begin function _ZN2at6native20bitonicSortKVInPlaceILin1ELin1ELi16ELi16EllNS0_4LTOpIlLb1EEEmEEvNS_4cuda6detail10TensorInfoIT3_T6_EES8_S8_S8_NS6_IT4_S8_EES8_T5_
	.globl	_ZN2at6native20bitonicSortKVInPlaceILin1ELin1ELi16ELi16EllNS0_4LTOpIlLb1EEEmEEvNS_4cuda6detail10TensorInfoIT3_T6_EES8_S8_S8_NS6_IT4_S8_EES8_T5_
	.p2align	8
	.type	_ZN2at6native20bitonicSortKVInPlaceILin1ELin1ELi16ELi16EllNS0_4LTOpIlLb1EEEmEEvNS_4cuda6detail10TensorInfoIT3_T6_EES8_S8_S8_NS6_IT4_S8_EES8_T5_,@function
_ZN2at6native20bitonicSortKVInPlaceILin1ELin1ELi16ELi16EllNS0_4LTOpIlLb1EEEmEEvNS_4cuda6detail10TensorInfoIT3_T6_EES8_S8_S8_NS6_IT4_S8_EES8_T5_: ; @_ZN2at6native20bitonicSortKVInPlaceILin1ELin1ELi16ELi16EllNS0_4LTOpIlLb1EEEmEEvNS_4cuda6detail10TensorInfoIT3_T6_EES8_S8_S8_NS6_IT4_S8_EES8_T5_
; %bb.0:
	v_mov_b32_e32 v1, 0
	s_lshr_b32 s8, ttmp7, 16
	s_and_b32 s9, ttmp7, 0xffff
	global_load_u16 v1, v1, s[0:1] offset:886
	s_clause 0x1
	s_load_b64 s[2:3], s[0:1], 0x368
	s_load_b128 s[4:7], s[0:1], 0x1a0
	s_wait_kmcnt 0x0
	s_mul_i32 s3, s3, s8
	s_delay_alu instid0(SALU_CYCLE_1) | instskip(NEXT) | instid1(SALU_CYCLE_1)
	s_add_co_i32 s3, s3, s9
	s_mul_i32 s2, s3, s2
	s_delay_alu instid0(SALU_CYCLE_1) | instskip(SKIP_2) | instid1(VALU_DEP_1)
	s_add_co_i32 s2, s2, ttmp9
	s_wait_loadcnt 0x0
	v_and_b32_e32 v1, 0xffff, v1
	v_mul_hi_u32 v2, v1, s2
	v_mul_lo_u32 v1, v1, s2
	s_delay_alu instid0(VALU_DEP_1)
	v_cmp_le_u64_e32 vcc_lo, s[4:5], v[1:2]
	s_cbranch_vccnz .LBB30_56
; %bb.1:
	s_clause 0x1
	s_load_b32 s10, s[0:1], 0x198
	s_load_b64 s[8:9], s[0:1], 0x1b0
	v_bfe_u32 v15, v0, 10, 10
	s_delay_alu instid0(VALU_DEP_1) | instskip(NEXT) | instid1(VALU_DEP_1)
	v_add_co_u32 v3, vcc_lo, v1, v15
	v_add_co_ci_u32_e64 v4, null, 0, v2, vcc_lo
	v_mov_b32_e32 v1, 0
	v_mov_b32_e32 v2, 0
	s_delay_alu instid0(VALU_DEP_3)
	v_dual_mov_b32 v6, v4 :: v_dual_mov_b32 v5, v3
	s_wait_kmcnt 0x0
	s_cmp_lt_i32 s10, 2
	s_cbranch_scc1 .LBB30_9
; %bb.2:
	s_add_co_i32 s2, s10, -1
	s_mov_b32 s3, 0
	v_dual_mov_b32 v1, 0 :: v_dual_mov_b32 v10, v4
	s_wait_alu 0xfffe
	s_lshl_b64 s[12:13], s[2:3], 3
	v_dual_mov_b32 v2, 0 :: v_dual_mov_b32 v7, 0
	v_mov_b32_e32 v9, v3
	s_add_nc_u64 s[12:13], s[0:1], s[12:13]
	s_add_co_i32 s14, s10, 1
	s_add_nc_u64 s[10:11], s[12:13], 8
.LBB30_3:                               ; =>This Inner Loop Header: Depth=1
	s_load_b64 s[12:13], s[10:11], 0x0
                                        ; implicit-def: $vgpr5_vgpr6
	s_mov_b32 s2, exec_lo
	s_wait_kmcnt 0x0
	v_or_b32_e32 v8, s13, v10
	s_delay_alu instid0(VALU_DEP_1)
	v_cmpx_ne_u64_e32 0, v[7:8]
	s_wait_alu 0xfffe
	s_xor_b32 s15, exec_lo, s2
	s_cbranch_execz .LBB30_5
; %bb.4:                                ;   in Loop: Header=BB30_3 Depth=1
	s_cvt_f32_u32 s2, s12
	s_cvt_f32_u32 s16, s13
	s_sub_nc_u64 s[18:19], 0, s[12:13]
	s_wait_alu 0xfffe
	s_delay_alu instid0(SALU_CYCLE_1) | instskip(SKIP_1) | instid1(SALU_CYCLE_2)
	s_fmamk_f32 s2, s16, 0x4f800000, s2
	s_wait_alu 0xfffe
	v_s_rcp_f32 s2, s2
	s_delay_alu instid0(TRANS32_DEP_1) | instskip(SKIP_1) | instid1(SALU_CYCLE_2)
	s_mul_f32 s2, s2, 0x5f7ffffc
	s_wait_alu 0xfffe
	s_mul_f32 s16, s2, 0x2f800000
	s_wait_alu 0xfffe
	s_delay_alu instid0(SALU_CYCLE_2) | instskip(SKIP_1) | instid1(SALU_CYCLE_2)
	s_trunc_f32 s16, s16
	s_wait_alu 0xfffe
	s_fmamk_f32 s2, s16, 0xcf800000, s2
	s_cvt_u32_f32 s17, s16
	s_wait_alu 0xfffe
	s_delay_alu instid0(SALU_CYCLE_1) | instskip(SKIP_1) | instid1(SALU_CYCLE_2)
	s_cvt_u32_f32 s16, s2
	s_wait_alu 0xfffe
	s_mul_u64 s[20:21], s[18:19], s[16:17]
	s_delay_alu instid0(SALU_CYCLE_1)
	s_mul_hi_u32 s23, s16, s21
	s_mul_i32 s22, s16, s21
	s_mul_hi_u32 s2, s16, s20
	s_mul_i32 s25, s17, s20
	s_wait_alu 0xfffe
	s_add_nc_u64 s[22:23], s[2:3], s[22:23]
	s_mul_hi_u32 s24, s17, s20
	s_mul_hi_u32 s26, s17, s21
	s_add_co_u32 s2, s22, s25
	s_add_co_ci_u32 s2, s23, s24
	s_mul_i32 s20, s17, s21
	s_add_co_ci_u32 s21, s26, 0
	s_wait_alu 0xfffe
	s_add_nc_u64 s[20:21], s[2:3], s[20:21]
	s_delay_alu instid0(SALU_CYCLE_1)
	s_add_co_u32 s16, s16, s20
	s_cselect_b32 s2, -1, 0
	s_wait_alu 0xfffe
	s_cmp_lg_u32 s2, 0
	s_add_co_ci_u32 s17, s17, s21
	s_wait_alu 0xfffe
	s_mul_u64 s[18:19], s[18:19], s[16:17]
	s_delay_alu instid0(SALU_CYCLE_1)
	s_mul_hi_u32 s21, s16, s19
	s_mul_i32 s20, s16, s19
	s_mul_hi_u32 s2, s16, s18
	s_mul_i32 s23, s17, s18
	s_wait_alu 0xfffe
	s_add_nc_u64 s[20:21], s[2:3], s[20:21]
	s_mul_hi_u32 s22, s17, s18
	s_mul_hi_u32 s24, s17, s19
	s_add_co_u32 s2, s20, s23
	s_add_co_ci_u32 s2, s21, s22
	s_mul_i32 s18, s17, s19
	s_add_co_ci_u32 s19, s24, 0
	s_wait_alu 0xfffe
	s_add_nc_u64 s[18:19], s[2:3], s[18:19]
	s_delay_alu instid0(SALU_CYCLE_1)
	s_add_co_u32 s2, s16, s18
	s_cselect_b32 s16, -1, 0
	s_wait_alu 0xfffe
	v_mul_hi_u32 v8, v9, s2
	s_cmp_lg_u32 s16, 0
	v_mad_co_u64_u32 v[11:12], null, v10, s2, 0
	s_add_co_ci_u32 s16, s17, s19
	s_wait_alu 0xfffe
	v_mad_co_u64_u32 v[5:6], null, v9, s16, 0
	v_mad_co_u64_u32 v[13:14], null, v10, s16, 0
	s_delay_alu instid0(VALU_DEP_2) | instskip(SKIP_1) | instid1(VALU_DEP_3)
	v_add_co_u32 v5, vcc_lo, v8, v5
	s_wait_alu 0xfffd
	v_add_co_ci_u32_e64 v6, null, 0, v6, vcc_lo
	s_delay_alu instid0(VALU_DEP_2) | instskip(SKIP_1) | instid1(VALU_DEP_2)
	v_add_co_u32 v5, vcc_lo, v5, v11
	s_wait_alu 0xfffd
	v_add_co_ci_u32_e32 v5, vcc_lo, v6, v12, vcc_lo
	s_wait_alu 0xfffd
	v_add_co_ci_u32_e32 v6, vcc_lo, 0, v14, vcc_lo
	s_delay_alu instid0(VALU_DEP_2) | instskip(SKIP_1) | instid1(VALU_DEP_2)
	v_add_co_u32 v8, vcc_lo, v5, v13
	s_wait_alu 0xfffd
	v_add_co_ci_u32_e64 v11, null, 0, v6, vcc_lo
	s_delay_alu instid0(VALU_DEP_2) | instskip(SKIP_1) | instid1(VALU_DEP_3)
	v_mul_lo_u32 v12, s13, v8
	v_mad_co_u64_u32 v[5:6], null, s12, v8, 0
	v_mul_lo_u32 v13, s12, v11
	s_delay_alu instid0(VALU_DEP_2) | instskip(NEXT) | instid1(VALU_DEP_2)
	v_sub_co_u32 v5, vcc_lo, v9, v5
	v_add3_u32 v6, v6, v13, v12
	v_add_co_u32 v13, s2, v8, 2
	s_wait_alu 0xf1ff
	v_add_co_ci_u32_e64 v14, null, 0, v11, s2
	s_delay_alu instid0(VALU_DEP_3) | instskip(SKIP_3) | instid1(VALU_DEP_3)
	v_sub_nc_u32_e32 v12, v10, v6
	v_sub_co_u32 v16, s2, v5, s12
	s_wait_alu 0xfffd
	v_sub_co_ci_u32_e64 v6, null, v10, v6, vcc_lo
	v_subrev_co_ci_u32_e64 v12, null, s13, v12, vcc_lo
	s_delay_alu instid0(VALU_DEP_3) | instskip(SKIP_1) | instid1(VALU_DEP_2)
	v_cmp_le_u32_e32 vcc_lo, s12, v16
	s_wait_alu 0xf1ff
	v_subrev_co_ci_u32_e64 v12, null, 0, v12, s2
	s_wait_alu 0xfffd
	v_cndmask_b32_e64 v16, 0, -1, vcc_lo
	v_cmp_eq_u32_e64 s2, s13, v6
	s_delay_alu instid0(VALU_DEP_3)
	v_cmp_le_u32_e32 vcc_lo, s13, v12
	s_wait_alu 0xfffd
	v_cndmask_b32_e64 v17, 0, -1, vcc_lo
	v_cmp_le_u32_e32 vcc_lo, s12, v5
	s_wait_alu 0xfffd
	v_cndmask_b32_e64 v5, 0, -1, vcc_lo
	v_cmp_le_u32_e32 vcc_lo, s13, v6
	s_wait_alu 0xfffd
	v_cndmask_b32_e64 v18, 0, -1, vcc_lo
	v_cmp_eq_u32_e32 vcc_lo, s13, v12
	s_wait_alu 0xf1ff
	s_delay_alu instid0(VALU_DEP_2)
	v_cndmask_b32_e64 v5, v18, v5, s2
	s_wait_alu 0xfffd
	v_cndmask_b32_e32 v12, v17, v16, vcc_lo
	v_add_co_u32 v16, vcc_lo, v8, 1
	s_wait_alu 0xfffd
	v_add_co_ci_u32_e64 v17, null, 0, v11, vcc_lo
	s_delay_alu instid0(VALU_DEP_3) | instskip(SKIP_2) | instid1(VALU_DEP_3)
	v_cmp_ne_u32_e32 vcc_lo, 0, v12
	s_wait_alu 0xfffd
	v_cndmask_b32_e32 v12, v16, v13, vcc_lo
	v_cndmask_b32_e32 v6, v17, v14, vcc_lo
	v_cmp_ne_u32_e32 vcc_lo, 0, v5
	s_wait_alu 0xfffd
	s_delay_alu instid0(VALU_DEP_2)
	v_dual_cndmask_b32 v5, v8, v12 :: v_dual_cndmask_b32 v6, v11, v6
.LBB30_5:                               ;   in Loop: Header=BB30_3 Depth=1
	s_wait_alu 0xfffe
	s_and_not1_saveexec_b32 s2, s15
	s_cbranch_execz .LBB30_7
; %bb.6:                                ;   in Loop: Header=BB30_3 Depth=1
	v_cvt_f32_u32_e32 v5, s12
	s_sub_co_i32 s15, 0, s12
	s_delay_alu instid0(VALU_DEP_1) | instskip(NEXT) | instid1(TRANS32_DEP_1)
	v_rcp_iflag_f32_e32 v5, v5
	v_mul_f32_e32 v5, 0x4f7ffffe, v5
	s_delay_alu instid0(VALU_DEP_1) | instskip(SKIP_1) | instid1(VALU_DEP_1)
	v_cvt_u32_f32_e32 v5, v5
	s_wait_alu 0xfffe
	v_mul_lo_u32 v6, s15, v5
	s_delay_alu instid0(VALU_DEP_1) | instskip(NEXT) | instid1(VALU_DEP_1)
	v_mul_hi_u32 v6, v5, v6
	v_add_nc_u32_e32 v5, v5, v6
	s_delay_alu instid0(VALU_DEP_1) | instskip(NEXT) | instid1(VALU_DEP_1)
	v_mul_hi_u32 v5, v9, v5
	v_mul_lo_u32 v6, v5, s12
	v_add_nc_u32_e32 v8, 1, v5
	s_delay_alu instid0(VALU_DEP_2) | instskip(NEXT) | instid1(VALU_DEP_1)
	v_sub_nc_u32_e32 v6, v9, v6
	v_subrev_nc_u32_e32 v11, s12, v6
	v_cmp_le_u32_e32 vcc_lo, s12, v6
	s_wait_alu 0xfffd
	s_delay_alu instid0(VALU_DEP_2) | instskip(NEXT) | instid1(VALU_DEP_1)
	v_dual_cndmask_b32 v6, v6, v11 :: v_dual_cndmask_b32 v5, v5, v8
	v_cmp_le_u32_e32 vcc_lo, s12, v6
	s_delay_alu instid0(VALU_DEP_2) | instskip(SKIP_1) | instid1(VALU_DEP_1)
	v_add_nc_u32_e32 v8, 1, v5
	s_wait_alu 0xfffd
	v_dual_mov_b32 v6, v7 :: v_dual_cndmask_b32 v5, v5, v8
.LBB30_7:                               ;   in Loop: Header=BB30_3 Depth=1
	s_wait_alu 0xfffe
	s_or_b32 exec_lo, exec_lo, s2
	s_load_b64 s[16:17], s[10:11], 0xc8
	s_delay_alu instid0(VALU_DEP_1)
	v_mul_lo_u32 v8, v6, s12
	v_mul_lo_u32 v13, v5, s13
	v_mad_co_u64_u32 v[11:12], null, v5, s12, 0
	s_add_co_i32 s14, s14, -1
	s_add_nc_u64 s[10:11], s[10:11], -8
	s_wait_alu 0xfffe
	s_cmp_gt_u32 s14, 2
	v_add3_u32 v8, v12, v13, v8
	v_sub_co_u32 v9, vcc_lo, v9, v11
	s_wait_alu 0xfffd
	s_delay_alu instid0(VALU_DEP_2) | instskip(SKIP_1) | instid1(VALU_DEP_2)
	v_sub_co_ci_u32_e64 v8, null, v10, v8, vcc_lo
	s_wait_kmcnt 0x0
	v_mul_lo_u32 v10, s17, v9
	s_delay_alu instid0(VALU_DEP_2) | instskip(SKIP_1) | instid1(VALU_DEP_1)
	v_mul_lo_u32 v8, s16, v8
	v_mad_co_u64_u32 v[1:2], null, s16, v9, v[1:2]
	v_add3_u32 v2, v10, v2, v8
	s_cbranch_scc0 .LBB30_9
; %bb.8:                                ;   in Loop: Header=BB30_3 Depth=1
	v_dual_mov_b32 v10, v6 :: v_dual_mov_b32 v9, v5
	s_branch .LBB30_3
.LBB30_9:
	s_clause 0x1
	s_load_b32 s14, s[0:1], 0x350
	s_load_b64 s[12:13], s[0:1], 0xd0
	v_dual_mov_b32 v7, 0 :: v_dual_mov_b32 v14, v4
	v_dual_mov_b32 v8, 0 :: v_dual_mov_b32 v13, v3
	s_add_nc_u64 s[10:11], s[0:1], 0x368
	s_wait_kmcnt 0x0
	s_cmp_lt_i32 s14, 2
	s_cbranch_scc1 .LBB30_17
; %bb.10:
	s_add_co_i32 s2, s14, -1
	s_mov_b32 s3, 0
	v_dual_mov_b32 v7, 0 :: v_dual_mov_b32 v12, v4
	s_wait_alu 0xfffe
	s_lshl_b64 s[16:17], s[2:3], 3
	v_dual_mov_b32 v8, 0 :: v_dual_mov_b32 v9, 0
	v_mov_b32_e32 v11, v3
	s_wait_alu 0xfffe
	s_add_nc_u64 s[16:17], s[0:1], s[16:17]
	s_add_co_i32 s18, s14, 1
	s_wait_alu 0xfffe
	s_add_nc_u64 s[14:15], s[16:17], 0x1c0
.LBB30_11:                              ; =>This Inner Loop Header: Depth=1
	s_load_b64 s[16:17], s[14:15], 0x0
                                        ; implicit-def: $vgpr13_vgpr14
	s_mov_b32 s2, exec_lo
	s_wait_kmcnt 0x0
	v_or_b32_e32 v10, s17, v12
	s_delay_alu instid0(VALU_DEP_1)
	v_cmpx_ne_u64_e32 0, v[9:10]
	s_wait_alu 0xfffe
	s_xor_b32 s19, exec_lo, s2
	s_cbranch_execz .LBB30_13
; %bb.12:                               ;   in Loop: Header=BB30_11 Depth=1
	s_cvt_f32_u32 s2, s16
	s_cvt_f32_u32 s20, s17
	s_sub_nc_u64 s[22:23], 0, s[16:17]
	s_wait_alu 0xfffe
	s_delay_alu instid0(SALU_CYCLE_1) | instskip(SKIP_1) | instid1(SALU_CYCLE_2)
	s_fmamk_f32 s2, s20, 0x4f800000, s2
	s_wait_alu 0xfffe
	v_s_rcp_f32 s2, s2
	s_delay_alu instid0(TRANS32_DEP_1) | instskip(SKIP_1) | instid1(SALU_CYCLE_2)
	s_mul_f32 s2, s2, 0x5f7ffffc
	s_wait_alu 0xfffe
	s_mul_f32 s20, s2, 0x2f800000
	s_wait_alu 0xfffe
	s_delay_alu instid0(SALU_CYCLE_2) | instskip(SKIP_1) | instid1(SALU_CYCLE_2)
	s_trunc_f32 s20, s20
	s_wait_alu 0xfffe
	s_fmamk_f32 s2, s20, 0xcf800000, s2
	s_cvt_u32_f32 s21, s20
	s_wait_alu 0xfffe
	s_delay_alu instid0(SALU_CYCLE_1) | instskip(SKIP_1) | instid1(SALU_CYCLE_2)
	s_cvt_u32_f32 s20, s2
	s_wait_alu 0xfffe
	s_mul_u64 s[24:25], s[22:23], s[20:21]
	s_delay_alu instid0(SALU_CYCLE_1)
	s_mul_hi_u32 s27, s20, s25
	s_mul_i32 s26, s20, s25
	s_mul_hi_u32 s2, s20, s24
	s_mul_i32 s29, s21, s24
	s_wait_alu 0xfffe
	s_add_nc_u64 s[26:27], s[2:3], s[26:27]
	s_mul_hi_u32 s28, s21, s24
	s_mul_hi_u32 s30, s21, s25
	s_add_co_u32 s2, s26, s29
	s_add_co_ci_u32 s2, s27, s28
	s_mul_i32 s24, s21, s25
	s_add_co_ci_u32 s25, s30, 0
	s_wait_alu 0xfffe
	s_add_nc_u64 s[24:25], s[2:3], s[24:25]
	s_delay_alu instid0(SALU_CYCLE_1)
	s_add_co_u32 s20, s20, s24
	s_cselect_b32 s2, -1, 0
	s_wait_alu 0xfffe
	s_cmp_lg_u32 s2, 0
	s_add_co_ci_u32 s21, s21, s25
	s_wait_alu 0xfffe
	s_mul_u64 s[22:23], s[22:23], s[20:21]
	s_delay_alu instid0(SALU_CYCLE_1)
	s_mul_hi_u32 s25, s20, s23
	s_mul_i32 s24, s20, s23
	s_mul_hi_u32 s2, s20, s22
	s_mul_i32 s27, s21, s22
	s_wait_alu 0xfffe
	s_add_nc_u64 s[24:25], s[2:3], s[24:25]
	s_mul_hi_u32 s26, s21, s22
	s_mul_hi_u32 s28, s21, s23
	s_add_co_u32 s2, s24, s27
	s_add_co_ci_u32 s2, s25, s26
	s_mul_i32 s22, s21, s23
	s_add_co_ci_u32 s23, s28, 0
	s_wait_alu 0xfffe
	s_add_nc_u64 s[22:23], s[2:3], s[22:23]
	s_delay_alu instid0(SALU_CYCLE_1)
	s_add_co_u32 s2, s20, s22
	s_cselect_b32 s20, -1, 0
	s_wait_alu 0xfffe
	v_mul_hi_u32 v10, v11, s2
	s_cmp_lg_u32 s20, 0
	v_mad_co_u64_u32 v[16:17], null, v12, s2, 0
	s_add_co_ci_u32 s20, s21, s23
	s_wait_alu 0xfffe
	v_mad_co_u64_u32 v[13:14], null, v11, s20, 0
	v_mad_co_u64_u32 v[18:19], null, v12, s20, 0
	s_delay_alu instid0(VALU_DEP_2) | instskip(SKIP_1) | instid1(VALU_DEP_3)
	v_add_co_u32 v10, vcc_lo, v10, v13
	s_wait_alu 0xfffd
	v_add_co_ci_u32_e64 v13, null, 0, v14, vcc_lo
	s_delay_alu instid0(VALU_DEP_2) | instskip(SKIP_1) | instid1(VALU_DEP_2)
	v_add_co_u32 v10, vcc_lo, v10, v16
	s_wait_alu 0xfffd
	v_add_co_ci_u32_e32 v10, vcc_lo, v13, v17, vcc_lo
	s_wait_alu 0xfffd
	v_add_co_ci_u32_e32 v13, vcc_lo, 0, v19, vcc_lo
	s_delay_alu instid0(VALU_DEP_2) | instskip(SKIP_1) | instid1(VALU_DEP_2)
	v_add_co_u32 v10, vcc_lo, v10, v18
	s_wait_alu 0xfffd
	v_add_co_ci_u32_e64 v16, null, 0, v13, vcc_lo
	s_delay_alu instid0(VALU_DEP_2) | instskip(SKIP_1) | instid1(VALU_DEP_3)
	v_mul_lo_u32 v17, s17, v10
	v_mad_co_u64_u32 v[13:14], null, s16, v10, 0
	v_mul_lo_u32 v18, s16, v16
	s_delay_alu instid0(VALU_DEP_2) | instskip(NEXT) | instid1(VALU_DEP_2)
	v_sub_co_u32 v13, vcc_lo, v11, v13
	v_add3_u32 v14, v14, v18, v17
	v_add_co_u32 v18, s2, v10, 2
	s_wait_alu 0xf1ff
	v_add_co_ci_u32_e64 v19, null, 0, v16, s2
	s_delay_alu instid0(VALU_DEP_3) | instskip(SKIP_3) | instid1(VALU_DEP_3)
	v_sub_nc_u32_e32 v17, v12, v14
	v_sub_co_u32 v20, s2, v13, s16
	s_wait_alu 0xfffd
	v_sub_co_ci_u32_e64 v14, null, v12, v14, vcc_lo
	v_subrev_co_ci_u32_e64 v17, null, s17, v17, vcc_lo
	s_delay_alu instid0(VALU_DEP_3) | instskip(SKIP_1) | instid1(VALU_DEP_2)
	v_cmp_le_u32_e32 vcc_lo, s16, v20
	s_wait_alu 0xf1ff
	v_subrev_co_ci_u32_e64 v17, null, 0, v17, s2
	s_wait_alu 0xfffd
	v_cndmask_b32_e64 v20, 0, -1, vcc_lo
	v_cmp_eq_u32_e64 s2, s17, v14
	s_delay_alu instid0(VALU_DEP_3)
	v_cmp_le_u32_e32 vcc_lo, s17, v17
	s_wait_alu 0xfffd
	v_cndmask_b32_e64 v21, 0, -1, vcc_lo
	v_cmp_le_u32_e32 vcc_lo, s16, v13
	s_wait_alu 0xfffd
	v_cndmask_b32_e64 v13, 0, -1, vcc_lo
	;; [unrolled: 3-line block ×3, first 2 shown]
	v_cmp_eq_u32_e32 vcc_lo, s17, v17
	s_wait_alu 0xf1ff
	s_delay_alu instid0(VALU_DEP_2)
	v_cndmask_b32_e64 v13, v22, v13, s2
	s_wait_alu 0xfffd
	v_cndmask_b32_e32 v17, v21, v20, vcc_lo
	v_add_co_u32 v20, vcc_lo, v10, 1
	s_wait_alu 0xfffd
	v_add_co_ci_u32_e64 v21, null, 0, v16, vcc_lo
	s_delay_alu instid0(VALU_DEP_3) | instskip(SKIP_1) | instid1(VALU_DEP_2)
	v_cmp_ne_u32_e32 vcc_lo, 0, v17
	s_wait_alu 0xfffd
	v_dual_cndmask_b32 v14, v21, v19 :: v_dual_cndmask_b32 v17, v20, v18
	v_cmp_ne_u32_e32 vcc_lo, 0, v13
	s_wait_alu 0xfffd
	s_delay_alu instid0(VALU_DEP_2)
	v_dual_cndmask_b32 v14, v16, v14 :: v_dual_cndmask_b32 v13, v10, v17
.LBB30_13:                              ;   in Loop: Header=BB30_11 Depth=1
	s_wait_alu 0xfffe
	s_and_not1_saveexec_b32 s2, s19
	s_cbranch_execz .LBB30_15
; %bb.14:                               ;   in Loop: Header=BB30_11 Depth=1
	v_cvt_f32_u32_e32 v10, s16
	s_sub_co_i32 s19, 0, s16
	s_delay_alu instid0(VALU_DEP_1) | instskip(NEXT) | instid1(TRANS32_DEP_1)
	v_rcp_iflag_f32_e32 v10, v10
	v_mul_f32_e32 v10, 0x4f7ffffe, v10
	s_delay_alu instid0(VALU_DEP_1) | instskip(SKIP_1) | instid1(VALU_DEP_1)
	v_cvt_u32_f32_e32 v10, v10
	s_wait_alu 0xfffe
	v_mul_lo_u32 v13, s19, v10
	s_delay_alu instid0(VALU_DEP_1) | instskip(NEXT) | instid1(VALU_DEP_1)
	v_mul_hi_u32 v13, v10, v13
	v_add_nc_u32_e32 v10, v10, v13
	s_delay_alu instid0(VALU_DEP_1) | instskip(NEXT) | instid1(VALU_DEP_1)
	v_mul_hi_u32 v10, v11, v10
	v_mul_lo_u32 v13, v10, s16
	v_add_nc_u32_e32 v14, 1, v10
	s_delay_alu instid0(VALU_DEP_2) | instskip(NEXT) | instid1(VALU_DEP_1)
	v_sub_nc_u32_e32 v13, v11, v13
	v_subrev_nc_u32_e32 v16, s16, v13
	v_cmp_le_u32_e32 vcc_lo, s16, v13
	s_wait_alu 0xfffd
	s_delay_alu instid0(VALU_DEP_2) | instskip(NEXT) | instid1(VALU_DEP_1)
	v_dual_cndmask_b32 v13, v13, v16 :: v_dual_cndmask_b32 v10, v10, v14
	v_cmp_le_u32_e32 vcc_lo, s16, v13
	s_delay_alu instid0(VALU_DEP_2) | instskip(SKIP_1) | instid1(VALU_DEP_1)
	v_add_nc_u32_e32 v14, 1, v10
	s_wait_alu 0xfffd
	v_dual_cndmask_b32 v13, v10, v14 :: v_dual_mov_b32 v14, v9
.LBB30_15:                              ;   in Loop: Header=BB30_11 Depth=1
	s_wait_alu 0xfffe
	s_or_b32 exec_lo, exec_lo, s2
	s_load_b64 s[20:21], s[14:15], 0xc8
	s_delay_alu instid0(VALU_DEP_1)
	v_mul_lo_u32 v10, v14, s16
	v_mul_lo_u32 v18, v13, s17
	v_mad_co_u64_u32 v[16:17], null, v13, s16, 0
	s_add_co_i32 s18, s18, -1
	s_add_nc_u64 s[14:15], s[14:15], -8
	s_wait_alu 0xfffe
	s_cmp_gt_u32 s18, 2
	v_add3_u32 v10, v17, v18, v10
	v_sub_co_u32 v11, vcc_lo, v11, v16
	s_wait_alu 0xfffd
	s_delay_alu instid0(VALU_DEP_2) | instskip(SKIP_1) | instid1(VALU_DEP_2)
	v_sub_co_ci_u32_e64 v10, null, v12, v10, vcc_lo
	s_wait_kmcnt 0x0
	v_mul_lo_u32 v12, s21, v11
	s_delay_alu instid0(VALU_DEP_2) | instskip(SKIP_1) | instid1(VALU_DEP_1)
	v_mul_lo_u32 v10, s20, v10
	v_mad_co_u64_u32 v[7:8], null, s20, v11, v[7:8]
	v_add3_u32 v8, v12, v8, v10
	s_cbranch_scc0 .LBB30_17
; %bb.16:                               ;   in Loop: Header=BB30_11 Depth=1
	v_dual_mov_b32 v11, v13 :: v_dual_mov_b32 v12, v14
	s_branch .LBB30_11
.LBB30_17:
	s_load_b64 s[14:15], s[0:1], 0x288
	v_mul_lo_u32 v18, s13, v5
	v_mul_lo_u32 v6, s12, v6
	v_mad_co_u64_u32 v[9:10], null, s12, v5, 0
	v_cmp_gt_u64_e32 vcc_lo, s[4:5], v[3:4]
	s_load_b32 s2, s[10:11], 0xc
	s_clause 0x2
	s_load_b64 s[10:11], s[0:1], 0x358
	s_load_b64 s[4:5], s[0:1], 0x0
	;; [unrolled: 1-line block ×3, first 2 shown]
	v_mov_b32_e32 v5, 0
	v_lshlrev_b64_e32 v[16:17], 3, v[7:8]
	v_add3_u32 v10, v10, v6, v18
	s_delay_alu instid0(VALU_DEP_3) | instskip(NEXT) | instid1(VALU_DEP_2)
	v_dual_mov_b32 v7, v5 :: v_dual_and_b32 v6, 0x3ff, v0
	v_lshlrev_b64_e32 v[18:19], 3, v[9:10]
	v_mov_b32_e32 v8, 0
	s_delay_alu instid0(VALU_DEP_3)
	v_cmp_gt_u64_e64 s0, s[6:7], v[6:7]
	v_mov_b32_e32 v9, 0
	s_wait_kmcnt 0x0
	v_mul_lo_u32 v3, s15, v13
	v_mul_lo_u32 v4, s14, v14
	v_mad_co_u64_u32 v[11:12], null, s14, v13, 0
	v_lshlrev_b64_e32 v[13:14], 3, v[1:2]
	v_mov_b32_e32 v0, 0
	v_mov_b32_e32 v1, 0
	s_delay_alu instid0(VALU_DEP_4) | instskip(SKIP_3) | instid1(VALU_DEP_4)
	v_add3_u32 v12, v12, v4, v3
	v_add_co_u32 v4, s1, s4, v18
	v_mov_b32_e32 v2, 0
	v_mov_b32_e32 v3, 0
	v_lshlrev_b64_e32 v[10:11], 3, v[11:12]
	v_add_co_ci_u32_e64 v12, null, s5, v19, s1
	s_and_b32 s4, vcc_lo, s0
	v_add_co_u32 v10, s1, s12, v10
	s_wait_alu 0xf1ff
	v_add_co_ci_u32_e64 v11, null, s13, v11, s1
	v_add_co_u32 v7, s1, v4, v13
	s_wait_alu 0xf1ff
	v_add_co_ci_u32_e64 v12, null, v12, v14, s1
	;; [unrolled: 3-line block ×3, first 2 shown]
	s_wait_alu 0xfffe
	s_and_saveexec_b32 s3, s4
	s_cbranch_execz .LBB30_19
; %bb.18:
	v_mad_co_u64_u32 v[8:9], null, s10, v6, 0
	v_mad_co_u64_u32 v[2:3], null, s8, v6, 0
	s_delay_alu instid0(VALU_DEP_2) | instskip(NEXT) | instid1(VALU_DEP_1)
	v_mov_b32_e32 v4, v9
	v_mad_co_u64_u32 v[9:10], null, s9, v6, v[3:4]
	s_delay_alu instid0(VALU_DEP_1) | instskip(SKIP_1) | instid1(VALU_DEP_2)
	v_mov_b32_e32 v3, v9
	v_mad_co_u64_u32 v[10:11], null, s11, v6, v[4:5]
	v_lshlrev_b64_e32 v[2:3], 3, v[2:3]
	s_delay_alu instid0(VALU_DEP_2) | instskip(NEXT) | instid1(VALU_DEP_2)
	v_mov_b32_e32 v9, v10
	v_add_co_u32 v2, s1, v7, v2
	s_wait_alu 0xf1ff
	s_delay_alu instid0(VALU_DEP_3) | instskip(NEXT) | instid1(VALU_DEP_3)
	v_add_co_ci_u32_e64 v3, null, v12, v3, s1
	v_lshlrev_b64_e32 v[8:9], 3, v[8:9]
	s_delay_alu instid0(VALU_DEP_1) | instskip(SKIP_1) | instid1(VALU_DEP_2)
	v_add_co_u32 v8, s1, v13, v8
	s_wait_alu 0xf1ff
	v_add_co_ci_u32_e64 v9, null, v14, v9, s1
	global_load_b64 v[2:3], v[2:3], off
	global_load_b64 v[8:9], v[8:9], off
.LBB30_19:
	s_wait_alu 0xfffe
	s_or_b32 exec_lo, exec_lo, s3
	s_and_b32 s3, 0xffff, s2
	v_dual_mov_b32 v10, 0 :: v_dual_lshlrev_b32 v17, 8, v15
	s_wait_alu 0xfffe
	v_dual_mov_b32 v11, 0 :: v_dual_add_nc_u32 v4, s3, v6
	v_lshlrev_b32_e32 v19, 3, v6
	s_delay_alu instid0(VALU_DEP_3) | instskip(SKIP_1) | instid1(VALU_DEP_4)
	v_add_nc_u32_e32 v16, 0x1000, v17
	v_lshl_add_u32 v18, v15, 5, 0x2000
	v_cmp_gt_u64_e64 s1, s[6:7], v[4:5]
	v_cndmask_b32_e64 v20, 0, 1, s4
	v_add_nc_u32_e32 v5, v17, v19
	v_add_nc_u32_e32 v15, v16, v19
	;; [unrolled: 1-line block ×3, first 2 shown]
	s_wait_loadcnt 0x1
	ds_store_b64 v5, v[2:3]
	s_wait_loadcnt 0x0
	ds_store_b64 v15, v[8:9]
	ds_store_b8 v21, v20
	s_and_b32 s4, vcc_lo, s1
	s_wait_alu 0xfffe
	s_and_saveexec_b32 s5, s4
	s_cbranch_execz .LBB30_21
; %bb.20:
	v_mad_co_u64_u32 v[0:1], null, s8, v4, 0
	v_mad_co_u64_u32 v[2:3], null, s10, v4, 0
	s_delay_alu instid0(VALU_DEP_1) | instskip(NEXT) | instid1(VALU_DEP_2)
	v_mad_co_u64_u32 v[8:9], null, s9, v4, v[1:2]
	v_mad_co_u64_u32 v[9:10], null, s11, v4, v[3:4]
	s_delay_alu instid0(VALU_DEP_2) | instskip(NEXT) | instid1(VALU_DEP_2)
	v_mov_b32_e32 v1, v8
	v_mov_b32_e32 v3, v9
	s_delay_alu instid0(VALU_DEP_2) | instskip(NEXT) | instid1(VALU_DEP_2)
	v_lshlrev_b64_e32 v[0:1], 3, v[0:1]
	v_lshlrev_b64_e32 v[2:3], 3, v[2:3]
	s_delay_alu instid0(VALU_DEP_2) | instskip(SKIP_1) | instid1(VALU_DEP_3)
	v_add_co_u32 v0, s2, v7, v0
	s_wait_alu 0xf1ff
	v_add_co_ci_u32_e64 v1, null, v12, v1, s2
	s_delay_alu instid0(VALU_DEP_3)
	v_add_co_u32 v2, s2, v13, v2
	s_wait_alu 0xf1ff
	v_add_co_ci_u32_e64 v3, null, v14, v3, s2
	global_load_b64 v[0:1], v[0:1], off
	global_load_b64 v[10:11], v[2:3], off
.LBB30_21:
	s_wait_alu 0xfffe
	s_or_b32 exec_lo, exec_lo, s5
	s_lshl_b32 s2, s3, 3
	v_lshlrev_b32_e32 v22, 1, v6
	s_wait_alu 0xfffe
	v_add_nc_u32_e32 v8, s2, v5
	v_add_nc_u32_e32 v9, s2, v15
	v_cndmask_b32_e64 v2, 0, 1, s4
	v_add_nc_u32_e32 v3, v18, v4
	v_and_b32_e32 v20, 1, v6
	s_wait_loadcnt 0x1
	ds_store_b64 v8, v[0:1]
	s_wait_loadcnt 0x0
	ds_store_b64 v9, v[10:11]
	ds_store_b8 v3, v2
	v_add_nc_u32_e32 v10, v18, v22
	v_add_nc_u32_e32 v11, v5, v19
	s_wait_dscnt 0x0
	s_barrier_signal -1
	s_barrier_wait -1
	global_inv scope:SCOPE_SE
	ds_load_u16 v24, v10
	ds_load_b128 v[0:3], v11
	s_wait_dscnt 0x1
	v_lshrrev_b16 v21, 8, v24
	v_and_b32_e32 v23, 1, v24
	s_wait_dscnt 0x0
	v_cmp_lt_i64_e64 s2, v[0:1], v[2:3]
	s_delay_alu instid0(VALU_DEP_3) | instskip(NEXT) | instid1(VALU_DEP_3)
	v_cmp_ne_u16_e64 s4, v21, v20
	v_cmp_eq_u32_e64 s3, 1, v23
	s_wait_alu 0xf1ff
	s_delay_alu instid0(VALU_DEP_2) | instskip(SKIP_2) | instid1(VALU_DEP_1)
	v_cndmask_b32_e64 v23, 0, 1, s4
	s_and_b32 s2, s2, s3
	s_wait_alu 0xfffe
	v_cndmask_b32_e64 v23, v23, v6, s2
	s_delay_alu instid0(VALU_DEP_1) | instskip(NEXT) | instid1(VALU_DEP_1)
	v_and_b32_e32 v23, 1, v23
	v_cmp_eq_u32_e64 s2, 1, v23
	v_add_nc_u32_e32 v23, v15, v19
	s_and_saveexec_b32 s3, s2
	s_wait_alu 0xfffe
	s_xor_b32 s2, exec_lo, s3
	s_cbranch_execz .LBB30_23
; %bb.22:
	ds_load_b128 v[25:28], v23
	v_mov_b32_e32 v31, v0
	v_lshlrev_b16 v0, 8, v24
	v_dual_mov_b32 v29, v2 :: v_dual_mov_b32 v30, v3
	v_mov_b32_e32 v32, v1
	s_delay_alu instid0(VALU_DEP_3)
	v_or_b32_e32 v0, v21, v0
	s_wait_dscnt 0x0
	v_dual_mov_b32 v33, v27 :: v_dual_mov_b32 v36, v26
	v_dual_mov_b32 v34, v28 :: v_dual_mov_b32 v35, v25
	ds_store_b128 v23, v[33:36]
	ds_store_b128 v11, v[29:32]
	ds_store_b16 v10, v0
.LBB30_23:
	s_wait_alu 0xfffe
	s_or_b32 exec_lo, exec_lo, s2
	v_sub_nc_u32_e32 v21, v22, v20
	s_wait_loadcnt_dscnt 0x0
	s_barrier_signal -1
	s_barrier_wait -1
	global_inv scope:SCOPE_SE
	v_add_nc_u32_e32 v19, v18, v21
	v_lshl_add_u32 v20, v21, 3, v17
	v_bfe_u32 v27, v6, 1, 1
	v_lshl_add_u32 v21, v21, 3, v16
	ds_load_u8 v25, v19
	ds_load_2addr_b64 v[0:3], v20 offset1:2
	ds_load_u8 v26, v19 offset:2
	s_wait_dscnt 0x2
	v_and_b32_e32 v24, 1, v25
	s_wait_dscnt 0x1
	v_cmp_lt_i64_e64 s2, v[0:1], v[2:3]
	s_wait_dscnt 0x0
	v_cmp_ne_u16_e64 s4, v26, v27
	v_cmp_eq_u32_e64 s3, 1, v24
	s_wait_alu 0xf1ff
	s_delay_alu instid0(VALU_DEP_2) | instskip(SKIP_2) | instid1(VALU_DEP_1)
	v_cndmask_b32_e64 v24, 0, 1, s4
	s_and_b32 s2, s2, s3
	s_wait_alu 0xfffe
	v_cndmask_b32_e64 v27, v24, v27, s2
	v_and_b32_e32 v24, 2, v6
	s_delay_alu instid0(VALU_DEP_2) | instskip(NEXT) | instid1(VALU_DEP_2)
	v_and_b32_e32 v27, 1, v27
	v_cmp_ne_u32_e64 s2, 0, v24
	s_delay_alu instid0(VALU_DEP_2)
	v_cmp_eq_u32_e64 s3, 1, v27
	s_and_saveexec_b32 s4, s3
	s_wait_alu 0xfffe
	s_xor_b32 s3, exec_lo, s4
	s_cbranch_execz .LBB30_25
; %bb.24:
	ds_load_2addr_b64 v[27:30], v21 offset1:2
	ds_store_2addr_b64 v20, v[2:3], v[0:1] offset1:2
	s_wait_dscnt 0x1
	ds_store_2addr_b64 v21, v[29:30], v[27:28] offset1:2
	ds_store_b8 v19, v26
	ds_store_b8 v19, v25 offset:2
.LBB30_25:
	s_wait_alu 0xfffe
	s_or_b32 exec_lo, exec_lo, s3
	s_wait_loadcnt_dscnt 0x0
	s_barrier_signal -1
	s_barrier_wait -1
	global_inv scope:SCOPE_SE
	ds_load_u16 v25, v10
	ds_load_b128 v[0:3], v11
	v_lshrrev_b32_e32 v26, 1, v24
	v_cndmask_b32_e64 v28, 0, 1, s2
	s_wait_dscnt 0x1
	v_lshrrev_b16 v24, 8, v25
	v_and_b32_e32 v27, 1, v25
	s_wait_dscnt 0x0
	v_cmp_lt_i64_e64 s2, v[0:1], v[2:3]
	s_delay_alu instid0(VALU_DEP_3) | instskip(NEXT) | instid1(VALU_DEP_3)
	v_cmp_ne_u16_e64 s4, v24, v26
	v_cmp_eq_u32_e64 s3, 1, v27
	s_wait_alu 0xf1ff
	s_delay_alu instid0(VALU_DEP_2) | instskip(SKIP_3) | instid1(VALU_DEP_1)
	v_cndmask_b32_e64 v26, 0, 1, s4
	s_and_b32 s2, s2, s3
	s_mov_b32 s3, exec_lo
	s_wait_alu 0xfffe
	v_cndmask_b32_e64 v26, v26, v28, s2
	s_delay_alu instid0(VALU_DEP_1) | instskip(NEXT) | instid1(VALU_DEP_1)
	v_and_b32_e32 v26, 1, v26
	v_cmpx_eq_u32_e32 1, v26
	s_cbranch_execz .LBB30_27
; %bb.26:
	ds_load_b128 v[26:29], v23
	v_mov_b32_e32 v32, v0
	v_lshlrev_b16 v0, 8, v25
	v_dual_mov_b32 v30, v2 :: v_dual_mov_b32 v31, v3
	v_mov_b32_e32 v33, v1
	s_delay_alu instid0(VALU_DEP_3)
	v_or_b32_e32 v0, v24, v0
	s_wait_dscnt 0x0
	v_dual_mov_b32 v34, v28 :: v_dual_mov_b32 v37, v27
	v_dual_mov_b32 v35, v29 :: v_dual_mov_b32 v36, v26
	ds_store_b128 v23, v[34:37]
	ds_store_b128 v11, v[30:33]
	ds_store_b16 v10, v0
.LBB30_27:
	s_or_b32 exec_lo, exec_lo, s3
	v_and_b32_e32 v0, 3, v6
	s_wait_loadcnt_dscnt 0x0
	s_barrier_signal -1
	s_barrier_wait -1
	global_inv scope:SCOPE_SE
	v_sub_nc_u32_e32 v26, v22, v0
	v_bfe_u32 v29, v6, 2, 1
	s_delay_alu instid0(VALU_DEP_2)
	v_add_nc_u32_e32 v23, v18, v26
	v_lshl_add_u32 v24, v26, 3, v17
	v_lshl_add_u32 v26, v26, 3, v16
	ds_load_u8 v27, v23
	ds_load_2addr_b64 v[0:3], v24 offset1:4
	ds_load_u8 v28, v23 offset:4
	s_wait_dscnt 0x2
	v_and_b32_e32 v25, 1, v27
	s_wait_dscnt 0x1
	v_cmp_lt_i64_e64 s2, v[0:1], v[2:3]
	s_wait_dscnt 0x0
	v_cmp_ne_u16_e64 s4, v28, v29
	v_cmp_eq_u32_e64 s3, 1, v25
	s_wait_alu 0xf1ff
	s_delay_alu instid0(VALU_DEP_2) | instskip(SKIP_3) | instid1(VALU_DEP_1)
	v_cndmask_b32_e64 v25, 0, 1, s4
	s_mov_b32 s4, exec_lo
	s_and_b32 s2, s2, s3
	s_wait_alu 0xfffe
	v_cndmask_b32_e64 v29, v25, v29, s2
	v_and_b32_e32 v25, 4, v6
	s_delay_alu instid0(VALU_DEP_2) | instskip(NEXT) | instid1(VALU_DEP_2)
	v_and_b32_e32 v29, 1, v29
	v_cmp_ne_u32_e64 s2, 0, v25
	s_delay_alu instid0(VALU_DEP_2)
	v_cmpx_eq_u32_e32 1, v29
	s_cbranch_execz .LBB30_29
; %bb.28:
	ds_load_2addr_b64 v[29:32], v26 offset1:4
	ds_store_2addr_b64 v24, v[2:3], v[0:1] offset1:4
	s_wait_dscnt 0x1
	ds_store_2addr_b64 v26, v[31:32], v[29:30] offset1:4
	ds_store_b8 v23, v28
	ds_store_b8 v23, v27 offset:4
.LBB30_29:
	s_or_b32 exec_lo, exec_lo, s4
	s_wait_loadcnt_dscnt 0x0
	s_barrier_signal -1
	s_barrier_wait -1
	global_inv scope:SCOPE_SE
	ds_load_u8 v28, v19
	ds_load_2addr_b64 v[0:3], v20 offset1:2
	ds_load_u8 v29, v19 offset:2
	v_lshrrev_b32_e32 v25, 2, v25
	v_cndmask_b32_e64 v27, 0, 1, s2
	s_wait_dscnt 0x2
	v_and_b32_e32 v30, 1, v28
	s_wait_dscnt 0x1
	v_cmp_lt_i64_e64 s2, v[0:1], v[2:3]
	s_wait_dscnt 0x0
	v_cmp_ne_u16_e64 s4, v29, v25
	v_cmp_eq_u32_e64 s3, 1, v30
	s_wait_alu 0xf1ff
	s_delay_alu instid0(VALU_DEP_2) | instskip(SKIP_3) | instid1(VALU_DEP_1)
	v_cndmask_b32_e64 v30, 0, 1, s4
	s_and_b32 s2, s2, s3
	s_mov_b32 s3, exec_lo
	s_wait_alu 0xfffe
	v_cndmask_b32_e64 v30, v30, v27, s2
	s_delay_alu instid0(VALU_DEP_1) | instskip(NEXT) | instid1(VALU_DEP_1)
	v_and_b32_e32 v30, 1, v30
	v_cmpx_eq_u32_e32 1, v30
	s_cbranch_execz .LBB30_31
; %bb.30:
	ds_load_2addr_b64 v[30:33], v21 offset1:2
	ds_store_2addr_b64 v20, v[2:3], v[0:1] offset1:2
	s_wait_dscnt 0x1
	ds_store_2addr_b64 v21, v[32:33], v[30:31] offset1:2
	ds_store_b8 v19, v29
	ds_store_b8 v19, v28 offset:2
.LBB30_31:
	s_or_b32 exec_lo, exec_lo, s3
	s_wait_loadcnt_dscnt 0x0
	s_barrier_signal -1
	s_barrier_wait -1
	global_inv scope:SCOPE_SE
	ds_load_u16 v29, v10
	ds_load_b128 v[0:3], v11
	s_wait_dscnt 0x1
	v_lshrrev_b16 v28, 8, v29
	v_and_b32_e32 v30, 1, v29
	s_wait_dscnt 0x0
	v_cmp_lt_i64_e64 s2, v[0:1], v[2:3]
	s_delay_alu instid0(VALU_DEP_3) | instskip(NEXT) | instid1(VALU_DEP_3)
	v_cmp_ne_u16_e64 s4, v28, v25
	v_cmp_eq_u32_e64 s3, 1, v30
	s_wait_alu 0xf1ff
	s_delay_alu instid0(VALU_DEP_2) | instskip(SKIP_2) | instid1(VALU_DEP_1)
	v_cndmask_b32_e64 v25, 0, 1, s4
	s_and_b32 s2, s2, s3
	s_wait_alu 0xfffe
	v_cndmask_b32_e64 v25, v25, v27, s2
	s_delay_alu instid0(VALU_DEP_1) | instskip(NEXT) | instid1(VALU_DEP_1)
	v_and_b32_e32 v25, 1, v25
	v_cmp_eq_u32_e64 s2, 1, v25
	v_lshl_add_u32 v25, v22, 3, v16
	s_and_saveexec_b32 s3, s2
	s_cbranch_execz .LBB30_33
; %bb.32:
	ds_load_b128 v[30:33], v25
	v_mov_b32_e32 v36, v0
	v_lshlrev_b16 v0, 8, v29
	v_dual_mov_b32 v34, v2 :: v_dual_mov_b32 v35, v3
	v_mov_b32_e32 v37, v1
	s_delay_alu instid0(VALU_DEP_3)
	v_or_b32_e32 v0, v28, v0
	s_wait_dscnt 0x0
	v_dual_mov_b32 v38, v32 :: v_dual_mov_b32 v41, v31
	v_dual_mov_b32 v39, v33 :: v_dual_mov_b32 v40, v30
	ds_store_b128 v25, v[38:41]
	ds_store_b128 v11, v[34:37]
	ds_store_b16 v10, v0
.LBB30_33:
	s_wait_alu 0xfffe
	s_or_b32 exec_lo, exec_lo, s3
	v_and_b32_e32 v0, 7, v6
	s_wait_loadcnt_dscnt 0x0
	s_barrier_signal -1
	s_barrier_wait -1
	global_inv scope:SCOPE_SE
	v_sub_nc_u32_e32 v29, v22, v0
	v_bfe_u32 v33, v6, 3, 1
	s_delay_alu instid0(VALU_DEP_2)
	v_add_nc_u32_e32 v27, v18, v29
	v_lshl_add_u32 v28, v29, 3, v17
	v_lshl_add_u32 v29, v29, 3, v16
	ds_load_u8 v31, v27
	ds_load_2addr_b64 v[0:3], v28 offset1:8
	ds_load_u8 v32, v27 offset:8
	s_wait_dscnt 0x2
	v_and_b32_e32 v30, 1, v31
	s_wait_dscnt 0x1
	v_cmp_lt_i64_e64 s2, v[0:1], v[2:3]
	s_wait_dscnt 0x0
	v_cmp_ne_u16_e64 s4, v32, v33
	v_cmp_eq_u32_e64 s3, 1, v30
	s_wait_alu 0xf1ff
	s_delay_alu instid0(VALU_DEP_2) | instskip(SKIP_3) | instid1(VALU_DEP_1)
	v_cndmask_b32_e64 v30, 0, 1, s4
	s_mov_b32 s4, exec_lo
	s_and_b32 s2, s2, s3
	s_wait_alu 0xfffe
	v_cndmask_b32_e64 v33, v30, v33, s2
	v_and_b32_e32 v30, 8, v6
	s_delay_alu instid0(VALU_DEP_2) | instskip(NEXT) | instid1(VALU_DEP_2)
	v_and_b32_e32 v33, 1, v33
	v_cmp_ne_u32_e64 s2, 0, v30
	s_delay_alu instid0(VALU_DEP_2)
	v_cmpx_eq_u32_e32 1, v33
	s_cbranch_execz .LBB30_35
; %bb.34:
	ds_load_2addr_b64 v[33:36], v29 offset1:8
	ds_store_2addr_b64 v28, v[2:3], v[0:1] offset1:8
	s_wait_dscnt 0x1
	ds_store_2addr_b64 v29, v[35:36], v[33:34] offset1:8
	ds_store_b8 v27, v32
	ds_store_b8 v27, v31 offset:8
.LBB30_35:
	s_or_b32 exec_lo, exec_lo, s4
	s_wait_loadcnt_dscnt 0x0
	s_barrier_signal -1
	s_barrier_wait -1
	global_inv scope:SCOPE_SE
	ds_load_u8 v32, v23
	ds_load_2addr_b64 v[0:3], v24 offset1:4
	ds_load_u8 v33, v23 offset:4
	v_lshrrev_b32_e32 v30, 3, v30
	v_cndmask_b32_e64 v31, 0, 1, s2
	s_wait_dscnt 0x2
	v_and_b32_e32 v34, 1, v32
	s_wait_dscnt 0x1
	v_cmp_lt_i64_e64 s2, v[0:1], v[2:3]
	s_wait_dscnt 0x0
	v_cmp_ne_u16_e64 s4, v33, v30
	v_cmp_eq_u32_e64 s3, 1, v34
	s_wait_alu 0xf1ff
	s_delay_alu instid0(VALU_DEP_2) | instskip(SKIP_3) | instid1(VALU_DEP_1)
	v_cndmask_b32_e64 v34, 0, 1, s4
	s_and_b32 s2, s2, s3
	s_mov_b32 s3, exec_lo
	s_wait_alu 0xfffe
	v_cndmask_b32_e64 v34, v34, v31, s2
	s_delay_alu instid0(VALU_DEP_1) | instskip(NEXT) | instid1(VALU_DEP_1)
	v_and_b32_e32 v34, 1, v34
	v_cmpx_eq_u32_e32 1, v34
	s_cbranch_execz .LBB30_37
; %bb.36:
	ds_load_2addr_b64 v[34:37], v26 offset1:4
	ds_store_2addr_b64 v24, v[2:3], v[0:1] offset1:4
	s_wait_dscnt 0x1
	ds_store_2addr_b64 v26, v[36:37], v[34:35] offset1:4
	ds_store_b8 v23, v33
	ds_store_b8 v23, v32 offset:4
.LBB30_37:
	s_or_b32 exec_lo, exec_lo, s3
	s_wait_loadcnt_dscnt 0x0
	s_barrier_signal -1
	s_barrier_wait -1
	global_inv scope:SCOPE_SE
	ds_load_u8 v32, v19
	ds_load_2addr_b64 v[0:3], v20 offset1:2
	ds_load_u8 v33, v19 offset:2
	s_wait_dscnt 0x2
	v_and_b32_e32 v34, 1, v32
	s_wait_dscnt 0x1
	v_cmp_lt_i64_e64 s2, v[0:1], v[2:3]
	s_wait_dscnt 0x0
	v_cmp_ne_u16_e64 s4, v33, v30
	v_cmp_eq_u32_e64 s3, 1, v34
	s_wait_alu 0xf1ff
	s_delay_alu instid0(VALU_DEP_2) | instskip(SKIP_3) | instid1(VALU_DEP_1)
	v_cndmask_b32_e64 v34, 0, 1, s4
	s_and_b32 s2, s2, s3
	s_mov_b32 s3, exec_lo
	s_wait_alu 0xfffe
	v_cndmask_b32_e64 v34, v34, v31, s2
	s_delay_alu instid0(VALU_DEP_1) | instskip(NEXT) | instid1(VALU_DEP_1)
	v_and_b32_e32 v34, 1, v34
	v_cmpx_eq_u32_e32 1, v34
	s_cbranch_execz .LBB30_39
; %bb.38:
	ds_load_2addr_b64 v[34:37], v21 offset1:2
	ds_store_2addr_b64 v20, v[2:3], v[0:1] offset1:2
	s_wait_dscnt 0x1
	ds_store_2addr_b64 v21, v[36:37], v[34:35] offset1:2
	ds_store_b8 v19, v33
	ds_store_b8 v19, v32 offset:2
.LBB30_39:
	s_or_b32 exec_lo, exec_lo, s3
	s_wait_loadcnt_dscnt 0x0
	s_barrier_signal -1
	s_barrier_wait -1
	global_inv scope:SCOPE_SE
	ds_load_u16 v33, v10
	ds_load_b128 v[0:3], v11
	s_wait_dscnt 0x1
	v_lshrrev_b16 v32, 8, v33
	v_and_b32_e32 v34, 1, v33
	s_wait_dscnt 0x0
	v_cmp_lt_i64_e64 s2, v[0:1], v[2:3]
	s_delay_alu instid0(VALU_DEP_3) | instskip(NEXT) | instid1(VALU_DEP_3)
	v_cmp_ne_u16_e64 s4, v32, v30
	v_cmp_eq_u32_e64 s3, 1, v34
	s_wait_alu 0xf1ff
	s_delay_alu instid0(VALU_DEP_2) | instskip(SKIP_3) | instid1(VALU_DEP_1)
	v_cndmask_b32_e64 v30, 0, 1, s4
	s_and_b32 s2, s2, s3
	s_mov_b32 s3, exec_lo
	s_wait_alu 0xfffe
	v_cndmask_b32_e64 v30, v30, v31, s2
	s_delay_alu instid0(VALU_DEP_1) | instskip(NEXT) | instid1(VALU_DEP_1)
	v_and_b32_e32 v30, 1, v30
	v_cmpx_eq_u32_e32 1, v30
	s_cbranch_execz .LBB30_41
; %bb.40:
	ds_load_b128 v[34:37], v25
	v_mov_b32_e32 v40, v0
	v_lshlrev_b16 v0, 8, v33
	v_dual_mov_b32 v38, v2 :: v_dual_mov_b32 v39, v3
	v_mov_b32_e32 v41, v1
	s_delay_alu instid0(VALU_DEP_3)
	v_or_b32_e32 v0, v32, v0
	s_wait_dscnt 0x0
	v_dual_mov_b32 v42, v36 :: v_dual_mov_b32 v45, v35
	v_dual_mov_b32 v43, v37 :: v_dual_mov_b32 v44, v34
	ds_store_b128 v25, v[42:45]
	ds_store_b128 v11, v[38:41]
	ds_store_b16 v10, v0
.LBB30_41:
	s_or_b32 exec_lo, exec_lo, s3
	v_and_b32_e32 v0, 15, v6
	s_wait_loadcnt_dscnt 0x0
	s_barrier_signal -1
	s_barrier_wait -1
	global_inv scope:SCOPE_SE
	v_sub_nc_u32_e32 v22, v22, v0
	s_delay_alu instid0(VALU_DEP_1)
	v_add_nc_u32_e32 v18, v18, v22
	v_lshl_add_u32 v17, v22, 3, v17
	ds_load_u8 v30, v18
	ds_load_u8 v31, v18 offset:16
	ds_load_2addr_b64 v[0:3], v17 offset1:16
	s_wait_dscnt 0x1
	v_and_b32_e32 v31, 0xff, v31
	v_and_b32_e32 v32, 1, v30
	s_wait_dscnt 0x0
	v_cmp_ge_i64_e64 s3, v[0:1], v[2:3]
	s_delay_alu instid0(VALU_DEP_3) | instskip(NEXT) | instid1(VALU_DEP_3)
	v_cmp_ne_u16_e64 s4, 0, v31
	v_cmp_eq_u32_e64 s2, 1, v32
	s_xor_b32 s2, s2, -1
	s_wait_alu 0xfffe
	s_or_b32 s2, s3, s2
	s_wait_alu 0xfffe
	s_and_b32 s3, s2, s4
	s_wait_alu 0xfffe
	s_and_saveexec_b32 s2, s3
	s_cbranch_execz .LBB30_43
; %bb.42:
	v_lshl_add_u32 v16, v22, 3, v16
	v_mov_b32_e32 v22, 1
	ds_load_2addr_b64 v[31:34], v16 offset1:16
	ds_store_2addr_b64 v17, v[2:3], v[0:1] offset1:16
	s_wait_dscnt 0x1
	ds_store_2addr_b64 v16, v[33:34], v[31:32] offset1:16
	ds_store_b8 v18, v22
	ds_store_b8 v18, v30 offset:16
.LBB30_43:
	s_wait_alu 0xfffe
	s_or_b32 exec_lo, exec_lo, s2
	s_wait_loadcnt_dscnt 0x0
	s_barrier_signal -1
	s_barrier_wait -1
	global_inv scope:SCOPE_SE
	ds_load_u8 v16, v27
	ds_load_u8 v17, v27 offset:8
	ds_load_2addr_b64 v[0:3], v28 offset1:8
	s_wait_dscnt 0x2
	v_and_b32_e32 v18, 1, v16
	s_wait_dscnt 0x1
	v_and_b32_e32 v17, 0xff, v17
	s_wait_dscnt 0x0
	v_cmp_ge_i64_e64 s3, v[0:1], v[2:3]
	v_cmp_eq_u32_e64 s2, 1, v18
	s_delay_alu instid0(VALU_DEP_3)
	v_cmp_ne_u16_e64 s4, 0, v17
	s_xor_b32 s2, s2, -1
	s_wait_alu 0xfffe
	s_or_b32 s2, s3, s2
	s_wait_alu 0xfffe
	s_and_b32 s3, s2, s4
	s_wait_alu 0xfffe
	s_and_saveexec_b32 s2, s3
	s_cbranch_execz .LBB30_45
; %bb.44:
	ds_load_2addr_b64 v[30:33], v29 offset1:8
	v_mov_b32_e32 v17, 1
	ds_store_2addr_b64 v28, v[2:3], v[0:1] offset1:8
	s_wait_dscnt 0x1
	ds_store_2addr_b64 v29, v[32:33], v[30:31] offset1:8
	ds_store_b8 v27, v17
	ds_store_b8 v27, v16 offset:8
.LBB30_45:
	s_wait_alu 0xfffe
	s_or_b32 exec_lo, exec_lo, s2
	s_wait_loadcnt_dscnt 0x0
	s_barrier_signal -1
	s_barrier_wait -1
	global_inv scope:SCOPE_SE
	ds_load_u8 v16, v23
	ds_load_u8 v17, v23 offset:4
	ds_load_2addr_b64 v[0:3], v24 offset1:4
	s_wait_dscnt 0x2
	v_and_b32_e32 v18, 1, v16
	s_wait_dscnt 0x1
	v_and_b32_e32 v17, 0xff, v17
	s_wait_dscnt 0x0
	v_cmp_ge_i64_e64 s3, v[0:1], v[2:3]
	v_cmp_eq_u32_e64 s2, 1, v18
	s_delay_alu instid0(VALU_DEP_3)
	v_cmp_ne_u16_e64 s4, 0, v17
	s_xor_b32 s2, s2, -1
	s_wait_alu 0xfffe
	s_or_b32 s2, s3, s2
	s_wait_alu 0xfffe
	s_and_b32 s3, s2, s4
	s_wait_alu 0xfffe
	s_and_saveexec_b32 s2, s3
	s_cbranch_execz .LBB30_47
; %bb.46:
	ds_load_2addr_b64 v[27:30], v26 offset1:4
	v_mov_b32_e32 v17, 1
	ds_store_2addr_b64 v24, v[2:3], v[0:1] offset1:4
	s_wait_dscnt 0x1
	ds_store_2addr_b64 v26, v[29:30], v[27:28] offset1:4
	ds_store_b8 v23, v17
	ds_store_b8 v23, v16 offset:4
.LBB30_47:
	;; [unrolled: 35-line block ×3, first 2 shown]
	s_wait_alu 0xfffe
	s_or_b32 exec_lo, exec_lo, s2
	s_wait_loadcnt_dscnt 0x0
	s_barrier_signal -1
	s_barrier_wait -1
	global_inv scope:SCOPE_SE
	ds_load_u16 v16, v10
	ds_load_b128 v[0:3], v11
	s_wait_dscnt 0x1
	v_and_b32_e32 v17, 1, v16
	v_lshrrev_b16 v18, 8, v16
	s_wait_dscnt 0x0
	v_cmp_ge_i64_e64 s3, v[0:1], v[2:3]
	s_delay_alu instid0(VALU_DEP_3) | instskip(NEXT) | instid1(VALU_DEP_3)
	v_cmp_eq_u32_e64 s2, 1, v17
	v_cmp_ne_u16_e64 s4, 0, v18
	s_xor_b32 s2, s2, -1
	s_wait_alu 0xfffe
	s_or_b32 s2, s3, s2
	s_wait_alu 0xfffe
	s_and_b32 s3, s2, s4
	s_wait_alu 0xfffe
	s_and_saveexec_b32 s2, s3
	s_cbranch_execz .LBB30_51
; %bb.50:
	ds_load_b128 v[17:20], v25
	v_mov_b32_e32 v23, v0
	v_lshlrev_b16 v0, 8, v16
	v_dual_mov_b32 v21, v2 :: v_dual_mov_b32 v22, v3
	v_mov_b32_e32 v24, v1
	s_delay_alu instid0(VALU_DEP_3)
	v_or_b32_e32 v0, 1, v0
	s_wait_dscnt 0x0
	v_dual_mov_b32 v26, v19 :: v_dual_mov_b32 v27, v20
	v_dual_mov_b32 v28, v17 :: v_dual_mov_b32 v29, v18
	ds_store_b128 v25, v[26:29]
	ds_store_b128 v11, v[21:24]
	ds_store_b16 v10, v0
.LBB30_51:
	s_wait_alu 0xfffe
	s_or_b32 exec_lo, exec_lo, s2
	s_wait_loadcnt_dscnt 0x0
	s_barrier_signal -1
	s_barrier_wait -1
	global_inv scope:SCOPE_SE
	s_and_saveexec_b32 s2, vcc_lo
	s_cbranch_execz .LBB30_56
; %bb.52:
	s_and_saveexec_b32 s2, s0
	s_cbranch_execz .LBB30_54
; %bb.53:
	v_mad_co_u64_u32 v[0:1], null, s8, v6, 0
	v_mad_co_u64_u32 v[2:3], null, s10, v6, 0
	s_delay_alu instid0(VALU_DEP_1) | instskip(NEXT) | instid1(VALU_DEP_2)
	v_mad_co_u64_u32 v[10:11], null, s9, v6, v[1:2]
	v_mad_co_u64_u32 v[16:17], null, s11, v6, v[3:4]
	s_delay_alu instid0(VALU_DEP_2) | instskip(SKIP_4) | instid1(VALU_DEP_2)
	v_mov_b32_e32 v1, v10
	ds_load_b64 v[5:6], v5
	ds_load_b64 v[10:11], v15
	v_mov_b32_e32 v3, v16
	v_lshlrev_b64_e32 v[0:1], 3, v[0:1]
	v_lshlrev_b64_e32 v[2:3], 3, v[2:3]
	s_delay_alu instid0(VALU_DEP_2) | instskip(SKIP_1) | instid1(VALU_DEP_3)
	v_add_co_u32 v0, vcc_lo, v7, v0
	s_wait_alu 0xfffd
	v_add_co_ci_u32_e64 v1, null, v12, v1, vcc_lo
	s_delay_alu instid0(VALU_DEP_3)
	v_add_co_u32 v2, vcc_lo, v13, v2
	s_wait_alu 0xfffd
	v_add_co_ci_u32_e64 v3, null, v14, v3, vcc_lo
	s_wait_dscnt 0x1
	global_store_b64 v[0:1], v[5:6], off
	s_wait_dscnt 0x0
	global_store_b64 v[2:3], v[10:11], off
.LBB30_54:
	s_wait_alu 0xfffe
	s_or_b32 exec_lo, exec_lo, s2
	s_delay_alu instid0(SALU_CYCLE_1)
	s_and_b32 exec_lo, exec_lo, s1
	s_cbranch_execz .LBB30_56
; %bb.55:
	v_mad_co_u64_u32 v[0:1], null, s8, v4, 0
	v_mad_co_u64_u32 v[2:3], null, s10, v4, 0
	s_delay_alu instid0(VALU_DEP_1) | instskip(NEXT) | instid1(VALU_DEP_2)
	v_mad_co_u64_u32 v[5:6], null, s9, v4, v[1:2]
	v_mad_co_u64_u32 v[3:4], null, s11, v4, v[3:4]
	s_delay_alu instid0(VALU_DEP_2) | instskip(SKIP_4) | instid1(VALU_DEP_1)
	v_mov_b32_e32 v1, v5
	ds_load_b64 v[4:5], v8
	ds_load_b64 v[8:9], v9
	v_lshlrev_b64_e32 v[2:3], 3, v[2:3]
	v_lshlrev_b64_e32 v[0:1], 3, v[0:1]
	v_add_co_u32 v0, vcc_lo, v7, v0
	s_wait_alu 0xfffd
	s_delay_alu instid0(VALU_DEP_2) | instskip(NEXT) | instid1(VALU_DEP_4)
	v_add_co_ci_u32_e64 v1, null, v12, v1, vcc_lo
	v_add_co_u32 v2, vcc_lo, v13, v2
	s_wait_alu 0xfffd
	v_add_co_ci_u32_e64 v3, null, v14, v3, vcc_lo
	s_wait_dscnt 0x1
	global_store_b64 v[0:1], v[4:5], off
	s_wait_dscnt 0x0
	global_store_b64 v[2:3], v[8:9], off
.LBB30_56:
	s_endpgm
	.section	.rodata,"a",@progbits
	.p2align	6, 0x0
	.amdhsa_kernel _ZN2at6native20bitonicSortKVInPlaceILin1ELin1ELi16ELi16EllNS0_4LTOpIlLb1EEEmEEvNS_4cuda6detail10TensorInfoIT3_T6_EES8_S8_S8_NS6_IT4_S8_EES8_T5_
		.amdhsa_group_segment_fixed_size 8704
		.amdhsa_private_segment_fixed_size 0
		.amdhsa_kernarg_size 1128
		.amdhsa_user_sgpr_count 2
		.amdhsa_user_sgpr_dispatch_ptr 0
		.amdhsa_user_sgpr_queue_ptr 0
		.amdhsa_user_sgpr_kernarg_segment_ptr 1
		.amdhsa_user_sgpr_dispatch_id 0
		.amdhsa_user_sgpr_private_segment_size 0
		.amdhsa_wavefront_size32 1
		.amdhsa_uses_dynamic_stack 0
		.amdhsa_enable_private_segment 0
		.amdhsa_system_sgpr_workgroup_id_x 1
		.amdhsa_system_sgpr_workgroup_id_y 1
		.amdhsa_system_sgpr_workgroup_id_z 1
		.amdhsa_system_sgpr_workgroup_info 0
		.amdhsa_system_vgpr_workitem_id 1
		.amdhsa_next_free_vgpr 46
		.amdhsa_next_free_sgpr 31
		.amdhsa_reserve_vcc 1
		.amdhsa_float_round_mode_32 0
		.amdhsa_float_round_mode_16_64 0
		.amdhsa_float_denorm_mode_32 3
		.amdhsa_float_denorm_mode_16_64 3
		.amdhsa_fp16_overflow 0
		.amdhsa_workgroup_processor_mode 1
		.amdhsa_memory_ordered 1
		.amdhsa_forward_progress 1
		.amdhsa_inst_pref_size 54
		.amdhsa_round_robin_scheduling 0
		.amdhsa_exception_fp_ieee_invalid_op 0
		.amdhsa_exception_fp_denorm_src 0
		.amdhsa_exception_fp_ieee_div_zero 0
		.amdhsa_exception_fp_ieee_overflow 0
		.amdhsa_exception_fp_ieee_underflow 0
		.amdhsa_exception_fp_ieee_inexact 0
		.amdhsa_exception_int_div_zero 0
	.end_amdhsa_kernel
	.section	.text._ZN2at6native20bitonicSortKVInPlaceILin1ELin1ELi16ELi16EllNS0_4LTOpIlLb1EEEmEEvNS_4cuda6detail10TensorInfoIT3_T6_EES8_S8_S8_NS6_IT4_S8_EES8_T5_,"axG",@progbits,_ZN2at6native20bitonicSortKVInPlaceILin1ELin1ELi16ELi16EllNS0_4LTOpIlLb1EEEmEEvNS_4cuda6detail10TensorInfoIT3_T6_EES8_S8_S8_NS6_IT4_S8_EES8_T5_,comdat
.Lfunc_end30:
	.size	_ZN2at6native20bitonicSortKVInPlaceILin1ELin1ELi16ELi16EllNS0_4LTOpIlLb1EEEmEEvNS_4cuda6detail10TensorInfoIT3_T6_EES8_S8_S8_NS6_IT4_S8_EES8_T5_, .Lfunc_end30-_ZN2at6native20bitonicSortKVInPlaceILin1ELin1ELi16ELi16EllNS0_4LTOpIlLb1EEEmEEvNS_4cuda6detail10TensorInfoIT3_T6_EES8_S8_S8_NS6_IT4_S8_EES8_T5_
                                        ; -- End function
	.set _ZN2at6native20bitonicSortKVInPlaceILin1ELin1ELi16ELi16EllNS0_4LTOpIlLb1EEEmEEvNS_4cuda6detail10TensorInfoIT3_T6_EES8_S8_S8_NS6_IT4_S8_EES8_T5_.num_vgpr, 46
	.set _ZN2at6native20bitonicSortKVInPlaceILin1ELin1ELi16ELi16EllNS0_4LTOpIlLb1EEEmEEvNS_4cuda6detail10TensorInfoIT3_T6_EES8_S8_S8_NS6_IT4_S8_EES8_T5_.num_agpr, 0
	.set _ZN2at6native20bitonicSortKVInPlaceILin1ELin1ELi16ELi16EllNS0_4LTOpIlLb1EEEmEEvNS_4cuda6detail10TensorInfoIT3_T6_EES8_S8_S8_NS6_IT4_S8_EES8_T5_.numbered_sgpr, 31
	.set _ZN2at6native20bitonicSortKVInPlaceILin1ELin1ELi16ELi16EllNS0_4LTOpIlLb1EEEmEEvNS_4cuda6detail10TensorInfoIT3_T6_EES8_S8_S8_NS6_IT4_S8_EES8_T5_.num_named_barrier, 0
	.set _ZN2at6native20bitonicSortKVInPlaceILin1ELin1ELi16ELi16EllNS0_4LTOpIlLb1EEEmEEvNS_4cuda6detail10TensorInfoIT3_T6_EES8_S8_S8_NS6_IT4_S8_EES8_T5_.private_seg_size, 0
	.set _ZN2at6native20bitonicSortKVInPlaceILin1ELin1ELi16ELi16EllNS0_4LTOpIlLb1EEEmEEvNS_4cuda6detail10TensorInfoIT3_T6_EES8_S8_S8_NS6_IT4_S8_EES8_T5_.uses_vcc, 1
	.set _ZN2at6native20bitonicSortKVInPlaceILin1ELin1ELi16ELi16EllNS0_4LTOpIlLb1EEEmEEvNS_4cuda6detail10TensorInfoIT3_T6_EES8_S8_S8_NS6_IT4_S8_EES8_T5_.uses_flat_scratch, 0
	.set _ZN2at6native20bitonicSortKVInPlaceILin1ELin1ELi16ELi16EllNS0_4LTOpIlLb1EEEmEEvNS_4cuda6detail10TensorInfoIT3_T6_EES8_S8_S8_NS6_IT4_S8_EES8_T5_.has_dyn_sized_stack, 0
	.set _ZN2at6native20bitonicSortKVInPlaceILin1ELin1ELi16ELi16EllNS0_4LTOpIlLb1EEEmEEvNS_4cuda6detail10TensorInfoIT3_T6_EES8_S8_S8_NS6_IT4_S8_EES8_T5_.has_recursion, 0
	.set _ZN2at6native20bitonicSortKVInPlaceILin1ELin1ELi16ELi16EllNS0_4LTOpIlLb1EEEmEEvNS_4cuda6detail10TensorInfoIT3_T6_EES8_S8_S8_NS6_IT4_S8_EES8_T5_.has_indirect_call, 0
	.section	.AMDGPU.csdata,"",@progbits
; Kernel info:
; codeLenInByte = 6824
; TotalNumSgprs: 33
; NumVgprs: 46
; ScratchSize: 0
; MemoryBound: 0
; FloatMode: 240
; IeeeMode: 1
; LDSByteSize: 8704 bytes/workgroup (compile time only)
; SGPRBlocks: 0
; VGPRBlocks: 5
; NumSGPRsForWavesPerEU: 33
; NumVGPRsForWavesPerEU: 46
; Occupancy: 16
; WaveLimiterHint : 1
; COMPUTE_PGM_RSRC2:SCRATCH_EN: 0
; COMPUTE_PGM_RSRC2:USER_SGPR: 2
; COMPUTE_PGM_RSRC2:TRAP_HANDLER: 0
; COMPUTE_PGM_RSRC2:TGID_X_EN: 1
; COMPUTE_PGM_RSRC2:TGID_Y_EN: 1
; COMPUTE_PGM_RSRC2:TGID_Z_EN: 1
; COMPUTE_PGM_RSRC2:TIDIG_COMP_CNT: 1
	.section	.text._ZN2at6native20bitonicSortKVInPlaceILin1ELin1ELi16ELi16EllNS0_4GTOpIlLb1EEEmEEvNS_4cuda6detail10TensorInfoIT3_T6_EES8_S8_S8_NS6_IT4_S8_EES8_T5_,"axG",@progbits,_ZN2at6native20bitonicSortKVInPlaceILin1ELin1ELi16ELi16EllNS0_4GTOpIlLb1EEEmEEvNS_4cuda6detail10TensorInfoIT3_T6_EES8_S8_S8_NS6_IT4_S8_EES8_T5_,comdat
	.protected	_ZN2at6native20bitonicSortKVInPlaceILin1ELin1ELi16ELi16EllNS0_4GTOpIlLb1EEEmEEvNS_4cuda6detail10TensorInfoIT3_T6_EES8_S8_S8_NS6_IT4_S8_EES8_T5_ ; -- Begin function _ZN2at6native20bitonicSortKVInPlaceILin1ELin1ELi16ELi16EllNS0_4GTOpIlLb1EEEmEEvNS_4cuda6detail10TensorInfoIT3_T6_EES8_S8_S8_NS6_IT4_S8_EES8_T5_
	.globl	_ZN2at6native20bitonicSortKVInPlaceILin1ELin1ELi16ELi16EllNS0_4GTOpIlLb1EEEmEEvNS_4cuda6detail10TensorInfoIT3_T6_EES8_S8_S8_NS6_IT4_S8_EES8_T5_
	.p2align	8
	.type	_ZN2at6native20bitonicSortKVInPlaceILin1ELin1ELi16ELi16EllNS0_4GTOpIlLb1EEEmEEvNS_4cuda6detail10TensorInfoIT3_T6_EES8_S8_S8_NS6_IT4_S8_EES8_T5_,@function
_ZN2at6native20bitonicSortKVInPlaceILin1ELin1ELi16ELi16EllNS0_4GTOpIlLb1EEEmEEvNS_4cuda6detail10TensorInfoIT3_T6_EES8_S8_S8_NS6_IT4_S8_EES8_T5_: ; @_ZN2at6native20bitonicSortKVInPlaceILin1ELin1ELi16ELi16EllNS0_4GTOpIlLb1EEEmEEvNS_4cuda6detail10TensorInfoIT3_T6_EES8_S8_S8_NS6_IT4_S8_EES8_T5_
; %bb.0:
	v_mov_b32_e32 v1, 0
	s_lshr_b32 s8, ttmp7, 16
	s_and_b32 s9, ttmp7, 0xffff
	global_load_u16 v1, v1, s[0:1] offset:886
	s_clause 0x1
	s_load_b64 s[2:3], s[0:1], 0x368
	s_load_b128 s[4:7], s[0:1], 0x1a0
	s_wait_kmcnt 0x0
	s_mul_i32 s3, s3, s8
	s_delay_alu instid0(SALU_CYCLE_1) | instskip(NEXT) | instid1(SALU_CYCLE_1)
	s_add_co_i32 s3, s3, s9
	s_mul_i32 s2, s3, s2
	s_delay_alu instid0(SALU_CYCLE_1) | instskip(SKIP_2) | instid1(VALU_DEP_1)
	s_add_co_i32 s2, s2, ttmp9
	s_wait_loadcnt 0x0
	v_and_b32_e32 v1, 0xffff, v1
	v_mul_hi_u32 v2, v1, s2
	v_mul_lo_u32 v1, v1, s2
	s_delay_alu instid0(VALU_DEP_1)
	v_cmp_le_u64_e32 vcc_lo, s[4:5], v[1:2]
	s_cbranch_vccnz .LBB31_56
; %bb.1:
	s_clause 0x1
	s_load_b32 s10, s[0:1], 0x198
	s_load_b64 s[8:9], s[0:1], 0x1b0
	v_bfe_u32 v15, v0, 10, 10
	s_delay_alu instid0(VALU_DEP_1) | instskip(NEXT) | instid1(VALU_DEP_1)
	v_add_co_u32 v3, vcc_lo, v1, v15
	v_add_co_ci_u32_e64 v4, null, 0, v2, vcc_lo
	v_mov_b32_e32 v1, 0
	v_mov_b32_e32 v2, 0
	s_delay_alu instid0(VALU_DEP_3)
	v_dual_mov_b32 v6, v4 :: v_dual_mov_b32 v5, v3
	s_wait_kmcnt 0x0
	s_cmp_lt_i32 s10, 2
	s_cbranch_scc1 .LBB31_9
; %bb.2:
	s_add_co_i32 s2, s10, -1
	s_mov_b32 s3, 0
	v_dual_mov_b32 v1, 0 :: v_dual_mov_b32 v10, v4
	s_wait_alu 0xfffe
	s_lshl_b64 s[12:13], s[2:3], 3
	v_dual_mov_b32 v2, 0 :: v_dual_mov_b32 v7, 0
	v_mov_b32_e32 v9, v3
	s_add_nc_u64 s[12:13], s[0:1], s[12:13]
	s_add_co_i32 s14, s10, 1
	s_add_nc_u64 s[10:11], s[12:13], 8
.LBB31_3:                               ; =>This Inner Loop Header: Depth=1
	s_load_b64 s[12:13], s[10:11], 0x0
                                        ; implicit-def: $vgpr5_vgpr6
	s_mov_b32 s2, exec_lo
	s_wait_kmcnt 0x0
	v_or_b32_e32 v8, s13, v10
	s_delay_alu instid0(VALU_DEP_1)
	v_cmpx_ne_u64_e32 0, v[7:8]
	s_wait_alu 0xfffe
	s_xor_b32 s15, exec_lo, s2
	s_cbranch_execz .LBB31_5
; %bb.4:                                ;   in Loop: Header=BB31_3 Depth=1
	s_cvt_f32_u32 s2, s12
	s_cvt_f32_u32 s16, s13
	s_sub_nc_u64 s[18:19], 0, s[12:13]
	s_wait_alu 0xfffe
	s_delay_alu instid0(SALU_CYCLE_1) | instskip(SKIP_1) | instid1(SALU_CYCLE_2)
	s_fmamk_f32 s2, s16, 0x4f800000, s2
	s_wait_alu 0xfffe
	v_s_rcp_f32 s2, s2
	s_delay_alu instid0(TRANS32_DEP_1) | instskip(SKIP_1) | instid1(SALU_CYCLE_2)
	s_mul_f32 s2, s2, 0x5f7ffffc
	s_wait_alu 0xfffe
	s_mul_f32 s16, s2, 0x2f800000
	s_wait_alu 0xfffe
	s_delay_alu instid0(SALU_CYCLE_2) | instskip(SKIP_1) | instid1(SALU_CYCLE_2)
	s_trunc_f32 s16, s16
	s_wait_alu 0xfffe
	s_fmamk_f32 s2, s16, 0xcf800000, s2
	s_cvt_u32_f32 s17, s16
	s_wait_alu 0xfffe
	s_delay_alu instid0(SALU_CYCLE_1) | instskip(SKIP_1) | instid1(SALU_CYCLE_2)
	s_cvt_u32_f32 s16, s2
	s_wait_alu 0xfffe
	s_mul_u64 s[20:21], s[18:19], s[16:17]
	s_delay_alu instid0(SALU_CYCLE_1)
	s_mul_hi_u32 s23, s16, s21
	s_mul_i32 s22, s16, s21
	s_mul_hi_u32 s2, s16, s20
	s_mul_i32 s25, s17, s20
	s_wait_alu 0xfffe
	s_add_nc_u64 s[22:23], s[2:3], s[22:23]
	s_mul_hi_u32 s24, s17, s20
	s_mul_hi_u32 s26, s17, s21
	s_add_co_u32 s2, s22, s25
	s_add_co_ci_u32 s2, s23, s24
	s_mul_i32 s20, s17, s21
	s_add_co_ci_u32 s21, s26, 0
	s_wait_alu 0xfffe
	s_add_nc_u64 s[20:21], s[2:3], s[20:21]
	s_delay_alu instid0(SALU_CYCLE_1)
	s_add_co_u32 s16, s16, s20
	s_cselect_b32 s2, -1, 0
	s_wait_alu 0xfffe
	s_cmp_lg_u32 s2, 0
	s_add_co_ci_u32 s17, s17, s21
	s_wait_alu 0xfffe
	s_mul_u64 s[18:19], s[18:19], s[16:17]
	s_delay_alu instid0(SALU_CYCLE_1)
	s_mul_hi_u32 s21, s16, s19
	s_mul_i32 s20, s16, s19
	s_mul_hi_u32 s2, s16, s18
	s_mul_i32 s23, s17, s18
	s_wait_alu 0xfffe
	s_add_nc_u64 s[20:21], s[2:3], s[20:21]
	s_mul_hi_u32 s22, s17, s18
	s_mul_hi_u32 s24, s17, s19
	s_add_co_u32 s2, s20, s23
	s_add_co_ci_u32 s2, s21, s22
	s_mul_i32 s18, s17, s19
	s_add_co_ci_u32 s19, s24, 0
	s_wait_alu 0xfffe
	s_add_nc_u64 s[18:19], s[2:3], s[18:19]
	s_delay_alu instid0(SALU_CYCLE_1)
	s_add_co_u32 s2, s16, s18
	s_cselect_b32 s16, -1, 0
	s_wait_alu 0xfffe
	v_mul_hi_u32 v8, v9, s2
	s_cmp_lg_u32 s16, 0
	v_mad_co_u64_u32 v[11:12], null, v10, s2, 0
	s_add_co_ci_u32 s16, s17, s19
	s_wait_alu 0xfffe
	v_mad_co_u64_u32 v[5:6], null, v9, s16, 0
	v_mad_co_u64_u32 v[13:14], null, v10, s16, 0
	s_delay_alu instid0(VALU_DEP_2) | instskip(SKIP_1) | instid1(VALU_DEP_3)
	v_add_co_u32 v5, vcc_lo, v8, v5
	s_wait_alu 0xfffd
	v_add_co_ci_u32_e64 v6, null, 0, v6, vcc_lo
	s_delay_alu instid0(VALU_DEP_2) | instskip(SKIP_1) | instid1(VALU_DEP_2)
	v_add_co_u32 v5, vcc_lo, v5, v11
	s_wait_alu 0xfffd
	v_add_co_ci_u32_e32 v5, vcc_lo, v6, v12, vcc_lo
	s_wait_alu 0xfffd
	v_add_co_ci_u32_e32 v6, vcc_lo, 0, v14, vcc_lo
	s_delay_alu instid0(VALU_DEP_2) | instskip(SKIP_1) | instid1(VALU_DEP_2)
	v_add_co_u32 v8, vcc_lo, v5, v13
	s_wait_alu 0xfffd
	v_add_co_ci_u32_e64 v11, null, 0, v6, vcc_lo
	s_delay_alu instid0(VALU_DEP_2) | instskip(SKIP_1) | instid1(VALU_DEP_3)
	v_mul_lo_u32 v12, s13, v8
	v_mad_co_u64_u32 v[5:6], null, s12, v8, 0
	v_mul_lo_u32 v13, s12, v11
	s_delay_alu instid0(VALU_DEP_2) | instskip(NEXT) | instid1(VALU_DEP_2)
	v_sub_co_u32 v5, vcc_lo, v9, v5
	v_add3_u32 v6, v6, v13, v12
	v_add_co_u32 v13, s2, v8, 2
	s_wait_alu 0xf1ff
	v_add_co_ci_u32_e64 v14, null, 0, v11, s2
	s_delay_alu instid0(VALU_DEP_3) | instskip(SKIP_3) | instid1(VALU_DEP_3)
	v_sub_nc_u32_e32 v12, v10, v6
	v_sub_co_u32 v16, s2, v5, s12
	s_wait_alu 0xfffd
	v_sub_co_ci_u32_e64 v6, null, v10, v6, vcc_lo
	v_subrev_co_ci_u32_e64 v12, null, s13, v12, vcc_lo
	s_delay_alu instid0(VALU_DEP_3) | instskip(SKIP_1) | instid1(VALU_DEP_2)
	v_cmp_le_u32_e32 vcc_lo, s12, v16
	s_wait_alu 0xf1ff
	v_subrev_co_ci_u32_e64 v12, null, 0, v12, s2
	s_wait_alu 0xfffd
	v_cndmask_b32_e64 v16, 0, -1, vcc_lo
	v_cmp_eq_u32_e64 s2, s13, v6
	s_delay_alu instid0(VALU_DEP_3)
	v_cmp_le_u32_e32 vcc_lo, s13, v12
	s_wait_alu 0xfffd
	v_cndmask_b32_e64 v17, 0, -1, vcc_lo
	v_cmp_le_u32_e32 vcc_lo, s12, v5
	s_wait_alu 0xfffd
	v_cndmask_b32_e64 v5, 0, -1, vcc_lo
	;; [unrolled: 3-line block ×3, first 2 shown]
	v_cmp_eq_u32_e32 vcc_lo, s13, v12
	s_wait_alu 0xf1ff
	s_delay_alu instid0(VALU_DEP_2)
	v_cndmask_b32_e64 v5, v18, v5, s2
	s_wait_alu 0xfffd
	v_cndmask_b32_e32 v12, v17, v16, vcc_lo
	v_add_co_u32 v16, vcc_lo, v8, 1
	s_wait_alu 0xfffd
	v_add_co_ci_u32_e64 v17, null, 0, v11, vcc_lo
	s_delay_alu instid0(VALU_DEP_3) | instskip(SKIP_2) | instid1(VALU_DEP_3)
	v_cmp_ne_u32_e32 vcc_lo, 0, v12
	s_wait_alu 0xfffd
	v_cndmask_b32_e32 v12, v16, v13, vcc_lo
	v_cndmask_b32_e32 v6, v17, v14, vcc_lo
	v_cmp_ne_u32_e32 vcc_lo, 0, v5
	s_wait_alu 0xfffd
	s_delay_alu instid0(VALU_DEP_2)
	v_dual_cndmask_b32 v5, v8, v12 :: v_dual_cndmask_b32 v6, v11, v6
.LBB31_5:                               ;   in Loop: Header=BB31_3 Depth=1
	s_wait_alu 0xfffe
	s_and_not1_saveexec_b32 s2, s15
	s_cbranch_execz .LBB31_7
; %bb.6:                                ;   in Loop: Header=BB31_3 Depth=1
	v_cvt_f32_u32_e32 v5, s12
	s_sub_co_i32 s15, 0, s12
	s_delay_alu instid0(VALU_DEP_1) | instskip(NEXT) | instid1(TRANS32_DEP_1)
	v_rcp_iflag_f32_e32 v5, v5
	v_mul_f32_e32 v5, 0x4f7ffffe, v5
	s_delay_alu instid0(VALU_DEP_1) | instskip(SKIP_1) | instid1(VALU_DEP_1)
	v_cvt_u32_f32_e32 v5, v5
	s_wait_alu 0xfffe
	v_mul_lo_u32 v6, s15, v5
	s_delay_alu instid0(VALU_DEP_1) | instskip(NEXT) | instid1(VALU_DEP_1)
	v_mul_hi_u32 v6, v5, v6
	v_add_nc_u32_e32 v5, v5, v6
	s_delay_alu instid0(VALU_DEP_1) | instskip(NEXT) | instid1(VALU_DEP_1)
	v_mul_hi_u32 v5, v9, v5
	v_mul_lo_u32 v6, v5, s12
	v_add_nc_u32_e32 v8, 1, v5
	s_delay_alu instid0(VALU_DEP_2) | instskip(NEXT) | instid1(VALU_DEP_1)
	v_sub_nc_u32_e32 v6, v9, v6
	v_subrev_nc_u32_e32 v11, s12, v6
	v_cmp_le_u32_e32 vcc_lo, s12, v6
	s_wait_alu 0xfffd
	s_delay_alu instid0(VALU_DEP_2) | instskip(NEXT) | instid1(VALU_DEP_1)
	v_dual_cndmask_b32 v6, v6, v11 :: v_dual_cndmask_b32 v5, v5, v8
	v_cmp_le_u32_e32 vcc_lo, s12, v6
	s_delay_alu instid0(VALU_DEP_2) | instskip(SKIP_1) | instid1(VALU_DEP_1)
	v_add_nc_u32_e32 v8, 1, v5
	s_wait_alu 0xfffd
	v_dual_mov_b32 v6, v7 :: v_dual_cndmask_b32 v5, v5, v8
.LBB31_7:                               ;   in Loop: Header=BB31_3 Depth=1
	s_wait_alu 0xfffe
	s_or_b32 exec_lo, exec_lo, s2
	s_load_b64 s[16:17], s[10:11], 0xc8
	s_delay_alu instid0(VALU_DEP_1)
	v_mul_lo_u32 v8, v6, s12
	v_mul_lo_u32 v13, v5, s13
	v_mad_co_u64_u32 v[11:12], null, v5, s12, 0
	s_add_co_i32 s14, s14, -1
	s_add_nc_u64 s[10:11], s[10:11], -8
	s_wait_alu 0xfffe
	s_cmp_gt_u32 s14, 2
	v_add3_u32 v8, v12, v13, v8
	v_sub_co_u32 v9, vcc_lo, v9, v11
	s_wait_alu 0xfffd
	s_delay_alu instid0(VALU_DEP_2) | instskip(SKIP_1) | instid1(VALU_DEP_2)
	v_sub_co_ci_u32_e64 v8, null, v10, v8, vcc_lo
	s_wait_kmcnt 0x0
	v_mul_lo_u32 v10, s17, v9
	s_delay_alu instid0(VALU_DEP_2) | instskip(SKIP_1) | instid1(VALU_DEP_1)
	v_mul_lo_u32 v8, s16, v8
	v_mad_co_u64_u32 v[1:2], null, s16, v9, v[1:2]
	v_add3_u32 v2, v10, v2, v8
	s_cbranch_scc0 .LBB31_9
; %bb.8:                                ;   in Loop: Header=BB31_3 Depth=1
	v_dual_mov_b32 v10, v6 :: v_dual_mov_b32 v9, v5
	s_branch .LBB31_3
.LBB31_9:
	s_clause 0x1
	s_load_b32 s14, s[0:1], 0x350
	s_load_b64 s[12:13], s[0:1], 0xd0
	v_dual_mov_b32 v7, 0 :: v_dual_mov_b32 v14, v4
	v_dual_mov_b32 v8, 0 :: v_dual_mov_b32 v13, v3
	s_add_nc_u64 s[10:11], s[0:1], 0x368
	s_wait_kmcnt 0x0
	s_cmp_lt_i32 s14, 2
	s_cbranch_scc1 .LBB31_17
; %bb.10:
	s_add_co_i32 s2, s14, -1
	s_mov_b32 s3, 0
	v_dual_mov_b32 v7, 0 :: v_dual_mov_b32 v12, v4
	s_wait_alu 0xfffe
	s_lshl_b64 s[16:17], s[2:3], 3
	v_dual_mov_b32 v8, 0 :: v_dual_mov_b32 v9, 0
	v_mov_b32_e32 v11, v3
	s_wait_alu 0xfffe
	s_add_nc_u64 s[16:17], s[0:1], s[16:17]
	s_add_co_i32 s18, s14, 1
	s_wait_alu 0xfffe
	s_add_nc_u64 s[14:15], s[16:17], 0x1c0
.LBB31_11:                              ; =>This Inner Loop Header: Depth=1
	s_load_b64 s[16:17], s[14:15], 0x0
                                        ; implicit-def: $vgpr13_vgpr14
	s_mov_b32 s2, exec_lo
	s_wait_kmcnt 0x0
	v_or_b32_e32 v10, s17, v12
	s_delay_alu instid0(VALU_DEP_1)
	v_cmpx_ne_u64_e32 0, v[9:10]
	s_wait_alu 0xfffe
	s_xor_b32 s19, exec_lo, s2
	s_cbranch_execz .LBB31_13
; %bb.12:                               ;   in Loop: Header=BB31_11 Depth=1
	s_cvt_f32_u32 s2, s16
	s_cvt_f32_u32 s20, s17
	s_sub_nc_u64 s[22:23], 0, s[16:17]
	s_wait_alu 0xfffe
	s_delay_alu instid0(SALU_CYCLE_1) | instskip(SKIP_1) | instid1(SALU_CYCLE_2)
	s_fmamk_f32 s2, s20, 0x4f800000, s2
	s_wait_alu 0xfffe
	v_s_rcp_f32 s2, s2
	s_delay_alu instid0(TRANS32_DEP_1) | instskip(SKIP_1) | instid1(SALU_CYCLE_2)
	s_mul_f32 s2, s2, 0x5f7ffffc
	s_wait_alu 0xfffe
	s_mul_f32 s20, s2, 0x2f800000
	s_wait_alu 0xfffe
	s_delay_alu instid0(SALU_CYCLE_2) | instskip(SKIP_1) | instid1(SALU_CYCLE_2)
	s_trunc_f32 s20, s20
	s_wait_alu 0xfffe
	s_fmamk_f32 s2, s20, 0xcf800000, s2
	s_cvt_u32_f32 s21, s20
	s_wait_alu 0xfffe
	s_delay_alu instid0(SALU_CYCLE_1) | instskip(SKIP_1) | instid1(SALU_CYCLE_2)
	s_cvt_u32_f32 s20, s2
	s_wait_alu 0xfffe
	s_mul_u64 s[24:25], s[22:23], s[20:21]
	s_delay_alu instid0(SALU_CYCLE_1)
	s_mul_hi_u32 s27, s20, s25
	s_mul_i32 s26, s20, s25
	s_mul_hi_u32 s2, s20, s24
	s_mul_i32 s29, s21, s24
	s_wait_alu 0xfffe
	s_add_nc_u64 s[26:27], s[2:3], s[26:27]
	s_mul_hi_u32 s28, s21, s24
	s_mul_hi_u32 s30, s21, s25
	s_add_co_u32 s2, s26, s29
	s_add_co_ci_u32 s2, s27, s28
	s_mul_i32 s24, s21, s25
	s_add_co_ci_u32 s25, s30, 0
	s_wait_alu 0xfffe
	s_add_nc_u64 s[24:25], s[2:3], s[24:25]
	s_delay_alu instid0(SALU_CYCLE_1)
	s_add_co_u32 s20, s20, s24
	s_cselect_b32 s2, -1, 0
	s_wait_alu 0xfffe
	s_cmp_lg_u32 s2, 0
	s_add_co_ci_u32 s21, s21, s25
	s_wait_alu 0xfffe
	s_mul_u64 s[22:23], s[22:23], s[20:21]
	s_delay_alu instid0(SALU_CYCLE_1)
	s_mul_hi_u32 s25, s20, s23
	s_mul_i32 s24, s20, s23
	s_mul_hi_u32 s2, s20, s22
	s_mul_i32 s27, s21, s22
	s_wait_alu 0xfffe
	s_add_nc_u64 s[24:25], s[2:3], s[24:25]
	s_mul_hi_u32 s26, s21, s22
	s_mul_hi_u32 s28, s21, s23
	s_add_co_u32 s2, s24, s27
	s_add_co_ci_u32 s2, s25, s26
	s_mul_i32 s22, s21, s23
	s_add_co_ci_u32 s23, s28, 0
	s_wait_alu 0xfffe
	s_add_nc_u64 s[22:23], s[2:3], s[22:23]
	s_delay_alu instid0(SALU_CYCLE_1)
	s_add_co_u32 s2, s20, s22
	s_cselect_b32 s20, -1, 0
	s_wait_alu 0xfffe
	v_mul_hi_u32 v10, v11, s2
	s_cmp_lg_u32 s20, 0
	v_mad_co_u64_u32 v[16:17], null, v12, s2, 0
	s_add_co_ci_u32 s20, s21, s23
	s_wait_alu 0xfffe
	v_mad_co_u64_u32 v[13:14], null, v11, s20, 0
	v_mad_co_u64_u32 v[18:19], null, v12, s20, 0
	s_delay_alu instid0(VALU_DEP_2) | instskip(SKIP_1) | instid1(VALU_DEP_3)
	v_add_co_u32 v10, vcc_lo, v10, v13
	s_wait_alu 0xfffd
	v_add_co_ci_u32_e64 v13, null, 0, v14, vcc_lo
	s_delay_alu instid0(VALU_DEP_2) | instskip(SKIP_1) | instid1(VALU_DEP_2)
	v_add_co_u32 v10, vcc_lo, v10, v16
	s_wait_alu 0xfffd
	v_add_co_ci_u32_e32 v10, vcc_lo, v13, v17, vcc_lo
	s_wait_alu 0xfffd
	v_add_co_ci_u32_e32 v13, vcc_lo, 0, v19, vcc_lo
	s_delay_alu instid0(VALU_DEP_2) | instskip(SKIP_1) | instid1(VALU_DEP_2)
	v_add_co_u32 v10, vcc_lo, v10, v18
	s_wait_alu 0xfffd
	v_add_co_ci_u32_e64 v16, null, 0, v13, vcc_lo
	s_delay_alu instid0(VALU_DEP_2) | instskip(SKIP_1) | instid1(VALU_DEP_3)
	v_mul_lo_u32 v17, s17, v10
	v_mad_co_u64_u32 v[13:14], null, s16, v10, 0
	v_mul_lo_u32 v18, s16, v16
	s_delay_alu instid0(VALU_DEP_2) | instskip(NEXT) | instid1(VALU_DEP_2)
	v_sub_co_u32 v13, vcc_lo, v11, v13
	v_add3_u32 v14, v14, v18, v17
	v_add_co_u32 v18, s2, v10, 2
	s_wait_alu 0xf1ff
	v_add_co_ci_u32_e64 v19, null, 0, v16, s2
	s_delay_alu instid0(VALU_DEP_3) | instskip(SKIP_3) | instid1(VALU_DEP_3)
	v_sub_nc_u32_e32 v17, v12, v14
	v_sub_co_u32 v20, s2, v13, s16
	s_wait_alu 0xfffd
	v_sub_co_ci_u32_e64 v14, null, v12, v14, vcc_lo
	v_subrev_co_ci_u32_e64 v17, null, s17, v17, vcc_lo
	s_delay_alu instid0(VALU_DEP_3) | instskip(SKIP_1) | instid1(VALU_DEP_2)
	v_cmp_le_u32_e32 vcc_lo, s16, v20
	s_wait_alu 0xf1ff
	v_subrev_co_ci_u32_e64 v17, null, 0, v17, s2
	s_wait_alu 0xfffd
	v_cndmask_b32_e64 v20, 0, -1, vcc_lo
	v_cmp_eq_u32_e64 s2, s17, v14
	s_delay_alu instid0(VALU_DEP_3)
	v_cmp_le_u32_e32 vcc_lo, s17, v17
	s_wait_alu 0xfffd
	v_cndmask_b32_e64 v21, 0, -1, vcc_lo
	v_cmp_le_u32_e32 vcc_lo, s16, v13
	s_wait_alu 0xfffd
	v_cndmask_b32_e64 v13, 0, -1, vcc_lo
	;; [unrolled: 3-line block ×3, first 2 shown]
	v_cmp_eq_u32_e32 vcc_lo, s17, v17
	s_wait_alu 0xf1ff
	s_delay_alu instid0(VALU_DEP_2)
	v_cndmask_b32_e64 v13, v22, v13, s2
	s_wait_alu 0xfffd
	v_cndmask_b32_e32 v17, v21, v20, vcc_lo
	v_add_co_u32 v20, vcc_lo, v10, 1
	s_wait_alu 0xfffd
	v_add_co_ci_u32_e64 v21, null, 0, v16, vcc_lo
	s_delay_alu instid0(VALU_DEP_3) | instskip(SKIP_1) | instid1(VALU_DEP_2)
	v_cmp_ne_u32_e32 vcc_lo, 0, v17
	s_wait_alu 0xfffd
	v_dual_cndmask_b32 v14, v21, v19 :: v_dual_cndmask_b32 v17, v20, v18
	v_cmp_ne_u32_e32 vcc_lo, 0, v13
	s_wait_alu 0xfffd
	s_delay_alu instid0(VALU_DEP_2)
	v_dual_cndmask_b32 v14, v16, v14 :: v_dual_cndmask_b32 v13, v10, v17
.LBB31_13:                              ;   in Loop: Header=BB31_11 Depth=1
	s_wait_alu 0xfffe
	s_and_not1_saveexec_b32 s2, s19
	s_cbranch_execz .LBB31_15
; %bb.14:                               ;   in Loop: Header=BB31_11 Depth=1
	v_cvt_f32_u32_e32 v10, s16
	s_sub_co_i32 s19, 0, s16
	s_delay_alu instid0(VALU_DEP_1) | instskip(NEXT) | instid1(TRANS32_DEP_1)
	v_rcp_iflag_f32_e32 v10, v10
	v_mul_f32_e32 v10, 0x4f7ffffe, v10
	s_delay_alu instid0(VALU_DEP_1) | instskip(SKIP_1) | instid1(VALU_DEP_1)
	v_cvt_u32_f32_e32 v10, v10
	s_wait_alu 0xfffe
	v_mul_lo_u32 v13, s19, v10
	s_delay_alu instid0(VALU_DEP_1) | instskip(NEXT) | instid1(VALU_DEP_1)
	v_mul_hi_u32 v13, v10, v13
	v_add_nc_u32_e32 v10, v10, v13
	s_delay_alu instid0(VALU_DEP_1) | instskip(NEXT) | instid1(VALU_DEP_1)
	v_mul_hi_u32 v10, v11, v10
	v_mul_lo_u32 v13, v10, s16
	v_add_nc_u32_e32 v14, 1, v10
	s_delay_alu instid0(VALU_DEP_2) | instskip(NEXT) | instid1(VALU_DEP_1)
	v_sub_nc_u32_e32 v13, v11, v13
	v_subrev_nc_u32_e32 v16, s16, v13
	v_cmp_le_u32_e32 vcc_lo, s16, v13
	s_wait_alu 0xfffd
	s_delay_alu instid0(VALU_DEP_2) | instskip(NEXT) | instid1(VALU_DEP_1)
	v_dual_cndmask_b32 v13, v13, v16 :: v_dual_cndmask_b32 v10, v10, v14
	v_cmp_le_u32_e32 vcc_lo, s16, v13
	s_delay_alu instid0(VALU_DEP_2) | instskip(SKIP_1) | instid1(VALU_DEP_1)
	v_add_nc_u32_e32 v14, 1, v10
	s_wait_alu 0xfffd
	v_dual_cndmask_b32 v13, v10, v14 :: v_dual_mov_b32 v14, v9
.LBB31_15:                              ;   in Loop: Header=BB31_11 Depth=1
	s_wait_alu 0xfffe
	s_or_b32 exec_lo, exec_lo, s2
	s_load_b64 s[20:21], s[14:15], 0xc8
	s_delay_alu instid0(VALU_DEP_1)
	v_mul_lo_u32 v10, v14, s16
	v_mul_lo_u32 v18, v13, s17
	v_mad_co_u64_u32 v[16:17], null, v13, s16, 0
	s_add_co_i32 s18, s18, -1
	s_add_nc_u64 s[14:15], s[14:15], -8
	s_wait_alu 0xfffe
	s_cmp_gt_u32 s18, 2
	v_add3_u32 v10, v17, v18, v10
	v_sub_co_u32 v11, vcc_lo, v11, v16
	s_wait_alu 0xfffd
	s_delay_alu instid0(VALU_DEP_2) | instskip(SKIP_1) | instid1(VALU_DEP_2)
	v_sub_co_ci_u32_e64 v10, null, v12, v10, vcc_lo
	s_wait_kmcnt 0x0
	v_mul_lo_u32 v12, s21, v11
	s_delay_alu instid0(VALU_DEP_2) | instskip(SKIP_1) | instid1(VALU_DEP_1)
	v_mul_lo_u32 v10, s20, v10
	v_mad_co_u64_u32 v[7:8], null, s20, v11, v[7:8]
	v_add3_u32 v8, v12, v8, v10
	s_cbranch_scc0 .LBB31_17
; %bb.16:                               ;   in Loop: Header=BB31_11 Depth=1
	v_dual_mov_b32 v11, v13 :: v_dual_mov_b32 v12, v14
	s_branch .LBB31_11
.LBB31_17:
	s_load_b64 s[14:15], s[0:1], 0x288
	v_mul_lo_u32 v18, s13, v5
	v_mul_lo_u32 v6, s12, v6
	v_mad_co_u64_u32 v[9:10], null, s12, v5, 0
	v_cmp_gt_u64_e32 vcc_lo, s[4:5], v[3:4]
	s_load_b32 s2, s[10:11], 0xc
	s_clause 0x2
	s_load_b64 s[10:11], s[0:1], 0x358
	s_load_b64 s[4:5], s[0:1], 0x0
	;; [unrolled: 1-line block ×3, first 2 shown]
	v_mov_b32_e32 v5, 0
	v_lshlrev_b64_e32 v[16:17], 3, v[7:8]
	v_add3_u32 v10, v10, v6, v18
	s_delay_alu instid0(VALU_DEP_3) | instskip(NEXT) | instid1(VALU_DEP_2)
	v_dual_mov_b32 v7, v5 :: v_dual_and_b32 v6, 0x3ff, v0
	v_lshlrev_b64_e32 v[18:19], 3, v[9:10]
	v_mov_b32_e32 v8, 0
	s_delay_alu instid0(VALU_DEP_3)
	v_cmp_gt_u64_e64 s0, s[6:7], v[6:7]
	v_mov_b32_e32 v9, 0
	s_wait_kmcnt 0x0
	v_mul_lo_u32 v3, s15, v13
	v_mul_lo_u32 v4, s14, v14
	v_mad_co_u64_u32 v[11:12], null, s14, v13, 0
	v_lshlrev_b64_e32 v[13:14], 3, v[1:2]
	v_mov_b32_e32 v0, 0
	v_mov_b32_e32 v1, 0
	s_delay_alu instid0(VALU_DEP_4) | instskip(SKIP_3) | instid1(VALU_DEP_4)
	v_add3_u32 v12, v12, v4, v3
	v_add_co_u32 v4, s1, s4, v18
	v_mov_b32_e32 v2, 0
	v_mov_b32_e32 v3, 0
	v_lshlrev_b64_e32 v[10:11], 3, v[11:12]
	v_add_co_ci_u32_e64 v12, null, s5, v19, s1
	s_and_b32 s4, vcc_lo, s0
	v_add_co_u32 v10, s1, s12, v10
	s_wait_alu 0xf1ff
	v_add_co_ci_u32_e64 v11, null, s13, v11, s1
	v_add_co_u32 v7, s1, v4, v13
	s_wait_alu 0xf1ff
	v_add_co_ci_u32_e64 v12, null, v12, v14, s1
	;; [unrolled: 3-line block ×3, first 2 shown]
	s_wait_alu 0xfffe
	s_and_saveexec_b32 s3, s4
	s_cbranch_execz .LBB31_19
; %bb.18:
	v_mad_co_u64_u32 v[8:9], null, s10, v6, 0
	v_mad_co_u64_u32 v[2:3], null, s8, v6, 0
	s_delay_alu instid0(VALU_DEP_2) | instskip(NEXT) | instid1(VALU_DEP_1)
	v_mov_b32_e32 v4, v9
	v_mad_co_u64_u32 v[9:10], null, s9, v6, v[3:4]
	s_delay_alu instid0(VALU_DEP_1) | instskip(SKIP_1) | instid1(VALU_DEP_2)
	v_mov_b32_e32 v3, v9
	v_mad_co_u64_u32 v[10:11], null, s11, v6, v[4:5]
	v_lshlrev_b64_e32 v[2:3], 3, v[2:3]
	s_delay_alu instid0(VALU_DEP_2) | instskip(NEXT) | instid1(VALU_DEP_2)
	v_mov_b32_e32 v9, v10
	v_add_co_u32 v2, s1, v7, v2
	s_wait_alu 0xf1ff
	s_delay_alu instid0(VALU_DEP_3) | instskip(NEXT) | instid1(VALU_DEP_3)
	v_add_co_ci_u32_e64 v3, null, v12, v3, s1
	v_lshlrev_b64_e32 v[8:9], 3, v[8:9]
	s_delay_alu instid0(VALU_DEP_1) | instskip(SKIP_1) | instid1(VALU_DEP_2)
	v_add_co_u32 v8, s1, v13, v8
	s_wait_alu 0xf1ff
	v_add_co_ci_u32_e64 v9, null, v14, v9, s1
	global_load_b64 v[2:3], v[2:3], off
	global_load_b64 v[8:9], v[8:9], off
.LBB31_19:
	s_wait_alu 0xfffe
	s_or_b32 exec_lo, exec_lo, s3
	s_and_b32 s3, 0xffff, s2
	v_dual_mov_b32 v10, 0 :: v_dual_lshlrev_b32 v17, 8, v15
	s_wait_alu 0xfffe
	v_dual_mov_b32 v11, 0 :: v_dual_add_nc_u32 v4, s3, v6
	v_lshlrev_b32_e32 v19, 3, v6
	s_delay_alu instid0(VALU_DEP_3) | instskip(SKIP_1) | instid1(VALU_DEP_4)
	v_add_nc_u32_e32 v16, 0x1000, v17
	v_lshl_add_u32 v18, v15, 5, 0x2000
	v_cmp_gt_u64_e64 s1, s[6:7], v[4:5]
	v_cndmask_b32_e64 v20, 0, 1, s4
	v_add_nc_u32_e32 v5, v17, v19
	v_add_nc_u32_e32 v15, v16, v19
	v_add_nc_u32_e32 v21, v18, v6
	s_wait_loadcnt 0x1
	ds_store_b64 v5, v[2:3]
	s_wait_loadcnt 0x0
	ds_store_b64 v15, v[8:9]
	ds_store_b8 v21, v20
	s_and_b32 s4, vcc_lo, s1
	s_wait_alu 0xfffe
	s_and_saveexec_b32 s5, s4
	s_cbranch_execz .LBB31_21
; %bb.20:
	v_mad_co_u64_u32 v[0:1], null, s8, v4, 0
	v_mad_co_u64_u32 v[2:3], null, s10, v4, 0
	s_delay_alu instid0(VALU_DEP_1) | instskip(NEXT) | instid1(VALU_DEP_2)
	v_mad_co_u64_u32 v[8:9], null, s9, v4, v[1:2]
	v_mad_co_u64_u32 v[9:10], null, s11, v4, v[3:4]
	s_delay_alu instid0(VALU_DEP_2) | instskip(NEXT) | instid1(VALU_DEP_2)
	v_mov_b32_e32 v1, v8
	v_mov_b32_e32 v3, v9
	s_delay_alu instid0(VALU_DEP_2) | instskip(NEXT) | instid1(VALU_DEP_2)
	v_lshlrev_b64_e32 v[0:1], 3, v[0:1]
	v_lshlrev_b64_e32 v[2:3], 3, v[2:3]
	s_delay_alu instid0(VALU_DEP_2) | instskip(SKIP_1) | instid1(VALU_DEP_3)
	v_add_co_u32 v0, s2, v7, v0
	s_wait_alu 0xf1ff
	v_add_co_ci_u32_e64 v1, null, v12, v1, s2
	s_delay_alu instid0(VALU_DEP_3)
	v_add_co_u32 v2, s2, v13, v2
	s_wait_alu 0xf1ff
	v_add_co_ci_u32_e64 v3, null, v14, v3, s2
	global_load_b64 v[0:1], v[0:1], off
	global_load_b64 v[10:11], v[2:3], off
.LBB31_21:
	s_wait_alu 0xfffe
	s_or_b32 exec_lo, exec_lo, s5
	s_lshl_b32 s2, s3, 3
	v_lshlrev_b32_e32 v22, 1, v6
	s_wait_alu 0xfffe
	v_add_nc_u32_e32 v8, s2, v5
	v_add_nc_u32_e32 v9, s2, v15
	v_cndmask_b32_e64 v2, 0, 1, s4
	v_add_nc_u32_e32 v3, v18, v4
	v_and_b32_e32 v20, 1, v6
	s_wait_loadcnt 0x1
	ds_store_b64 v8, v[0:1]
	s_wait_loadcnt 0x0
	ds_store_b64 v9, v[10:11]
	ds_store_b8 v3, v2
	v_add_nc_u32_e32 v10, v18, v22
	v_add_nc_u32_e32 v11, v5, v19
	s_wait_dscnt 0x0
	s_barrier_signal -1
	s_barrier_wait -1
	global_inv scope:SCOPE_SE
	ds_load_u16 v24, v10
	ds_load_b128 v[0:3], v11
	s_wait_dscnt 0x1
	v_lshrrev_b16 v21, 8, v24
	v_and_b32_e32 v23, 1, v24
	s_wait_dscnt 0x0
	v_cmp_gt_i64_e64 s2, v[0:1], v[2:3]
	s_delay_alu instid0(VALU_DEP_3) | instskip(NEXT) | instid1(VALU_DEP_3)
	v_cmp_ne_u16_e64 s4, v21, v20
	v_cmp_eq_u32_e64 s3, 1, v23
	s_wait_alu 0xf1ff
	s_delay_alu instid0(VALU_DEP_2) | instskip(SKIP_2) | instid1(VALU_DEP_1)
	v_cndmask_b32_e64 v23, 0, 1, s4
	s_and_b32 s2, s2, s3
	s_wait_alu 0xfffe
	v_cndmask_b32_e64 v23, v23, v6, s2
	s_delay_alu instid0(VALU_DEP_1) | instskip(NEXT) | instid1(VALU_DEP_1)
	v_and_b32_e32 v23, 1, v23
	v_cmp_eq_u32_e64 s2, 1, v23
	v_add_nc_u32_e32 v23, v15, v19
	s_and_saveexec_b32 s3, s2
	s_wait_alu 0xfffe
	s_xor_b32 s2, exec_lo, s3
	s_cbranch_execz .LBB31_23
; %bb.22:
	ds_load_b128 v[25:28], v23
	v_mov_b32_e32 v31, v0
	v_lshlrev_b16 v0, 8, v24
	v_dual_mov_b32 v29, v2 :: v_dual_mov_b32 v30, v3
	v_mov_b32_e32 v32, v1
	s_delay_alu instid0(VALU_DEP_3)
	v_or_b32_e32 v0, v21, v0
	s_wait_dscnt 0x0
	v_dual_mov_b32 v33, v27 :: v_dual_mov_b32 v36, v26
	v_dual_mov_b32 v34, v28 :: v_dual_mov_b32 v35, v25
	ds_store_b128 v23, v[33:36]
	ds_store_b128 v11, v[29:32]
	ds_store_b16 v10, v0
.LBB31_23:
	s_wait_alu 0xfffe
	s_or_b32 exec_lo, exec_lo, s2
	v_sub_nc_u32_e32 v21, v22, v20
	s_wait_loadcnt_dscnt 0x0
	s_barrier_signal -1
	s_barrier_wait -1
	global_inv scope:SCOPE_SE
	v_add_nc_u32_e32 v19, v18, v21
	v_lshl_add_u32 v20, v21, 3, v17
	v_bfe_u32 v27, v6, 1, 1
	v_lshl_add_u32 v21, v21, 3, v16
	ds_load_u8 v25, v19
	ds_load_2addr_b64 v[0:3], v20 offset1:2
	ds_load_u8 v26, v19 offset:2
	s_wait_dscnt 0x2
	v_and_b32_e32 v24, 1, v25
	s_wait_dscnt 0x1
	v_cmp_gt_i64_e64 s2, v[0:1], v[2:3]
	s_wait_dscnt 0x0
	v_cmp_ne_u16_e64 s4, v26, v27
	v_cmp_eq_u32_e64 s3, 1, v24
	s_wait_alu 0xf1ff
	s_delay_alu instid0(VALU_DEP_2) | instskip(SKIP_2) | instid1(VALU_DEP_1)
	v_cndmask_b32_e64 v24, 0, 1, s4
	s_and_b32 s2, s2, s3
	s_wait_alu 0xfffe
	v_cndmask_b32_e64 v27, v24, v27, s2
	v_and_b32_e32 v24, 2, v6
	s_delay_alu instid0(VALU_DEP_2) | instskip(NEXT) | instid1(VALU_DEP_2)
	v_and_b32_e32 v27, 1, v27
	v_cmp_ne_u32_e64 s2, 0, v24
	s_delay_alu instid0(VALU_DEP_2)
	v_cmp_eq_u32_e64 s3, 1, v27
	s_and_saveexec_b32 s4, s3
	s_wait_alu 0xfffe
	s_xor_b32 s3, exec_lo, s4
	s_cbranch_execz .LBB31_25
; %bb.24:
	ds_load_2addr_b64 v[27:30], v21 offset1:2
	ds_store_2addr_b64 v20, v[2:3], v[0:1] offset1:2
	s_wait_dscnt 0x1
	ds_store_2addr_b64 v21, v[29:30], v[27:28] offset1:2
	ds_store_b8 v19, v26
	ds_store_b8 v19, v25 offset:2
.LBB31_25:
	s_wait_alu 0xfffe
	s_or_b32 exec_lo, exec_lo, s3
	s_wait_loadcnt_dscnt 0x0
	s_barrier_signal -1
	s_barrier_wait -1
	global_inv scope:SCOPE_SE
	ds_load_u16 v25, v10
	ds_load_b128 v[0:3], v11
	v_lshrrev_b32_e32 v26, 1, v24
	v_cndmask_b32_e64 v28, 0, 1, s2
	s_wait_dscnt 0x1
	v_lshrrev_b16 v24, 8, v25
	v_and_b32_e32 v27, 1, v25
	s_wait_dscnt 0x0
	v_cmp_gt_i64_e64 s2, v[0:1], v[2:3]
	s_delay_alu instid0(VALU_DEP_3) | instskip(NEXT) | instid1(VALU_DEP_3)
	v_cmp_ne_u16_e64 s4, v24, v26
	v_cmp_eq_u32_e64 s3, 1, v27
	s_wait_alu 0xf1ff
	s_delay_alu instid0(VALU_DEP_2) | instskip(SKIP_3) | instid1(VALU_DEP_1)
	v_cndmask_b32_e64 v26, 0, 1, s4
	s_and_b32 s2, s2, s3
	s_mov_b32 s3, exec_lo
	s_wait_alu 0xfffe
	v_cndmask_b32_e64 v26, v26, v28, s2
	s_delay_alu instid0(VALU_DEP_1) | instskip(NEXT) | instid1(VALU_DEP_1)
	v_and_b32_e32 v26, 1, v26
	v_cmpx_eq_u32_e32 1, v26
	s_cbranch_execz .LBB31_27
; %bb.26:
	ds_load_b128 v[26:29], v23
	v_mov_b32_e32 v32, v0
	v_lshlrev_b16 v0, 8, v25
	v_dual_mov_b32 v30, v2 :: v_dual_mov_b32 v31, v3
	v_mov_b32_e32 v33, v1
	s_delay_alu instid0(VALU_DEP_3)
	v_or_b32_e32 v0, v24, v0
	s_wait_dscnt 0x0
	v_dual_mov_b32 v34, v28 :: v_dual_mov_b32 v37, v27
	v_dual_mov_b32 v35, v29 :: v_dual_mov_b32 v36, v26
	ds_store_b128 v23, v[34:37]
	ds_store_b128 v11, v[30:33]
	ds_store_b16 v10, v0
.LBB31_27:
	s_or_b32 exec_lo, exec_lo, s3
	v_and_b32_e32 v0, 3, v6
	s_wait_loadcnt_dscnt 0x0
	s_barrier_signal -1
	s_barrier_wait -1
	global_inv scope:SCOPE_SE
	v_sub_nc_u32_e32 v26, v22, v0
	v_bfe_u32 v29, v6, 2, 1
	s_delay_alu instid0(VALU_DEP_2)
	v_add_nc_u32_e32 v23, v18, v26
	v_lshl_add_u32 v24, v26, 3, v17
	v_lshl_add_u32 v26, v26, 3, v16
	ds_load_u8 v27, v23
	ds_load_2addr_b64 v[0:3], v24 offset1:4
	ds_load_u8 v28, v23 offset:4
	s_wait_dscnt 0x2
	v_and_b32_e32 v25, 1, v27
	s_wait_dscnt 0x1
	v_cmp_gt_i64_e64 s2, v[0:1], v[2:3]
	s_wait_dscnt 0x0
	v_cmp_ne_u16_e64 s4, v28, v29
	v_cmp_eq_u32_e64 s3, 1, v25
	s_wait_alu 0xf1ff
	s_delay_alu instid0(VALU_DEP_2) | instskip(SKIP_3) | instid1(VALU_DEP_1)
	v_cndmask_b32_e64 v25, 0, 1, s4
	s_mov_b32 s4, exec_lo
	s_and_b32 s2, s2, s3
	s_wait_alu 0xfffe
	v_cndmask_b32_e64 v29, v25, v29, s2
	v_and_b32_e32 v25, 4, v6
	s_delay_alu instid0(VALU_DEP_2) | instskip(NEXT) | instid1(VALU_DEP_2)
	v_and_b32_e32 v29, 1, v29
	v_cmp_ne_u32_e64 s2, 0, v25
	s_delay_alu instid0(VALU_DEP_2)
	v_cmpx_eq_u32_e32 1, v29
	s_cbranch_execz .LBB31_29
; %bb.28:
	ds_load_2addr_b64 v[29:32], v26 offset1:4
	ds_store_2addr_b64 v24, v[2:3], v[0:1] offset1:4
	s_wait_dscnt 0x1
	ds_store_2addr_b64 v26, v[31:32], v[29:30] offset1:4
	ds_store_b8 v23, v28
	ds_store_b8 v23, v27 offset:4
.LBB31_29:
	s_or_b32 exec_lo, exec_lo, s4
	s_wait_loadcnt_dscnt 0x0
	s_barrier_signal -1
	s_barrier_wait -1
	global_inv scope:SCOPE_SE
	ds_load_u8 v28, v19
	ds_load_2addr_b64 v[0:3], v20 offset1:2
	ds_load_u8 v29, v19 offset:2
	v_lshrrev_b32_e32 v25, 2, v25
	v_cndmask_b32_e64 v27, 0, 1, s2
	s_wait_dscnt 0x2
	v_and_b32_e32 v30, 1, v28
	s_wait_dscnt 0x1
	v_cmp_gt_i64_e64 s2, v[0:1], v[2:3]
	s_wait_dscnt 0x0
	v_cmp_ne_u16_e64 s4, v29, v25
	v_cmp_eq_u32_e64 s3, 1, v30
	s_wait_alu 0xf1ff
	s_delay_alu instid0(VALU_DEP_2) | instskip(SKIP_3) | instid1(VALU_DEP_1)
	v_cndmask_b32_e64 v30, 0, 1, s4
	s_and_b32 s2, s2, s3
	s_mov_b32 s3, exec_lo
	s_wait_alu 0xfffe
	v_cndmask_b32_e64 v30, v30, v27, s2
	s_delay_alu instid0(VALU_DEP_1) | instskip(NEXT) | instid1(VALU_DEP_1)
	v_and_b32_e32 v30, 1, v30
	v_cmpx_eq_u32_e32 1, v30
	s_cbranch_execz .LBB31_31
; %bb.30:
	ds_load_2addr_b64 v[30:33], v21 offset1:2
	ds_store_2addr_b64 v20, v[2:3], v[0:1] offset1:2
	s_wait_dscnt 0x1
	ds_store_2addr_b64 v21, v[32:33], v[30:31] offset1:2
	ds_store_b8 v19, v29
	ds_store_b8 v19, v28 offset:2
.LBB31_31:
	s_or_b32 exec_lo, exec_lo, s3
	s_wait_loadcnt_dscnt 0x0
	s_barrier_signal -1
	s_barrier_wait -1
	global_inv scope:SCOPE_SE
	ds_load_u16 v29, v10
	ds_load_b128 v[0:3], v11
	s_wait_dscnt 0x1
	v_lshrrev_b16 v28, 8, v29
	v_and_b32_e32 v30, 1, v29
	s_wait_dscnt 0x0
	v_cmp_gt_i64_e64 s2, v[0:1], v[2:3]
	s_delay_alu instid0(VALU_DEP_3) | instskip(NEXT) | instid1(VALU_DEP_3)
	v_cmp_ne_u16_e64 s4, v28, v25
	v_cmp_eq_u32_e64 s3, 1, v30
	s_wait_alu 0xf1ff
	s_delay_alu instid0(VALU_DEP_2) | instskip(SKIP_2) | instid1(VALU_DEP_1)
	v_cndmask_b32_e64 v25, 0, 1, s4
	s_and_b32 s2, s2, s3
	s_wait_alu 0xfffe
	v_cndmask_b32_e64 v25, v25, v27, s2
	s_delay_alu instid0(VALU_DEP_1) | instskip(NEXT) | instid1(VALU_DEP_1)
	v_and_b32_e32 v25, 1, v25
	v_cmp_eq_u32_e64 s2, 1, v25
	v_lshl_add_u32 v25, v22, 3, v16
	s_and_saveexec_b32 s3, s2
	s_cbranch_execz .LBB31_33
; %bb.32:
	ds_load_b128 v[30:33], v25
	v_mov_b32_e32 v36, v0
	v_lshlrev_b16 v0, 8, v29
	v_dual_mov_b32 v34, v2 :: v_dual_mov_b32 v35, v3
	v_mov_b32_e32 v37, v1
	s_delay_alu instid0(VALU_DEP_3)
	v_or_b32_e32 v0, v28, v0
	s_wait_dscnt 0x0
	v_dual_mov_b32 v38, v32 :: v_dual_mov_b32 v41, v31
	v_dual_mov_b32 v39, v33 :: v_dual_mov_b32 v40, v30
	ds_store_b128 v25, v[38:41]
	ds_store_b128 v11, v[34:37]
	ds_store_b16 v10, v0
.LBB31_33:
	s_wait_alu 0xfffe
	s_or_b32 exec_lo, exec_lo, s3
	v_and_b32_e32 v0, 7, v6
	s_wait_loadcnt_dscnt 0x0
	s_barrier_signal -1
	s_barrier_wait -1
	global_inv scope:SCOPE_SE
	v_sub_nc_u32_e32 v29, v22, v0
	v_bfe_u32 v33, v6, 3, 1
	s_delay_alu instid0(VALU_DEP_2)
	v_add_nc_u32_e32 v27, v18, v29
	v_lshl_add_u32 v28, v29, 3, v17
	v_lshl_add_u32 v29, v29, 3, v16
	ds_load_u8 v31, v27
	ds_load_2addr_b64 v[0:3], v28 offset1:8
	ds_load_u8 v32, v27 offset:8
	s_wait_dscnt 0x2
	v_and_b32_e32 v30, 1, v31
	s_wait_dscnt 0x1
	v_cmp_gt_i64_e64 s2, v[0:1], v[2:3]
	s_wait_dscnt 0x0
	v_cmp_ne_u16_e64 s4, v32, v33
	v_cmp_eq_u32_e64 s3, 1, v30
	s_wait_alu 0xf1ff
	s_delay_alu instid0(VALU_DEP_2) | instskip(SKIP_3) | instid1(VALU_DEP_1)
	v_cndmask_b32_e64 v30, 0, 1, s4
	s_mov_b32 s4, exec_lo
	s_and_b32 s2, s2, s3
	s_wait_alu 0xfffe
	v_cndmask_b32_e64 v33, v30, v33, s2
	v_and_b32_e32 v30, 8, v6
	s_delay_alu instid0(VALU_DEP_2) | instskip(NEXT) | instid1(VALU_DEP_2)
	v_and_b32_e32 v33, 1, v33
	v_cmp_ne_u32_e64 s2, 0, v30
	s_delay_alu instid0(VALU_DEP_2)
	v_cmpx_eq_u32_e32 1, v33
	s_cbranch_execz .LBB31_35
; %bb.34:
	ds_load_2addr_b64 v[33:36], v29 offset1:8
	ds_store_2addr_b64 v28, v[2:3], v[0:1] offset1:8
	s_wait_dscnt 0x1
	ds_store_2addr_b64 v29, v[35:36], v[33:34] offset1:8
	ds_store_b8 v27, v32
	ds_store_b8 v27, v31 offset:8
.LBB31_35:
	s_or_b32 exec_lo, exec_lo, s4
	s_wait_loadcnt_dscnt 0x0
	s_barrier_signal -1
	s_barrier_wait -1
	global_inv scope:SCOPE_SE
	ds_load_u8 v32, v23
	ds_load_2addr_b64 v[0:3], v24 offset1:4
	ds_load_u8 v33, v23 offset:4
	v_lshrrev_b32_e32 v30, 3, v30
	v_cndmask_b32_e64 v31, 0, 1, s2
	s_wait_dscnt 0x2
	v_and_b32_e32 v34, 1, v32
	s_wait_dscnt 0x1
	v_cmp_gt_i64_e64 s2, v[0:1], v[2:3]
	s_wait_dscnt 0x0
	v_cmp_ne_u16_e64 s4, v33, v30
	v_cmp_eq_u32_e64 s3, 1, v34
	s_wait_alu 0xf1ff
	s_delay_alu instid0(VALU_DEP_2) | instskip(SKIP_3) | instid1(VALU_DEP_1)
	v_cndmask_b32_e64 v34, 0, 1, s4
	s_and_b32 s2, s2, s3
	s_mov_b32 s3, exec_lo
	s_wait_alu 0xfffe
	v_cndmask_b32_e64 v34, v34, v31, s2
	s_delay_alu instid0(VALU_DEP_1) | instskip(NEXT) | instid1(VALU_DEP_1)
	v_and_b32_e32 v34, 1, v34
	v_cmpx_eq_u32_e32 1, v34
	s_cbranch_execz .LBB31_37
; %bb.36:
	ds_load_2addr_b64 v[34:37], v26 offset1:4
	ds_store_2addr_b64 v24, v[2:3], v[0:1] offset1:4
	s_wait_dscnt 0x1
	ds_store_2addr_b64 v26, v[36:37], v[34:35] offset1:4
	ds_store_b8 v23, v33
	ds_store_b8 v23, v32 offset:4
.LBB31_37:
	s_or_b32 exec_lo, exec_lo, s3
	s_wait_loadcnt_dscnt 0x0
	s_barrier_signal -1
	s_barrier_wait -1
	global_inv scope:SCOPE_SE
	ds_load_u8 v32, v19
	ds_load_2addr_b64 v[0:3], v20 offset1:2
	ds_load_u8 v33, v19 offset:2
	s_wait_dscnt 0x2
	v_and_b32_e32 v34, 1, v32
	s_wait_dscnt 0x1
	v_cmp_gt_i64_e64 s2, v[0:1], v[2:3]
	s_wait_dscnt 0x0
	v_cmp_ne_u16_e64 s4, v33, v30
	v_cmp_eq_u32_e64 s3, 1, v34
	s_wait_alu 0xf1ff
	s_delay_alu instid0(VALU_DEP_2) | instskip(SKIP_3) | instid1(VALU_DEP_1)
	v_cndmask_b32_e64 v34, 0, 1, s4
	s_and_b32 s2, s2, s3
	s_mov_b32 s3, exec_lo
	s_wait_alu 0xfffe
	v_cndmask_b32_e64 v34, v34, v31, s2
	s_delay_alu instid0(VALU_DEP_1) | instskip(NEXT) | instid1(VALU_DEP_1)
	v_and_b32_e32 v34, 1, v34
	v_cmpx_eq_u32_e32 1, v34
	s_cbranch_execz .LBB31_39
; %bb.38:
	ds_load_2addr_b64 v[34:37], v21 offset1:2
	ds_store_2addr_b64 v20, v[2:3], v[0:1] offset1:2
	s_wait_dscnt 0x1
	ds_store_2addr_b64 v21, v[36:37], v[34:35] offset1:2
	ds_store_b8 v19, v33
	ds_store_b8 v19, v32 offset:2
.LBB31_39:
	s_or_b32 exec_lo, exec_lo, s3
	s_wait_loadcnt_dscnt 0x0
	s_barrier_signal -1
	s_barrier_wait -1
	global_inv scope:SCOPE_SE
	ds_load_u16 v33, v10
	ds_load_b128 v[0:3], v11
	s_wait_dscnt 0x1
	v_lshrrev_b16 v32, 8, v33
	v_and_b32_e32 v34, 1, v33
	s_wait_dscnt 0x0
	v_cmp_gt_i64_e64 s2, v[0:1], v[2:3]
	s_delay_alu instid0(VALU_DEP_3) | instskip(NEXT) | instid1(VALU_DEP_3)
	v_cmp_ne_u16_e64 s4, v32, v30
	v_cmp_eq_u32_e64 s3, 1, v34
	s_wait_alu 0xf1ff
	s_delay_alu instid0(VALU_DEP_2) | instskip(SKIP_3) | instid1(VALU_DEP_1)
	v_cndmask_b32_e64 v30, 0, 1, s4
	s_and_b32 s2, s2, s3
	s_mov_b32 s3, exec_lo
	s_wait_alu 0xfffe
	v_cndmask_b32_e64 v30, v30, v31, s2
	s_delay_alu instid0(VALU_DEP_1) | instskip(NEXT) | instid1(VALU_DEP_1)
	v_and_b32_e32 v30, 1, v30
	v_cmpx_eq_u32_e32 1, v30
	s_cbranch_execz .LBB31_41
; %bb.40:
	ds_load_b128 v[34:37], v25
	v_mov_b32_e32 v40, v0
	v_lshlrev_b16 v0, 8, v33
	v_dual_mov_b32 v38, v2 :: v_dual_mov_b32 v39, v3
	v_mov_b32_e32 v41, v1
	s_delay_alu instid0(VALU_DEP_3)
	v_or_b32_e32 v0, v32, v0
	s_wait_dscnt 0x0
	v_dual_mov_b32 v42, v36 :: v_dual_mov_b32 v45, v35
	v_dual_mov_b32 v43, v37 :: v_dual_mov_b32 v44, v34
	ds_store_b128 v25, v[42:45]
	ds_store_b128 v11, v[38:41]
	ds_store_b16 v10, v0
.LBB31_41:
	s_or_b32 exec_lo, exec_lo, s3
	v_and_b32_e32 v0, 15, v6
	s_wait_loadcnt_dscnt 0x0
	s_barrier_signal -1
	s_barrier_wait -1
	global_inv scope:SCOPE_SE
	v_sub_nc_u32_e32 v22, v22, v0
	s_delay_alu instid0(VALU_DEP_1)
	v_add_nc_u32_e32 v18, v18, v22
	v_lshl_add_u32 v17, v22, 3, v17
	ds_load_u8 v30, v18
	ds_load_u8 v31, v18 offset:16
	ds_load_2addr_b64 v[0:3], v17 offset1:16
	s_wait_dscnt 0x1
	v_and_b32_e32 v31, 0xff, v31
	v_and_b32_e32 v32, 1, v30
	s_wait_dscnt 0x0
	v_cmp_le_i64_e64 s3, v[0:1], v[2:3]
	s_delay_alu instid0(VALU_DEP_3) | instskip(NEXT) | instid1(VALU_DEP_3)
	v_cmp_ne_u16_e64 s4, 0, v31
	v_cmp_eq_u32_e64 s2, 1, v32
	s_xor_b32 s2, s2, -1
	s_wait_alu 0xfffe
	s_or_b32 s2, s3, s2
	s_wait_alu 0xfffe
	s_and_b32 s3, s2, s4
	s_wait_alu 0xfffe
	s_and_saveexec_b32 s2, s3
	s_cbranch_execz .LBB31_43
; %bb.42:
	v_lshl_add_u32 v16, v22, 3, v16
	v_mov_b32_e32 v22, 1
	ds_load_2addr_b64 v[31:34], v16 offset1:16
	ds_store_2addr_b64 v17, v[2:3], v[0:1] offset1:16
	s_wait_dscnt 0x1
	ds_store_2addr_b64 v16, v[33:34], v[31:32] offset1:16
	ds_store_b8 v18, v22
	ds_store_b8 v18, v30 offset:16
.LBB31_43:
	s_wait_alu 0xfffe
	s_or_b32 exec_lo, exec_lo, s2
	s_wait_loadcnt_dscnt 0x0
	s_barrier_signal -1
	s_barrier_wait -1
	global_inv scope:SCOPE_SE
	ds_load_u8 v16, v27
	ds_load_u8 v17, v27 offset:8
	ds_load_2addr_b64 v[0:3], v28 offset1:8
	s_wait_dscnt 0x2
	v_and_b32_e32 v18, 1, v16
	s_wait_dscnt 0x1
	v_and_b32_e32 v17, 0xff, v17
	s_wait_dscnt 0x0
	v_cmp_le_i64_e64 s3, v[0:1], v[2:3]
	v_cmp_eq_u32_e64 s2, 1, v18
	s_delay_alu instid0(VALU_DEP_3)
	v_cmp_ne_u16_e64 s4, 0, v17
	s_xor_b32 s2, s2, -1
	s_wait_alu 0xfffe
	s_or_b32 s2, s3, s2
	s_wait_alu 0xfffe
	s_and_b32 s3, s2, s4
	s_wait_alu 0xfffe
	s_and_saveexec_b32 s2, s3
	s_cbranch_execz .LBB31_45
; %bb.44:
	ds_load_2addr_b64 v[30:33], v29 offset1:8
	v_mov_b32_e32 v17, 1
	ds_store_2addr_b64 v28, v[2:3], v[0:1] offset1:8
	s_wait_dscnt 0x1
	ds_store_2addr_b64 v29, v[32:33], v[30:31] offset1:8
	ds_store_b8 v27, v17
	ds_store_b8 v27, v16 offset:8
.LBB31_45:
	s_wait_alu 0xfffe
	s_or_b32 exec_lo, exec_lo, s2
	s_wait_loadcnt_dscnt 0x0
	s_barrier_signal -1
	s_barrier_wait -1
	global_inv scope:SCOPE_SE
	ds_load_u8 v16, v23
	ds_load_u8 v17, v23 offset:4
	ds_load_2addr_b64 v[0:3], v24 offset1:4
	s_wait_dscnt 0x2
	v_and_b32_e32 v18, 1, v16
	s_wait_dscnt 0x1
	v_and_b32_e32 v17, 0xff, v17
	s_wait_dscnt 0x0
	v_cmp_le_i64_e64 s3, v[0:1], v[2:3]
	v_cmp_eq_u32_e64 s2, 1, v18
	s_delay_alu instid0(VALU_DEP_3)
	v_cmp_ne_u16_e64 s4, 0, v17
	s_xor_b32 s2, s2, -1
	s_wait_alu 0xfffe
	s_or_b32 s2, s3, s2
	s_wait_alu 0xfffe
	s_and_b32 s3, s2, s4
	s_wait_alu 0xfffe
	s_and_saveexec_b32 s2, s3
	s_cbranch_execz .LBB31_47
; %bb.46:
	ds_load_2addr_b64 v[27:30], v26 offset1:4
	v_mov_b32_e32 v17, 1
	ds_store_2addr_b64 v24, v[2:3], v[0:1] offset1:4
	s_wait_dscnt 0x1
	ds_store_2addr_b64 v26, v[29:30], v[27:28] offset1:4
	ds_store_b8 v23, v17
	ds_store_b8 v23, v16 offset:4
.LBB31_47:
	;; [unrolled: 35-line block ×3, first 2 shown]
	s_wait_alu 0xfffe
	s_or_b32 exec_lo, exec_lo, s2
	s_wait_loadcnt_dscnt 0x0
	s_barrier_signal -1
	s_barrier_wait -1
	global_inv scope:SCOPE_SE
	ds_load_u16 v16, v10
	ds_load_b128 v[0:3], v11
	s_wait_dscnt 0x1
	v_and_b32_e32 v17, 1, v16
	v_lshrrev_b16 v18, 8, v16
	s_wait_dscnt 0x0
	v_cmp_le_i64_e64 s3, v[0:1], v[2:3]
	s_delay_alu instid0(VALU_DEP_3) | instskip(NEXT) | instid1(VALU_DEP_3)
	v_cmp_eq_u32_e64 s2, 1, v17
	v_cmp_ne_u16_e64 s4, 0, v18
	s_xor_b32 s2, s2, -1
	s_wait_alu 0xfffe
	s_or_b32 s2, s3, s2
	s_wait_alu 0xfffe
	s_and_b32 s3, s2, s4
	s_wait_alu 0xfffe
	s_and_saveexec_b32 s2, s3
	s_cbranch_execz .LBB31_51
; %bb.50:
	ds_load_b128 v[17:20], v25
	v_mov_b32_e32 v23, v0
	v_lshlrev_b16 v0, 8, v16
	v_dual_mov_b32 v21, v2 :: v_dual_mov_b32 v22, v3
	v_mov_b32_e32 v24, v1
	s_delay_alu instid0(VALU_DEP_3)
	v_or_b32_e32 v0, 1, v0
	s_wait_dscnt 0x0
	v_dual_mov_b32 v26, v19 :: v_dual_mov_b32 v27, v20
	v_dual_mov_b32 v28, v17 :: v_dual_mov_b32 v29, v18
	ds_store_b128 v25, v[26:29]
	ds_store_b128 v11, v[21:24]
	ds_store_b16 v10, v0
.LBB31_51:
	s_wait_alu 0xfffe
	s_or_b32 exec_lo, exec_lo, s2
	s_wait_loadcnt_dscnt 0x0
	s_barrier_signal -1
	s_barrier_wait -1
	global_inv scope:SCOPE_SE
	s_and_saveexec_b32 s2, vcc_lo
	s_cbranch_execz .LBB31_56
; %bb.52:
	s_and_saveexec_b32 s2, s0
	s_cbranch_execz .LBB31_54
; %bb.53:
	v_mad_co_u64_u32 v[0:1], null, s8, v6, 0
	v_mad_co_u64_u32 v[2:3], null, s10, v6, 0
	s_delay_alu instid0(VALU_DEP_1) | instskip(NEXT) | instid1(VALU_DEP_2)
	v_mad_co_u64_u32 v[10:11], null, s9, v6, v[1:2]
	v_mad_co_u64_u32 v[16:17], null, s11, v6, v[3:4]
	s_delay_alu instid0(VALU_DEP_2) | instskip(SKIP_4) | instid1(VALU_DEP_2)
	v_mov_b32_e32 v1, v10
	ds_load_b64 v[5:6], v5
	ds_load_b64 v[10:11], v15
	v_mov_b32_e32 v3, v16
	v_lshlrev_b64_e32 v[0:1], 3, v[0:1]
	v_lshlrev_b64_e32 v[2:3], 3, v[2:3]
	s_delay_alu instid0(VALU_DEP_2) | instskip(SKIP_1) | instid1(VALU_DEP_3)
	v_add_co_u32 v0, vcc_lo, v7, v0
	s_wait_alu 0xfffd
	v_add_co_ci_u32_e64 v1, null, v12, v1, vcc_lo
	s_delay_alu instid0(VALU_DEP_3)
	v_add_co_u32 v2, vcc_lo, v13, v2
	s_wait_alu 0xfffd
	v_add_co_ci_u32_e64 v3, null, v14, v3, vcc_lo
	s_wait_dscnt 0x1
	global_store_b64 v[0:1], v[5:6], off
	s_wait_dscnt 0x0
	global_store_b64 v[2:3], v[10:11], off
.LBB31_54:
	s_wait_alu 0xfffe
	s_or_b32 exec_lo, exec_lo, s2
	s_delay_alu instid0(SALU_CYCLE_1)
	s_and_b32 exec_lo, exec_lo, s1
	s_cbranch_execz .LBB31_56
; %bb.55:
	v_mad_co_u64_u32 v[0:1], null, s8, v4, 0
	v_mad_co_u64_u32 v[2:3], null, s10, v4, 0
	s_delay_alu instid0(VALU_DEP_1) | instskip(NEXT) | instid1(VALU_DEP_2)
	v_mad_co_u64_u32 v[5:6], null, s9, v4, v[1:2]
	v_mad_co_u64_u32 v[3:4], null, s11, v4, v[3:4]
	s_delay_alu instid0(VALU_DEP_2) | instskip(SKIP_4) | instid1(VALU_DEP_1)
	v_mov_b32_e32 v1, v5
	ds_load_b64 v[4:5], v8
	ds_load_b64 v[8:9], v9
	v_lshlrev_b64_e32 v[2:3], 3, v[2:3]
	v_lshlrev_b64_e32 v[0:1], 3, v[0:1]
	v_add_co_u32 v0, vcc_lo, v7, v0
	s_wait_alu 0xfffd
	s_delay_alu instid0(VALU_DEP_2) | instskip(NEXT) | instid1(VALU_DEP_4)
	v_add_co_ci_u32_e64 v1, null, v12, v1, vcc_lo
	v_add_co_u32 v2, vcc_lo, v13, v2
	s_wait_alu 0xfffd
	v_add_co_ci_u32_e64 v3, null, v14, v3, vcc_lo
	s_wait_dscnt 0x1
	global_store_b64 v[0:1], v[4:5], off
	s_wait_dscnt 0x0
	global_store_b64 v[2:3], v[8:9], off
.LBB31_56:
	s_endpgm
	.section	.rodata,"a",@progbits
	.p2align	6, 0x0
	.amdhsa_kernel _ZN2at6native20bitonicSortKVInPlaceILin1ELin1ELi16ELi16EllNS0_4GTOpIlLb1EEEmEEvNS_4cuda6detail10TensorInfoIT3_T6_EES8_S8_S8_NS6_IT4_S8_EES8_T5_
		.amdhsa_group_segment_fixed_size 8704
		.amdhsa_private_segment_fixed_size 0
		.amdhsa_kernarg_size 1128
		.amdhsa_user_sgpr_count 2
		.amdhsa_user_sgpr_dispatch_ptr 0
		.amdhsa_user_sgpr_queue_ptr 0
		.amdhsa_user_sgpr_kernarg_segment_ptr 1
		.amdhsa_user_sgpr_dispatch_id 0
		.amdhsa_user_sgpr_private_segment_size 0
		.amdhsa_wavefront_size32 1
		.amdhsa_uses_dynamic_stack 0
		.amdhsa_enable_private_segment 0
		.amdhsa_system_sgpr_workgroup_id_x 1
		.amdhsa_system_sgpr_workgroup_id_y 1
		.amdhsa_system_sgpr_workgroup_id_z 1
		.amdhsa_system_sgpr_workgroup_info 0
		.amdhsa_system_vgpr_workitem_id 1
		.amdhsa_next_free_vgpr 46
		.amdhsa_next_free_sgpr 31
		.amdhsa_reserve_vcc 1
		.amdhsa_float_round_mode_32 0
		.amdhsa_float_round_mode_16_64 0
		.amdhsa_float_denorm_mode_32 3
		.amdhsa_float_denorm_mode_16_64 3
		.amdhsa_fp16_overflow 0
		.amdhsa_workgroup_processor_mode 1
		.amdhsa_memory_ordered 1
		.amdhsa_forward_progress 1
		.amdhsa_inst_pref_size 54
		.amdhsa_round_robin_scheduling 0
		.amdhsa_exception_fp_ieee_invalid_op 0
		.amdhsa_exception_fp_denorm_src 0
		.amdhsa_exception_fp_ieee_div_zero 0
		.amdhsa_exception_fp_ieee_overflow 0
		.amdhsa_exception_fp_ieee_underflow 0
		.amdhsa_exception_fp_ieee_inexact 0
		.amdhsa_exception_int_div_zero 0
	.end_amdhsa_kernel
	.section	.text._ZN2at6native20bitonicSortKVInPlaceILin1ELin1ELi16ELi16EllNS0_4GTOpIlLb1EEEmEEvNS_4cuda6detail10TensorInfoIT3_T6_EES8_S8_S8_NS6_IT4_S8_EES8_T5_,"axG",@progbits,_ZN2at6native20bitonicSortKVInPlaceILin1ELin1ELi16ELi16EllNS0_4GTOpIlLb1EEEmEEvNS_4cuda6detail10TensorInfoIT3_T6_EES8_S8_S8_NS6_IT4_S8_EES8_T5_,comdat
.Lfunc_end31:
	.size	_ZN2at6native20bitonicSortKVInPlaceILin1ELin1ELi16ELi16EllNS0_4GTOpIlLb1EEEmEEvNS_4cuda6detail10TensorInfoIT3_T6_EES8_S8_S8_NS6_IT4_S8_EES8_T5_, .Lfunc_end31-_ZN2at6native20bitonicSortKVInPlaceILin1ELin1ELi16ELi16EllNS0_4GTOpIlLb1EEEmEEvNS_4cuda6detail10TensorInfoIT3_T6_EES8_S8_S8_NS6_IT4_S8_EES8_T5_
                                        ; -- End function
	.set _ZN2at6native20bitonicSortKVInPlaceILin1ELin1ELi16ELi16EllNS0_4GTOpIlLb1EEEmEEvNS_4cuda6detail10TensorInfoIT3_T6_EES8_S8_S8_NS6_IT4_S8_EES8_T5_.num_vgpr, 46
	.set _ZN2at6native20bitonicSortKVInPlaceILin1ELin1ELi16ELi16EllNS0_4GTOpIlLb1EEEmEEvNS_4cuda6detail10TensorInfoIT3_T6_EES8_S8_S8_NS6_IT4_S8_EES8_T5_.num_agpr, 0
	.set _ZN2at6native20bitonicSortKVInPlaceILin1ELin1ELi16ELi16EllNS0_4GTOpIlLb1EEEmEEvNS_4cuda6detail10TensorInfoIT3_T6_EES8_S8_S8_NS6_IT4_S8_EES8_T5_.numbered_sgpr, 31
	.set _ZN2at6native20bitonicSortKVInPlaceILin1ELin1ELi16ELi16EllNS0_4GTOpIlLb1EEEmEEvNS_4cuda6detail10TensorInfoIT3_T6_EES8_S8_S8_NS6_IT4_S8_EES8_T5_.num_named_barrier, 0
	.set _ZN2at6native20bitonicSortKVInPlaceILin1ELin1ELi16ELi16EllNS0_4GTOpIlLb1EEEmEEvNS_4cuda6detail10TensorInfoIT3_T6_EES8_S8_S8_NS6_IT4_S8_EES8_T5_.private_seg_size, 0
	.set _ZN2at6native20bitonicSortKVInPlaceILin1ELin1ELi16ELi16EllNS0_4GTOpIlLb1EEEmEEvNS_4cuda6detail10TensorInfoIT3_T6_EES8_S8_S8_NS6_IT4_S8_EES8_T5_.uses_vcc, 1
	.set _ZN2at6native20bitonicSortKVInPlaceILin1ELin1ELi16ELi16EllNS0_4GTOpIlLb1EEEmEEvNS_4cuda6detail10TensorInfoIT3_T6_EES8_S8_S8_NS6_IT4_S8_EES8_T5_.uses_flat_scratch, 0
	.set _ZN2at6native20bitonicSortKVInPlaceILin1ELin1ELi16ELi16EllNS0_4GTOpIlLb1EEEmEEvNS_4cuda6detail10TensorInfoIT3_T6_EES8_S8_S8_NS6_IT4_S8_EES8_T5_.has_dyn_sized_stack, 0
	.set _ZN2at6native20bitonicSortKVInPlaceILin1ELin1ELi16ELi16EllNS0_4GTOpIlLb1EEEmEEvNS_4cuda6detail10TensorInfoIT3_T6_EES8_S8_S8_NS6_IT4_S8_EES8_T5_.has_recursion, 0
	.set _ZN2at6native20bitonicSortKVInPlaceILin1ELin1ELi16ELi16EllNS0_4GTOpIlLb1EEEmEEvNS_4cuda6detail10TensorInfoIT3_T6_EES8_S8_S8_NS6_IT4_S8_EES8_T5_.has_indirect_call, 0
	.section	.AMDGPU.csdata,"",@progbits
; Kernel info:
; codeLenInByte = 6824
; TotalNumSgprs: 33
; NumVgprs: 46
; ScratchSize: 0
; MemoryBound: 0
; FloatMode: 240
; IeeeMode: 1
; LDSByteSize: 8704 bytes/workgroup (compile time only)
; SGPRBlocks: 0
; VGPRBlocks: 5
; NumSGPRsForWavesPerEU: 33
; NumVGPRsForWavesPerEU: 46
; Occupancy: 16
; WaveLimiterHint : 1
; COMPUTE_PGM_RSRC2:SCRATCH_EN: 0
; COMPUTE_PGM_RSRC2:USER_SGPR: 2
; COMPUTE_PGM_RSRC2:TRAP_HANDLER: 0
; COMPUTE_PGM_RSRC2:TGID_X_EN: 1
; COMPUTE_PGM_RSRC2:TGID_Y_EN: 1
; COMPUTE_PGM_RSRC2:TGID_Z_EN: 1
; COMPUTE_PGM_RSRC2:TIDIG_COMP_CNT: 1
	.section	.text._ZN2at6native20bitonicSortKVInPlaceILin2ELin1ELi16ELi16EslNS0_4LTOpIsLb1EEEjEEvNS_4cuda6detail10TensorInfoIT3_T6_EES8_S8_S8_NS6_IT4_S8_EES8_T5_,"axG",@progbits,_ZN2at6native20bitonicSortKVInPlaceILin2ELin1ELi16ELi16EslNS0_4LTOpIsLb1EEEjEEvNS_4cuda6detail10TensorInfoIT3_T6_EES8_S8_S8_NS6_IT4_S8_EES8_T5_,comdat
	.protected	_ZN2at6native20bitonicSortKVInPlaceILin2ELin1ELi16ELi16EslNS0_4LTOpIsLb1EEEjEEvNS_4cuda6detail10TensorInfoIT3_T6_EES8_S8_S8_NS6_IT4_S8_EES8_T5_ ; -- Begin function _ZN2at6native20bitonicSortKVInPlaceILin2ELin1ELi16ELi16EslNS0_4LTOpIsLb1EEEjEEvNS_4cuda6detail10TensorInfoIT3_T6_EES8_S8_S8_NS6_IT4_S8_EES8_T5_
	.globl	_ZN2at6native20bitonicSortKVInPlaceILin2ELin1ELi16ELi16EslNS0_4LTOpIsLb1EEEjEEvNS_4cuda6detail10TensorInfoIT3_T6_EES8_S8_S8_NS6_IT4_S8_EES8_T5_
	.p2align	8
	.type	_ZN2at6native20bitonicSortKVInPlaceILin2ELin1ELi16ELi16EslNS0_4LTOpIsLb1EEEjEEvNS_4cuda6detail10TensorInfoIT3_T6_EES8_S8_S8_NS6_IT4_S8_EES8_T5_,@function
_ZN2at6native20bitonicSortKVInPlaceILin2ELin1ELi16ELi16EslNS0_4LTOpIsLb1EEEjEEvNS_4cuda6detail10TensorInfoIT3_T6_EES8_S8_S8_NS6_IT4_S8_EES8_T5_: ; @_ZN2at6native20bitonicSortKVInPlaceILin2ELin1ELi16ELi16EslNS0_4LTOpIsLb1EEEjEEvNS_4cuda6detail10TensorInfoIT3_T6_EES8_S8_S8_NS6_IT4_S8_EES8_T5_
; %bb.0:
	s_clause 0x2
	s_load_b64 s[2:3], s[0:1], 0x1c8
	s_load_u16 s7, s[0:1], 0x1d6
	s_load_b96 s[4:6], s[0:1], 0xd8
	s_lshr_b32 s8, ttmp7, 16
	s_wait_kmcnt 0x0
	s_mul_i32 s3, s3, s8
	s_and_b32 s8, ttmp7, 0xffff
	s_delay_alu instid0(SALU_CYCLE_1) | instskip(NEXT) | instid1(SALU_CYCLE_1)
	s_add_co_i32 s3, s3, s8
	s_mul_i32 s2, s3, s2
	s_delay_alu instid0(SALU_CYCLE_1) | instskip(NEXT) | instid1(SALU_CYCLE_1)
	s_add_co_i32 s2, s2, ttmp9
	s_mul_i32 s2, s2, s7
	s_delay_alu instid0(SALU_CYCLE_1)
	s_cmp_ge_u32 s2, s4
	s_cbranch_scc1 .LBB32_43
; %bb.1:
	s_clause 0x1
	s_load_b32 s7, s[0:1], 0x1b8
	s_load_b64 s[8:9], s[0:1], 0x0
	v_bfe_u32 v8, v0, 10, 10
	s_delay_alu instid0(VALU_DEP_1) | instskip(SKIP_2) | instid1(VALU_DEP_2)
	v_add_nc_u32_e32 v3, s2, v8
	v_mov_b32_e32 v1, 0
	s_add_nc_u64 s[2:3], s[0:1], 0xe8
	v_mov_b32_e32 v4, v3
	s_wait_kmcnt 0x0
	s_cmp_lt_i32 s7, 2
	s_cbranch_scc1 .LBB32_4
; %bb.2:
	s_add_co_i32 s10, s7, -1
	s_mov_b32 s11, 0
	v_dual_mov_b32 v1, 0 :: v_dual_mov_b32 v4, v3
	s_lshl_b64 s[10:11], s[10:11], 2
	s_add_co_i32 s7, s7, 1
	s_wait_alu 0xfffe
	s_add_nc_u64 s[10:11], s[2:3], s[10:11]
	s_delay_alu instid0(SALU_CYCLE_1)
	s_add_nc_u64 s[10:11], s[10:11], 8
.LBB32_3:                               ; =>This Inner Loop Header: Depth=1
	s_clause 0x1
	s_load_b32 s12, s[10:11], 0x0
	s_load_b32 s13, s[10:11], 0x64
	s_add_co_i32 s7, s7, -1
	s_add_nc_u64 s[10:11], s[10:11], -4
	s_wait_kmcnt 0x0
	s_cvt_f32_u32 s14, s12
	s_sub_co_i32 s15, 0, s12
	s_wait_alu 0xfffe
	s_delay_alu instid0(SALU_CYCLE_1) | instskip(NEXT) | instid1(TRANS32_DEP_1)
	v_rcp_iflag_f32_e32 v2, s14
	v_readfirstlane_b32 s14, v2
	v_mov_b32_e32 v2, v4
	s_mul_f32 s14, s14, 0x4f7ffffe
	s_wait_alu 0xfffe
	s_delay_alu instid0(SALU_CYCLE_2) | instskip(SKIP_1) | instid1(SALU_CYCLE_2)
	s_cvt_u32_f32 s14, s14
	s_wait_alu 0xfffe
	s_mul_i32 s15, s15, s14
	s_wait_alu 0xfffe
	s_mul_hi_u32 s15, s14, s15
	s_wait_alu 0xfffe
	s_add_co_i32 s14, s14, s15
	s_cmp_gt_u32 s7, 2
	s_wait_alu 0xfffe
	v_mul_hi_u32 v4, v2, s14
	s_delay_alu instid0(VALU_DEP_1) | instskip(SKIP_1) | instid1(VALU_DEP_2)
	v_mul_lo_u32 v5, v4, s12
	v_add_nc_u32_e32 v6, 1, v4
	v_sub_nc_u32_e32 v5, v2, v5
	s_delay_alu instid0(VALU_DEP_1) | instskip(SKIP_2) | instid1(VALU_DEP_2)
	v_subrev_nc_u32_e32 v7, s12, v5
	v_cmp_le_u32_e32 vcc_lo, s12, v5
	s_wait_alu 0xfffd
	v_dual_cndmask_b32 v4, v4, v6 :: v_dual_cndmask_b32 v5, v5, v7
	s_delay_alu instid0(VALU_DEP_1) | instskip(NEXT) | instid1(VALU_DEP_2)
	v_add_nc_u32_e32 v6, 1, v4
	v_cmp_le_u32_e32 vcc_lo, s12, v5
	s_wait_alu 0xfffd
	s_delay_alu instid0(VALU_DEP_2) | instskip(NEXT) | instid1(VALU_DEP_1)
	v_cndmask_b32_e32 v4, v4, v6, vcc_lo
	v_mul_lo_u32 v5, v4, s12
	s_delay_alu instid0(VALU_DEP_1) | instskip(NEXT) | instid1(VALU_DEP_1)
	v_sub_nc_u32_e32 v2, v2, v5
	v_mad_co_u64_u32 v[1:2], null, s13, v2, v[1:2]
	s_cbranch_scc1 .LBB32_3
.LBB32_4:
	s_load_b32 s13, s[0:1], 0x6c
	s_add_nc_u64 s[10:11], s[0:1], 0x1c8
	s_load_b32 s14, s[2:3], 0x6c
	s_load_b32 s12, s[10:11], 0xc
	s_clause 0x1
	s_load_b32 s7, s[0:1], 0x1c0
	s_load_b64 s[10:11], s[2:3], 0x0
	v_and_b32_e32 v7, 0x3ff, v0
	v_cmp_gt_u32_e64 s0, s4, v3
	v_dual_mov_b32 v5, 0 :: v_dual_mov_b32 v12, 0
	v_mov_b32_e32 v6, 0
	v_mov_b32_e32 v10, 0
	s_wait_kmcnt 0x0
	v_mul_lo_u32 v2, s13, v3
	s_delay_alu instid0(VALU_DEP_1)
	v_mad_co_u64_u32 v[0:1], null, s14, v4, v[1:2]
	v_mov_b32_e32 v3, 0
	v_mov_b32_e32 v4, 0
	v_cmp_gt_u32_e32 vcc_lo, s5, v7
	s_and_b32 s2, s0, vcc_lo
	s_wait_alu 0xfffe
	s_and_saveexec_b32 s3, s2
	s_cbranch_execz .LBB32_6
; %bb.5:
	v_mad_co_u64_u32 v[5:6], null, v7, s6, v[2:3]
	v_mov_b32_e32 v6, 0
	v_mad_co_u64_u32 v[11:12], null, v7, s7, v[0:1]
	s_delay_alu instid0(VALU_DEP_2) | instskip(NEXT) | instid1(VALU_DEP_4)
	v_mov_b32_e32 v12, v6
	v_lshlrev_b64_e32 v[5:6], 1, v[5:6]
	s_delay_alu instid0(VALU_DEP_2) | instskip(NEXT) | instid1(VALU_DEP_2)
	v_lshlrev_b64_e32 v[11:12], 3, v[11:12]
	v_add_co_u32 v5, s1, s8, v5
	s_delay_alu instid0(VALU_DEP_1) | instskip(NEXT) | instid1(VALU_DEP_3)
	v_add_co_ci_u32_e64 v6, null, s9, v6, s1
	v_add_co_u32 v13, s1, s10, v11
	s_wait_alu 0xf1ff
	s_delay_alu instid0(VALU_DEP_4)
	v_add_co_ci_u32_e64 v14, null, s11, v12, s1
	global_load_u16 v12, v[5:6], off
	global_load_b64 v[5:6], v[13:14], off
.LBB32_6:
	s_wait_alu 0xfffe
	s_or_b32 exec_lo, exec_lo, s3
	s_and_b32 s3, 0xffff, s12
	v_lshl_add_u32 v13, v8, 6, 0x1000
	s_wait_alu 0xfffe
	v_add_nc_u32_e32 v1, s3, v7
	v_lshlrev_b32_e32 v11, 8, v8
	v_lshl_add_u32 v15, v8, 5, 0x1400
	v_cndmask_b32_e64 v14, 0, 1, s2
	v_lshl_add_u32 v8, v7, 1, v13
	v_cmp_gt_u32_e64 s1, s5, v1
	v_lshl_add_u32 v9, v7, 3, v11
	v_add_nc_u32_e32 v16, v15, v7
	s_wait_loadcnt 0x1
	ds_store_b16 v8, v12
	s_wait_loadcnt 0x0
	ds_store_b64 v9, v[5:6]
	ds_store_b8 v16, v14
	s_and_b32 s4, s0, s1
	s_wait_alu 0xfffe
	s_and_saveexec_b32 s5, s4
	s_cbranch_execz .LBB32_8
; %bb.7:
	v_mad_co_u64_u32 v[3:4], null, v1, s6, v[2:3]
	v_mov_b32_e32 v4, 0
	v_mad_co_u64_u32 v[5:6], null, v1, s7, v[0:1]
	s_delay_alu instid0(VALU_DEP_2) | instskip(NEXT) | instid1(VALU_DEP_4)
	v_mov_b32_e32 v6, v4
	v_lshlrev_b64_e32 v[3:4], 1, v[3:4]
	s_delay_alu instid0(VALU_DEP_2) | instskip(NEXT) | instid1(VALU_DEP_2)
	v_lshlrev_b64_e32 v[5:6], 3, v[5:6]
	v_add_co_u32 v3, s2, s8, v3
	s_wait_alu 0xf1ff
	s_delay_alu instid0(VALU_DEP_3) | instskip(NEXT) | instid1(VALU_DEP_3)
	v_add_co_ci_u32_e64 v4, null, s9, v4, s2
	v_add_co_u32 v5, s2, s10, v5
	s_wait_alu 0xf1ff
	v_add_co_ci_u32_e64 v6, null, s11, v6, s2
	global_load_u16 v10, v[3:4], off
	global_load_b64 v[3:4], v[5:6], off
.LBB32_8:
	s_wait_alu 0xfffe
	s_or_b32 exec_lo, exec_lo, s5
	v_lshl_add_u32 v5, s3, 1, v8
	v_lshlrev_b32_e32 v16, 1, v7
	v_lshl_add_u32 v6, s3, 3, v9
	v_cndmask_b32_e64 v12, 0, 1, s4
	v_add_nc_u32_e32 v14, v15, v1
	s_wait_loadcnt 0x1
	ds_store_b16 v5, v10
	s_wait_loadcnt 0x0
	ds_store_b64 v6, v[3:4]
	ds_store_b8 v14, v12
	v_add_nc_u32_e32 v4, v8, v16
	v_add_nc_u32_e32 v3, v15, v16
	s_wait_dscnt 0x0
	s_barrier_signal -1
	s_barrier_wait -1
	global_inv scope:SCOPE_SE
	ds_load_b32 v18, v4
	ds_load_u16 v14, v3
	v_and_b32_e32 v10, 1, v7
	s_wait_dscnt 0x1
	v_lshrrev_b32_e32 v17, 16, v18
	s_wait_dscnt 0x0
	v_lshrrev_b16 v12, 8, v14
	v_and_b32_e32 v19, 1, v14
	s_delay_alu instid0(VALU_DEP_3) | instskip(NEXT) | instid1(VALU_DEP_3)
	v_cmp_lt_i16_e64 s2, v18, v17
	v_cmp_ne_u16_e64 s4, v12, v10
	s_delay_alu instid0(VALU_DEP_3) | instskip(SKIP_1) | instid1(VALU_DEP_2)
	v_cmp_eq_u32_e64 s3, 1, v19
	s_wait_alu 0xf1ff
	v_cndmask_b32_e64 v17, 0, 1, s4
	s_and_b32 s2, s2, s3
	s_wait_alu 0xfffe
	s_delay_alu instid0(VALU_DEP_1) | instskip(NEXT) | instid1(VALU_DEP_1)
	v_cndmask_b32_e64 v17, v17, v7, s2
	v_and_b32_e32 v17, 1, v17
	s_delay_alu instid0(VALU_DEP_1)
	v_cmp_eq_u32_e64 s2, 1, v17
	v_lshl_add_u32 v17, v7, 3, v9
	s_and_saveexec_b32 s3, s2
	s_wait_alu 0xfffe
	s_xor_b32 s2, exec_lo, s3
	s_cbranch_execz .LBB32_10
; %bb.9:
	ds_load_b128 v[19:22], v17
	v_lshlrev_b16 v14, 8, v14
	v_alignbit_b32 v18, v18, v18, 16
	s_delay_alu instid0(VALU_DEP_2)
	v_or_b32_e32 v12, v12, v14
	s_wait_dscnt 0x0
	v_dual_mov_b32 v23, v19 :: v_dual_mov_b32 v24, v20
	ds_store_b32 v4, v18
	ds_store_b128 v17, v[21:24]
	ds_store_b16 v3, v12
.LBB32_10:
	s_wait_alu 0xfffe
	s_or_b32 exec_lo, exec_lo, s2
	v_sub_nc_u32_e32 v14, v16, v10
	s_wait_loadcnt_dscnt 0x0
	s_barrier_signal -1
	s_barrier_wait -1
	global_inv scope:SCOPE_SE
	v_add_nc_u32_e32 v10, v15, v14
	v_lshl_add_u32 v12, v14, 1, v13
	v_bfe_u32 v23, v7, 1, 1
	v_lshl_add_u32 v14, v14, 3, v11
	ds_load_u8 v18, v10
	ds_load_u16 v19, v12
	ds_load_u16 v22, v12 offset:4
	ds_load_u8 v20, v10 offset:2
	s_wait_dscnt 0x3
	v_and_b32_e32 v21, 1, v18
	s_wait_dscnt 0x1
	v_cmp_lt_i16_e64 s2, v19, v22
	s_wait_dscnt 0x0
	v_cmp_ne_u16_e64 s4, v20, v23
	v_cmp_eq_u32_e64 s3, 1, v21
	s_wait_alu 0xf1ff
	s_delay_alu instid0(VALU_DEP_2) | instskip(SKIP_2) | instid1(VALU_DEP_1)
	v_cndmask_b32_e64 v21, 0, 1, s4
	s_and_b32 s2, s2, s3
	s_wait_alu 0xfffe
	v_cndmask_b32_e64 v23, v21, v23, s2
	v_and_b32_e32 v21, 2, v7
	s_delay_alu instid0(VALU_DEP_2) | instskip(NEXT) | instid1(VALU_DEP_2)
	v_and_b32_e32 v23, 1, v23
	v_cmp_ne_u32_e64 s2, 0, v21
	s_delay_alu instid0(VALU_DEP_2)
	v_cmp_eq_u32_e64 s3, 1, v23
	s_and_saveexec_b32 s4, s3
	s_wait_alu 0xfffe
	s_xor_b32 s3, exec_lo, s4
	s_cbranch_execz .LBB32_12
; %bb.11:
	ds_load_2addr_b64 v[23:26], v14 offset1:2
	s_wait_dscnt 0x0
	ds_store_2addr_b64 v14, v[25:26], v[23:24] offset1:2
	ds_store_b16 v12, v22
	ds_store_b16 v12, v19 offset:4
	ds_store_b8 v10, v20
	ds_store_b8 v10, v18 offset:2
.LBB32_12:
	s_wait_alu 0xfffe
	s_or_b32 exec_lo, exec_lo, s3
	s_wait_loadcnt_dscnt 0x0
	s_barrier_signal -1
	s_barrier_wait -1
	global_inv scope:SCOPE_SE
	ds_load_b32 v20, v4
	ds_load_u16 v19, v3
	v_lshrrev_b32_e32 v21, 1, v21
	v_cndmask_b32_e64 v24, 0, 1, s2
	s_wait_dscnt 0x1
	v_lshrrev_b32_e32 v22, 16, v20
	s_wait_dscnt 0x0
	v_lshrrev_b16 v18, 8, v19
	v_and_b32_e32 v23, 1, v19
	s_delay_alu instid0(VALU_DEP_3) | instskip(NEXT) | instid1(VALU_DEP_3)
	v_cmp_lt_i16_e64 s2, v20, v22
	v_cmp_ne_u16_e64 s4, v18, v21
	s_delay_alu instid0(VALU_DEP_3) | instskip(SKIP_1) | instid1(VALU_DEP_2)
	v_cmp_eq_u32_e64 s3, 1, v23
	s_wait_alu 0xf1ff
	v_cndmask_b32_e64 v21, 0, 1, s4
	s_and_b32 s2, s2, s3
	s_mov_b32 s3, exec_lo
	s_wait_alu 0xfffe
	s_delay_alu instid0(VALU_DEP_1) | instskip(NEXT) | instid1(VALU_DEP_1)
	v_cndmask_b32_e64 v21, v21, v24, s2
	v_and_b32_e32 v21, 1, v21
	s_delay_alu instid0(VALU_DEP_1)
	v_cmpx_eq_u32_e32 1, v21
	s_cbranch_execz .LBB32_14
; %bb.13:
	ds_load_b128 v[21:24], v17
	v_lshlrev_b16 v26, 8, v19
	v_alignbit_b32 v25, v20, v20, 16
	s_delay_alu instid0(VALU_DEP_2)
	v_or_b32_e32 v18, v18, v26
	s_wait_dscnt 0x0
	v_dual_mov_b32 v19, v23 :: v_dual_mov_b32 v20, v24
	ds_store_b32 v4, v25
	ds_store_b128 v17, v[19:22]
	ds_store_b16 v3, v18
.LBB32_14:
	s_or_b32 exec_lo, exec_lo, s3
	v_and_b32_e32 v17, 3, v7
	s_wait_loadcnt_dscnt 0x0
	s_barrier_signal -1
	s_barrier_wait -1
	global_inv scope:SCOPE_SE
	v_sub_nc_u32_e32 v20, v16, v17
	v_bfe_u32 v25, v7, 2, 1
	s_delay_alu instid0(VALU_DEP_2)
	v_add_nc_u32_e32 v17, v15, v20
	v_lshl_add_u32 v18, v20, 1, v13
	v_lshl_add_u32 v20, v20, 3, v11
	ds_load_u8 v21, v17
	ds_load_u16 v22, v18
	ds_load_u16 v24, v18 offset:8
	ds_load_u8 v23, v17 offset:4
	s_wait_dscnt 0x3
	v_and_b32_e32 v19, 1, v21
	s_wait_dscnt 0x1
	v_cmp_lt_i16_e64 s2, v22, v24
	s_wait_dscnt 0x0
	v_cmp_ne_u16_e64 s4, v23, v25
	v_cmp_eq_u32_e64 s3, 1, v19
	s_wait_alu 0xf1ff
	s_delay_alu instid0(VALU_DEP_2) | instskip(SKIP_3) | instid1(VALU_DEP_1)
	v_cndmask_b32_e64 v19, 0, 1, s4
	s_mov_b32 s4, exec_lo
	s_and_b32 s2, s2, s3
	s_wait_alu 0xfffe
	v_cndmask_b32_e64 v25, v19, v25, s2
	v_and_b32_e32 v19, 4, v7
	s_delay_alu instid0(VALU_DEP_2) | instskip(NEXT) | instid1(VALU_DEP_2)
	v_and_b32_e32 v25, 1, v25
	v_cmp_ne_u32_e64 s2, 0, v19
	s_delay_alu instid0(VALU_DEP_2)
	v_cmpx_eq_u32_e32 1, v25
	s_cbranch_execz .LBB32_16
; %bb.15:
	ds_load_2addr_b64 v[25:28], v20 offset1:4
	s_wait_dscnt 0x0
	ds_store_2addr_b64 v20, v[27:28], v[25:26] offset1:4
	ds_store_b16 v18, v24
	ds_store_b16 v18, v22 offset:8
	ds_store_b8 v17, v23
	ds_store_b8 v17, v21 offset:4
.LBB32_16:
	s_or_b32 exec_lo, exec_lo, s4
	s_wait_loadcnt_dscnt 0x0
	s_barrier_signal -1
	s_barrier_wait -1
	global_inv scope:SCOPE_SE
	ds_load_u8 v22, v10
	ds_load_u16 v23, v12
	ds_load_u16 v25, v12 offset:4
	ds_load_u8 v24, v10 offset:2
	v_lshrrev_b32_e32 v19, 2, v19
	v_cndmask_b32_e64 v21, 0, 1, s2
	s_wait_dscnt 0x3
	v_and_b32_e32 v26, 1, v22
	s_wait_dscnt 0x1
	v_cmp_lt_i16_e64 s2, v23, v25
	s_wait_dscnt 0x0
	v_cmp_ne_u16_e64 s4, v24, v19
	v_cmp_eq_u32_e64 s3, 1, v26
	s_wait_alu 0xf1ff
	s_delay_alu instid0(VALU_DEP_2) | instskip(SKIP_3) | instid1(VALU_DEP_1)
	v_cndmask_b32_e64 v26, 0, 1, s4
	s_and_b32 s2, s2, s3
	s_mov_b32 s3, exec_lo
	s_wait_alu 0xfffe
	v_cndmask_b32_e64 v26, v26, v21, s2
	s_delay_alu instid0(VALU_DEP_1) | instskip(NEXT) | instid1(VALU_DEP_1)
	v_and_b32_e32 v26, 1, v26
	v_cmpx_eq_u32_e32 1, v26
	s_cbranch_execz .LBB32_18
; %bb.17:
	ds_load_2addr_b64 v[26:29], v14 offset1:2
	s_wait_dscnt 0x0
	ds_store_2addr_b64 v14, v[28:29], v[26:27] offset1:2
	ds_store_b16 v12, v25
	ds_store_b16 v12, v23 offset:4
	ds_store_b8 v10, v24
	ds_store_b8 v10, v22 offset:2
.LBB32_18:
	s_or_b32 exec_lo, exec_lo, s3
	s_wait_loadcnt_dscnt 0x0
	s_barrier_signal -1
	s_barrier_wait -1
	global_inv scope:SCOPE_SE
	ds_load_b32 v24, v4
	ds_load_u16 v23, v3
	s_wait_dscnt 0x1
	v_lshrrev_b32_e32 v25, 16, v24
	s_wait_dscnt 0x0
	v_lshrrev_b16 v22, 8, v23
	v_and_b32_e32 v26, 1, v23
	s_delay_alu instid0(VALU_DEP_3) | instskip(NEXT) | instid1(VALU_DEP_3)
	v_cmp_lt_i16_e64 s2, v24, v25
	v_cmp_ne_u16_e64 s4, v22, v19
	s_delay_alu instid0(VALU_DEP_3) | instskip(SKIP_1) | instid1(VALU_DEP_2)
	v_cmp_eq_u32_e64 s3, 1, v26
	s_wait_alu 0xf1ff
	v_cndmask_b32_e64 v19, 0, 1, s4
	s_and_b32 s2, s2, s3
	s_wait_alu 0xfffe
	s_delay_alu instid0(VALU_DEP_1) | instskip(NEXT) | instid1(VALU_DEP_1)
	v_cndmask_b32_e64 v19, v19, v21, s2
	v_and_b32_e32 v19, 1, v19
	s_delay_alu instid0(VALU_DEP_1)
	v_cmp_eq_u32_e64 s2, 1, v19
	v_lshl_add_u32 v19, v16, 3, v11
	s_and_saveexec_b32 s3, s2
	s_cbranch_execz .LBB32_20
; %bb.19:
	ds_load_b128 v[25:28], v19
	v_lshlrev_b16 v29, 8, v23
	v_alignbit_b32 v21, v24, v24, 16
	s_delay_alu instid0(VALU_DEP_2)
	v_or_b32_e32 v22, v22, v29
	s_wait_dscnt 0x0
	v_dual_mov_b32 v23, v27 :: v_dual_mov_b32 v24, v28
	ds_store_b32 v4, v21
	ds_store_b128 v19, v[23:26]
	ds_store_b16 v3, v22
.LBB32_20:
	s_wait_alu 0xfffe
	s_or_b32 exec_lo, exec_lo, s3
	v_and_b32_e32 v21, 7, v7
	s_wait_loadcnt_dscnt 0x0
	s_barrier_signal -1
	s_barrier_wait -1
	global_inv scope:SCOPE_SE
	v_sub_nc_u32_e32 v23, v16, v21
	v_bfe_u32 v29, v7, 3, 1
	s_delay_alu instid0(VALU_DEP_2)
	v_add_nc_u32_e32 v21, v15, v23
	v_lshl_add_u32 v22, v23, 1, v13
	v_lshl_add_u32 v23, v23, 3, v11
	ds_load_u8 v25, v21
	ds_load_u16 v26, v22
	ds_load_u16 v28, v22 offset:16
	ds_load_u8 v27, v21 offset:8
	s_wait_dscnt 0x3
	v_and_b32_e32 v24, 1, v25
	s_wait_dscnt 0x1
	v_cmp_lt_i16_e64 s2, v26, v28
	s_wait_dscnt 0x0
	v_cmp_ne_u16_e64 s4, v27, v29
	v_cmp_eq_u32_e64 s3, 1, v24
	s_wait_alu 0xf1ff
	s_delay_alu instid0(VALU_DEP_2) | instskip(SKIP_3) | instid1(VALU_DEP_1)
	v_cndmask_b32_e64 v24, 0, 1, s4
	s_mov_b32 s4, exec_lo
	s_and_b32 s2, s2, s3
	s_wait_alu 0xfffe
	v_cndmask_b32_e64 v29, v24, v29, s2
	v_and_b32_e32 v24, 8, v7
	s_delay_alu instid0(VALU_DEP_2) | instskip(NEXT) | instid1(VALU_DEP_2)
	v_and_b32_e32 v29, 1, v29
	v_cmp_ne_u32_e64 s2, 0, v24
	s_delay_alu instid0(VALU_DEP_2)
	v_cmpx_eq_u32_e32 1, v29
	s_cbranch_execz .LBB32_22
; %bb.21:
	ds_load_2addr_b64 v[29:32], v23 offset1:8
	s_wait_dscnt 0x0
	ds_store_2addr_b64 v23, v[31:32], v[29:30] offset1:8
	ds_store_b16 v22, v28
	ds_store_b16 v22, v26 offset:16
	ds_store_b8 v21, v27
	ds_store_b8 v21, v25 offset:8
.LBB32_22:
	s_or_b32 exec_lo, exec_lo, s4
	s_wait_loadcnt_dscnt 0x0
	s_barrier_signal -1
	s_barrier_wait -1
	global_inv scope:SCOPE_SE
	ds_load_u8 v26, v17
	ds_load_u16 v27, v18
	ds_load_u16 v29, v18 offset:8
	ds_load_u8 v28, v17 offset:4
	v_lshrrev_b32_e32 v24, 3, v24
	v_cndmask_b32_e64 v25, 0, 1, s2
	s_wait_dscnt 0x3
	v_and_b32_e32 v30, 1, v26
	s_wait_dscnt 0x1
	v_cmp_lt_i16_e64 s2, v27, v29
	s_wait_dscnt 0x0
	v_cmp_ne_u16_e64 s4, v28, v24
	v_cmp_eq_u32_e64 s3, 1, v30
	s_wait_alu 0xf1ff
	s_delay_alu instid0(VALU_DEP_2) | instskip(SKIP_3) | instid1(VALU_DEP_1)
	v_cndmask_b32_e64 v30, 0, 1, s4
	s_and_b32 s2, s2, s3
	s_mov_b32 s3, exec_lo
	s_wait_alu 0xfffe
	v_cndmask_b32_e64 v30, v30, v25, s2
	s_delay_alu instid0(VALU_DEP_1) | instskip(NEXT) | instid1(VALU_DEP_1)
	v_and_b32_e32 v30, 1, v30
	v_cmpx_eq_u32_e32 1, v30
	s_cbranch_execz .LBB32_24
; %bb.23:
	ds_load_2addr_b64 v[30:33], v20 offset1:4
	s_wait_dscnt 0x0
	ds_store_2addr_b64 v20, v[32:33], v[30:31] offset1:4
	ds_store_b16 v18, v29
	ds_store_b16 v18, v27 offset:8
	ds_store_b8 v17, v28
	ds_store_b8 v17, v26 offset:4
.LBB32_24:
	s_or_b32 exec_lo, exec_lo, s3
	s_wait_loadcnt_dscnt 0x0
	s_barrier_signal -1
	s_barrier_wait -1
	global_inv scope:SCOPE_SE
	ds_load_u8 v26, v10
	ds_load_u16 v27, v12
	ds_load_u16 v29, v12 offset:4
	ds_load_u8 v28, v10 offset:2
	s_wait_dscnt 0x3
	v_and_b32_e32 v30, 1, v26
	s_wait_dscnt 0x1
	v_cmp_lt_i16_e64 s2, v27, v29
	s_wait_dscnt 0x0
	v_cmp_ne_u16_e64 s4, v28, v24
	v_cmp_eq_u32_e64 s3, 1, v30
	s_wait_alu 0xf1ff
	s_delay_alu instid0(VALU_DEP_2) | instskip(SKIP_3) | instid1(VALU_DEP_1)
	v_cndmask_b32_e64 v30, 0, 1, s4
	s_and_b32 s2, s2, s3
	s_mov_b32 s3, exec_lo
	s_wait_alu 0xfffe
	v_cndmask_b32_e64 v30, v30, v25, s2
	s_delay_alu instid0(VALU_DEP_1) | instskip(NEXT) | instid1(VALU_DEP_1)
	v_and_b32_e32 v30, 1, v30
	v_cmpx_eq_u32_e32 1, v30
	s_cbranch_execz .LBB32_26
; %bb.25:
	ds_load_2addr_b64 v[30:33], v14 offset1:2
	s_wait_dscnt 0x0
	ds_store_2addr_b64 v14, v[32:33], v[30:31] offset1:2
	ds_store_b16 v12, v29
	ds_store_b16 v12, v27 offset:4
	ds_store_b8 v10, v28
	ds_store_b8 v10, v26 offset:2
.LBB32_26:
	s_or_b32 exec_lo, exec_lo, s3
	s_wait_loadcnt_dscnt 0x0
	s_barrier_signal -1
	s_barrier_wait -1
	global_inv scope:SCOPE_SE
	ds_load_b32 v28, v4
	ds_load_u16 v27, v3
	s_wait_dscnt 0x1
	v_lshrrev_b32_e32 v29, 16, v28
	s_wait_dscnt 0x0
	v_lshrrev_b16 v26, 8, v27
	v_and_b32_e32 v30, 1, v27
	s_delay_alu instid0(VALU_DEP_3) | instskip(NEXT) | instid1(VALU_DEP_3)
	v_cmp_lt_i16_e64 s2, v28, v29
	v_cmp_ne_u16_e64 s4, v26, v24
	s_delay_alu instid0(VALU_DEP_3) | instskip(SKIP_1) | instid1(VALU_DEP_2)
	v_cmp_eq_u32_e64 s3, 1, v30
	s_wait_alu 0xf1ff
	v_cndmask_b32_e64 v24, 0, 1, s4
	s_and_b32 s2, s2, s3
	s_mov_b32 s3, exec_lo
	s_wait_alu 0xfffe
	s_delay_alu instid0(VALU_DEP_1) | instskip(NEXT) | instid1(VALU_DEP_1)
	v_cndmask_b32_e64 v24, v24, v25, s2
	v_and_b32_e32 v24, 1, v24
	s_delay_alu instid0(VALU_DEP_1)
	v_cmpx_eq_u32_e32 1, v24
	s_cbranch_execz .LBB32_28
; %bb.27:
	ds_load_b128 v[29:32], v19
	v_lshlrev_b16 v25, 8, v27
	v_alignbit_b32 v24, v28, v28, 16
	s_delay_alu instid0(VALU_DEP_2)
	v_or_b32_e32 v25, v26, v25
	s_wait_dscnt 0x0
	v_dual_mov_b32 v27, v31 :: v_dual_mov_b32 v28, v32
	ds_store_b32 v4, v24
	ds_store_b128 v19, v[27:30]
	ds_store_b16 v3, v25
.LBB32_28:
	s_or_b32 exec_lo, exec_lo, s3
	v_and_b32_e32 v24, 15, v7
	s_wait_loadcnt_dscnt 0x0
	s_barrier_signal -1
	s_barrier_wait -1
	global_inv scope:SCOPE_SE
	v_sub_nc_u32_e32 v16, v16, v24
	s_delay_alu instid0(VALU_DEP_1)
	v_add_nc_u32_e32 v15, v15, v16
	v_lshl_add_u32 v13, v16, 1, v13
	ds_load_u8 v24, v15
	ds_load_u8 v27, v15 offset:16
	ds_load_u16 v25, v13
	ds_load_u16 v26, v13 offset:32
	s_wait_dscnt 0x2
	v_and_b32_e32 v27, 0xff, v27
	v_and_b32_e32 v28, 1, v24
	s_wait_dscnt 0x0
	v_cmp_ge_i16_e64 s3, v25, v26
	s_delay_alu instid0(VALU_DEP_3) | instskip(NEXT) | instid1(VALU_DEP_3)
	v_cmp_ne_u16_e64 s4, 0, v27
	v_cmp_eq_u32_e64 s2, 1, v28
	s_xor_b32 s2, s2, -1
	s_wait_alu 0xfffe
	s_or_b32 s2, s3, s2
	s_wait_alu 0xfffe
	s_and_b32 s3, s2, s4
	s_wait_alu 0xfffe
	s_and_saveexec_b32 s2, s3
	s_cbranch_execz .LBB32_30
; %bb.29:
	v_lshl_add_u32 v11, v16, 3, v11
	v_mov_b32_e32 v16, 1
	ds_load_2addr_b64 v[27:30], v11 offset1:16
	s_wait_dscnt 0x0
	ds_store_2addr_b64 v11, v[29:30], v[27:28] offset1:16
	ds_store_b16 v13, v26
	ds_store_b16 v13, v25 offset:32
	ds_store_b8 v15, v16
	ds_store_b8 v15, v24 offset:16
.LBB32_30:
	s_wait_alu 0xfffe
	s_or_b32 exec_lo, exec_lo, s2
	s_wait_loadcnt_dscnt 0x0
	s_barrier_signal -1
	s_barrier_wait -1
	global_inv scope:SCOPE_SE
	ds_load_u8 v11, v21
	ds_load_u8 v16, v21 offset:8
	ds_load_u16 v13, v22
	ds_load_u16 v15, v22 offset:16
	s_wait_dscnt 0x3
	v_and_b32_e32 v24, 1, v11
	s_wait_dscnt 0x2
	v_and_b32_e32 v16, 0xff, v16
	s_wait_dscnt 0x0
	v_cmp_ge_i16_e64 s3, v13, v15
	v_cmp_eq_u32_e64 s2, 1, v24
	s_delay_alu instid0(VALU_DEP_3)
	v_cmp_ne_u16_e64 s4, 0, v16
	s_xor_b32 s2, s2, -1
	s_wait_alu 0xfffe
	s_or_b32 s2, s3, s2
	s_wait_alu 0xfffe
	s_and_b32 s3, s2, s4
	s_wait_alu 0xfffe
	s_and_saveexec_b32 s2, s3
	s_cbranch_execz .LBB32_32
; %bb.31:
	ds_load_2addr_b64 v[24:27], v23 offset1:8
	v_mov_b32_e32 v16, 1
	s_wait_dscnt 0x0
	ds_store_2addr_b64 v23, v[26:27], v[24:25] offset1:8
	ds_store_b16 v22, v15
	ds_store_b16 v22, v13 offset:16
	ds_store_b8 v21, v16
	ds_store_b8 v21, v11 offset:8
.LBB32_32:
	s_wait_alu 0xfffe
	s_or_b32 exec_lo, exec_lo, s2
	s_wait_loadcnt_dscnt 0x0
	s_barrier_signal -1
	s_barrier_wait -1
	global_inv scope:SCOPE_SE
	ds_load_u8 v11, v17
	ds_load_u8 v16, v17 offset:4
	ds_load_u16 v13, v18
	ds_load_u16 v15, v18 offset:8
	s_wait_dscnt 0x3
	v_and_b32_e32 v21, 1, v11
	s_wait_dscnt 0x2
	v_and_b32_e32 v16, 0xff, v16
	s_wait_dscnt 0x0
	v_cmp_ge_i16_e64 s3, v13, v15
	v_cmp_eq_u32_e64 s2, 1, v21
	s_delay_alu instid0(VALU_DEP_3)
	v_cmp_ne_u16_e64 s4, 0, v16
	s_xor_b32 s2, s2, -1
	s_wait_alu 0xfffe
	s_or_b32 s2, s3, s2
	s_wait_alu 0xfffe
	s_and_b32 s3, s2, s4
	s_wait_alu 0xfffe
	s_and_saveexec_b32 s2, s3
	s_cbranch_execz .LBB32_34
; %bb.33:
	ds_load_2addr_b64 v[21:24], v20 offset1:4
	v_mov_b32_e32 v16, 1
	s_wait_dscnt 0x0
	ds_store_2addr_b64 v20, v[23:24], v[21:22] offset1:4
	ds_store_b16 v18, v15
	ds_store_b16 v18, v13 offset:8
	ds_store_b8 v17, v16
	ds_store_b8 v17, v11 offset:4
.LBB32_34:
	s_wait_alu 0xfffe
	s_or_b32 exec_lo, exec_lo, s2
	s_wait_loadcnt_dscnt 0x0
	s_barrier_signal -1
	s_barrier_wait -1
	global_inv scope:SCOPE_SE
	ds_load_u8 v11, v10
	ds_load_u8 v16, v10 offset:2
	ds_load_u16 v13, v12
	ds_load_u16 v15, v12 offset:4
	s_wait_dscnt 0x3
	v_and_b32_e32 v17, 1, v11
	s_wait_dscnt 0x2
	v_and_b32_e32 v16, 0xff, v16
	s_wait_dscnt 0x0
	v_cmp_ge_i16_e64 s3, v13, v15
	v_cmp_eq_u32_e64 s2, 1, v17
	s_delay_alu instid0(VALU_DEP_3)
	v_cmp_ne_u16_e64 s4, 0, v16
	s_xor_b32 s2, s2, -1
	s_wait_alu 0xfffe
	s_or_b32 s2, s3, s2
	s_wait_alu 0xfffe
	s_and_b32 s3, s2, s4
	s_wait_alu 0xfffe
	s_and_saveexec_b32 s2, s3
	s_cbranch_execz .LBB32_36
; %bb.35:
	ds_load_2addr_b64 v[20:23], v14 offset1:2
	v_mov_b32_e32 v16, 1
	s_wait_dscnt 0x0
	ds_store_2addr_b64 v14, v[22:23], v[20:21] offset1:2
	ds_store_b16 v12, v15
	ds_store_b16 v12, v13 offset:4
	ds_store_b8 v10, v16
	ds_store_b8 v10, v11 offset:2
.LBB32_36:
	s_wait_alu 0xfffe
	s_or_b32 exec_lo, exec_lo, s2
	s_wait_loadcnt_dscnt 0x0
	s_barrier_signal -1
	s_barrier_wait -1
	global_inv scope:SCOPE_SE
	ds_load_u16 v10, v3
	ds_load_b32 v11, v4
	s_wait_dscnt 0x1
	v_and_b32_e32 v12, 1, v10
	s_wait_dscnt 0x0
	v_lshrrev_b32_e32 v13, 16, v11
	v_lshrrev_b16 v14, 8, v10
	s_delay_alu instid0(VALU_DEP_3) | instskip(NEXT) | instid1(VALU_DEP_3)
	v_cmp_eq_u32_e64 s2, 1, v12
	v_cmp_ge_i16_e64 s3, v11, v13
	s_delay_alu instid0(VALU_DEP_3)
	v_cmp_ne_u16_e64 s4, 0, v14
	s_xor_b32 s2, s2, -1
	s_wait_alu 0xfffe
	s_or_b32 s2, s3, s2
	s_wait_alu 0xfffe
	s_and_b32 s3, s2, s4
	s_wait_alu 0xfffe
	s_and_saveexec_b32 s2, s3
	s_cbranch_execz .LBB32_38
; %bb.37:
	ds_load_b128 v[12:15], v19
	v_lshlrev_b16 v17, 8, v10
	v_alignbit_b32 v16, v11, v11, 16
	s_wait_dscnt 0x0
	v_dual_mov_b32 v10, v14 :: v_dual_mov_b32 v11, v15
	s_delay_alu instid0(VALU_DEP_3)
	v_or_b32_e32 v14, 1, v17
	ds_store_b32 v4, v16
	ds_store_b128 v19, v[10:13]
	ds_store_b16 v3, v14
.LBB32_38:
	s_wait_alu 0xfffe
	s_or_b32 exec_lo, exec_lo, s2
	s_wait_loadcnt_dscnt 0x0
	s_barrier_signal -1
	s_barrier_wait -1
	global_inv scope:SCOPE_SE
	s_and_saveexec_b32 s2, s0
	s_cbranch_execz .LBB32_43
; %bb.39:
	s_and_saveexec_b32 s0, vcc_lo
	s_cbranch_execz .LBB32_41
; %bb.40:
	v_mad_co_u64_u32 v[3:4], null, v7, s6, v[2:3]
	v_mov_b32_e32 v4, 0
	v_mad_co_u64_u32 v[10:11], null, v7, s7, v[0:1]
	ds_load_u16 v12, v8
	ds_load_b64 v[7:8], v9
	v_mov_b32_e32 v11, v4
	v_lshlrev_b64_e32 v[3:4], 1, v[3:4]
	s_delay_alu instid0(VALU_DEP_2) | instskip(NEXT) | instid1(VALU_DEP_2)
	v_lshlrev_b64_e32 v[9:10], 3, v[10:11]
	v_add_co_u32 v3, vcc_lo, s8, v3
	s_wait_alu 0xfffd
	s_delay_alu instid0(VALU_DEP_3) | instskip(NEXT) | instid1(VALU_DEP_3)
	v_add_co_ci_u32_e64 v4, null, s9, v4, vcc_lo
	v_add_co_u32 v9, vcc_lo, s10, v9
	s_wait_alu 0xfffd
	v_add_co_ci_u32_e64 v10, null, s11, v10, vcc_lo
	s_wait_dscnt 0x1
	global_store_b16 v[3:4], v12, off
	s_wait_dscnt 0x0
	global_store_b64 v[9:10], v[7:8], off
.LBB32_41:
	s_wait_alu 0xfffe
	s_or_b32 exec_lo, exec_lo, s0
	s_delay_alu instid0(SALU_CYCLE_1)
	s_and_b32 exec_lo, exec_lo, s1
	s_cbranch_execz .LBB32_43
; %bb.42:
	v_mad_co_u64_u32 v[2:3], null, v1, s6, v[2:3]
	v_mov_b32_e32 v3, 0
	v_mad_co_u64_u32 v[0:1], null, v1, s7, v[0:1]
	ds_load_u16 v7, v5
	ds_load_b64 v[4:5], v6
	v_mov_b32_e32 v1, v3
	v_lshlrev_b64_e32 v[2:3], 1, v[2:3]
	s_delay_alu instid0(VALU_DEP_2) | instskip(NEXT) | instid1(VALU_DEP_2)
	v_lshlrev_b64_e32 v[0:1], 3, v[0:1]
	v_add_co_u32 v2, vcc_lo, s8, v2
	s_wait_alu 0xfffd
	s_delay_alu instid0(VALU_DEP_3) | instskip(NEXT) | instid1(VALU_DEP_3)
	v_add_co_ci_u32_e64 v3, null, s9, v3, vcc_lo
	v_add_co_u32 v0, vcc_lo, s10, v0
	s_wait_alu 0xfffd
	v_add_co_ci_u32_e64 v1, null, s11, v1, vcc_lo
	s_wait_dscnt 0x1
	global_store_b16 v[2:3], v7, off
	s_wait_dscnt 0x0
	global_store_b64 v[0:1], v[4:5], off
.LBB32_43:
	s_endpgm
	.section	.rodata,"a",@progbits
	.p2align	6, 0x0
	.amdhsa_kernel _ZN2at6native20bitonicSortKVInPlaceILin2ELin1ELi16ELi16EslNS0_4LTOpIsLb1EEEjEEvNS_4cuda6detail10TensorInfoIT3_T6_EES8_S8_S8_NS6_IT4_S8_EES8_T5_
		.amdhsa_group_segment_fixed_size 5632
		.amdhsa_private_segment_fixed_size 0
		.amdhsa_kernarg_size 712
		.amdhsa_user_sgpr_count 2
		.amdhsa_user_sgpr_dispatch_ptr 0
		.amdhsa_user_sgpr_queue_ptr 0
		.amdhsa_user_sgpr_kernarg_segment_ptr 1
		.amdhsa_user_sgpr_dispatch_id 0
		.amdhsa_user_sgpr_private_segment_size 0
		.amdhsa_wavefront_size32 1
		.amdhsa_uses_dynamic_stack 0
		.amdhsa_enable_private_segment 0
		.amdhsa_system_sgpr_workgroup_id_x 1
		.amdhsa_system_sgpr_workgroup_id_y 1
		.amdhsa_system_sgpr_workgroup_id_z 1
		.amdhsa_system_sgpr_workgroup_info 0
		.amdhsa_system_vgpr_workitem_id 1
		.amdhsa_next_free_vgpr 34
		.amdhsa_next_free_sgpr 16
		.amdhsa_reserve_vcc 1
		.amdhsa_float_round_mode_32 0
		.amdhsa_float_round_mode_16_64 0
		.amdhsa_float_denorm_mode_32 3
		.amdhsa_float_denorm_mode_16_64 3
		.amdhsa_fp16_overflow 0
		.amdhsa_workgroup_processor_mode 1
		.amdhsa_memory_ordered 1
		.amdhsa_forward_progress 1
		.amdhsa_inst_pref_size 37
		.amdhsa_round_robin_scheduling 0
		.amdhsa_exception_fp_ieee_invalid_op 0
		.amdhsa_exception_fp_denorm_src 0
		.amdhsa_exception_fp_ieee_div_zero 0
		.amdhsa_exception_fp_ieee_overflow 0
		.amdhsa_exception_fp_ieee_underflow 0
		.amdhsa_exception_fp_ieee_inexact 0
		.amdhsa_exception_int_div_zero 0
	.end_amdhsa_kernel
	.section	.text._ZN2at6native20bitonicSortKVInPlaceILin2ELin1ELi16ELi16EslNS0_4LTOpIsLb1EEEjEEvNS_4cuda6detail10TensorInfoIT3_T6_EES8_S8_S8_NS6_IT4_S8_EES8_T5_,"axG",@progbits,_ZN2at6native20bitonicSortKVInPlaceILin2ELin1ELi16ELi16EslNS0_4LTOpIsLb1EEEjEEvNS_4cuda6detail10TensorInfoIT3_T6_EES8_S8_S8_NS6_IT4_S8_EES8_T5_,comdat
.Lfunc_end32:
	.size	_ZN2at6native20bitonicSortKVInPlaceILin2ELin1ELi16ELi16EslNS0_4LTOpIsLb1EEEjEEvNS_4cuda6detail10TensorInfoIT3_T6_EES8_S8_S8_NS6_IT4_S8_EES8_T5_, .Lfunc_end32-_ZN2at6native20bitonicSortKVInPlaceILin2ELin1ELi16ELi16EslNS0_4LTOpIsLb1EEEjEEvNS_4cuda6detail10TensorInfoIT3_T6_EES8_S8_S8_NS6_IT4_S8_EES8_T5_
                                        ; -- End function
	.set _ZN2at6native20bitonicSortKVInPlaceILin2ELin1ELi16ELi16EslNS0_4LTOpIsLb1EEEjEEvNS_4cuda6detail10TensorInfoIT3_T6_EES8_S8_S8_NS6_IT4_S8_EES8_T5_.num_vgpr, 34
	.set _ZN2at6native20bitonicSortKVInPlaceILin2ELin1ELi16ELi16EslNS0_4LTOpIsLb1EEEjEEvNS_4cuda6detail10TensorInfoIT3_T6_EES8_S8_S8_NS6_IT4_S8_EES8_T5_.num_agpr, 0
	.set _ZN2at6native20bitonicSortKVInPlaceILin2ELin1ELi16ELi16EslNS0_4LTOpIsLb1EEEjEEvNS_4cuda6detail10TensorInfoIT3_T6_EES8_S8_S8_NS6_IT4_S8_EES8_T5_.numbered_sgpr, 16
	.set _ZN2at6native20bitonicSortKVInPlaceILin2ELin1ELi16ELi16EslNS0_4LTOpIsLb1EEEjEEvNS_4cuda6detail10TensorInfoIT3_T6_EES8_S8_S8_NS6_IT4_S8_EES8_T5_.num_named_barrier, 0
	.set _ZN2at6native20bitonicSortKVInPlaceILin2ELin1ELi16ELi16EslNS0_4LTOpIsLb1EEEjEEvNS_4cuda6detail10TensorInfoIT3_T6_EES8_S8_S8_NS6_IT4_S8_EES8_T5_.private_seg_size, 0
	.set _ZN2at6native20bitonicSortKVInPlaceILin2ELin1ELi16ELi16EslNS0_4LTOpIsLb1EEEjEEvNS_4cuda6detail10TensorInfoIT3_T6_EES8_S8_S8_NS6_IT4_S8_EES8_T5_.uses_vcc, 1
	.set _ZN2at6native20bitonicSortKVInPlaceILin2ELin1ELi16ELi16EslNS0_4LTOpIsLb1EEEjEEvNS_4cuda6detail10TensorInfoIT3_T6_EES8_S8_S8_NS6_IT4_S8_EES8_T5_.uses_flat_scratch, 0
	.set _ZN2at6native20bitonicSortKVInPlaceILin2ELin1ELi16ELi16EslNS0_4LTOpIsLb1EEEjEEvNS_4cuda6detail10TensorInfoIT3_T6_EES8_S8_S8_NS6_IT4_S8_EES8_T5_.has_dyn_sized_stack, 0
	.set _ZN2at6native20bitonicSortKVInPlaceILin2ELin1ELi16ELi16EslNS0_4LTOpIsLb1EEEjEEvNS_4cuda6detail10TensorInfoIT3_T6_EES8_S8_S8_NS6_IT4_S8_EES8_T5_.has_recursion, 0
	.set _ZN2at6native20bitonicSortKVInPlaceILin2ELin1ELi16ELi16EslNS0_4LTOpIsLb1EEEjEEvNS_4cuda6detail10TensorInfoIT3_T6_EES8_S8_S8_NS6_IT4_S8_EES8_T5_.has_indirect_call, 0
	.section	.AMDGPU.csdata,"",@progbits
; Kernel info:
; codeLenInByte = 4700
; TotalNumSgprs: 18
; NumVgprs: 34
; ScratchSize: 0
; MemoryBound: 0
; FloatMode: 240
; IeeeMode: 1
; LDSByteSize: 5632 bytes/workgroup (compile time only)
; SGPRBlocks: 0
; VGPRBlocks: 4
; NumSGPRsForWavesPerEU: 18
; NumVGPRsForWavesPerEU: 34
; Occupancy: 16
; WaveLimiterHint : 1
; COMPUTE_PGM_RSRC2:SCRATCH_EN: 0
; COMPUTE_PGM_RSRC2:USER_SGPR: 2
; COMPUTE_PGM_RSRC2:TRAP_HANDLER: 0
; COMPUTE_PGM_RSRC2:TGID_X_EN: 1
; COMPUTE_PGM_RSRC2:TGID_Y_EN: 1
; COMPUTE_PGM_RSRC2:TGID_Z_EN: 1
; COMPUTE_PGM_RSRC2:TIDIG_COMP_CNT: 1
	.section	.text._ZN2at6native20bitonicSortKVInPlaceILin2ELin1ELi16ELi16EslNS0_4GTOpIsLb1EEEjEEvNS_4cuda6detail10TensorInfoIT3_T6_EES8_S8_S8_NS6_IT4_S8_EES8_T5_,"axG",@progbits,_ZN2at6native20bitonicSortKVInPlaceILin2ELin1ELi16ELi16EslNS0_4GTOpIsLb1EEEjEEvNS_4cuda6detail10TensorInfoIT3_T6_EES8_S8_S8_NS6_IT4_S8_EES8_T5_,comdat
	.protected	_ZN2at6native20bitonicSortKVInPlaceILin2ELin1ELi16ELi16EslNS0_4GTOpIsLb1EEEjEEvNS_4cuda6detail10TensorInfoIT3_T6_EES8_S8_S8_NS6_IT4_S8_EES8_T5_ ; -- Begin function _ZN2at6native20bitonicSortKVInPlaceILin2ELin1ELi16ELi16EslNS0_4GTOpIsLb1EEEjEEvNS_4cuda6detail10TensorInfoIT3_T6_EES8_S8_S8_NS6_IT4_S8_EES8_T5_
	.globl	_ZN2at6native20bitonicSortKVInPlaceILin2ELin1ELi16ELi16EslNS0_4GTOpIsLb1EEEjEEvNS_4cuda6detail10TensorInfoIT3_T6_EES8_S8_S8_NS6_IT4_S8_EES8_T5_
	.p2align	8
	.type	_ZN2at6native20bitonicSortKVInPlaceILin2ELin1ELi16ELi16EslNS0_4GTOpIsLb1EEEjEEvNS_4cuda6detail10TensorInfoIT3_T6_EES8_S8_S8_NS6_IT4_S8_EES8_T5_,@function
_ZN2at6native20bitonicSortKVInPlaceILin2ELin1ELi16ELi16EslNS0_4GTOpIsLb1EEEjEEvNS_4cuda6detail10TensorInfoIT3_T6_EES8_S8_S8_NS6_IT4_S8_EES8_T5_: ; @_ZN2at6native20bitonicSortKVInPlaceILin2ELin1ELi16ELi16EslNS0_4GTOpIsLb1EEEjEEvNS_4cuda6detail10TensorInfoIT3_T6_EES8_S8_S8_NS6_IT4_S8_EES8_T5_
; %bb.0:
	s_clause 0x2
	s_load_b64 s[2:3], s[0:1], 0x1c8
	s_load_u16 s7, s[0:1], 0x1d6
	s_load_b96 s[4:6], s[0:1], 0xd8
	s_lshr_b32 s8, ttmp7, 16
	s_wait_kmcnt 0x0
	s_mul_i32 s3, s3, s8
	s_and_b32 s8, ttmp7, 0xffff
	s_delay_alu instid0(SALU_CYCLE_1) | instskip(NEXT) | instid1(SALU_CYCLE_1)
	s_add_co_i32 s3, s3, s8
	s_mul_i32 s2, s3, s2
	s_delay_alu instid0(SALU_CYCLE_1) | instskip(NEXT) | instid1(SALU_CYCLE_1)
	s_add_co_i32 s2, s2, ttmp9
	s_mul_i32 s2, s2, s7
	s_delay_alu instid0(SALU_CYCLE_1)
	s_cmp_ge_u32 s2, s4
	s_cbranch_scc1 .LBB33_43
; %bb.1:
	s_clause 0x1
	s_load_b32 s7, s[0:1], 0x1b8
	s_load_b64 s[8:9], s[0:1], 0x0
	v_bfe_u32 v8, v0, 10, 10
	s_delay_alu instid0(VALU_DEP_1) | instskip(SKIP_2) | instid1(VALU_DEP_2)
	v_add_nc_u32_e32 v3, s2, v8
	v_mov_b32_e32 v1, 0
	s_add_nc_u64 s[2:3], s[0:1], 0xe8
	v_mov_b32_e32 v4, v3
	s_wait_kmcnt 0x0
	s_cmp_lt_i32 s7, 2
	s_cbranch_scc1 .LBB33_4
; %bb.2:
	s_add_co_i32 s10, s7, -1
	s_mov_b32 s11, 0
	v_dual_mov_b32 v1, 0 :: v_dual_mov_b32 v4, v3
	s_lshl_b64 s[10:11], s[10:11], 2
	s_add_co_i32 s7, s7, 1
	s_wait_alu 0xfffe
	s_add_nc_u64 s[10:11], s[2:3], s[10:11]
	s_delay_alu instid0(SALU_CYCLE_1)
	s_add_nc_u64 s[10:11], s[10:11], 8
.LBB33_3:                               ; =>This Inner Loop Header: Depth=1
	s_clause 0x1
	s_load_b32 s12, s[10:11], 0x0
	s_load_b32 s13, s[10:11], 0x64
	s_add_co_i32 s7, s7, -1
	s_add_nc_u64 s[10:11], s[10:11], -4
	s_wait_kmcnt 0x0
	s_cvt_f32_u32 s14, s12
	s_sub_co_i32 s15, 0, s12
	s_wait_alu 0xfffe
	s_delay_alu instid0(SALU_CYCLE_1) | instskip(NEXT) | instid1(TRANS32_DEP_1)
	v_rcp_iflag_f32_e32 v2, s14
	v_readfirstlane_b32 s14, v2
	v_mov_b32_e32 v2, v4
	s_mul_f32 s14, s14, 0x4f7ffffe
	s_wait_alu 0xfffe
	s_delay_alu instid0(SALU_CYCLE_2) | instskip(SKIP_1) | instid1(SALU_CYCLE_2)
	s_cvt_u32_f32 s14, s14
	s_wait_alu 0xfffe
	s_mul_i32 s15, s15, s14
	s_wait_alu 0xfffe
	s_mul_hi_u32 s15, s14, s15
	s_wait_alu 0xfffe
	s_add_co_i32 s14, s14, s15
	s_cmp_gt_u32 s7, 2
	s_wait_alu 0xfffe
	v_mul_hi_u32 v4, v2, s14
	s_delay_alu instid0(VALU_DEP_1) | instskip(SKIP_1) | instid1(VALU_DEP_2)
	v_mul_lo_u32 v5, v4, s12
	v_add_nc_u32_e32 v6, 1, v4
	v_sub_nc_u32_e32 v5, v2, v5
	s_delay_alu instid0(VALU_DEP_1) | instskip(SKIP_2) | instid1(VALU_DEP_2)
	v_subrev_nc_u32_e32 v7, s12, v5
	v_cmp_le_u32_e32 vcc_lo, s12, v5
	s_wait_alu 0xfffd
	v_dual_cndmask_b32 v4, v4, v6 :: v_dual_cndmask_b32 v5, v5, v7
	s_delay_alu instid0(VALU_DEP_1) | instskip(NEXT) | instid1(VALU_DEP_2)
	v_add_nc_u32_e32 v6, 1, v4
	v_cmp_le_u32_e32 vcc_lo, s12, v5
	s_wait_alu 0xfffd
	s_delay_alu instid0(VALU_DEP_2) | instskip(NEXT) | instid1(VALU_DEP_1)
	v_cndmask_b32_e32 v4, v4, v6, vcc_lo
	v_mul_lo_u32 v5, v4, s12
	s_delay_alu instid0(VALU_DEP_1) | instskip(NEXT) | instid1(VALU_DEP_1)
	v_sub_nc_u32_e32 v2, v2, v5
	v_mad_co_u64_u32 v[1:2], null, s13, v2, v[1:2]
	s_cbranch_scc1 .LBB33_3
.LBB33_4:
	s_load_b32 s13, s[0:1], 0x6c
	s_add_nc_u64 s[10:11], s[0:1], 0x1c8
	s_load_b32 s14, s[2:3], 0x6c
	s_load_b32 s12, s[10:11], 0xc
	s_clause 0x1
	s_load_b32 s7, s[0:1], 0x1c0
	s_load_b64 s[10:11], s[2:3], 0x0
	v_and_b32_e32 v7, 0x3ff, v0
	v_cmp_gt_u32_e64 s0, s4, v3
	v_dual_mov_b32 v5, 0 :: v_dual_mov_b32 v12, 0
	v_mov_b32_e32 v6, 0
	v_mov_b32_e32 v10, 0
	s_wait_kmcnt 0x0
	v_mul_lo_u32 v2, s13, v3
	s_delay_alu instid0(VALU_DEP_1)
	v_mad_co_u64_u32 v[0:1], null, s14, v4, v[1:2]
	v_mov_b32_e32 v3, 0
	v_mov_b32_e32 v4, 0
	v_cmp_gt_u32_e32 vcc_lo, s5, v7
	s_and_b32 s2, s0, vcc_lo
	s_wait_alu 0xfffe
	s_and_saveexec_b32 s3, s2
	s_cbranch_execz .LBB33_6
; %bb.5:
	v_mad_co_u64_u32 v[5:6], null, v7, s6, v[2:3]
	v_mov_b32_e32 v6, 0
	v_mad_co_u64_u32 v[11:12], null, v7, s7, v[0:1]
	s_delay_alu instid0(VALU_DEP_2) | instskip(NEXT) | instid1(VALU_DEP_4)
	v_mov_b32_e32 v12, v6
	v_lshlrev_b64_e32 v[5:6], 1, v[5:6]
	s_delay_alu instid0(VALU_DEP_2) | instskip(NEXT) | instid1(VALU_DEP_2)
	v_lshlrev_b64_e32 v[11:12], 3, v[11:12]
	v_add_co_u32 v5, s1, s8, v5
	s_delay_alu instid0(VALU_DEP_1) | instskip(NEXT) | instid1(VALU_DEP_3)
	v_add_co_ci_u32_e64 v6, null, s9, v6, s1
	v_add_co_u32 v13, s1, s10, v11
	s_wait_alu 0xf1ff
	s_delay_alu instid0(VALU_DEP_4)
	v_add_co_ci_u32_e64 v14, null, s11, v12, s1
	global_load_u16 v12, v[5:6], off
	global_load_b64 v[5:6], v[13:14], off
.LBB33_6:
	s_wait_alu 0xfffe
	s_or_b32 exec_lo, exec_lo, s3
	s_and_b32 s3, 0xffff, s12
	v_lshl_add_u32 v13, v8, 6, 0x1000
	s_wait_alu 0xfffe
	v_add_nc_u32_e32 v1, s3, v7
	v_lshlrev_b32_e32 v11, 8, v8
	v_lshl_add_u32 v15, v8, 5, 0x1400
	v_cndmask_b32_e64 v14, 0, 1, s2
	v_lshl_add_u32 v8, v7, 1, v13
	v_cmp_gt_u32_e64 s1, s5, v1
	v_lshl_add_u32 v9, v7, 3, v11
	v_add_nc_u32_e32 v16, v15, v7
	s_wait_loadcnt 0x1
	ds_store_b16 v8, v12
	s_wait_loadcnt 0x0
	ds_store_b64 v9, v[5:6]
	ds_store_b8 v16, v14
	s_and_b32 s4, s0, s1
	s_wait_alu 0xfffe
	s_and_saveexec_b32 s5, s4
	s_cbranch_execz .LBB33_8
; %bb.7:
	v_mad_co_u64_u32 v[3:4], null, v1, s6, v[2:3]
	v_mov_b32_e32 v4, 0
	v_mad_co_u64_u32 v[5:6], null, v1, s7, v[0:1]
	s_delay_alu instid0(VALU_DEP_2) | instskip(NEXT) | instid1(VALU_DEP_4)
	v_mov_b32_e32 v6, v4
	v_lshlrev_b64_e32 v[3:4], 1, v[3:4]
	s_delay_alu instid0(VALU_DEP_2) | instskip(NEXT) | instid1(VALU_DEP_2)
	v_lshlrev_b64_e32 v[5:6], 3, v[5:6]
	v_add_co_u32 v3, s2, s8, v3
	s_wait_alu 0xf1ff
	s_delay_alu instid0(VALU_DEP_3) | instskip(NEXT) | instid1(VALU_DEP_3)
	v_add_co_ci_u32_e64 v4, null, s9, v4, s2
	v_add_co_u32 v5, s2, s10, v5
	s_wait_alu 0xf1ff
	v_add_co_ci_u32_e64 v6, null, s11, v6, s2
	global_load_u16 v10, v[3:4], off
	global_load_b64 v[3:4], v[5:6], off
.LBB33_8:
	s_wait_alu 0xfffe
	s_or_b32 exec_lo, exec_lo, s5
	v_lshl_add_u32 v5, s3, 1, v8
	v_lshlrev_b32_e32 v16, 1, v7
	v_lshl_add_u32 v6, s3, 3, v9
	v_cndmask_b32_e64 v12, 0, 1, s4
	v_add_nc_u32_e32 v14, v15, v1
	s_wait_loadcnt 0x1
	ds_store_b16 v5, v10
	s_wait_loadcnt 0x0
	ds_store_b64 v6, v[3:4]
	ds_store_b8 v14, v12
	v_add_nc_u32_e32 v4, v8, v16
	v_add_nc_u32_e32 v3, v15, v16
	s_wait_dscnt 0x0
	s_barrier_signal -1
	s_barrier_wait -1
	global_inv scope:SCOPE_SE
	ds_load_b32 v18, v4
	ds_load_u16 v14, v3
	v_and_b32_e32 v10, 1, v7
	s_wait_dscnt 0x1
	v_lshrrev_b32_e32 v17, 16, v18
	s_wait_dscnt 0x0
	v_lshrrev_b16 v12, 8, v14
	v_and_b32_e32 v19, 1, v14
	s_delay_alu instid0(VALU_DEP_3) | instskip(NEXT) | instid1(VALU_DEP_3)
	v_cmp_gt_i16_e64 s2, v18, v17
	v_cmp_ne_u16_e64 s4, v12, v10
	s_delay_alu instid0(VALU_DEP_3) | instskip(SKIP_1) | instid1(VALU_DEP_2)
	v_cmp_eq_u32_e64 s3, 1, v19
	s_wait_alu 0xf1ff
	v_cndmask_b32_e64 v17, 0, 1, s4
	s_and_b32 s2, s2, s3
	s_wait_alu 0xfffe
	s_delay_alu instid0(VALU_DEP_1) | instskip(NEXT) | instid1(VALU_DEP_1)
	v_cndmask_b32_e64 v17, v17, v7, s2
	v_and_b32_e32 v17, 1, v17
	s_delay_alu instid0(VALU_DEP_1)
	v_cmp_eq_u32_e64 s2, 1, v17
	v_lshl_add_u32 v17, v7, 3, v9
	s_and_saveexec_b32 s3, s2
	s_wait_alu 0xfffe
	s_xor_b32 s2, exec_lo, s3
	s_cbranch_execz .LBB33_10
; %bb.9:
	ds_load_b128 v[19:22], v17
	v_lshlrev_b16 v14, 8, v14
	v_alignbit_b32 v18, v18, v18, 16
	s_delay_alu instid0(VALU_DEP_2)
	v_or_b32_e32 v12, v12, v14
	s_wait_dscnt 0x0
	v_dual_mov_b32 v23, v19 :: v_dual_mov_b32 v24, v20
	ds_store_b32 v4, v18
	ds_store_b128 v17, v[21:24]
	ds_store_b16 v3, v12
.LBB33_10:
	s_wait_alu 0xfffe
	s_or_b32 exec_lo, exec_lo, s2
	v_sub_nc_u32_e32 v14, v16, v10
	s_wait_loadcnt_dscnt 0x0
	s_barrier_signal -1
	s_barrier_wait -1
	global_inv scope:SCOPE_SE
	v_add_nc_u32_e32 v10, v15, v14
	v_lshl_add_u32 v12, v14, 1, v13
	v_bfe_u32 v23, v7, 1, 1
	v_lshl_add_u32 v14, v14, 3, v11
	ds_load_u8 v18, v10
	ds_load_u16 v19, v12
	ds_load_u16 v22, v12 offset:4
	ds_load_u8 v20, v10 offset:2
	s_wait_dscnt 0x3
	v_and_b32_e32 v21, 1, v18
	s_wait_dscnt 0x1
	v_cmp_gt_i16_e64 s2, v19, v22
	s_wait_dscnt 0x0
	v_cmp_ne_u16_e64 s4, v20, v23
	v_cmp_eq_u32_e64 s3, 1, v21
	s_wait_alu 0xf1ff
	s_delay_alu instid0(VALU_DEP_2) | instskip(SKIP_2) | instid1(VALU_DEP_1)
	v_cndmask_b32_e64 v21, 0, 1, s4
	s_and_b32 s2, s2, s3
	s_wait_alu 0xfffe
	v_cndmask_b32_e64 v23, v21, v23, s2
	v_and_b32_e32 v21, 2, v7
	s_delay_alu instid0(VALU_DEP_2) | instskip(NEXT) | instid1(VALU_DEP_2)
	v_and_b32_e32 v23, 1, v23
	v_cmp_ne_u32_e64 s2, 0, v21
	s_delay_alu instid0(VALU_DEP_2)
	v_cmp_eq_u32_e64 s3, 1, v23
	s_and_saveexec_b32 s4, s3
	s_wait_alu 0xfffe
	s_xor_b32 s3, exec_lo, s4
	s_cbranch_execz .LBB33_12
; %bb.11:
	ds_load_2addr_b64 v[23:26], v14 offset1:2
	s_wait_dscnt 0x0
	ds_store_2addr_b64 v14, v[25:26], v[23:24] offset1:2
	ds_store_b16 v12, v22
	ds_store_b16 v12, v19 offset:4
	ds_store_b8 v10, v20
	ds_store_b8 v10, v18 offset:2
.LBB33_12:
	s_wait_alu 0xfffe
	s_or_b32 exec_lo, exec_lo, s3
	s_wait_loadcnt_dscnt 0x0
	s_barrier_signal -1
	s_barrier_wait -1
	global_inv scope:SCOPE_SE
	ds_load_b32 v20, v4
	ds_load_u16 v19, v3
	v_lshrrev_b32_e32 v21, 1, v21
	v_cndmask_b32_e64 v24, 0, 1, s2
	s_wait_dscnt 0x1
	v_lshrrev_b32_e32 v22, 16, v20
	s_wait_dscnt 0x0
	v_lshrrev_b16 v18, 8, v19
	v_and_b32_e32 v23, 1, v19
	s_delay_alu instid0(VALU_DEP_3) | instskip(NEXT) | instid1(VALU_DEP_3)
	v_cmp_gt_i16_e64 s2, v20, v22
	v_cmp_ne_u16_e64 s4, v18, v21
	s_delay_alu instid0(VALU_DEP_3) | instskip(SKIP_1) | instid1(VALU_DEP_2)
	v_cmp_eq_u32_e64 s3, 1, v23
	s_wait_alu 0xf1ff
	v_cndmask_b32_e64 v21, 0, 1, s4
	s_and_b32 s2, s2, s3
	s_mov_b32 s3, exec_lo
	s_wait_alu 0xfffe
	s_delay_alu instid0(VALU_DEP_1) | instskip(NEXT) | instid1(VALU_DEP_1)
	v_cndmask_b32_e64 v21, v21, v24, s2
	v_and_b32_e32 v21, 1, v21
	s_delay_alu instid0(VALU_DEP_1)
	v_cmpx_eq_u32_e32 1, v21
	s_cbranch_execz .LBB33_14
; %bb.13:
	ds_load_b128 v[21:24], v17
	v_lshlrev_b16 v26, 8, v19
	v_alignbit_b32 v25, v20, v20, 16
	s_delay_alu instid0(VALU_DEP_2)
	v_or_b32_e32 v18, v18, v26
	s_wait_dscnt 0x0
	v_dual_mov_b32 v19, v23 :: v_dual_mov_b32 v20, v24
	ds_store_b32 v4, v25
	ds_store_b128 v17, v[19:22]
	ds_store_b16 v3, v18
.LBB33_14:
	s_or_b32 exec_lo, exec_lo, s3
	v_and_b32_e32 v17, 3, v7
	s_wait_loadcnt_dscnt 0x0
	s_barrier_signal -1
	s_barrier_wait -1
	global_inv scope:SCOPE_SE
	v_sub_nc_u32_e32 v20, v16, v17
	v_bfe_u32 v25, v7, 2, 1
	s_delay_alu instid0(VALU_DEP_2)
	v_add_nc_u32_e32 v17, v15, v20
	v_lshl_add_u32 v18, v20, 1, v13
	v_lshl_add_u32 v20, v20, 3, v11
	ds_load_u8 v21, v17
	ds_load_u16 v22, v18
	ds_load_u16 v24, v18 offset:8
	ds_load_u8 v23, v17 offset:4
	s_wait_dscnt 0x3
	v_and_b32_e32 v19, 1, v21
	s_wait_dscnt 0x1
	v_cmp_gt_i16_e64 s2, v22, v24
	s_wait_dscnt 0x0
	v_cmp_ne_u16_e64 s4, v23, v25
	v_cmp_eq_u32_e64 s3, 1, v19
	s_wait_alu 0xf1ff
	s_delay_alu instid0(VALU_DEP_2) | instskip(SKIP_3) | instid1(VALU_DEP_1)
	v_cndmask_b32_e64 v19, 0, 1, s4
	s_mov_b32 s4, exec_lo
	s_and_b32 s2, s2, s3
	s_wait_alu 0xfffe
	v_cndmask_b32_e64 v25, v19, v25, s2
	v_and_b32_e32 v19, 4, v7
	s_delay_alu instid0(VALU_DEP_2) | instskip(NEXT) | instid1(VALU_DEP_2)
	v_and_b32_e32 v25, 1, v25
	v_cmp_ne_u32_e64 s2, 0, v19
	s_delay_alu instid0(VALU_DEP_2)
	v_cmpx_eq_u32_e32 1, v25
	s_cbranch_execz .LBB33_16
; %bb.15:
	ds_load_2addr_b64 v[25:28], v20 offset1:4
	s_wait_dscnt 0x0
	ds_store_2addr_b64 v20, v[27:28], v[25:26] offset1:4
	ds_store_b16 v18, v24
	ds_store_b16 v18, v22 offset:8
	ds_store_b8 v17, v23
	ds_store_b8 v17, v21 offset:4
.LBB33_16:
	s_or_b32 exec_lo, exec_lo, s4
	s_wait_loadcnt_dscnt 0x0
	s_barrier_signal -1
	s_barrier_wait -1
	global_inv scope:SCOPE_SE
	ds_load_u8 v22, v10
	ds_load_u16 v23, v12
	ds_load_u16 v25, v12 offset:4
	ds_load_u8 v24, v10 offset:2
	v_lshrrev_b32_e32 v19, 2, v19
	v_cndmask_b32_e64 v21, 0, 1, s2
	s_wait_dscnt 0x3
	v_and_b32_e32 v26, 1, v22
	s_wait_dscnt 0x1
	v_cmp_gt_i16_e64 s2, v23, v25
	s_wait_dscnt 0x0
	v_cmp_ne_u16_e64 s4, v24, v19
	v_cmp_eq_u32_e64 s3, 1, v26
	s_wait_alu 0xf1ff
	s_delay_alu instid0(VALU_DEP_2) | instskip(SKIP_3) | instid1(VALU_DEP_1)
	v_cndmask_b32_e64 v26, 0, 1, s4
	s_and_b32 s2, s2, s3
	s_mov_b32 s3, exec_lo
	s_wait_alu 0xfffe
	v_cndmask_b32_e64 v26, v26, v21, s2
	s_delay_alu instid0(VALU_DEP_1) | instskip(NEXT) | instid1(VALU_DEP_1)
	v_and_b32_e32 v26, 1, v26
	v_cmpx_eq_u32_e32 1, v26
	s_cbranch_execz .LBB33_18
; %bb.17:
	ds_load_2addr_b64 v[26:29], v14 offset1:2
	s_wait_dscnt 0x0
	ds_store_2addr_b64 v14, v[28:29], v[26:27] offset1:2
	ds_store_b16 v12, v25
	ds_store_b16 v12, v23 offset:4
	ds_store_b8 v10, v24
	ds_store_b8 v10, v22 offset:2
.LBB33_18:
	s_or_b32 exec_lo, exec_lo, s3
	s_wait_loadcnt_dscnt 0x0
	s_barrier_signal -1
	s_barrier_wait -1
	global_inv scope:SCOPE_SE
	ds_load_b32 v24, v4
	ds_load_u16 v23, v3
	s_wait_dscnt 0x1
	v_lshrrev_b32_e32 v25, 16, v24
	s_wait_dscnt 0x0
	v_lshrrev_b16 v22, 8, v23
	v_and_b32_e32 v26, 1, v23
	s_delay_alu instid0(VALU_DEP_3) | instskip(NEXT) | instid1(VALU_DEP_3)
	v_cmp_gt_i16_e64 s2, v24, v25
	v_cmp_ne_u16_e64 s4, v22, v19
	s_delay_alu instid0(VALU_DEP_3) | instskip(SKIP_1) | instid1(VALU_DEP_2)
	v_cmp_eq_u32_e64 s3, 1, v26
	s_wait_alu 0xf1ff
	v_cndmask_b32_e64 v19, 0, 1, s4
	s_and_b32 s2, s2, s3
	s_wait_alu 0xfffe
	s_delay_alu instid0(VALU_DEP_1) | instskip(NEXT) | instid1(VALU_DEP_1)
	v_cndmask_b32_e64 v19, v19, v21, s2
	v_and_b32_e32 v19, 1, v19
	s_delay_alu instid0(VALU_DEP_1)
	v_cmp_eq_u32_e64 s2, 1, v19
	v_lshl_add_u32 v19, v16, 3, v11
	s_and_saveexec_b32 s3, s2
	s_cbranch_execz .LBB33_20
; %bb.19:
	ds_load_b128 v[25:28], v19
	v_lshlrev_b16 v29, 8, v23
	v_alignbit_b32 v21, v24, v24, 16
	s_delay_alu instid0(VALU_DEP_2)
	v_or_b32_e32 v22, v22, v29
	s_wait_dscnt 0x0
	v_dual_mov_b32 v23, v27 :: v_dual_mov_b32 v24, v28
	ds_store_b32 v4, v21
	ds_store_b128 v19, v[23:26]
	ds_store_b16 v3, v22
.LBB33_20:
	s_wait_alu 0xfffe
	s_or_b32 exec_lo, exec_lo, s3
	v_and_b32_e32 v21, 7, v7
	s_wait_loadcnt_dscnt 0x0
	s_barrier_signal -1
	s_barrier_wait -1
	global_inv scope:SCOPE_SE
	v_sub_nc_u32_e32 v23, v16, v21
	v_bfe_u32 v29, v7, 3, 1
	s_delay_alu instid0(VALU_DEP_2)
	v_add_nc_u32_e32 v21, v15, v23
	v_lshl_add_u32 v22, v23, 1, v13
	v_lshl_add_u32 v23, v23, 3, v11
	ds_load_u8 v25, v21
	ds_load_u16 v26, v22
	ds_load_u16 v28, v22 offset:16
	ds_load_u8 v27, v21 offset:8
	s_wait_dscnt 0x3
	v_and_b32_e32 v24, 1, v25
	s_wait_dscnt 0x1
	v_cmp_gt_i16_e64 s2, v26, v28
	s_wait_dscnt 0x0
	v_cmp_ne_u16_e64 s4, v27, v29
	v_cmp_eq_u32_e64 s3, 1, v24
	s_wait_alu 0xf1ff
	s_delay_alu instid0(VALU_DEP_2) | instskip(SKIP_3) | instid1(VALU_DEP_1)
	v_cndmask_b32_e64 v24, 0, 1, s4
	s_mov_b32 s4, exec_lo
	s_and_b32 s2, s2, s3
	s_wait_alu 0xfffe
	v_cndmask_b32_e64 v29, v24, v29, s2
	v_and_b32_e32 v24, 8, v7
	s_delay_alu instid0(VALU_DEP_2) | instskip(NEXT) | instid1(VALU_DEP_2)
	v_and_b32_e32 v29, 1, v29
	v_cmp_ne_u32_e64 s2, 0, v24
	s_delay_alu instid0(VALU_DEP_2)
	v_cmpx_eq_u32_e32 1, v29
	s_cbranch_execz .LBB33_22
; %bb.21:
	ds_load_2addr_b64 v[29:32], v23 offset1:8
	s_wait_dscnt 0x0
	ds_store_2addr_b64 v23, v[31:32], v[29:30] offset1:8
	ds_store_b16 v22, v28
	ds_store_b16 v22, v26 offset:16
	ds_store_b8 v21, v27
	ds_store_b8 v21, v25 offset:8
.LBB33_22:
	s_or_b32 exec_lo, exec_lo, s4
	s_wait_loadcnt_dscnt 0x0
	s_barrier_signal -1
	s_barrier_wait -1
	global_inv scope:SCOPE_SE
	ds_load_u8 v26, v17
	ds_load_u16 v27, v18
	ds_load_u16 v29, v18 offset:8
	ds_load_u8 v28, v17 offset:4
	v_lshrrev_b32_e32 v24, 3, v24
	v_cndmask_b32_e64 v25, 0, 1, s2
	s_wait_dscnt 0x3
	v_and_b32_e32 v30, 1, v26
	s_wait_dscnt 0x1
	v_cmp_gt_i16_e64 s2, v27, v29
	s_wait_dscnt 0x0
	v_cmp_ne_u16_e64 s4, v28, v24
	v_cmp_eq_u32_e64 s3, 1, v30
	s_wait_alu 0xf1ff
	s_delay_alu instid0(VALU_DEP_2) | instskip(SKIP_3) | instid1(VALU_DEP_1)
	v_cndmask_b32_e64 v30, 0, 1, s4
	s_and_b32 s2, s2, s3
	s_mov_b32 s3, exec_lo
	s_wait_alu 0xfffe
	v_cndmask_b32_e64 v30, v30, v25, s2
	s_delay_alu instid0(VALU_DEP_1) | instskip(NEXT) | instid1(VALU_DEP_1)
	v_and_b32_e32 v30, 1, v30
	v_cmpx_eq_u32_e32 1, v30
	s_cbranch_execz .LBB33_24
; %bb.23:
	ds_load_2addr_b64 v[30:33], v20 offset1:4
	s_wait_dscnt 0x0
	ds_store_2addr_b64 v20, v[32:33], v[30:31] offset1:4
	ds_store_b16 v18, v29
	ds_store_b16 v18, v27 offset:8
	ds_store_b8 v17, v28
	ds_store_b8 v17, v26 offset:4
.LBB33_24:
	s_or_b32 exec_lo, exec_lo, s3
	s_wait_loadcnt_dscnt 0x0
	s_barrier_signal -1
	s_barrier_wait -1
	global_inv scope:SCOPE_SE
	ds_load_u8 v26, v10
	ds_load_u16 v27, v12
	ds_load_u16 v29, v12 offset:4
	ds_load_u8 v28, v10 offset:2
	s_wait_dscnt 0x3
	v_and_b32_e32 v30, 1, v26
	s_wait_dscnt 0x1
	v_cmp_gt_i16_e64 s2, v27, v29
	s_wait_dscnt 0x0
	v_cmp_ne_u16_e64 s4, v28, v24
	v_cmp_eq_u32_e64 s3, 1, v30
	s_wait_alu 0xf1ff
	s_delay_alu instid0(VALU_DEP_2) | instskip(SKIP_3) | instid1(VALU_DEP_1)
	v_cndmask_b32_e64 v30, 0, 1, s4
	s_and_b32 s2, s2, s3
	s_mov_b32 s3, exec_lo
	s_wait_alu 0xfffe
	v_cndmask_b32_e64 v30, v30, v25, s2
	s_delay_alu instid0(VALU_DEP_1) | instskip(NEXT) | instid1(VALU_DEP_1)
	v_and_b32_e32 v30, 1, v30
	v_cmpx_eq_u32_e32 1, v30
	s_cbranch_execz .LBB33_26
; %bb.25:
	ds_load_2addr_b64 v[30:33], v14 offset1:2
	s_wait_dscnt 0x0
	ds_store_2addr_b64 v14, v[32:33], v[30:31] offset1:2
	ds_store_b16 v12, v29
	ds_store_b16 v12, v27 offset:4
	ds_store_b8 v10, v28
	ds_store_b8 v10, v26 offset:2
.LBB33_26:
	s_or_b32 exec_lo, exec_lo, s3
	s_wait_loadcnt_dscnt 0x0
	s_barrier_signal -1
	s_barrier_wait -1
	global_inv scope:SCOPE_SE
	ds_load_b32 v28, v4
	ds_load_u16 v27, v3
	s_wait_dscnt 0x1
	v_lshrrev_b32_e32 v29, 16, v28
	s_wait_dscnt 0x0
	v_lshrrev_b16 v26, 8, v27
	v_and_b32_e32 v30, 1, v27
	s_delay_alu instid0(VALU_DEP_3) | instskip(NEXT) | instid1(VALU_DEP_3)
	v_cmp_gt_i16_e64 s2, v28, v29
	v_cmp_ne_u16_e64 s4, v26, v24
	s_delay_alu instid0(VALU_DEP_3) | instskip(SKIP_1) | instid1(VALU_DEP_2)
	v_cmp_eq_u32_e64 s3, 1, v30
	s_wait_alu 0xf1ff
	v_cndmask_b32_e64 v24, 0, 1, s4
	s_and_b32 s2, s2, s3
	s_mov_b32 s3, exec_lo
	s_wait_alu 0xfffe
	s_delay_alu instid0(VALU_DEP_1) | instskip(NEXT) | instid1(VALU_DEP_1)
	v_cndmask_b32_e64 v24, v24, v25, s2
	v_and_b32_e32 v24, 1, v24
	s_delay_alu instid0(VALU_DEP_1)
	v_cmpx_eq_u32_e32 1, v24
	s_cbranch_execz .LBB33_28
; %bb.27:
	ds_load_b128 v[29:32], v19
	v_lshlrev_b16 v25, 8, v27
	v_alignbit_b32 v24, v28, v28, 16
	s_delay_alu instid0(VALU_DEP_2)
	v_or_b32_e32 v25, v26, v25
	s_wait_dscnt 0x0
	v_dual_mov_b32 v27, v31 :: v_dual_mov_b32 v28, v32
	ds_store_b32 v4, v24
	ds_store_b128 v19, v[27:30]
	ds_store_b16 v3, v25
.LBB33_28:
	s_or_b32 exec_lo, exec_lo, s3
	v_and_b32_e32 v24, 15, v7
	s_wait_loadcnt_dscnt 0x0
	s_barrier_signal -1
	s_barrier_wait -1
	global_inv scope:SCOPE_SE
	v_sub_nc_u32_e32 v16, v16, v24
	s_delay_alu instid0(VALU_DEP_1)
	v_add_nc_u32_e32 v15, v15, v16
	v_lshl_add_u32 v13, v16, 1, v13
	ds_load_u8 v24, v15
	ds_load_u8 v27, v15 offset:16
	ds_load_u16 v25, v13
	ds_load_u16 v26, v13 offset:32
	s_wait_dscnt 0x2
	v_and_b32_e32 v27, 0xff, v27
	v_and_b32_e32 v28, 1, v24
	s_wait_dscnt 0x0
	v_cmp_le_i16_e64 s3, v25, v26
	s_delay_alu instid0(VALU_DEP_3) | instskip(NEXT) | instid1(VALU_DEP_3)
	v_cmp_ne_u16_e64 s4, 0, v27
	v_cmp_eq_u32_e64 s2, 1, v28
	s_xor_b32 s2, s2, -1
	s_wait_alu 0xfffe
	s_or_b32 s2, s3, s2
	s_wait_alu 0xfffe
	s_and_b32 s3, s2, s4
	s_wait_alu 0xfffe
	s_and_saveexec_b32 s2, s3
	s_cbranch_execz .LBB33_30
; %bb.29:
	v_lshl_add_u32 v11, v16, 3, v11
	v_mov_b32_e32 v16, 1
	ds_load_2addr_b64 v[27:30], v11 offset1:16
	s_wait_dscnt 0x0
	ds_store_2addr_b64 v11, v[29:30], v[27:28] offset1:16
	ds_store_b16 v13, v26
	ds_store_b16 v13, v25 offset:32
	ds_store_b8 v15, v16
	ds_store_b8 v15, v24 offset:16
.LBB33_30:
	s_wait_alu 0xfffe
	s_or_b32 exec_lo, exec_lo, s2
	s_wait_loadcnt_dscnt 0x0
	s_barrier_signal -1
	s_barrier_wait -1
	global_inv scope:SCOPE_SE
	ds_load_u8 v11, v21
	ds_load_u8 v16, v21 offset:8
	ds_load_u16 v13, v22
	ds_load_u16 v15, v22 offset:16
	s_wait_dscnt 0x3
	v_and_b32_e32 v24, 1, v11
	s_wait_dscnt 0x2
	v_and_b32_e32 v16, 0xff, v16
	s_wait_dscnt 0x0
	v_cmp_le_i16_e64 s3, v13, v15
	v_cmp_eq_u32_e64 s2, 1, v24
	s_delay_alu instid0(VALU_DEP_3)
	v_cmp_ne_u16_e64 s4, 0, v16
	s_xor_b32 s2, s2, -1
	s_wait_alu 0xfffe
	s_or_b32 s2, s3, s2
	s_wait_alu 0xfffe
	s_and_b32 s3, s2, s4
	s_wait_alu 0xfffe
	s_and_saveexec_b32 s2, s3
	s_cbranch_execz .LBB33_32
; %bb.31:
	ds_load_2addr_b64 v[24:27], v23 offset1:8
	v_mov_b32_e32 v16, 1
	s_wait_dscnt 0x0
	ds_store_2addr_b64 v23, v[26:27], v[24:25] offset1:8
	ds_store_b16 v22, v15
	ds_store_b16 v22, v13 offset:16
	ds_store_b8 v21, v16
	ds_store_b8 v21, v11 offset:8
.LBB33_32:
	s_wait_alu 0xfffe
	s_or_b32 exec_lo, exec_lo, s2
	s_wait_loadcnt_dscnt 0x0
	s_barrier_signal -1
	s_barrier_wait -1
	global_inv scope:SCOPE_SE
	ds_load_u8 v11, v17
	ds_load_u8 v16, v17 offset:4
	ds_load_u16 v13, v18
	ds_load_u16 v15, v18 offset:8
	s_wait_dscnt 0x3
	v_and_b32_e32 v21, 1, v11
	s_wait_dscnt 0x2
	v_and_b32_e32 v16, 0xff, v16
	s_wait_dscnt 0x0
	v_cmp_le_i16_e64 s3, v13, v15
	v_cmp_eq_u32_e64 s2, 1, v21
	s_delay_alu instid0(VALU_DEP_3)
	v_cmp_ne_u16_e64 s4, 0, v16
	s_xor_b32 s2, s2, -1
	s_wait_alu 0xfffe
	s_or_b32 s2, s3, s2
	s_wait_alu 0xfffe
	s_and_b32 s3, s2, s4
	s_wait_alu 0xfffe
	s_and_saveexec_b32 s2, s3
	s_cbranch_execz .LBB33_34
; %bb.33:
	ds_load_2addr_b64 v[21:24], v20 offset1:4
	v_mov_b32_e32 v16, 1
	s_wait_dscnt 0x0
	ds_store_2addr_b64 v20, v[23:24], v[21:22] offset1:4
	ds_store_b16 v18, v15
	ds_store_b16 v18, v13 offset:8
	ds_store_b8 v17, v16
	ds_store_b8 v17, v11 offset:4
.LBB33_34:
	;; [unrolled: 37-line block ×3, first 2 shown]
	s_wait_alu 0xfffe
	s_or_b32 exec_lo, exec_lo, s2
	s_wait_loadcnt_dscnt 0x0
	s_barrier_signal -1
	s_barrier_wait -1
	global_inv scope:SCOPE_SE
	ds_load_u16 v10, v3
	ds_load_b32 v11, v4
	s_wait_dscnt 0x1
	v_and_b32_e32 v12, 1, v10
	s_wait_dscnt 0x0
	v_lshrrev_b32_e32 v13, 16, v11
	v_lshrrev_b16 v14, 8, v10
	s_delay_alu instid0(VALU_DEP_3) | instskip(NEXT) | instid1(VALU_DEP_3)
	v_cmp_eq_u32_e64 s2, 1, v12
	v_cmp_le_i16_e64 s3, v11, v13
	s_delay_alu instid0(VALU_DEP_3)
	v_cmp_ne_u16_e64 s4, 0, v14
	s_xor_b32 s2, s2, -1
	s_wait_alu 0xfffe
	s_or_b32 s2, s3, s2
	s_wait_alu 0xfffe
	s_and_b32 s3, s2, s4
	s_wait_alu 0xfffe
	s_and_saveexec_b32 s2, s3
	s_cbranch_execz .LBB33_38
; %bb.37:
	ds_load_b128 v[12:15], v19
	v_lshlrev_b16 v17, 8, v10
	v_alignbit_b32 v16, v11, v11, 16
	s_wait_dscnt 0x0
	v_dual_mov_b32 v10, v14 :: v_dual_mov_b32 v11, v15
	s_delay_alu instid0(VALU_DEP_3)
	v_or_b32_e32 v14, 1, v17
	ds_store_b32 v4, v16
	ds_store_b128 v19, v[10:13]
	ds_store_b16 v3, v14
.LBB33_38:
	s_wait_alu 0xfffe
	s_or_b32 exec_lo, exec_lo, s2
	s_wait_loadcnt_dscnt 0x0
	s_barrier_signal -1
	s_barrier_wait -1
	global_inv scope:SCOPE_SE
	s_and_saveexec_b32 s2, s0
	s_cbranch_execz .LBB33_43
; %bb.39:
	s_and_saveexec_b32 s0, vcc_lo
	s_cbranch_execz .LBB33_41
; %bb.40:
	v_mad_co_u64_u32 v[3:4], null, v7, s6, v[2:3]
	v_mov_b32_e32 v4, 0
	v_mad_co_u64_u32 v[10:11], null, v7, s7, v[0:1]
	ds_load_u16 v12, v8
	ds_load_b64 v[7:8], v9
	v_mov_b32_e32 v11, v4
	v_lshlrev_b64_e32 v[3:4], 1, v[3:4]
	s_delay_alu instid0(VALU_DEP_2) | instskip(NEXT) | instid1(VALU_DEP_2)
	v_lshlrev_b64_e32 v[9:10], 3, v[10:11]
	v_add_co_u32 v3, vcc_lo, s8, v3
	s_wait_alu 0xfffd
	s_delay_alu instid0(VALU_DEP_3) | instskip(NEXT) | instid1(VALU_DEP_3)
	v_add_co_ci_u32_e64 v4, null, s9, v4, vcc_lo
	v_add_co_u32 v9, vcc_lo, s10, v9
	s_wait_alu 0xfffd
	v_add_co_ci_u32_e64 v10, null, s11, v10, vcc_lo
	s_wait_dscnt 0x1
	global_store_b16 v[3:4], v12, off
	s_wait_dscnt 0x0
	global_store_b64 v[9:10], v[7:8], off
.LBB33_41:
	s_wait_alu 0xfffe
	s_or_b32 exec_lo, exec_lo, s0
	s_delay_alu instid0(SALU_CYCLE_1)
	s_and_b32 exec_lo, exec_lo, s1
	s_cbranch_execz .LBB33_43
; %bb.42:
	v_mad_co_u64_u32 v[2:3], null, v1, s6, v[2:3]
	v_mov_b32_e32 v3, 0
	v_mad_co_u64_u32 v[0:1], null, v1, s7, v[0:1]
	ds_load_u16 v7, v5
	ds_load_b64 v[4:5], v6
	v_mov_b32_e32 v1, v3
	v_lshlrev_b64_e32 v[2:3], 1, v[2:3]
	s_delay_alu instid0(VALU_DEP_2) | instskip(NEXT) | instid1(VALU_DEP_2)
	v_lshlrev_b64_e32 v[0:1], 3, v[0:1]
	v_add_co_u32 v2, vcc_lo, s8, v2
	s_wait_alu 0xfffd
	s_delay_alu instid0(VALU_DEP_3) | instskip(NEXT) | instid1(VALU_DEP_3)
	v_add_co_ci_u32_e64 v3, null, s9, v3, vcc_lo
	v_add_co_u32 v0, vcc_lo, s10, v0
	s_wait_alu 0xfffd
	v_add_co_ci_u32_e64 v1, null, s11, v1, vcc_lo
	s_wait_dscnt 0x1
	global_store_b16 v[2:3], v7, off
	s_wait_dscnt 0x0
	global_store_b64 v[0:1], v[4:5], off
.LBB33_43:
	s_endpgm
	.section	.rodata,"a",@progbits
	.p2align	6, 0x0
	.amdhsa_kernel _ZN2at6native20bitonicSortKVInPlaceILin2ELin1ELi16ELi16EslNS0_4GTOpIsLb1EEEjEEvNS_4cuda6detail10TensorInfoIT3_T6_EES8_S8_S8_NS6_IT4_S8_EES8_T5_
		.amdhsa_group_segment_fixed_size 5632
		.amdhsa_private_segment_fixed_size 0
		.amdhsa_kernarg_size 712
		.amdhsa_user_sgpr_count 2
		.amdhsa_user_sgpr_dispatch_ptr 0
		.amdhsa_user_sgpr_queue_ptr 0
		.amdhsa_user_sgpr_kernarg_segment_ptr 1
		.amdhsa_user_sgpr_dispatch_id 0
		.amdhsa_user_sgpr_private_segment_size 0
		.amdhsa_wavefront_size32 1
		.amdhsa_uses_dynamic_stack 0
		.amdhsa_enable_private_segment 0
		.amdhsa_system_sgpr_workgroup_id_x 1
		.amdhsa_system_sgpr_workgroup_id_y 1
		.amdhsa_system_sgpr_workgroup_id_z 1
		.amdhsa_system_sgpr_workgroup_info 0
		.amdhsa_system_vgpr_workitem_id 1
		.amdhsa_next_free_vgpr 34
		.amdhsa_next_free_sgpr 16
		.amdhsa_reserve_vcc 1
		.amdhsa_float_round_mode_32 0
		.amdhsa_float_round_mode_16_64 0
		.amdhsa_float_denorm_mode_32 3
		.amdhsa_float_denorm_mode_16_64 3
		.amdhsa_fp16_overflow 0
		.amdhsa_workgroup_processor_mode 1
		.amdhsa_memory_ordered 1
		.amdhsa_forward_progress 1
		.amdhsa_inst_pref_size 37
		.amdhsa_round_robin_scheduling 0
		.amdhsa_exception_fp_ieee_invalid_op 0
		.amdhsa_exception_fp_denorm_src 0
		.amdhsa_exception_fp_ieee_div_zero 0
		.amdhsa_exception_fp_ieee_overflow 0
		.amdhsa_exception_fp_ieee_underflow 0
		.amdhsa_exception_fp_ieee_inexact 0
		.amdhsa_exception_int_div_zero 0
	.end_amdhsa_kernel
	.section	.text._ZN2at6native20bitonicSortKVInPlaceILin2ELin1ELi16ELi16EslNS0_4GTOpIsLb1EEEjEEvNS_4cuda6detail10TensorInfoIT3_T6_EES8_S8_S8_NS6_IT4_S8_EES8_T5_,"axG",@progbits,_ZN2at6native20bitonicSortKVInPlaceILin2ELin1ELi16ELi16EslNS0_4GTOpIsLb1EEEjEEvNS_4cuda6detail10TensorInfoIT3_T6_EES8_S8_S8_NS6_IT4_S8_EES8_T5_,comdat
.Lfunc_end33:
	.size	_ZN2at6native20bitonicSortKVInPlaceILin2ELin1ELi16ELi16EslNS0_4GTOpIsLb1EEEjEEvNS_4cuda6detail10TensorInfoIT3_T6_EES8_S8_S8_NS6_IT4_S8_EES8_T5_, .Lfunc_end33-_ZN2at6native20bitonicSortKVInPlaceILin2ELin1ELi16ELi16EslNS0_4GTOpIsLb1EEEjEEvNS_4cuda6detail10TensorInfoIT3_T6_EES8_S8_S8_NS6_IT4_S8_EES8_T5_
                                        ; -- End function
	.set _ZN2at6native20bitonicSortKVInPlaceILin2ELin1ELi16ELi16EslNS0_4GTOpIsLb1EEEjEEvNS_4cuda6detail10TensorInfoIT3_T6_EES8_S8_S8_NS6_IT4_S8_EES8_T5_.num_vgpr, 34
	.set _ZN2at6native20bitonicSortKVInPlaceILin2ELin1ELi16ELi16EslNS0_4GTOpIsLb1EEEjEEvNS_4cuda6detail10TensorInfoIT3_T6_EES8_S8_S8_NS6_IT4_S8_EES8_T5_.num_agpr, 0
	.set _ZN2at6native20bitonicSortKVInPlaceILin2ELin1ELi16ELi16EslNS0_4GTOpIsLb1EEEjEEvNS_4cuda6detail10TensorInfoIT3_T6_EES8_S8_S8_NS6_IT4_S8_EES8_T5_.numbered_sgpr, 16
	.set _ZN2at6native20bitonicSortKVInPlaceILin2ELin1ELi16ELi16EslNS0_4GTOpIsLb1EEEjEEvNS_4cuda6detail10TensorInfoIT3_T6_EES8_S8_S8_NS6_IT4_S8_EES8_T5_.num_named_barrier, 0
	.set _ZN2at6native20bitonicSortKVInPlaceILin2ELin1ELi16ELi16EslNS0_4GTOpIsLb1EEEjEEvNS_4cuda6detail10TensorInfoIT3_T6_EES8_S8_S8_NS6_IT4_S8_EES8_T5_.private_seg_size, 0
	.set _ZN2at6native20bitonicSortKVInPlaceILin2ELin1ELi16ELi16EslNS0_4GTOpIsLb1EEEjEEvNS_4cuda6detail10TensorInfoIT3_T6_EES8_S8_S8_NS6_IT4_S8_EES8_T5_.uses_vcc, 1
	.set _ZN2at6native20bitonicSortKVInPlaceILin2ELin1ELi16ELi16EslNS0_4GTOpIsLb1EEEjEEvNS_4cuda6detail10TensorInfoIT3_T6_EES8_S8_S8_NS6_IT4_S8_EES8_T5_.uses_flat_scratch, 0
	.set _ZN2at6native20bitonicSortKVInPlaceILin2ELin1ELi16ELi16EslNS0_4GTOpIsLb1EEEjEEvNS_4cuda6detail10TensorInfoIT3_T6_EES8_S8_S8_NS6_IT4_S8_EES8_T5_.has_dyn_sized_stack, 0
	.set _ZN2at6native20bitonicSortKVInPlaceILin2ELin1ELi16ELi16EslNS0_4GTOpIsLb1EEEjEEvNS_4cuda6detail10TensorInfoIT3_T6_EES8_S8_S8_NS6_IT4_S8_EES8_T5_.has_recursion, 0
	.set _ZN2at6native20bitonicSortKVInPlaceILin2ELin1ELi16ELi16EslNS0_4GTOpIsLb1EEEjEEvNS_4cuda6detail10TensorInfoIT3_T6_EES8_S8_S8_NS6_IT4_S8_EES8_T5_.has_indirect_call, 0
	.section	.AMDGPU.csdata,"",@progbits
; Kernel info:
; codeLenInByte = 4700
; TotalNumSgprs: 18
; NumVgprs: 34
; ScratchSize: 0
; MemoryBound: 0
; FloatMode: 240
; IeeeMode: 1
; LDSByteSize: 5632 bytes/workgroup (compile time only)
; SGPRBlocks: 0
; VGPRBlocks: 4
; NumSGPRsForWavesPerEU: 18
; NumVGPRsForWavesPerEU: 34
; Occupancy: 16
; WaveLimiterHint : 1
; COMPUTE_PGM_RSRC2:SCRATCH_EN: 0
; COMPUTE_PGM_RSRC2:USER_SGPR: 2
; COMPUTE_PGM_RSRC2:TRAP_HANDLER: 0
; COMPUTE_PGM_RSRC2:TGID_X_EN: 1
; COMPUTE_PGM_RSRC2:TGID_Y_EN: 1
; COMPUTE_PGM_RSRC2:TGID_Z_EN: 1
; COMPUTE_PGM_RSRC2:TIDIG_COMP_CNT: 1
	.section	.text._ZN2at6native20bitonicSortKVInPlaceILi2ELin1ELi16ELi16EslNS0_4LTOpIsLb1EEEjEEvNS_4cuda6detail10TensorInfoIT3_T6_EES8_S8_S8_NS6_IT4_S8_EES8_T5_,"axG",@progbits,_ZN2at6native20bitonicSortKVInPlaceILi2ELin1ELi16ELi16EslNS0_4LTOpIsLb1EEEjEEvNS_4cuda6detail10TensorInfoIT3_T6_EES8_S8_S8_NS6_IT4_S8_EES8_T5_,comdat
	.protected	_ZN2at6native20bitonicSortKVInPlaceILi2ELin1ELi16ELi16EslNS0_4LTOpIsLb1EEEjEEvNS_4cuda6detail10TensorInfoIT3_T6_EES8_S8_S8_NS6_IT4_S8_EES8_T5_ ; -- Begin function _ZN2at6native20bitonicSortKVInPlaceILi2ELin1ELi16ELi16EslNS0_4LTOpIsLb1EEEjEEvNS_4cuda6detail10TensorInfoIT3_T6_EES8_S8_S8_NS6_IT4_S8_EES8_T5_
	.globl	_ZN2at6native20bitonicSortKVInPlaceILi2ELin1ELi16ELi16EslNS0_4LTOpIsLb1EEEjEEvNS_4cuda6detail10TensorInfoIT3_T6_EES8_S8_S8_NS6_IT4_S8_EES8_T5_
	.p2align	8
	.type	_ZN2at6native20bitonicSortKVInPlaceILi2ELin1ELi16ELi16EslNS0_4LTOpIsLb1EEEjEEvNS_4cuda6detail10TensorInfoIT3_T6_EES8_S8_S8_NS6_IT4_S8_EES8_T5_,@function
_ZN2at6native20bitonicSortKVInPlaceILi2ELin1ELi16ELi16EslNS0_4LTOpIsLb1EEEjEEvNS_4cuda6detail10TensorInfoIT3_T6_EES8_S8_S8_NS6_IT4_S8_EES8_T5_: ; @_ZN2at6native20bitonicSortKVInPlaceILi2ELin1ELi16ELi16EslNS0_4LTOpIsLb1EEEjEEvNS_4cuda6detail10TensorInfoIT3_T6_EES8_S8_S8_NS6_IT4_S8_EES8_T5_
; %bb.0:
	s_clause 0x2
	s_load_b64 s[2:3], s[0:1], 0x1c8
	s_load_u16 s7, s[0:1], 0x1d6
	s_load_b96 s[4:6], s[0:1], 0xd8
	s_lshr_b32 s8, ttmp7, 16
	s_wait_kmcnt 0x0
	s_mul_i32 s3, s3, s8
	s_and_b32 s8, ttmp7, 0xffff
	s_delay_alu instid0(SALU_CYCLE_1) | instskip(NEXT) | instid1(SALU_CYCLE_1)
	s_add_co_i32 s3, s3, s8
	s_mul_i32 s2, s3, s2
	s_delay_alu instid0(SALU_CYCLE_1) | instskip(NEXT) | instid1(SALU_CYCLE_1)
	s_add_co_i32 s10, s2, ttmp9
	s_mul_i32 s10, s10, s7
	s_delay_alu instid0(SALU_CYCLE_1)
	s_cmp_ge_u32 s10, s4
	s_cbranch_scc1 .LBB34_44
; %bb.1:
	s_clause 0x2
	s_load_b32 s7, s[0:1], 0xc
	s_load_b64 s[2:3], s[0:1], 0x6c
	s_load_b32 s14, s[0:1], 0x1b8
	v_bfe_u32 v8, v0, 10, 10
	s_mov_b32 s13, 0
	s_delay_alu instid0(VALU_DEP_1) | instskip(SKIP_3) | instid1(SALU_CYCLE_2)
	v_add_nc_u32_e32 v4, s10, v8
	s_wait_kmcnt 0x0
	s_cvt_f32_u32 s8, s7
	s_sub_co_i32 s12, 0, s7
	v_rcp_iflag_f32_e32 v1, s8
	s_delay_alu instid0(TRANS32_DEP_1) | instskip(SKIP_3) | instid1(SALU_CYCLE_2)
	v_readfirstlane_b32 s8, v1
	v_mov_b32_e32 v1, 0
	s_mul_f32 s11, s8, 0x4f7ffffe
	s_load_b64 s[8:9], s[0:1], 0x0
	s_cvt_u32_f32 s11, s11
	s_wait_alu 0xfffe
	s_delay_alu instid0(SALU_CYCLE_2) | instskip(NEXT) | instid1(SALU_CYCLE_1)
	s_mul_i32 s12, s12, s11
	s_mul_hi_u32 s10, s11, s12
	s_wait_alu 0xfffe
	s_add_co_i32 s11, s11, s10
	s_cmp_lt_i32 s14, 2
	s_wait_alu 0xfffe
	v_mad_co_u64_u32 v[2:3], null, v4, s11, 0
	s_add_nc_u64 s[10:11], s[0:1], 0xe8
	s_cbranch_scc1 .LBB34_4
; %bb.2:
	s_add_co_i32 s12, s14, -1
	v_mov_b32_e32 v1, 0
	s_lshl_b64 s[12:13], s[12:13], 2
	v_mov_b32_e32 v5, v4
	s_wait_alu 0xfffe
	s_add_nc_u64 s[12:13], s[10:11], s[12:13]
	s_add_co_i32 s14, s14, 1
	s_add_nc_u64 s[12:13], s[12:13], 8
.LBB34_3:                               ; =>This Inner Loop Header: Depth=1
	s_clause 0x1
	s_load_b32 s15, s[12:13], 0x0
	s_load_b32 s16, s[12:13], 0x64
	s_add_co_i32 s14, s14, -1
	s_add_nc_u64 s[12:13], s[12:13], -4
	s_wait_kmcnt 0x0
	s_cvt_f32_u32 s17, s15
	s_sub_co_i32 s18, 0, s15
	s_wait_alu 0xfffe
	s_delay_alu instid0(SALU_CYCLE_1) | instskip(NEXT) | instid1(TRANS32_DEP_1)
	v_rcp_iflag_f32_e32 v2, s17
	v_readfirstlane_b32 s17, v2
	v_mov_b32_e32 v2, v5
	s_mul_f32 s17, s17, 0x4f7ffffe
	s_wait_alu 0xfffe
	s_delay_alu instid0(SALU_CYCLE_2) | instskip(SKIP_1) | instid1(SALU_CYCLE_2)
	s_cvt_u32_f32 s17, s17
	s_wait_alu 0xfffe
	s_mul_i32 s18, s18, s17
	s_delay_alu instid0(SALU_CYCLE_1) | instskip(NEXT) | instid1(SALU_CYCLE_1)
	s_mul_hi_u32 s18, s17, s18
	s_add_co_i32 s17, s17, s18
	s_cmp_gt_u32 s14, 2
	s_wait_alu 0xfffe
	v_mul_hi_u32 v5, v2, s17
	s_delay_alu instid0(VALU_DEP_1) | instskip(SKIP_1) | instid1(VALU_DEP_2)
	v_mul_lo_u32 v6, v5, s15
	v_add_nc_u32_e32 v7, 1, v5
	v_sub_nc_u32_e32 v6, v2, v6
	s_delay_alu instid0(VALU_DEP_1) | instskip(SKIP_2) | instid1(VALU_DEP_2)
	v_subrev_nc_u32_e32 v9, s15, v6
	v_cmp_le_u32_e32 vcc_lo, s15, v6
	s_wait_alu 0xfffd
	v_dual_cndmask_b32 v5, v5, v7 :: v_dual_cndmask_b32 v6, v6, v9
	s_delay_alu instid0(VALU_DEP_1) | instskip(NEXT) | instid1(VALU_DEP_2)
	v_add_nc_u32_e32 v7, 1, v5
	v_cmp_le_u32_e32 vcc_lo, s15, v6
	s_wait_alu 0xfffd
	s_delay_alu instid0(VALU_DEP_2) | instskip(NEXT) | instid1(VALU_DEP_1)
	v_cndmask_b32_e32 v5, v5, v7, vcc_lo
	v_mul_lo_u32 v6, v5, s15
	s_delay_alu instid0(VALU_DEP_1) | instskip(NEXT) | instid1(VALU_DEP_1)
	v_sub_nc_u32_e32 v2, v2, v6
	v_mad_co_u64_u32 v[1:2], null, s16, v2, v[1:2]
	s_cbranch_scc1 .LBB34_3
	s_branch .LBB34_5
.LBB34_4:
	v_mov_b32_e32 v5, v4
.LBB34_5:
	v_mul_lo_u32 v2, v3, s7
	v_add_nc_u32_e32 v6, 1, v3
	s_load_b32 s14, s[10:11], 0x6c
	s_add_nc_u64 s[12:13], s[0:1], 0x1c8
	v_mov_b32_e32 v10, 0
	s_load_b32 s12, s[12:13], 0xc
	v_mov_b32_e32 v12, 0
	s_delay_alu instid0(VALU_DEP_4) | instskip(NEXT) | instid1(VALU_DEP_1)
	v_sub_nc_u32_e32 v2, v4, v2
	v_subrev_nc_u32_e32 v7, s7, v2
	v_cmp_le_u32_e32 vcc_lo, s7, v2
	s_wait_alu 0xfffd
	s_delay_alu instid0(VALU_DEP_2) | instskip(NEXT) | instid1(VALU_DEP_1)
	v_dual_cndmask_b32 v3, v3, v6 :: v_dual_cndmask_b32 v2, v2, v7
	v_add_nc_u32_e32 v6, 1, v3
	s_delay_alu instid0(VALU_DEP_2) | instskip(SKIP_1) | instid1(VALU_DEP_2)
	v_cmp_le_u32_e32 vcc_lo, s7, v2
	s_wait_alu 0xfffd
	v_dual_cndmask_b32 v3, v3, v6 :: v_dual_and_b32 v6, 0x3ff, v0
	s_delay_alu instid0(VALU_DEP_1)
	v_mul_lo_u32 v2, v3, s7
	s_clause 0x1
	s_load_b32 s7, s[0:1], 0x1c0
	s_load_b64 s[10:11], s[10:11], 0x0
	v_cmp_gt_u32_e64 s0, s4, v4
	v_cmp_gt_u32_e32 vcc_lo, s5, v6
	s_delay_alu instid0(VALU_DEP_3) | instskip(NEXT) | instid1(VALU_DEP_1)
	v_sub_nc_u32_e32 v2, v4, v2
	v_mul_lo_u32 v2, v2, s3
	s_wait_kmcnt 0x0
	s_delay_alu instid0(VALU_DEP_1)
	v_mad_co_u64_u32 v[0:1], null, s14, v5, v[1:2]
	v_mad_co_u64_u32 v[1:2], null, v3, s2, v[2:3]
	v_mov_b32_e32 v2, 0
	v_dual_mov_b32 v4, 0 :: v_dual_mov_b32 v3, 0
	v_mov_b32_e32 v5, 0
	s_and_b32 s2, s0, vcc_lo
	s_wait_alu 0xfffe
	s_and_saveexec_b32 s3, s2
	s_cbranch_execz .LBB34_7
; %bb.6:
	v_mad_co_u64_u32 v[4:5], null, v6, s6, v[1:2]
	v_mov_b32_e32 v5, 0
	v_mad_co_u64_u32 v[11:12], null, v6, s7, v[0:1]
	s_delay_alu instid0(VALU_DEP_2) | instskip(NEXT) | instid1(VALU_DEP_4)
	v_mov_b32_e32 v12, v5
	v_lshlrev_b64_e32 v[4:5], 1, v[4:5]
	s_delay_alu instid0(VALU_DEP_2) | instskip(NEXT) | instid1(VALU_DEP_2)
	v_lshlrev_b64_e32 v[11:12], 3, v[11:12]
	v_add_co_u32 v4, s1, s8, v4
	s_delay_alu instid0(VALU_DEP_1) | instskip(NEXT) | instid1(VALU_DEP_3)
	v_add_co_ci_u32_e64 v5, null, s9, v5, s1
	v_add_co_u32 v13, s1, s10, v11
	s_wait_alu 0xf1ff
	s_delay_alu instid0(VALU_DEP_4)
	v_add_co_ci_u32_e64 v14, null, s11, v12, s1
	global_load_u16 v12, v[4:5], off
	global_load_b64 v[4:5], v[13:14], off
.LBB34_7:
	s_wait_alu 0xfffe
	s_or_b32 exec_lo, exec_lo, s3
	s_and_b32 s3, 0xffff, s12
	v_lshl_add_u32 v13, v8, 6, 0x1000
	s_wait_alu 0xfffe
	v_add_nc_u32_e32 v7, s3, v6
	v_lshlrev_b32_e32 v11, 8, v8
	v_lshl_add_u32 v15, v8, 5, 0x1400
	v_cndmask_b32_e64 v14, 0, 1, s2
	v_lshl_add_u32 v8, v6, 1, v13
	v_cmp_gt_u32_e64 s1, s5, v7
	v_lshl_add_u32 v9, v6, 3, v11
	v_add_nc_u32_e32 v16, v15, v6
	s_wait_loadcnt 0x1
	ds_store_b16 v8, v12
	s_wait_loadcnt 0x0
	ds_store_b64 v9, v[4:5]
	ds_store_b8 v16, v14
	s_and_b32 s4, s0, s1
	s_wait_alu 0xfffe
	s_and_saveexec_b32 s5, s4
	s_cbranch_execz .LBB34_9
; %bb.8:
	v_mad_co_u64_u32 v[2:3], null, v7, s6, v[1:2]
	v_mov_b32_e32 v3, 0
	v_mad_co_u64_u32 v[4:5], null, v7, s7, v[0:1]
	s_delay_alu instid0(VALU_DEP_2) | instskip(NEXT) | instid1(VALU_DEP_4)
	v_mov_b32_e32 v5, v3
	v_lshlrev_b64_e32 v[2:3], 1, v[2:3]
	s_delay_alu instid0(VALU_DEP_2) | instskip(NEXT) | instid1(VALU_DEP_2)
	v_lshlrev_b64_e32 v[4:5], 3, v[4:5]
	v_add_co_u32 v2, s2, s8, v2
	s_wait_alu 0xf1ff
	s_delay_alu instid0(VALU_DEP_3) | instskip(NEXT) | instid1(VALU_DEP_3)
	v_add_co_ci_u32_e64 v3, null, s9, v3, s2
	v_add_co_u32 v4, s2, s10, v4
	s_wait_alu 0xf1ff
	v_add_co_ci_u32_e64 v5, null, s11, v5, s2
	global_load_u16 v10, v[2:3], off
	global_load_b64 v[2:3], v[4:5], off
.LBB34_9:
	s_wait_alu 0xfffe
	s_or_b32 exec_lo, exec_lo, s5
	v_lshl_add_u32 v4, s3, 1, v8
	v_lshlrev_b32_e32 v16, 1, v6
	v_lshl_add_u32 v5, s3, 3, v9
	v_cndmask_b32_e64 v12, 0, 1, s4
	v_add_nc_u32_e32 v14, v15, v7
	s_wait_loadcnt 0x1
	ds_store_b16 v4, v10
	s_wait_loadcnt 0x0
	ds_store_b64 v5, v[2:3]
	ds_store_b8 v14, v12
	v_add_nc_u32_e32 v3, v8, v16
	v_add_nc_u32_e32 v2, v15, v16
	s_wait_dscnt 0x0
	s_barrier_signal -1
	s_barrier_wait -1
	global_inv scope:SCOPE_SE
	ds_load_b32 v18, v3
	ds_load_u16 v14, v2
	v_and_b32_e32 v10, 1, v6
	s_wait_dscnt 0x1
	v_lshrrev_b32_e32 v17, 16, v18
	s_wait_dscnt 0x0
	v_lshrrev_b16 v12, 8, v14
	v_and_b32_e32 v19, 1, v14
	s_delay_alu instid0(VALU_DEP_3) | instskip(NEXT) | instid1(VALU_DEP_3)
	v_cmp_lt_i16_e64 s2, v18, v17
	v_cmp_ne_u16_e64 s4, v12, v10
	s_delay_alu instid0(VALU_DEP_3) | instskip(SKIP_1) | instid1(VALU_DEP_2)
	v_cmp_eq_u32_e64 s3, 1, v19
	s_wait_alu 0xf1ff
	v_cndmask_b32_e64 v17, 0, 1, s4
	s_and_b32 s2, s2, s3
	s_wait_alu 0xfffe
	s_delay_alu instid0(VALU_DEP_1) | instskip(NEXT) | instid1(VALU_DEP_1)
	v_cndmask_b32_e64 v17, v17, v6, s2
	v_and_b32_e32 v17, 1, v17
	s_delay_alu instid0(VALU_DEP_1)
	v_cmp_eq_u32_e64 s2, 1, v17
	v_lshl_add_u32 v17, v6, 3, v9
	s_and_saveexec_b32 s3, s2
	s_wait_alu 0xfffe
	s_xor_b32 s2, exec_lo, s3
	s_cbranch_execz .LBB34_11
; %bb.10:
	ds_load_b128 v[19:22], v17
	v_lshlrev_b16 v14, 8, v14
	v_alignbit_b32 v18, v18, v18, 16
	s_delay_alu instid0(VALU_DEP_2)
	v_or_b32_e32 v12, v12, v14
	s_wait_dscnt 0x0
	v_dual_mov_b32 v23, v19 :: v_dual_mov_b32 v24, v20
	ds_store_b32 v3, v18
	ds_store_b128 v17, v[21:24]
	ds_store_b16 v2, v12
.LBB34_11:
	s_wait_alu 0xfffe
	s_or_b32 exec_lo, exec_lo, s2
	v_sub_nc_u32_e32 v14, v16, v10
	s_wait_loadcnt_dscnt 0x0
	s_barrier_signal -1
	s_barrier_wait -1
	global_inv scope:SCOPE_SE
	v_add_nc_u32_e32 v10, v15, v14
	v_lshl_add_u32 v12, v14, 1, v13
	v_bfe_u32 v23, v6, 1, 1
	v_lshl_add_u32 v14, v14, 3, v11
	ds_load_u8 v18, v10
	ds_load_u16 v19, v12
	ds_load_u16 v22, v12 offset:4
	ds_load_u8 v20, v10 offset:2
	s_wait_dscnt 0x3
	v_and_b32_e32 v21, 1, v18
	s_wait_dscnt 0x1
	v_cmp_lt_i16_e64 s2, v19, v22
	s_wait_dscnt 0x0
	v_cmp_ne_u16_e64 s4, v20, v23
	v_cmp_eq_u32_e64 s3, 1, v21
	s_wait_alu 0xf1ff
	s_delay_alu instid0(VALU_DEP_2) | instskip(SKIP_2) | instid1(VALU_DEP_1)
	v_cndmask_b32_e64 v21, 0, 1, s4
	s_and_b32 s2, s2, s3
	s_wait_alu 0xfffe
	v_cndmask_b32_e64 v23, v21, v23, s2
	v_and_b32_e32 v21, 2, v6
	s_delay_alu instid0(VALU_DEP_2) | instskip(NEXT) | instid1(VALU_DEP_2)
	v_and_b32_e32 v23, 1, v23
	v_cmp_ne_u32_e64 s2, 0, v21
	s_delay_alu instid0(VALU_DEP_2)
	v_cmp_eq_u32_e64 s3, 1, v23
	s_and_saveexec_b32 s4, s3
	s_wait_alu 0xfffe
	s_xor_b32 s3, exec_lo, s4
	s_cbranch_execz .LBB34_13
; %bb.12:
	ds_load_2addr_b64 v[23:26], v14 offset1:2
	s_wait_dscnt 0x0
	ds_store_2addr_b64 v14, v[25:26], v[23:24] offset1:2
	ds_store_b16 v12, v22
	ds_store_b16 v12, v19 offset:4
	ds_store_b8 v10, v20
	ds_store_b8 v10, v18 offset:2
.LBB34_13:
	s_wait_alu 0xfffe
	s_or_b32 exec_lo, exec_lo, s3
	s_wait_loadcnt_dscnt 0x0
	s_barrier_signal -1
	s_barrier_wait -1
	global_inv scope:SCOPE_SE
	ds_load_b32 v20, v3
	ds_load_u16 v19, v2
	v_lshrrev_b32_e32 v21, 1, v21
	v_cndmask_b32_e64 v24, 0, 1, s2
	s_wait_dscnt 0x1
	v_lshrrev_b32_e32 v22, 16, v20
	s_wait_dscnt 0x0
	v_lshrrev_b16 v18, 8, v19
	v_and_b32_e32 v23, 1, v19
	s_delay_alu instid0(VALU_DEP_3) | instskip(NEXT) | instid1(VALU_DEP_3)
	v_cmp_lt_i16_e64 s2, v20, v22
	v_cmp_ne_u16_e64 s4, v18, v21
	s_delay_alu instid0(VALU_DEP_3) | instskip(SKIP_1) | instid1(VALU_DEP_2)
	v_cmp_eq_u32_e64 s3, 1, v23
	s_wait_alu 0xf1ff
	v_cndmask_b32_e64 v21, 0, 1, s4
	s_and_b32 s2, s2, s3
	s_mov_b32 s3, exec_lo
	s_wait_alu 0xfffe
	s_delay_alu instid0(VALU_DEP_1) | instskip(NEXT) | instid1(VALU_DEP_1)
	v_cndmask_b32_e64 v21, v21, v24, s2
	v_and_b32_e32 v21, 1, v21
	s_delay_alu instid0(VALU_DEP_1)
	v_cmpx_eq_u32_e32 1, v21
	s_cbranch_execz .LBB34_15
; %bb.14:
	ds_load_b128 v[21:24], v17
	v_lshlrev_b16 v26, 8, v19
	v_alignbit_b32 v25, v20, v20, 16
	s_delay_alu instid0(VALU_DEP_2)
	v_or_b32_e32 v18, v18, v26
	s_wait_dscnt 0x0
	v_dual_mov_b32 v19, v23 :: v_dual_mov_b32 v20, v24
	ds_store_b32 v3, v25
	ds_store_b128 v17, v[19:22]
	ds_store_b16 v2, v18
.LBB34_15:
	s_or_b32 exec_lo, exec_lo, s3
	v_and_b32_e32 v17, 3, v6
	s_wait_loadcnt_dscnt 0x0
	s_barrier_signal -1
	s_barrier_wait -1
	global_inv scope:SCOPE_SE
	v_sub_nc_u32_e32 v20, v16, v17
	v_bfe_u32 v25, v6, 2, 1
	s_delay_alu instid0(VALU_DEP_2)
	v_add_nc_u32_e32 v17, v15, v20
	v_lshl_add_u32 v18, v20, 1, v13
	v_lshl_add_u32 v20, v20, 3, v11
	ds_load_u8 v21, v17
	ds_load_u16 v22, v18
	ds_load_u16 v24, v18 offset:8
	ds_load_u8 v23, v17 offset:4
	s_wait_dscnt 0x3
	v_and_b32_e32 v19, 1, v21
	s_wait_dscnt 0x1
	v_cmp_lt_i16_e64 s2, v22, v24
	s_wait_dscnt 0x0
	v_cmp_ne_u16_e64 s4, v23, v25
	v_cmp_eq_u32_e64 s3, 1, v19
	s_wait_alu 0xf1ff
	s_delay_alu instid0(VALU_DEP_2) | instskip(SKIP_3) | instid1(VALU_DEP_1)
	v_cndmask_b32_e64 v19, 0, 1, s4
	s_mov_b32 s4, exec_lo
	s_and_b32 s2, s2, s3
	s_wait_alu 0xfffe
	v_cndmask_b32_e64 v25, v19, v25, s2
	v_and_b32_e32 v19, 4, v6
	s_delay_alu instid0(VALU_DEP_2) | instskip(NEXT) | instid1(VALU_DEP_2)
	v_and_b32_e32 v25, 1, v25
	v_cmp_ne_u32_e64 s2, 0, v19
	s_delay_alu instid0(VALU_DEP_2)
	v_cmpx_eq_u32_e32 1, v25
	s_cbranch_execz .LBB34_17
; %bb.16:
	ds_load_2addr_b64 v[25:28], v20 offset1:4
	s_wait_dscnt 0x0
	ds_store_2addr_b64 v20, v[27:28], v[25:26] offset1:4
	ds_store_b16 v18, v24
	ds_store_b16 v18, v22 offset:8
	ds_store_b8 v17, v23
	ds_store_b8 v17, v21 offset:4
.LBB34_17:
	s_or_b32 exec_lo, exec_lo, s4
	s_wait_loadcnt_dscnt 0x0
	s_barrier_signal -1
	s_barrier_wait -1
	global_inv scope:SCOPE_SE
	ds_load_u8 v22, v10
	ds_load_u16 v23, v12
	ds_load_u16 v25, v12 offset:4
	ds_load_u8 v24, v10 offset:2
	v_lshrrev_b32_e32 v19, 2, v19
	v_cndmask_b32_e64 v21, 0, 1, s2
	s_wait_dscnt 0x3
	v_and_b32_e32 v26, 1, v22
	s_wait_dscnt 0x1
	v_cmp_lt_i16_e64 s2, v23, v25
	s_wait_dscnt 0x0
	v_cmp_ne_u16_e64 s4, v24, v19
	v_cmp_eq_u32_e64 s3, 1, v26
	s_wait_alu 0xf1ff
	s_delay_alu instid0(VALU_DEP_2) | instskip(SKIP_3) | instid1(VALU_DEP_1)
	v_cndmask_b32_e64 v26, 0, 1, s4
	s_and_b32 s2, s2, s3
	s_mov_b32 s3, exec_lo
	s_wait_alu 0xfffe
	v_cndmask_b32_e64 v26, v26, v21, s2
	s_delay_alu instid0(VALU_DEP_1) | instskip(NEXT) | instid1(VALU_DEP_1)
	v_and_b32_e32 v26, 1, v26
	v_cmpx_eq_u32_e32 1, v26
	s_cbranch_execz .LBB34_19
; %bb.18:
	ds_load_2addr_b64 v[26:29], v14 offset1:2
	s_wait_dscnt 0x0
	ds_store_2addr_b64 v14, v[28:29], v[26:27] offset1:2
	ds_store_b16 v12, v25
	ds_store_b16 v12, v23 offset:4
	ds_store_b8 v10, v24
	ds_store_b8 v10, v22 offset:2
.LBB34_19:
	s_or_b32 exec_lo, exec_lo, s3
	s_wait_loadcnt_dscnt 0x0
	s_barrier_signal -1
	s_barrier_wait -1
	global_inv scope:SCOPE_SE
	ds_load_b32 v24, v3
	ds_load_u16 v23, v2
	s_wait_dscnt 0x1
	v_lshrrev_b32_e32 v25, 16, v24
	s_wait_dscnt 0x0
	v_lshrrev_b16 v22, 8, v23
	v_and_b32_e32 v26, 1, v23
	s_delay_alu instid0(VALU_DEP_3) | instskip(NEXT) | instid1(VALU_DEP_3)
	v_cmp_lt_i16_e64 s2, v24, v25
	v_cmp_ne_u16_e64 s4, v22, v19
	s_delay_alu instid0(VALU_DEP_3) | instskip(SKIP_1) | instid1(VALU_DEP_2)
	v_cmp_eq_u32_e64 s3, 1, v26
	s_wait_alu 0xf1ff
	v_cndmask_b32_e64 v19, 0, 1, s4
	s_and_b32 s2, s2, s3
	s_wait_alu 0xfffe
	s_delay_alu instid0(VALU_DEP_1) | instskip(NEXT) | instid1(VALU_DEP_1)
	v_cndmask_b32_e64 v19, v19, v21, s2
	v_and_b32_e32 v19, 1, v19
	s_delay_alu instid0(VALU_DEP_1)
	v_cmp_eq_u32_e64 s2, 1, v19
	v_lshl_add_u32 v19, v16, 3, v11
	s_and_saveexec_b32 s3, s2
	s_cbranch_execz .LBB34_21
; %bb.20:
	ds_load_b128 v[25:28], v19
	v_lshlrev_b16 v29, 8, v23
	v_alignbit_b32 v21, v24, v24, 16
	s_delay_alu instid0(VALU_DEP_2)
	v_or_b32_e32 v22, v22, v29
	s_wait_dscnt 0x0
	v_dual_mov_b32 v23, v27 :: v_dual_mov_b32 v24, v28
	ds_store_b32 v3, v21
	ds_store_b128 v19, v[23:26]
	ds_store_b16 v2, v22
.LBB34_21:
	s_wait_alu 0xfffe
	s_or_b32 exec_lo, exec_lo, s3
	v_and_b32_e32 v21, 7, v6
	s_wait_loadcnt_dscnt 0x0
	s_barrier_signal -1
	s_barrier_wait -1
	global_inv scope:SCOPE_SE
	v_sub_nc_u32_e32 v23, v16, v21
	v_bfe_u32 v29, v6, 3, 1
	s_delay_alu instid0(VALU_DEP_2)
	v_add_nc_u32_e32 v21, v15, v23
	v_lshl_add_u32 v22, v23, 1, v13
	v_lshl_add_u32 v23, v23, 3, v11
	ds_load_u8 v25, v21
	ds_load_u16 v26, v22
	ds_load_u16 v28, v22 offset:16
	ds_load_u8 v27, v21 offset:8
	s_wait_dscnt 0x3
	v_and_b32_e32 v24, 1, v25
	s_wait_dscnt 0x1
	v_cmp_lt_i16_e64 s2, v26, v28
	s_wait_dscnt 0x0
	v_cmp_ne_u16_e64 s4, v27, v29
	v_cmp_eq_u32_e64 s3, 1, v24
	s_wait_alu 0xf1ff
	s_delay_alu instid0(VALU_DEP_2) | instskip(SKIP_3) | instid1(VALU_DEP_1)
	v_cndmask_b32_e64 v24, 0, 1, s4
	s_mov_b32 s4, exec_lo
	s_and_b32 s2, s2, s3
	s_wait_alu 0xfffe
	v_cndmask_b32_e64 v29, v24, v29, s2
	v_and_b32_e32 v24, 8, v6
	s_delay_alu instid0(VALU_DEP_2) | instskip(NEXT) | instid1(VALU_DEP_2)
	v_and_b32_e32 v29, 1, v29
	v_cmp_ne_u32_e64 s2, 0, v24
	s_delay_alu instid0(VALU_DEP_2)
	v_cmpx_eq_u32_e32 1, v29
	s_cbranch_execz .LBB34_23
; %bb.22:
	ds_load_2addr_b64 v[29:32], v23 offset1:8
	s_wait_dscnt 0x0
	ds_store_2addr_b64 v23, v[31:32], v[29:30] offset1:8
	ds_store_b16 v22, v28
	ds_store_b16 v22, v26 offset:16
	ds_store_b8 v21, v27
	ds_store_b8 v21, v25 offset:8
.LBB34_23:
	s_or_b32 exec_lo, exec_lo, s4
	s_wait_loadcnt_dscnt 0x0
	s_barrier_signal -1
	s_barrier_wait -1
	global_inv scope:SCOPE_SE
	ds_load_u8 v26, v17
	ds_load_u16 v27, v18
	ds_load_u16 v29, v18 offset:8
	ds_load_u8 v28, v17 offset:4
	v_lshrrev_b32_e32 v24, 3, v24
	v_cndmask_b32_e64 v25, 0, 1, s2
	s_wait_dscnt 0x3
	v_and_b32_e32 v30, 1, v26
	s_wait_dscnt 0x1
	v_cmp_lt_i16_e64 s2, v27, v29
	s_wait_dscnt 0x0
	v_cmp_ne_u16_e64 s4, v28, v24
	v_cmp_eq_u32_e64 s3, 1, v30
	s_wait_alu 0xf1ff
	s_delay_alu instid0(VALU_DEP_2) | instskip(SKIP_3) | instid1(VALU_DEP_1)
	v_cndmask_b32_e64 v30, 0, 1, s4
	s_and_b32 s2, s2, s3
	s_mov_b32 s3, exec_lo
	s_wait_alu 0xfffe
	v_cndmask_b32_e64 v30, v30, v25, s2
	s_delay_alu instid0(VALU_DEP_1) | instskip(NEXT) | instid1(VALU_DEP_1)
	v_and_b32_e32 v30, 1, v30
	v_cmpx_eq_u32_e32 1, v30
	s_cbranch_execz .LBB34_25
; %bb.24:
	ds_load_2addr_b64 v[30:33], v20 offset1:4
	s_wait_dscnt 0x0
	ds_store_2addr_b64 v20, v[32:33], v[30:31] offset1:4
	ds_store_b16 v18, v29
	ds_store_b16 v18, v27 offset:8
	ds_store_b8 v17, v28
	ds_store_b8 v17, v26 offset:4
.LBB34_25:
	s_or_b32 exec_lo, exec_lo, s3
	s_wait_loadcnt_dscnt 0x0
	s_barrier_signal -1
	s_barrier_wait -1
	global_inv scope:SCOPE_SE
	ds_load_u8 v26, v10
	ds_load_u16 v27, v12
	ds_load_u16 v29, v12 offset:4
	ds_load_u8 v28, v10 offset:2
	s_wait_dscnt 0x3
	v_and_b32_e32 v30, 1, v26
	s_wait_dscnt 0x1
	v_cmp_lt_i16_e64 s2, v27, v29
	s_wait_dscnt 0x0
	v_cmp_ne_u16_e64 s4, v28, v24
	v_cmp_eq_u32_e64 s3, 1, v30
	s_wait_alu 0xf1ff
	s_delay_alu instid0(VALU_DEP_2) | instskip(SKIP_3) | instid1(VALU_DEP_1)
	v_cndmask_b32_e64 v30, 0, 1, s4
	s_and_b32 s2, s2, s3
	s_mov_b32 s3, exec_lo
	s_wait_alu 0xfffe
	v_cndmask_b32_e64 v30, v30, v25, s2
	s_delay_alu instid0(VALU_DEP_1) | instskip(NEXT) | instid1(VALU_DEP_1)
	v_and_b32_e32 v30, 1, v30
	v_cmpx_eq_u32_e32 1, v30
	s_cbranch_execz .LBB34_27
; %bb.26:
	ds_load_2addr_b64 v[30:33], v14 offset1:2
	s_wait_dscnt 0x0
	ds_store_2addr_b64 v14, v[32:33], v[30:31] offset1:2
	ds_store_b16 v12, v29
	ds_store_b16 v12, v27 offset:4
	ds_store_b8 v10, v28
	ds_store_b8 v10, v26 offset:2
.LBB34_27:
	s_or_b32 exec_lo, exec_lo, s3
	s_wait_loadcnt_dscnt 0x0
	s_barrier_signal -1
	s_barrier_wait -1
	global_inv scope:SCOPE_SE
	ds_load_b32 v28, v3
	ds_load_u16 v27, v2
	s_wait_dscnt 0x1
	v_lshrrev_b32_e32 v29, 16, v28
	s_wait_dscnt 0x0
	v_lshrrev_b16 v26, 8, v27
	v_and_b32_e32 v30, 1, v27
	s_delay_alu instid0(VALU_DEP_3) | instskip(NEXT) | instid1(VALU_DEP_3)
	v_cmp_lt_i16_e64 s2, v28, v29
	v_cmp_ne_u16_e64 s4, v26, v24
	s_delay_alu instid0(VALU_DEP_3) | instskip(SKIP_1) | instid1(VALU_DEP_2)
	v_cmp_eq_u32_e64 s3, 1, v30
	s_wait_alu 0xf1ff
	v_cndmask_b32_e64 v24, 0, 1, s4
	s_and_b32 s2, s2, s3
	s_mov_b32 s3, exec_lo
	s_wait_alu 0xfffe
	s_delay_alu instid0(VALU_DEP_1) | instskip(NEXT) | instid1(VALU_DEP_1)
	v_cndmask_b32_e64 v24, v24, v25, s2
	v_and_b32_e32 v24, 1, v24
	s_delay_alu instid0(VALU_DEP_1)
	v_cmpx_eq_u32_e32 1, v24
	s_cbranch_execz .LBB34_29
; %bb.28:
	ds_load_b128 v[29:32], v19
	v_lshlrev_b16 v25, 8, v27
	v_alignbit_b32 v24, v28, v28, 16
	s_delay_alu instid0(VALU_DEP_2)
	v_or_b32_e32 v25, v26, v25
	s_wait_dscnt 0x0
	v_dual_mov_b32 v27, v31 :: v_dual_mov_b32 v28, v32
	ds_store_b32 v3, v24
	ds_store_b128 v19, v[27:30]
	ds_store_b16 v2, v25
.LBB34_29:
	s_or_b32 exec_lo, exec_lo, s3
	v_and_b32_e32 v24, 15, v6
	s_wait_loadcnt_dscnt 0x0
	s_barrier_signal -1
	s_barrier_wait -1
	global_inv scope:SCOPE_SE
	v_sub_nc_u32_e32 v16, v16, v24
	s_delay_alu instid0(VALU_DEP_1)
	v_add_nc_u32_e32 v15, v15, v16
	v_lshl_add_u32 v13, v16, 1, v13
	ds_load_u8 v24, v15
	ds_load_u8 v27, v15 offset:16
	ds_load_u16 v25, v13
	ds_load_u16 v26, v13 offset:32
	s_wait_dscnt 0x2
	v_and_b32_e32 v27, 0xff, v27
	v_and_b32_e32 v28, 1, v24
	s_wait_dscnt 0x0
	v_cmp_ge_i16_e64 s3, v25, v26
	s_delay_alu instid0(VALU_DEP_3) | instskip(NEXT) | instid1(VALU_DEP_3)
	v_cmp_ne_u16_e64 s4, 0, v27
	v_cmp_eq_u32_e64 s2, 1, v28
	s_xor_b32 s2, s2, -1
	s_wait_alu 0xfffe
	s_or_b32 s2, s3, s2
	s_wait_alu 0xfffe
	s_and_b32 s3, s2, s4
	s_wait_alu 0xfffe
	s_and_saveexec_b32 s2, s3
	s_cbranch_execz .LBB34_31
; %bb.30:
	v_lshl_add_u32 v11, v16, 3, v11
	v_mov_b32_e32 v16, 1
	ds_load_2addr_b64 v[27:30], v11 offset1:16
	s_wait_dscnt 0x0
	ds_store_2addr_b64 v11, v[29:30], v[27:28] offset1:16
	ds_store_b16 v13, v26
	ds_store_b16 v13, v25 offset:32
	ds_store_b8 v15, v16
	ds_store_b8 v15, v24 offset:16
.LBB34_31:
	s_wait_alu 0xfffe
	s_or_b32 exec_lo, exec_lo, s2
	s_wait_loadcnt_dscnt 0x0
	s_barrier_signal -1
	s_barrier_wait -1
	global_inv scope:SCOPE_SE
	ds_load_u8 v11, v21
	ds_load_u8 v16, v21 offset:8
	ds_load_u16 v13, v22
	ds_load_u16 v15, v22 offset:16
	s_wait_dscnt 0x3
	v_and_b32_e32 v24, 1, v11
	s_wait_dscnt 0x2
	v_and_b32_e32 v16, 0xff, v16
	s_wait_dscnt 0x0
	v_cmp_ge_i16_e64 s3, v13, v15
	v_cmp_eq_u32_e64 s2, 1, v24
	s_delay_alu instid0(VALU_DEP_3)
	v_cmp_ne_u16_e64 s4, 0, v16
	s_xor_b32 s2, s2, -1
	s_wait_alu 0xfffe
	s_or_b32 s2, s3, s2
	s_wait_alu 0xfffe
	s_and_b32 s3, s2, s4
	s_wait_alu 0xfffe
	s_and_saveexec_b32 s2, s3
	s_cbranch_execz .LBB34_33
; %bb.32:
	ds_load_2addr_b64 v[24:27], v23 offset1:8
	v_mov_b32_e32 v16, 1
	s_wait_dscnt 0x0
	ds_store_2addr_b64 v23, v[26:27], v[24:25] offset1:8
	ds_store_b16 v22, v15
	ds_store_b16 v22, v13 offset:16
	ds_store_b8 v21, v16
	ds_store_b8 v21, v11 offset:8
.LBB34_33:
	s_wait_alu 0xfffe
	s_or_b32 exec_lo, exec_lo, s2
	s_wait_loadcnt_dscnt 0x0
	s_barrier_signal -1
	s_barrier_wait -1
	global_inv scope:SCOPE_SE
	ds_load_u8 v11, v17
	ds_load_u8 v16, v17 offset:4
	ds_load_u16 v13, v18
	ds_load_u16 v15, v18 offset:8
	s_wait_dscnt 0x3
	v_and_b32_e32 v21, 1, v11
	s_wait_dscnt 0x2
	v_and_b32_e32 v16, 0xff, v16
	s_wait_dscnt 0x0
	v_cmp_ge_i16_e64 s3, v13, v15
	v_cmp_eq_u32_e64 s2, 1, v21
	s_delay_alu instid0(VALU_DEP_3)
	v_cmp_ne_u16_e64 s4, 0, v16
	s_xor_b32 s2, s2, -1
	s_wait_alu 0xfffe
	s_or_b32 s2, s3, s2
	s_wait_alu 0xfffe
	s_and_b32 s3, s2, s4
	s_wait_alu 0xfffe
	s_and_saveexec_b32 s2, s3
	s_cbranch_execz .LBB34_35
; %bb.34:
	ds_load_2addr_b64 v[21:24], v20 offset1:4
	v_mov_b32_e32 v16, 1
	s_wait_dscnt 0x0
	ds_store_2addr_b64 v20, v[23:24], v[21:22] offset1:4
	ds_store_b16 v18, v15
	ds_store_b16 v18, v13 offset:8
	ds_store_b8 v17, v16
	ds_store_b8 v17, v11 offset:4
.LBB34_35:
	;; [unrolled: 37-line block ×3, first 2 shown]
	s_wait_alu 0xfffe
	s_or_b32 exec_lo, exec_lo, s2
	s_wait_loadcnt_dscnt 0x0
	s_barrier_signal -1
	s_barrier_wait -1
	global_inv scope:SCOPE_SE
	ds_load_u16 v10, v2
	ds_load_b32 v11, v3
	s_wait_dscnt 0x1
	v_and_b32_e32 v12, 1, v10
	s_wait_dscnt 0x0
	v_lshrrev_b32_e32 v13, 16, v11
	v_lshrrev_b16 v14, 8, v10
	s_delay_alu instid0(VALU_DEP_3) | instskip(NEXT) | instid1(VALU_DEP_3)
	v_cmp_eq_u32_e64 s2, 1, v12
	v_cmp_ge_i16_e64 s3, v11, v13
	s_delay_alu instid0(VALU_DEP_3)
	v_cmp_ne_u16_e64 s4, 0, v14
	s_xor_b32 s2, s2, -1
	s_wait_alu 0xfffe
	s_or_b32 s2, s3, s2
	s_wait_alu 0xfffe
	s_and_b32 s3, s2, s4
	s_wait_alu 0xfffe
	s_and_saveexec_b32 s2, s3
	s_cbranch_execz .LBB34_39
; %bb.38:
	ds_load_b128 v[12:15], v19
	v_lshlrev_b16 v17, 8, v10
	v_alignbit_b32 v16, v11, v11, 16
	s_wait_dscnt 0x0
	v_dual_mov_b32 v10, v14 :: v_dual_mov_b32 v11, v15
	s_delay_alu instid0(VALU_DEP_3)
	v_or_b32_e32 v14, 1, v17
	ds_store_b32 v3, v16
	ds_store_b128 v19, v[10:13]
	ds_store_b16 v2, v14
.LBB34_39:
	s_wait_alu 0xfffe
	s_or_b32 exec_lo, exec_lo, s2
	s_wait_loadcnt_dscnt 0x0
	s_barrier_signal -1
	s_barrier_wait -1
	global_inv scope:SCOPE_SE
	s_and_saveexec_b32 s2, s0
	s_cbranch_execz .LBB34_44
; %bb.40:
	s_and_saveexec_b32 s0, vcc_lo
	s_cbranch_execz .LBB34_42
; %bb.41:
	v_mad_co_u64_u32 v[2:3], null, v6, s6, v[1:2]
	v_mov_b32_e32 v3, 0
	v_mad_co_u64_u32 v[10:11], null, v6, s7, v[0:1]
	ds_load_u16 v6, v8
	ds_load_b64 v[8:9], v9
	v_mov_b32_e32 v11, v3
	v_lshlrev_b64_e32 v[2:3], 1, v[2:3]
	s_delay_alu instid0(VALU_DEP_2) | instskip(NEXT) | instid1(VALU_DEP_2)
	v_lshlrev_b64_e32 v[10:11], 3, v[10:11]
	v_add_co_u32 v2, vcc_lo, s8, v2
	s_wait_alu 0xfffd
	s_delay_alu instid0(VALU_DEP_3) | instskip(NEXT) | instid1(VALU_DEP_3)
	v_add_co_ci_u32_e64 v3, null, s9, v3, vcc_lo
	v_add_co_u32 v10, vcc_lo, s10, v10
	s_wait_alu 0xfffd
	v_add_co_ci_u32_e64 v11, null, s11, v11, vcc_lo
	s_wait_dscnt 0x1
	global_store_b16 v[2:3], v6, off
	s_wait_dscnt 0x0
	global_store_b64 v[10:11], v[8:9], off
.LBB34_42:
	s_wait_alu 0xfffe
	s_or_b32 exec_lo, exec_lo, s0
	s_delay_alu instid0(SALU_CYCLE_1)
	s_and_b32 exec_lo, exec_lo, s1
	s_cbranch_execz .LBB34_44
; %bb.43:
	v_mad_co_u64_u32 v[1:2], null, v7, s6, v[1:2]
	v_mov_b32_e32 v2, 0
	ds_load_u16 v8, v4
	ds_load_b64 v[3:4], v5
	v_mad_co_u64_u32 v[6:7], null, v7, s7, v[0:1]
	v_mov_b32_e32 v7, v2
	v_lshlrev_b64_e32 v[0:1], 1, v[1:2]
	s_delay_alu instid0(VALU_DEP_2) | instskip(NEXT) | instid1(VALU_DEP_2)
	v_lshlrev_b64_e32 v[5:6], 3, v[6:7]
	v_add_co_u32 v0, vcc_lo, s8, v0
	s_wait_alu 0xfffd
	s_delay_alu instid0(VALU_DEP_3) | instskip(NEXT) | instid1(VALU_DEP_3)
	v_add_co_ci_u32_e64 v1, null, s9, v1, vcc_lo
	v_add_co_u32 v5, vcc_lo, s10, v5
	s_wait_alu 0xfffd
	v_add_co_ci_u32_e64 v6, null, s11, v6, vcc_lo
	s_wait_dscnt 0x1
	global_store_b16 v[0:1], v8, off
	s_wait_dscnt 0x0
	global_store_b64 v[5:6], v[3:4], off
.LBB34_44:
	s_endpgm
	.section	.rodata,"a",@progbits
	.p2align	6, 0x0
	.amdhsa_kernel _ZN2at6native20bitonicSortKVInPlaceILi2ELin1ELi16ELi16EslNS0_4LTOpIsLb1EEEjEEvNS_4cuda6detail10TensorInfoIT3_T6_EES8_S8_S8_NS6_IT4_S8_EES8_T5_
		.amdhsa_group_segment_fixed_size 5632
		.amdhsa_private_segment_fixed_size 0
		.amdhsa_kernarg_size 712
		.amdhsa_user_sgpr_count 2
		.amdhsa_user_sgpr_dispatch_ptr 0
		.amdhsa_user_sgpr_queue_ptr 0
		.amdhsa_user_sgpr_kernarg_segment_ptr 1
		.amdhsa_user_sgpr_dispatch_id 0
		.amdhsa_user_sgpr_private_segment_size 0
		.amdhsa_wavefront_size32 1
		.amdhsa_uses_dynamic_stack 0
		.amdhsa_enable_private_segment 0
		.amdhsa_system_sgpr_workgroup_id_x 1
		.amdhsa_system_sgpr_workgroup_id_y 1
		.amdhsa_system_sgpr_workgroup_id_z 1
		.amdhsa_system_sgpr_workgroup_info 0
		.amdhsa_system_vgpr_workitem_id 1
		.amdhsa_next_free_vgpr 34
		.amdhsa_next_free_sgpr 19
		.amdhsa_reserve_vcc 1
		.amdhsa_float_round_mode_32 0
		.amdhsa_float_round_mode_16_64 0
		.amdhsa_float_denorm_mode_32 3
		.amdhsa_float_denorm_mode_16_64 3
		.amdhsa_fp16_overflow 0
		.amdhsa_workgroup_processor_mode 1
		.amdhsa_memory_ordered 1
		.amdhsa_forward_progress 1
		.amdhsa_inst_pref_size 38
		.amdhsa_round_robin_scheduling 0
		.amdhsa_exception_fp_ieee_invalid_op 0
		.amdhsa_exception_fp_denorm_src 0
		.amdhsa_exception_fp_ieee_div_zero 0
		.amdhsa_exception_fp_ieee_overflow 0
		.amdhsa_exception_fp_ieee_underflow 0
		.amdhsa_exception_fp_ieee_inexact 0
		.amdhsa_exception_int_div_zero 0
	.end_amdhsa_kernel
	.section	.text._ZN2at6native20bitonicSortKVInPlaceILi2ELin1ELi16ELi16EslNS0_4LTOpIsLb1EEEjEEvNS_4cuda6detail10TensorInfoIT3_T6_EES8_S8_S8_NS6_IT4_S8_EES8_T5_,"axG",@progbits,_ZN2at6native20bitonicSortKVInPlaceILi2ELin1ELi16ELi16EslNS0_4LTOpIsLb1EEEjEEvNS_4cuda6detail10TensorInfoIT3_T6_EES8_S8_S8_NS6_IT4_S8_EES8_T5_,comdat
.Lfunc_end34:
	.size	_ZN2at6native20bitonicSortKVInPlaceILi2ELin1ELi16ELi16EslNS0_4LTOpIsLb1EEEjEEvNS_4cuda6detail10TensorInfoIT3_T6_EES8_S8_S8_NS6_IT4_S8_EES8_T5_, .Lfunc_end34-_ZN2at6native20bitonicSortKVInPlaceILi2ELin1ELi16ELi16EslNS0_4LTOpIsLb1EEEjEEvNS_4cuda6detail10TensorInfoIT3_T6_EES8_S8_S8_NS6_IT4_S8_EES8_T5_
                                        ; -- End function
	.set _ZN2at6native20bitonicSortKVInPlaceILi2ELin1ELi16ELi16EslNS0_4LTOpIsLb1EEEjEEvNS_4cuda6detail10TensorInfoIT3_T6_EES8_S8_S8_NS6_IT4_S8_EES8_T5_.num_vgpr, 34
	.set _ZN2at6native20bitonicSortKVInPlaceILi2ELin1ELi16ELi16EslNS0_4LTOpIsLb1EEEjEEvNS_4cuda6detail10TensorInfoIT3_T6_EES8_S8_S8_NS6_IT4_S8_EES8_T5_.num_agpr, 0
	.set _ZN2at6native20bitonicSortKVInPlaceILi2ELin1ELi16ELi16EslNS0_4LTOpIsLb1EEEjEEvNS_4cuda6detail10TensorInfoIT3_T6_EES8_S8_S8_NS6_IT4_S8_EES8_T5_.numbered_sgpr, 19
	.set _ZN2at6native20bitonicSortKVInPlaceILi2ELin1ELi16ELi16EslNS0_4LTOpIsLb1EEEjEEvNS_4cuda6detail10TensorInfoIT3_T6_EES8_S8_S8_NS6_IT4_S8_EES8_T5_.num_named_barrier, 0
	.set _ZN2at6native20bitonicSortKVInPlaceILi2ELin1ELi16ELi16EslNS0_4LTOpIsLb1EEEjEEvNS_4cuda6detail10TensorInfoIT3_T6_EES8_S8_S8_NS6_IT4_S8_EES8_T5_.private_seg_size, 0
	.set _ZN2at6native20bitonicSortKVInPlaceILi2ELin1ELi16ELi16EslNS0_4LTOpIsLb1EEEjEEvNS_4cuda6detail10TensorInfoIT3_T6_EES8_S8_S8_NS6_IT4_S8_EES8_T5_.uses_vcc, 1
	.set _ZN2at6native20bitonicSortKVInPlaceILi2ELin1ELi16ELi16EslNS0_4LTOpIsLb1EEEjEEvNS_4cuda6detail10TensorInfoIT3_T6_EES8_S8_S8_NS6_IT4_S8_EES8_T5_.uses_flat_scratch, 0
	.set _ZN2at6native20bitonicSortKVInPlaceILi2ELin1ELi16ELi16EslNS0_4LTOpIsLb1EEEjEEvNS_4cuda6detail10TensorInfoIT3_T6_EES8_S8_S8_NS6_IT4_S8_EES8_T5_.has_dyn_sized_stack, 0
	.set _ZN2at6native20bitonicSortKVInPlaceILi2ELin1ELi16ELi16EslNS0_4LTOpIsLb1EEEjEEvNS_4cuda6detail10TensorInfoIT3_T6_EES8_S8_S8_NS6_IT4_S8_EES8_T5_.has_recursion, 0
	.set _ZN2at6native20bitonicSortKVInPlaceILi2ELin1ELi16ELi16EslNS0_4LTOpIsLb1EEEjEEvNS_4cuda6detail10TensorInfoIT3_T6_EES8_S8_S8_NS6_IT4_S8_EES8_T5_.has_indirect_call, 0
	.section	.AMDGPU.csdata,"",@progbits
; Kernel info:
; codeLenInByte = 4864
; TotalNumSgprs: 21
; NumVgprs: 34
; ScratchSize: 0
; MemoryBound: 0
; FloatMode: 240
; IeeeMode: 1
; LDSByteSize: 5632 bytes/workgroup (compile time only)
; SGPRBlocks: 0
; VGPRBlocks: 4
; NumSGPRsForWavesPerEU: 21
; NumVGPRsForWavesPerEU: 34
; Occupancy: 16
; WaveLimiterHint : 1
; COMPUTE_PGM_RSRC2:SCRATCH_EN: 0
; COMPUTE_PGM_RSRC2:USER_SGPR: 2
; COMPUTE_PGM_RSRC2:TRAP_HANDLER: 0
; COMPUTE_PGM_RSRC2:TGID_X_EN: 1
; COMPUTE_PGM_RSRC2:TGID_Y_EN: 1
; COMPUTE_PGM_RSRC2:TGID_Z_EN: 1
; COMPUTE_PGM_RSRC2:TIDIG_COMP_CNT: 1
	.section	.text._ZN2at6native20bitonicSortKVInPlaceILi2ELin1ELi16ELi16EslNS0_4GTOpIsLb1EEEjEEvNS_4cuda6detail10TensorInfoIT3_T6_EES8_S8_S8_NS6_IT4_S8_EES8_T5_,"axG",@progbits,_ZN2at6native20bitonicSortKVInPlaceILi2ELin1ELi16ELi16EslNS0_4GTOpIsLb1EEEjEEvNS_4cuda6detail10TensorInfoIT3_T6_EES8_S8_S8_NS6_IT4_S8_EES8_T5_,comdat
	.protected	_ZN2at6native20bitonicSortKVInPlaceILi2ELin1ELi16ELi16EslNS0_4GTOpIsLb1EEEjEEvNS_4cuda6detail10TensorInfoIT3_T6_EES8_S8_S8_NS6_IT4_S8_EES8_T5_ ; -- Begin function _ZN2at6native20bitonicSortKVInPlaceILi2ELin1ELi16ELi16EslNS0_4GTOpIsLb1EEEjEEvNS_4cuda6detail10TensorInfoIT3_T6_EES8_S8_S8_NS6_IT4_S8_EES8_T5_
	.globl	_ZN2at6native20bitonicSortKVInPlaceILi2ELin1ELi16ELi16EslNS0_4GTOpIsLb1EEEjEEvNS_4cuda6detail10TensorInfoIT3_T6_EES8_S8_S8_NS6_IT4_S8_EES8_T5_
	.p2align	8
	.type	_ZN2at6native20bitonicSortKVInPlaceILi2ELin1ELi16ELi16EslNS0_4GTOpIsLb1EEEjEEvNS_4cuda6detail10TensorInfoIT3_T6_EES8_S8_S8_NS6_IT4_S8_EES8_T5_,@function
_ZN2at6native20bitonicSortKVInPlaceILi2ELin1ELi16ELi16EslNS0_4GTOpIsLb1EEEjEEvNS_4cuda6detail10TensorInfoIT3_T6_EES8_S8_S8_NS6_IT4_S8_EES8_T5_: ; @_ZN2at6native20bitonicSortKVInPlaceILi2ELin1ELi16ELi16EslNS0_4GTOpIsLb1EEEjEEvNS_4cuda6detail10TensorInfoIT3_T6_EES8_S8_S8_NS6_IT4_S8_EES8_T5_
; %bb.0:
	s_clause 0x2
	s_load_b64 s[2:3], s[0:1], 0x1c8
	s_load_u16 s7, s[0:1], 0x1d6
	s_load_b96 s[4:6], s[0:1], 0xd8
	s_lshr_b32 s8, ttmp7, 16
	s_wait_kmcnt 0x0
	s_mul_i32 s3, s3, s8
	s_and_b32 s8, ttmp7, 0xffff
	s_delay_alu instid0(SALU_CYCLE_1) | instskip(NEXT) | instid1(SALU_CYCLE_1)
	s_add_co_i32 s3, s3, s8
	s_mul_i32 s2, s3, s2
	s_delay_alu instid0(SALU_CYCLE_1) | instskip(NEXT) | instid1(SALU_CYCLE_1)
	s_add_co_i32 s10, s2, ttmp9
	s_mul_i32 s10, s10, s7
	s_delay_alu instid0(SALU_CYCLE_1)
	s_cmp_ge_u32 s10, s4
	s_cbranch_scc1 .LBB35_44
; %bb.1:
	s_clause 0x2
	s_load_b32 s7, s[0:1], 0xc
	s_load_b64 s[2:3], s[0:1], 0x6c
	s_load_b32 s14, s[0:1], 0x1b8
	v_bfe_u32 v8, v0, 10, 10
	s_mov_b32 s13, 0
	s_delay_alu instid0(VALU_DEP_1) | instskip(SKIP_3) | instid1(SALU_CYCLE_2)
	v_add_nc_u32_e32 v4, s10, v8
	s_wait_kmcnt 0x0
	s_cvt_f32_u32 s8, s7
	s_sub_co_i32 s12, 0, s7
	v_rcp_iflag_f32_e32 v1, s8
	s_delay_alu instid0(TRANS32_DEP_1) | instskip(SKIP_3) | instid1(SALU_CYCLE_2)
	v_readfirstlane_b32 s8, v1
	v_mov_b32_e32 v1, 0
	s_mul_f32 s11, s8, 0x4f7ffffe
	s_load_b64 s[8:9], s[0:1], 0x0
	s_cvt_u32_f32 s11, s11
	s_wait_alu 0xfffe
	s_delay_alu instid0(SALU_CYCLE_2) | instskip(NEXT) | instid1(SALU_CYCLE_1)
	s_mul_i32 s12, s12, s11
	s_mul_hi_u32 s10, s11, s12
	s_wait_alu 0xfffe
	s_add_co_i32 s11, s11, s10
	s_cmp_lt_i32 s14, 2
	s_wait_alu 0xfffe
	v_mad_co_u64_u32 v[2:3], null, v4, s11, 0
	s_add_nc_u64 s[10:11], s[0:1], 0xe8
	s_cbranch_scc1 .LBB35_4
; %bb.2:
	s_add_co_i32 s12, s14, -1
	v_mov_b32_e32 v1, 0
	s_lshl_b64 s[12:13], s[12:13], 2
	v_mov_b32_e32 v5, v4
	s_wait_alu 0xfffe
	s_add_nc_u64 s[12:13], s[10:11], s[12:13]
	s_add_co_i32 s14, s14, 1
	s_add_nc_u64 s[12:13], s[12:13], 8
.LBB35_3:                               ; =>This Inner Loop Header: Depth=1
	s_clause 0x1
	s_load_b32 s15, s[12:13], 0x0
	s_load_b32 s16, s[12:13], 0x64
	s_add_co_i32 s14, s14, -1
	s_add_nc_u64 s[12:13], s[12:13], -4
	s_wait_kmcnt 0x0
	s_cvt_f32_u32 s17, s15
	s_sub_co_i32 s18, 0, s15
	s_wait_alu 0xfffe
	s_delay_alu instid0(SALU_CYCLE_1) | instskip(NEXT) | instid1(TRANS32_DEP_1)
	v_rcp_iflag_f32_e32 v2, s17
	v_readfirstlane_b32 s17, v2
	v_mov_b32_e32 v2, v5
	s_mul_f32 s17, s17, 0x4f7ffffe
	s_wait_alu 0xfffe
	s_delay_alu instid0(SALU_CYCLE_2) | instskip(SKIP_1) | instid1(SALU_CYCLE_2)
	s_cvt_u32_f32 s17, s17
	s_wait_alu 0xfffe
	s_mul_i32 s18, s18, s17
	s_delay_alu instid0(SALU_CYCLE_1) | instskip(NEXT) | instid1(SALU_CYCLE_1)
	s_mul_hi_u32 s18, s17, s18
	s_add_co_i32 s17, s17, s18
	s_cmp_gt_u32 s14, 2
	s_wait_alu 0xfffe
	v_mul_hi_u32 v5, v2, s17
	s_delay_alu instid0(VALU_DEP_1) | instskip(SKIP_1) | instid1(VALU_DEP_2)
	v_mul_lo_u32 v6, v5, s15
	v_add_nc_u32_e32 v7, 1, v5
	v_sub_nc_u32_e32 v6, v2, v6
	s_delay_alu instid0(VALU_DEP_1) | instskip(SKIP_2) | instid1(VALU_DEP_2)
	v_subrev_nc_u32_e32 v9, s15, v6
	v_cmp_le_u32_e32 vcc_lo, s15, v6
	s_wait_alu 0xfffd
	v_dual_cndmask_b32 v5, v5, v7 :: v_dual_cndmask_b32 v6, v6, v9
	s_delay_alu instid0(VALU_DEP_1) | instskip(NEXT) | instid1(VALU_DEP_2)
	v_add_nc_u32_e32 v7, 1, v5
	v_cmp_le_u32_e32 vcc_lo, s15, v6
	s_wait_alu 0xfffd
	s_delay_alu instid0(VALU_DEP_2) | instskip(NEXT) | instid1(VALU_DEP_1)
	v_cndmask_b32_e32 v5, v5, v7, vcc_lo
	v_mul_lo_u32 v6, v5, s15
	s_delay_alu instid0(VALU_DEP_1) | instskip(NEXT) | instid1(VALU_DEP_1)
	v_sub_nc_u32_e32 v2, v2, v6
	v_mad_co_u64_u32 v[1:2], null, s16, v2, v[1:2]
	s_cbranch_scc1 .LBB35_3
	s_branch .LBB35_5
.LBB35_4:
	v_mov_b32_e32 v5, v4
.LBB35_5:
	v_mul_lo_u32 v2, v3, s7
	v_add_nc_u32_e32 v6, 1, v3
	s_load_b32 s14, s[10:11], 0x6c
	s_add_nc_u64 s[12:13], s[0:1], 0x1c8
	v_mov_b32_e32 v10, 0
	s_load_b32 s12, s[12:13], 0xc
	v_mov_b32_e32 v12, 0
	s_delay_alu instid0(VALU_DEP_4) | instskip(NEXT) | instid1(VALU_DEP_1)
	v_sub_nc_u32_e32 v2, v4, v2
	v_subrev_nc_u32_e32 v7, s7, v2
	v_cmp_le_u32_e32 vcc_lo, s7, v2
	s_wait_alu 0xfffd
	s_delay_alu instid0(VALU_DEP_2) | instskip(NEXT) | instid1(VALU_DEP_1)
	v_dual_cndmask_b32 v3, v3, v6 :: v_dual_cndmask_b32 v2, v2, v7
	v_add_nc_u32_e32 v6, 1, v3
	s_delay_alu instid0(VALU_DEP_2) | instskip(SKIP_1) | instid1(VALU_DEP_2)
	v_cmp_le_u32_e32 vcc_lo, s7, v2
	s_wait_alu 0xfffd
	v_dual_cndmask_b32 v3, v3, v6 :: v_dual_and_b32 v6, 0x3ff, v0
	s_delay_alu instid0(VALU_DEP_1)
	v_mul_lo_u32 v2, v3, s7
	s_clause 0x1
	s_load_b32 s7, s[0:1], 0x1c0
	s_load_b64 s[10:11], s[10:11], 0x0
	v_cmp_gt_u32_e64 s0, s4, v4
	v_cmp_gt_u32_e32 vcc_lo, s5, v6
	s_delay_alu instid0(VALU_DEP_3) | instskip(NEXT) | instid1(VALU_DEP_1)
	v_sub_nc_u32_e32 v2, v4, v2
	v_mul_lo_u32 v2, v2, s3
	s_wait_kmcnt 0x0
	s_delay_alu instid0(VALU_DEP_1)
	v_mad_co_u64_u32 v[0:1], null, s14, v5, v[1:2]
	v_mad_co_u64_u32 v[1:2], null, v3, s2, v[2:3]
	v_mov_b32_e32 v2, 0
	v_dual_mov_b32 v4, 0 :: v_dual_mov_b32 v3, 0
	v_mov_b32_e32 v5, 0
	s_and_b32 s2, s0, vcc_lo
	s_wait_alu 0xfffe
	s_and_saveexec_b32 s3, s2
	s_cbranch_execz .LBB35_7
; %bb.6:
	v_mad_co_u64_u32 v[4:5], null, v6, s6, v[1:2]
	v_mov_b32_e32 v5, 0
	v_mad_co_u64_u32 v[11:12], null, v6, s7, v[0:1]
	s_delay_alu instid0(VALU_DEP_2) | instskip(NEXT) | instid1(VALU_DEP_4)
	v_mov_b32_e32 v12, v5
	v_lshlrev_b64_e32 v[4:5], 1, v[4:5]
	s_delay_alu instid0(VALU_DEP_2) | instskip(NEXT) | instid1(VALU_DEP_2)
	v_lshlrev_b64_e32 v[11:12], 3, v[11:12]
	v_add_co_u32 v4, s1, s8, v4
	s_delay_alu instid0(VALU_DEP_1) | instskip(NEXT) | instid1(VALU_DEP_3)
	v_add_co_ci_u32_e64 v5, null, s9, v5, s1
	v_add_co_u32 v13, s1, s10, v11
	s_wait_alu 0xf1ff
	s_delay_alu instid0(VALU_DEP_4)
	v_add_co_ci_u32_e64 v14, null, s11, v12, s1
	global_load_u16 v12, v[4:5], off
	global_load_b64 v[4:5], v[13:14], off
.LBB35_7:
	s_wait_alu 0xfffe
	s_or_b32 exec_lo, exec_lo, s3
	s_and_b32 s3, 0xffff, s12
	v_lshl_add_u32 v13, v8, 6, 0x1000
	s_wait_alu 0xfffe
	v_add_nc_u32_e32 v7, s3, v6
	v_lshlrev_b32_e32 v11, 8, v8
	v_lshl_add_u32 v15, v8, 5, 0x1400
	v_cndmask_b32_e64 v14, 0, 1, s2
	v_lshl_add_u32 v8, v6, 1, v13
	v_cmp_gt_u32_e64 s1, s5, v7
	v_lshl_add_u32 v9, v6, 3, v11
	v_add_nc_u32_e32 v16, v15, v6
	s_wait_loadcnt 0x1
	ds_store_b16 v8, v12
	s_wait_loadcnt 0x0
	ds_store_b64 v9, v[4:5]
	ds_store_b8 v16, v14
	s_and_b32 s4, s0, s1
	s_wait_alu 0xfffe
	s_and_saveexec_b32 s5, s4
	s_cbranch_execz .LBB35_9
; %bb.8:
	v_mad_co_u64_u32 v[2:3], null, v7, s6, v[1:2]
	v_mov_b32_e32 v3, 0
	v_mad_co_u64_u32 v[4:5], null, v7, s7, v[0:1]
	s_delay_alu instid0(VALU_DEP_2) | instskip(NEXT) | instid1(VALU_DEP_4)
	v_mov_b32_e32 v5, v3
	v_lshlrev_b64_e32 v[2:3], 1, v[2:3]
	s_delay_alu instid0(VALU_DEP_2) | instskip(NEXT) | instid1(VALU_DEP_2)
	v_lshlrev_b64_e32 v[4:5], 3, v[4:5]
	v_add_co_u32 v2, s2, s8, v2
	s_wait_alu 0xf1ff
	s_delay_alu instid0(VALU_DEP_3) | instskip(NEXT) | instid1(VALU_DEP_3)
	v_add_co_ci_u32_e64 v3, null, s9, v3, s2
	v_add_co_u32 v4, s2, s10, v4
	s_wait_alu 0xf1ff
	v_add_co_ci_u32_e64 v5, null, s11, v5, s2
	global_load_u16 v10, v[2:3], off
	global_load_b64 v[2:3], v[4:5], off
.LBB35_9:
	s_wait_alu 0xfffe
	s_or_b32 exec_lo, exec_lo, s5
	v_lshl_add_u32 v4, s3, 1, v8
	v_lshlrev_b32_e32 v16, 1, v6
	v_lshl_add_u32 v5, s3, 3, v9
	v_cndmask_b32_e64 v12, 0, 1, s4
	v_add_nc_u32_e32 v14, v15, v7
	s_wait_loadcnt 0x1
	ds_store_b16 v4, v10
	s_wait_loadcnt 0x0
	ds_store_b64 v5, v[2:3]
	ds_store_b8 v14, v12
	v_add_nc_u32_e32 v3, v8, v16
	v_add_nc_u32_e32 v2, v15, v16
	s_wait_dscnt 0x0
	s_barrier_signal -1
	s_barrier_wait -1
	global_inv scope:SCOPE_SE
	ds_load_b32 v18, v3
	ds_load_u16 v14, v2
	v_and_b32_e32 v10, 1, v6
	s_wait_dscnt 0x1
	v_lshrrev_b32_e32 v17, 16, v18
	s_wait_dscnt 0x0
	v_lshrrev_b16 v12, 8, v14
	v_and_b32_e32 v19, 1, v14
	s_delay_alu instid0(VALU_DEP_3) | instskip(NEXT) | instid1(VALU_DEP_3)
	v_cmp_gt_i16_e64 s2, v18, v17
	v_cmp_ne_u16_e64 s4, v12, v10
	s_delay_alu instid0(VALU_DEP_3) | instskip(SKIP_1) | instid1(VALU_DEP_2)
	v_cmp_eq_u32_e64 s3, 1, v19
	s_wait_alu 0xf1ff
	v_cndmask_b32_e64 v17, 0, 1, s4
	s_and_b32 s2, s2, s3
	s_wait_alu 0xfffe
	s_delay_alu instid0(VALU_DEP_1) | instskip(NEXT) | instid1(VALU_DEP_1)
	v_cndmask_b32_e64 v17, v17, v6, s2
	v_and_b32_e32 v17, 1, v17
	s_delay_alu instid0(VALU_DEP_1)
	v_cmp_eq_u32_e64 s2, 1, v17
	v_lshl_add_u32 v17, v6, 3, v9
	s_and_saveexec_b32 s3, s2
	s_wait_alu 0xfffe
	s_xor_b32 s2, exec_lo, s3
	s_cbranch_execz .LBB35_11
; %bb.10:
	ds_load_b128 v[19:22], v17
	v_lshlrev_b16 v14, 8, v14
	v_alignbit_b32 v18, v18, v18, 16
	s_delay_alu instid0(VALU_DEP_2)
	v_or_b32_e32 v12, v12, v14
	s_wait_dscnt 0x0
	v_dual_mov_b32 v23, v19 :: v_dual_mov_b32 v24, v20
	ds_store_b32 v3, v18
	ds_store_b128 v17, v[21:24]
	ds_store_b16 v2, v12
.LBB35_11:
	s_wait_alu 0xfffe
	s_or_b32 exec_lo, exec_lo, s2
	v_sub_nc_u32_e32 v14, v16, v10
	s_wait_loadcnt_dscnt 0x0
	s_barrier_signal -1
	s_barrier_wait -1
	global_inv scope:SCOPE_SE
	v_add_nc_u32_e32 v10, v15, v14
	v_lshl_add_u32 v12, v14, 1, v13
	v_bfe_u32 v23, v6, 1, 1
	v_lshl_add_u32 v14, v14, 3, v11
	ds_load_u8 v18, v10
	ds_load_u16 v19, v12
	ds_load_u16 v22, v12 offset:4
	ds_load_u8 v20, v10 offset:2
	s_wait_dscnt 0x3
	v_and_b32_e32 v21, 1, v18
	s_wait_dscnt 0x1
	v_cmp_gt_i16_e64 s2, v19, v22
	s_wait_dscnt 0x0
	v_cmp_ne_u16_e64 s4, v20, v23
	v_cmp_eq_u32_e64 s3, 1, v21
	s_wait_alu 0xf1ff
	s_delay_alu instid0(VALU_DEP_2) | instskip(SKIP_2) | instid1(VALU_DEP_1)
	v_cndmask_b32_e64 v21, 0, 1, s4
	s_and_b32 s2, s2, s3
	s_wait_alu 0xfffe
	v_cndmask_b32_e64 v23, v21, v23, s2
	v_and_b32_e32 v21, 2, v6
	s_delay_alu instid0(VALU_DEP_2) | instskip(NEXT) | instid1(VALU_DEP_2)
	v_and_b32_e32 v23, 1, v23
	v_cmp_ne_u32_e64 s2, 0, v21
	s_delay_alu instid0(VALU_DEP_2)
	v_cmp_eq_u32_e64 s3, 1, v23
	s_and_saveexec_b32 s4, s3
	s_wait_alu 0xfffe
	s_xor_b32 s3, exec_lo, s4
	s_cbranch_execz .LBB35_13
; %bb.12:
	ds_load_2addr_b64 v[23:26], v14 offset1:2
	s_wait_dscnt 0x0
	ds_store_2addr_b64 v14, v[25:26], v[23:24] offset1:2
	ds_store_b16 v12, v22
	ds_store_b16 v12, v19 offset:4
	ds_store_b8 v10, v20
	ds_store_b8 v10, v18 offset:2
.LBB35_13:
	s_wait_alu 0xfffe
	s_or_b32 exec_lo, exec_lo, s3
	s_wait_loadcnt_dscnt 0x0
	s_barrier_signal -1
	s_barrier_wait -1
	global_inv scope:SCOPE_SE
	ds_load_b32 v20, v3
	ds_load_u16 v19, v2
	v_lshrrev_b32_e32 v21, 1, v21
	v_cndmask_b32_e64 v24, 0, 1, s2
	s_wait_dscnt 0x1
	v_lshrrev_b32_e32 v22, 16, v20
	s_wait_dscnt 0x0
	v_lshrrev_b16 v18, 8, v19
	v_and_b32_e32 v23, 1, v19
	s_delay_alu instid0(VALU_DEP_3) | instskip(NEXT) | instid1(VALU_DEP_3)
	v_cmp_gt_i16_e64 s2, v20, v22
	v_cmp_ne_u16_e64 s4, v18, v21
	s_delay_alu instid0(VALU_DEP_3) | instskip(SKIP_1) | instid1(VALU_DEP_2)
	v_cmp_eq_u32_e64 s3, 1, v23
	s_wait_alu 0xf1ff
	v_cndmask_b32_e64 v21, 0, 1, s4
	s_and_b32 s2, s2, s3
	s_mov_b32 s3, exec_lo
	s_wait_alu 0xfffe
	s_delay_alu instid0(VALU_DEP_1) | instskip(NEXT) | instid1(VALU_DEP_1)
	v_cndmask_b32_e64 v21, v21, v24, s2
	v_and_b32_e32 v21, 1, v21
	s_delay_alu instid0(VALU_DEP_1)
	v_cmpx_eq_u32_e32 1, v21
	s_cbranch_execz .LBB35_15
; %bb.14:
	ds_load_b128 v[21:24], v17
	v_lshlrev_b16 v26, 8, v19
	v_alignbit_b32 v25, v20, v20, 16
	s_delay_alu instid0(VALU_DEP_2)
	v_or_b32_e32 v18, v18, v26
	s_wait_dscnt 0x0
	v_dual_mov_b32 v19, v23 :: v_dual_mov_b32 v20, v24
	ds_store_b32 v3, v25
	ds_store_b128 v17, v[19:22]
	ds_store_b16 v2, v18
.LBB35_15:
	s_or_b32 exec_lo, exec_lo, s3
	v_and_b32_e32 v17, 3, v6
	s_wait_loadcnt_dscnt 0x0
	s_barrier_signal -1
	s_barrier_wait -1
	global_inv scope:SCOPE_SE
	v_sub_nc_u32_e32 v20, v16, v17
	v_bfe_u32 v25, v6, 2, 1
	s_delay_alu instid0(VALU_DEP_2)
	v_add_nc_u32_e32 v17, v15, v20
	v_lshl_add_u32 v18, v20, 1, v13
	v_lshl_add_u32 v20, v20, 3, v11
	ds_load_u8 v21, v17
	ds_load_u16 v22, v18
	ds_load_u16 v24, v18 offset:8
	ds_load_u8 v23, v17 offset:4
	s_wait_dscnt 0x3
	v_and_b32_e32 v19, 1, v21
	s_wait_dscnt 0x1
	v_cmp_gt_i16_e64 s2, v22, v24
	s_wait_dscnt 0x0
	v_cmp_ne_u16_e64 s4, v23, v25
	v_cmp_eq_u32_e64 s3, 1, v19
	s_wait_alu 0xf1ff
	s_delay_alu instid0(VALU_DEP_2) | instskip(SKIP_3) | instid1(VALU_DEP_1)
	v_cndmask_b32_e64 v19, 0, 1, s4
	s_mov_b32 s4, exec_lo
	s_and_b32 s2, s2, s3
	s_wait_alu 0xfffe
	v_cndmask_b32_e64 v25, v19, v25, s2
	v_and_b32_e32 v19, 4, v6
	s_delay_alu instid0(VALU_DEP_2) | instskip(NEXT) | instid1(VALU_DEP_2)
	v_and_b32_e32 v25, 1, v25
	v_cmp_ne_u32_e64 s2, 0, v19
	s_delay_alu instid0(VALU_DEP_2)
	v_cmpx_eq_u32_e32 1, v25
	s_cbranch_execz .LBB35_17
; %bb.16:
	ds_load_2addr_b64 v[25:28], v20 offset1:4
	s_wait_dscnt 0x0
	ds_store_2addr_b64 v20, v[27:28], v[25:26] offset1:4
	ds_store_b16 v18, v24
	ds_store_b16 v18, v22 offset:8
	ds_store_b8 v17, v23
	ds_store_b8 v17, v21 offset:4
.LBB35_17:
	s_or_b32 exec_lo, exec_lo, s4
	s_wait_loadcnt_dscnt 0x0
	s_barrier_signal -1
	s_barrier_wait -1
	global_inv scope:SCOPE_SE
	ds_load_u8 v22, v10
	ds_load_u16 v23, v12
	ds_load_u16 v25, v12 offset:4
	ds_load_u8 v24, v10 offset:2
	v_lshrrev_b32_e32 v19, 2, v19
	v_cndmask_b32_e64 v21, 0, 1, s2
	s_wait_dscnt 0x3
	v_and_b32_e32 v26, 1, v22
	s_wait_dscnt 0x1
	v_cmp_gt_i16_e64 s2, v23, v25
	s_wait_dscnt 0x0
	v_cmp_ne_u16_e64 s4, v24, v19
	v_cmp_eq_u32_e64 s3, 1, v26
	s_wait_alu 0xf1ff
	s_delay_alu instid0(VALU_DEP_2) | instskip(SKIP_3) | instid1(VALU_DEP_1)
	v_cndmask_b32_e64 v26, 0, 1, s4
	s_and_b32 s2, s2, s3
	s_mov_b32 s3, exec_lo
	s_wait_alu 0xfffe
	v_cndmask_b32_e64 v26, v26, v21, s2
	s_delay_alu instid0(VALU_DEP_1) | instskip(NEXT) | instid1(VALU_DEP_1)
	v_and_b32_e32 v26, 1, v26
	v_cmpx_eq_u32_e32 1, v26
	s_cbranch_execz .LBB35_19
; %bb.18:
	ds_load_2addr_b64 v[26:29], v14 offset1:2
	s_wait_dscnt 0x0
	ds_store_2addr_b64 v14, v[28:29], v[26:27] offset1:2
	ds_store_b16 v12, v25
	ds_store_b16 v12, v23 offset:4
	ds_store_b8 v10, v24
	ds_store_b8 v10, v22 offset:2
.LBB35_19:
	s_or_b32 exec_lo, exec_lo, s3
	s_wait_loadcnt_dscnt 0x0
	s_barrier_signal -1
	s_barrier_wait -1
	global_inv scope:SCOPE_SE
	ds_load_b32 v24, v3
	ds_load_u16 v23, v2
	s_wait_dscnt 0x1
	v_lshrrev_b32_e32 v25, 16, v24
	s_wait_dscnt 0x0
	v_lshrrev_b16 v22, 8, v23
	v_and_b32_e32 v26, 1, v23
	s_delay_alu instid0(VALU_DEP_3) | instskip(NEXT) | instid1(VALU_DEP_3)
	v_cmp_gt_i16_e64 s2, v24, v25
	v_cmp_ne_u16_e64 s4, v22, v19
	s_delay_alu instid0(VALU_DEP_3) | instskip(SKIP_1) | instid1(VALU_DEP_2)
	v_cmp_eq_u32_e64 s3, 1, v26
	s_wait_alu 0xf1ff
	v_cndmask_b32_e64 v19, 0, 1, s4
	s_and_b32 s2, s2, s3
	s_wait_alu 0xfffe
	s_delay_alu instid0(VALU_DEP_1) | instskip(NEXT) | instid1(VALU_DEP_1)
	v_cndmask_b32_e64 v19, v19, v21, s2
	v_and_b32_e32 v19, 1, v19
	s_delay_alu instid0(VALU_DEP_1)
	v_cmp_eq_u32_e64 s2, 1, v19
	v_lshl_add_u32 v19, v16, 3, v11
	s_and_saveexec_b32 s3, s2
	s_cbranch_execz .LBB35_21
; %bb.20:
	ds_load_b128 v[25:28], v19
	v_lshlrev_b16 v29, 8, v23
	v_alignbit_b32 v21, v24, v24, 16
	s_delay_alu instid0(VALU_DEP_2)
	v_or_b32_e32 v22, v22, v29
	s_wait_dscnt 0x0
	v_dual_mov_b32 v23, v27 :: v_dual_mov_b32 v24, v28
	ds_store_b32 v3, v21
	ds_store_b128 v19, v[23:26]
	ds_store_b16 v2, v22
.LBB35_21:
	s_wait_alu 0xfffe
	s_or_b32 exec_lo, exec_lo, s3
	v_and_b32_e32 v21, 7, v6
	s_wait_loadcnt_dscnt 0x0
	s_barrier_signal -1
	s_barrier_wait -1
	global_inv scope:SCOPE_SE
	v_sub_nc_u32_e32 v23, v16, v21
	v_bfe_u32 v29, v6, 3, 1
	s_delay_alu instid0(VALU_DEP_2)
	v_add_nc_u32_e32 v21, v15, v23
	v_lshl_add_u32 v22, v23, 1, v13
	v_lshl_add_u32 v23, v23, 3, v11
	ds_load_u8 v25, v21
	ds_load_u16 v26, v22
	ds_load_u16 v28, v22 offset:16
	ds_load_u8 v27, v21 offset:8
	s_wait_dscnt 0x3
	v_and_b32_e32 v24, 1, v25
	s_wait_dscnt 0x1
	v_cmp_gt_i16_e64 s2, v26, v28
	s_wait_dscnt 0x0
	v_cmp_ne_u16_e64 s4, v27, v29
	v_cmp_eq_u32_e64 s3, 1, v24
	s_wait_alu 0xf1ff
	s_delay_alu instid0(VALU_DEP_2) | instskip(SKIP_3) | instid1(VALU_DEP_1)
	v_cndmask_b32_e64 v24, 0, 1, s4
	s_mov_b32 s4, exec_lo
	s_and_b32 s2, s2, s3
	s_wait_alu 0xfffe
	v_cndmask_b32_e64 v29, v24, v29, s2
	v_and_b32_e32 v24, 8, v6
	s_delay_alu instid0(VALU_DEP_2) | instskip(NEXT) | instid1(VALU_DEP_2)
	v_and_b32_e32 v29, 1, v29
	v_cmp_ne_u32_e64 s2, 0, v24
	s_delay_alu instid0(VALU_DEP_2)
	v_cmpx_eq_u32_e32 1, v29
	s_cbranch_execz .LBB35_23
; %bb.22:
	ds_load_2addr_b64 v[29:32], v23 offset1:8
	s_wait_dscnt 0x0
	ds_store_2addr_b64 v23, v[31:32], v[29:30] offset1:8
	ds_store_b16 v22, v28
	ds_store_b16 v22, v26 offset:16
	ds_store_b8 v21, v27
	ds_store_b8 v21, v25 offset:8
.LBB35_23:
	s_or_b32 exec_lo, exec_lo, s4
	s_wait_loadcnt_dscnt 0x0
	s_barrier_signal -1
	s_barrier_wait -1
	global_inv scope:SCOPE_SE
	ds_load_u8 v26, v17
	ds_load_u16 v27, v18
	ds_load_u16 v29, v18 offset:8
	ds_load_u8 v28, v17 offset:4
	v_lshrrev_b32_e32 v24, 3, v24
	v_cndmask_b32_e64 v25, 0, 1, s2
	s_wait_dscnt 0x3
	v_and_b32_e32 v30, 1, v26
	s_wait_dscnt 0x1
	v_cmp_gt_i16_e64 s2, v27, v29
	s_wait_dscnt 0x0
	v_cmp_ne_u16_e64 s4, v28, v24
	v_cmp_eq_u32_e64 s3, 1, v30
	s_wait_alu 0xf1ff
	s_delay_alu instid0(VALU_DEP_2) | instskip(SKIP_3) | instid1(VALU_DEP_1)
	v_cndmask_b32_e64 v30, 0, 1, s4
	s_and_b32 s2, s2, s3
	s_mov_b32 s3, exec_lo
	s_wait_alu 0xfffe
	v_cndmask_b32_e64 v30, v30, v25, s2
	s_delay_alu instid0(VALU_DEP_1) | instskip(NEXT) | instid1(VALU_DEP_1)
	v_and_b32_e32 v30, 1, v30
	v_cmpx_eq_u32_e32 1, v30
	s_cbranch_execz .LBB35_25
; %bb.24:
	ds_load_2addr_b64 v[30:33], v20 offset1:4
	s_wait_dscnt 0x0
	ds_store_2addr_b64 v20, v[32:33], v[30:31] offset1:4
	ds_store_b16 v18, v29
	ds_store_b16 v18, v27 offset:8
	ds_store_b8 v17, v28
	ds_store_b8 v17, v26 offset:4
.LBB35_25:
	s_or_b32 exec_lo, exec_lo, s3
	s_wait_loadcnt_dscnt 0x0
	s_barrier_signal -1
	s_barrier_wait -1
	global_inv scope:SCOPE_SE
	ds_load_u8 v26, v10
	ds_load_u16 v27, v12
	ds_load_u16 v29, v12 offset:4
	ds_load_u8 v28, v10 offset:2
	s_wait_dscnt 0x3
	v_and_b32_e32 v30, 1, v26
	s_wait_dscnt 0x1
	v_cmp_gt_i16_e64 s2, v27, v29
	s_wait_dscnt 0x0
	v_cmp_ne_u16_e64 s4, v28, v24
	v_cmp_eq_u32_e64 s3, 1, v30
	s_wait_alu 0xf1ff
	s_delay_alu instid0(VALU_DEP_2) | instskip(SKIP_3) | instid1(VALU_DEP_1)
	v_cndmask_b32_e64 v30, 0, 1, s4
	s_and_b32 s2, s2, s3
	s_mov_b32 s3, exec_lo
	s_wait_alu 0xfffe
	v_cndmask_b32_e64 v30, v30, v25, s2
	s_delay_alu instid0(VALU_DEP_1) | instskip(NEXT) | instid1(VALU_DEP_1)
	v_and_b32_e32 v30, 1, v30
	v_cmpx_eq_u32_e32 1, v30
	s_cbranch_execz .LBB35_27
; %bb.26:
	ds_load_2addr_b64 v[30:33], v14 offset1:2
	s_wait_dscnt 0x0
	ds_store_2addr_b64 v14, v[32:33], v[30:31] offset1:2
	ds_store_b16 v12, v29
	ds_store_b16 v12, v27 offset:4
	ds_store_b8 v10, v28
	ds_store_b8 v10, v26 offset:2
.LBB35_27:
	s_or_b32 exec_lo, exec_lo, s3
	s_wait_loadcnt_dscnt 0x0
	s_barrier_signal -1
	s_barrier_wait -1
	global_inv scope:SCOPE_SE
	ds_load_b32 v28, v3
	ds_load_u16 v27, v2
	s_wait_dscnt 0x1
	v_lshrrev_b32_e32 v29, 16, v28
	s_wait_dscnt 0x0
	v_lshrrev_b16 v26, 8, v27
	v_and_b32_e32 v30, 1, v27
	s_delay_alu instid0(VALU_DEP_3) | instskip(NEXT) | instid1(VALU_DEP_3)
	v_cmp_gt_i16_e64 s2, v28, v29
	v_cmp_ne_u16_e64 s4, v26, v24
	s_delay_alu instid0(VALU_DEP_3) | instskip(SKIP_1) | instid1(VALU_DEP_2)
	v_cmp_eq_u32_e64 s3, 1, v30
	s_wait_alu 0xf1ff
	v_cndmask_b32_e64 v24, 0, 1, s4
	s_and_b32 s2, s2, s3
	s_mov_b32 s3, exec_lo
	s_wait_alu 0xfffe
	s_delay_alu instid0(VALU_DEP_1) | instskip(NEXT) | instid1(VALU_DEP_1)
	v_cndmask_b32_e64 v24, v24, v25, s2
	v_and_b32_e32 v24, 1, v24
	s_delay_alu instid0(VALU_DEP_1)
	v_cmpx_eq_u32_e32 1, v24
	s_cbranch_execz .LBB35_29
; %bb.28:
	ds_load_b128 v[29:32], v19
	v_lshlrev_b16 v25, 8, v27
	v_alignbit_b32 v24, v28, v28, 16
	s_delay_alu instid0(VALU_DEP_2)
	v_or_b32_e32 v25, v26, v25
	s_wait_dscnt 0x0
	v_dual_mov_b32 v27, v31 :: v_dual_mov_b32 v28, v32
	ds_store_b32 v3, v24
	ds_store_b128 v19, v[27:30]
	ds_store_b16 v2, v25
.LBB35_29:
	s_or_b32 exec_lo, exec_lo, s3
	v_and_b32_e32 v24, 15, v6
	s_wait_loadcnt_dscnt 0x0
	s_barrier_signal -1
	s_barrier_wait -1
	global_inv scope:SCOPE_SE
	v_sub_nc_u32_e32 v16, v16, v24
	s_delay_alu instid0(VALU_DEP_1)
	v_add_nc_u32_e32 v15, v15, v16
	v_lshl_add_u32 v13, v16, 1, v13
	ds_load_u8 v24, v15
	ds_load_u8 v27, v15 offset:16
	ds_load_u16 v25, v13
	ds_load_u16 v26, v13 offset:32
	s_wait_dscnt 0x2
	v_and_b32_e32 v27, 0xff, v27
	v_and_b32_e32 v28, 1, v24
	s_wait_dscnt 0x0
	v_cmp_le_i16_e64 s3, v25, v26
	s_delay_alu instid0(VALU_DEP_3) | instskip(NEXT) | instid1(VALU_DEP_3)
	v_cmp_ne_u16_e64 s4, 0, v27
	v_cmp_eq_u32_e64 s2, 1, v28
	s_xor_b32 s2, s2, -1
	s_wait_alu 0xfffe
	s_or_b32 s2, s3, s2
	s_wait_alu 0xfffe
	s_and_b32 s3, s2, s4
	s_wait_alu 0xfffe
	s_and_saveexec_b32 s2, s3
	s_cbranch_execz .LBB35_31
; %bb.30:
	v_lshl_add_u32 v11, v16, 3, v11
	v_mov_b32_e32 v16, 1
	ds_load_2addr_b64 v[27:30], v11 offset1:16
	s_wait_dscnt 0x0
	ds_store_2addr_b64 v11, v[29:30], v[27:28] offset1:16
	ds_store_b16 v13, v26
	ds_store_b16 v13, v25 offset:32
	ds_store_b8 v15, v16
	ds_store_b8 v15, v24 offset:16
.LBB35_31:
	s_wait_alu 0xfffe
	s_or_b32 exec_lo, exec_lo, s2
	s_wait_loadcnt_dscnt 0x0
	s_barrier_signal -1
	s_barrier_wait -1
	global_inv scope:SCOPE_SE
	ds_load_u8 v11, v21
	ds_load_u8 v16, v21 offset:8
	ds_load_u16 v13, v22
	ds_load_u16 v15, v22 offset:16
	s_wait_dscnt 0x3
	v_and_b32_e32 v24, 1, v11
	s_wait_dscnt 0x2
	v_and_b32_e32 v16, 0xff, v16
	s_wait_dscnt 0x0
	v_cmp_le_i16_e64 s3, v13, v15
	v_cmp_eq_u32_e64 s2, 1, v24
	s_delay_alu instid0(VALU_DEP_3)
	v_cmp_ne_u16_e64 s4, 0, v16
	s_xor_b32 s2, s2, -1
	s_wait_alu 0xfffe
	s_or_b32 s2, s3, s2
	s_wait_alu 0xfffe
	s_and_b32 s3, s2, s4
	s_wait_alu 0xfffe
	s_and_saveexec_b32 s2, s3
	s_cbranch_execz .LBB35_33
; %bb.32:
	ds_load_2addr_b64 v[24:27], v23 offset1:8
	v_mov_b32_e32 v16, 1
	s_wait_dscnt 0x0
	ds_store_2addr_b64 v23, v[26:27], v[24:25] offset1:8
	ds_store_b16 v22, v15
	ds_store_b16 v22, v13 offset:16
	ds_store_b8 v21, v16
	ds_store_b8 v21, v11 offset:8
.LBB35_33:
	s_wait_alu 0xfffe
	s_or_b32 exec_lo, exec_lo, s2
	s_wait_loadcnt_dscnt 0x0
	s_barrier_signal -1
	s_barrier_wait -1
	global_inv scope:SCOPE_SE
	ds_load_u8 v11, v17
	ds_load_u8 v16, v17 offset:4
	ds_load_u16 v13, v18
	ds_load_u16 v15, v18 offset:8
	s_wait_dscnt 0x3
	v_and_b32_e32 v21, 1, v11
	s_wait_dscnt 0x2
	v_and_b32_e32 v16, 0xff, v16
	s_wait_dscnt 0x0
	v_cmp_le_i16_e64 s3, v13, v15
	v_cmp_eq_u32_e64 s2, 1, v21
	s_delay_alu instid0(VALU_DEP_3)
	v_cmp_ne_u16_e64 s4, 0, v16
	s_xor_b32 s2, s2, -1
	s_wait_alu 0xfffe
	s_or_b32 s2, s3, s2
	s_wait_alu 0xfffe
	s_and_b32 s3, s2, s4
	s_wait_alu 0xfffe
	s_and_saveexec_b32 s2, s3
	s_cbranch_execz .LBB35_35
; %bb.34:
	ds_load_2addr_b64 v[21:24], v20 offset1:4
	v_mov_b32_e32 v16, 1
	s_wait_dscnt 0x0
	ds_store_2addr_b64 v20, v[23:24], v[21:22] offset1:4
	ds_store_b16 v18, v15
	ds_store_b16 v18, v13 offset:8
	ds_store_b8 v17, v16
	ds_store_b8 v17, v11 offset:4
.LBB35_35:
	;; [unrolled: 37-line block ×3, first 2 shown]
	s_wait_alu 0xfffe
	s_or_b32 exec_lo, exec_lo, s2
	s_wait_loadcnt_dscnt 0x0
	s_barrier_signal -1
	s_barrier_wait -1
	global_inv scope:SCOPE_SE
	ds_load_u16 v10, v2
	ds_load_b32 v11, v3
	s_wait_dscnt 0x1
	v_and_b32_e32 v12, 1, v10
	s_wait_dscnt 0x0
	v_lshrrev_b32_e32 v13, 16, v11
	v_lshrrev_b16 v14, 8, v10
	s_delay_alu instid0(VALU_DEP_3) | instskip(NEXT) | instid1(VALU_DEP_3)
	v_cmp_eq_u32_e64 s2, 1, v12
	v_cmp_le_i16_e64 s3, v11, v13
	s_delay_alu instid0(VALU_DEP_3)
	v_cmp_ne_u16_e64 s4, 0, v14
	s_xor_b32 s2, s2, -1
	s_wait_alu 0xfffe
	s_or_b32 s2, s3, s2
	s_wait_alu 0xfffe
	s_and_b32 s3, s2, s4
	s_wait_alu 0xfffe
	s_and_saveexec_b32 s2, s3
	s_cbranch_execz .LBB35_39
; %bb.38:
	ds_load_b128 v[12:15], v19
	v_lshlrev_b16 v17, 8, v10
	v_alignbit_b32 v16, v11, v11, 16
	s_wait_dscnt 0x0
	v_dual_mov_b32 v10, v14 :: v_dual_mov_b32 v11, v15
	s_delay_alu instid0(VALU_DEP_3)
	v_or_b32_e32 v14, 1, v17
	ds_store_b32 v3, v16
	ds_store_b128 v19, v[10:13]
	ds_store_b16 v2, v14
.LBB35_39:
	s_wait_alu 0xfffe
	s_or_b32 exec_lo, exec_lo, s2
	s_wait_loadcnt_dscnt 0x0
	s_barrier_signal -1
	s_barrier_wait -1
	global_inv scope:SCOPE_SE
	s_and_saveexec_b32 s2, s0
	s_cbranch_execz .LBB35_44
; %bb.40:
	s_and_saveexec_b32 s0, vcc_lo
	s_cbranch_execz .LBB35_42
; %bb.41:
	v_mad_co_u64_u32 v[2:3], null, v6, s6, v[1:2]
	v_mov_b32_e32 v3, 0
	v_mad_co_u64_u32 v[10:11], null, v6, s7, v[0:1]
	ds_load_u16 v6, v8
	ds_load_b64 v[8:9], v9
	v_mov_b32_e32 v11, v3
	v_lshlrev_b64_e32 v[2:3], 1, v[2:3]
	s_delay_alu instid0(VALU_DEP_2) | instskip(NEXT) | instid1(VALU_DEP_2)
	v_lshlrev_b64_e32 v[10:11], 3, v[10:11]
	v_add_co_u32 v2, vcc_lo, s8, v2
	s_wait_alu 0xfffd
	s_delay_alu instid0(VALU_DEP_3) | instskip(NEXT) | instid1(VALU_DEP_3)
	v_add_co_ci_u32_e64 v3, null, s9, v3, vcc_lo
	v_add_co_u32 v10, vcc_lo, s10, v10
	s_wait_alu 0xfffd
	v_add_co_ci_u32_e64 v11, null, s11, v11, vcc_lo
	s_wait_dscnt 0x1
	global_store_b16 v[2:3], v6, off
	s_wait_dscnt 0x0
	global_store_b64 v[10:11], v[8:9], off
.LBB35_42:
	s_wait_alu 0xfffe
	s_or_b32 exec_lo, exec_lo, s0
	s_delay_alu instid0(SALU_CYCLE_1)
	s_and_b32 exec_lo, exec_lo, s1
	s_cbranch_execz .LBB35_44
; %bb.43:
	v_mad_co_u64_u32 v[1:2], null, v7, s6, v[1:2]
	v_mov_b32_e32 v2, 0
	ds_load_u16 v8, v4
	ds_load_b64 v[3:4], v5
	v_mad_co_u64_u32 v[6:7], null, v7, s7, v[0:1]
	v_mov_b32_e32 v7, v2
	v_lshlrev_b64_e32 v[0:1], 1, v[1:2]
	s_delay_alu instid0(VALU_DEP_2) | instskip(NEXT) | instid1(VALU_DEP_2)
	v_lshlrev_b64_e32 v[5:6], 3, v[6:7]
	v_add_co_u32 v0, vcc_lo, s8, v0
	s_wait_alu 0xfffd
	s_delay_alu instid0(VALU_DEP_3) | instskip(NEXT) | instid1(VALU_DEP_3)
	v_add_co_ci_u32_e64 v1, null, s9, v1, vcc_lo
	v_add_co_u32 v5, vcc_lo, s10, v5
	s_wait_alu 0xfffd
	v_add_co_ci_u32_e64 v6, null, s11, v6, vcc_lo
	s_wait_dscnt 0x1
	global_store_b16 v[0:1], v8, off
	s_wait_dscnt 0x0
	global_store_b64 v[5:6], v[3:4], off
.LBB35_44:
	s_endpgm
	.section	.rodata,"a",@progbits
	.p2align	6, 0x0
	.amdhsa_kernel _ZN2at6native20bitonicSortKVInPlaceILi2ELin1ELi16ELi16EslNS0_4GTOpIsLb1EEEjEEvNS_4cuda6detail10TensorInfoIT3_T6_EES8_S8_S8_NS6_IT4_S8_EES8_T5_
		.amdhsa_group_segment_fixed_size 5632
		.amdhsa_private_segment_fixed_size 0
		.amdhsa_kernarg_size 712
		.amdhsa_user_sgpr_count 2
		.amdhsa_user_sgpr_dispatch_ptr 0
		.amdhsa_user_sgpr_queue_ptr 0
		.amdhsa_user_sgpr_kernarg_segment_ptr 1
		.amdhsa_user_sgpr_dispatch_id 0
		.amdhsa_user_sgpr_private_segment_size 0
		.amdhsa_wavefront_size32 1
		.amdhsa_uses_dynamic_stack 0
		.amdhsa_enable_private_segment 0
		.amdhsa_system_sgpr_workgroup_id_x 1
		.amdhsa_system_sgpr_workgroup_id_y 1
		.amdhsa_system_sgpr_workgroup_id_z 1
		.amdhsa_system_sgpr_workgroup_info 0
		.amdhsa_system_vgpr_workitem_id 1
		.amdhsa_next_free_vgpr 34
		.amdhsa_next_free_sgpr 19
		.amdhsa_reserve_vcc 1
		.amdhsa_float_round_mode_32 0
		.amdhsa_float_round_mode_16_64 0
		.amdhsa_float_denorm_mode_32 3
		.amdhsa_float_denorm_mode_16_64 3
		.amdhsa_fp16_overflow 0
		.amdhsa_workgroup_processor_mode 1
		.amdhsa_memory_ordered 1
		.amdhsa_forward_progress 1
		.amdhsa_inst_pref_size 38
		.amdhsa_round_robin_scheduling 0
		.amdhsa_exception_fp_ieee_invalid_op 0
		.amdhsa_exception_fp_denorm_src 0
		.amdhsa_exception_fp_ieee_div_zero 0
		.amdhsa_exception_fp_ieee_overflow 0
		.amdhsa_exception_fp_ieee_underflow 0
		.amdhsa_exception_fp_ieee_inexact 0
		.amdhsa_exception_int_div_zero 0
	.end_amdhsa_kernel
	.section	.text._ZN2at6native20bitonicSortKVInPlaceILi2ELin1ELi16ELi16EslNS0_4GTOpIsLb1EEEjEEvNS_4cuda6detail10TensorInfoIT3_T6_EES8_S8_S8_NS6_IT4_S8_EES8_T5_,"axG",@progbits,_ZN2at6native20bitonicSortKVInPlaceILi2ELin1ELi16ELi16EslNS0_4GTOpIsLb1EEEjEEvNS_4cuda6detail10TensorInfoIT3_T6_EES8_S8_S8_NS6_IT4_S8_EES8_T5_,comdat
.Lfunc_end35:
	.size	_ZN2at6native20bitonicSortKVInPlaceILi2ELin1ELi16ELi16EslNS0_4GTOpIsLb1EEEjEEvNS_4cuda6detail10TensorInfoIT3_T6_EES8_S8_S8_NS6_IT4_S8_EES8_T5_, .Lfunc_end35-_ZN2at6native20bitonicSortKVInPlaceILi2ELin1ELi16ELi16EslNS0_4GTOpIsLb1EEEjEEvNS_4cuda6detail10TensorInfoIT3_T6_EES8_S8_S8_NS6_IT4_S8_EES8_T5_
                                        ; -- End function
	.set _ZN2at6native20bitonicSortKVInPlaceILi2ELin1ELi16ELi16EslNS0_4GTOpIsLb1EEEjEEvNS_4cuda6detail10TensorInfoIT3_T6_EES8_S8_S8_NS6_IT4_S8_EES8_T5_.num_vgpr, 34
	.set _ZN2at6native20bitonicSortKVInPlaceILi2ELin1ELi16ELi16EslNS0_4GTOpIsLb1EEEjEEvNS_4cuda6detail10TensorInfoIT3_T6_EES8_S8_S8_NS6_IT4_S8_EES8_T5_.num_agpr, 0
	.set _ZN2at6native20bitonicSortKVInPlaceILi2ELin1ELi16ELi16EslNS0_4GTOpIsLb1EEEjEEvNS_4cuda6detail10TensorInfoIT3_T6_EES8_S8_S8_NS6_IT4_S8_EES8_T5_.numbered_sgpr, 19
	.set _ZN2at6native20bitonicSortKVInPlaceILi2ELin1ELi16ELi16EslNS0_4GTOpIsLb1EEEjEEvNS_4cuda6detail10TensorInfoIT3_T6_EES8_S8_S8_NS6_IT4_S8_EES8_T5_.num_named_barrier, 0
	.set _ZN2at6native20bitonicSortKVInPlaceILi2ELin1ELi16ELi16EslNS0_4GTOpIsLb1EEEjEEvNS_4cuda6detail10TensorInfoIT3_T6_EES8_S8_S8_NS6_IT4_S8_EES8_T5_.private_seg_size, 0
	.set _ZN2at6native20bitonicSortKVInPlaceILi2ELin1ELi16ELi16EslNS0_4GTOpIsLb1EEEjEEvNS_4cuda6detail10TensorInfoIT3_T6_EES8_S8_S8_NS6_IT4_S8_EES8_T5_.uses_vcc, 1
	.set _ZN2at6native20bitonicSortKVInPlaceILi2ELin1ELi16ELi16EslNS0_4GTOpIsLb1EEEjEEvNS_4cuda6detail10TensorInfoIT3_T6_EES8_S8_S8_NS6_IT4_S8_EES8_T5_.uses_flat_scratch, 0
	.set _ZN2at6native20bitonicSortKVInPlaceILi2ELin1ELi16ELi16EslNS0_4GTOpIsLb1EEEjEEvNS_4cuda6detail10TensorInfoIT3_T6_EES8_S8_S8_NS6_IT4_S8_EES8_T5_.has_dyn_sized_stack, 0
	.set _ZN2at6native20bitonicSortKVInPlaceILi2ELin1ELi16ELi16EslNS0_4GTOpIsLb1EEEjEEvNS_4cuda6detail10TensorInfoIT3_T6_EES8_S8_S8_NS6_IT4_S8_EES8_T5_.has_recursion, 0
	.set _ZN2at6native20bitonicSortKVInPlaceILi2ELin1ELi16ELi16EslNS0_4GTOpIsLb1EEEjEEvNS_4cuda6detail10TensorInfoIT3_T6_EES8_S8_S8_NS6_IT4_S8_EES8_T5_.has_indirect_call, 0
	.section	.AMDGPU.csdata,"",@progbits
; Kernel info:
; codeLenInByte = 4864
; TotalNumSgprs: 21
; NumVgprs: 34
; ScratchSize: 0
; MemoryBound: 0
; FloatMode: 240
; IeeeMode: 1
; LDSByteSize: 5632 bytes/workgroup (compile time only)
; SGPRBlocks: 0
; VGPRBlocks: 4
; NumSGPRsForWavesPerEU: 21
; NumVGPRsForWavesPerEU: 34
; Occupancy: 16
; WaveLimiterHint : 1
; COMPUTE_PGM_RSRC2:SCRATCH_EN: 0
; COMPUTE_PGM_RSRC2:USER_SGPR: 2
; COMPUTE_PGM_RSRC2:TRAP_HANDLER: 0
; COMPUTE_PGM_RSRC2:TGID_X_EN: 1
; COMPUTE_PGM_RSRC2:TGID_Y_EN: 1
; COMPUTE_PGM_RSRC2:TGID_Z_EN: 1
; COMPUTE_PGM_RSRC2:TIDIG_COMP_CNT: 1
	.section	.text._ZN2at6native20bitonicSortKVInPlaceILin1ELin1ELi16ELi16EslNS0_4LTOpIsLb1EEEjEEvNS_4cuda6detail10TensorInfoIT3_T6_EES8_S8_S8_NS6_IT4_S8_EES8_T5_,"axG",@progbits,_ZN2at6native20bitonicSortKVInPlaceILin1ELin1ELi16ELi16EslNS0_4LTOpIsLb1EEEjEEvNS_4cuda6detail10TensorInfoIT3_T6_EES8_S8_S8_NS6_IT4_S8_EES8_T5_,comdat
	.protected	_ZN2at6native20bitonicSortKVInPlaceILin1ELin1ELi16ELi16EslNS0_4LTOpIsLb1EEEjEEvNS_4cuda6detail10TensorInfoIT3_T6_EES8_S8_S8_NS6_IT4_S8_EES8_T5_ ; -- Begin function _ZN2at6native20bitonicSortKVInPlaceILin1ELin1ELi16ELi16EslNS0_4LTOpIsLb1EEEjEEvNS_4cuda6detail10TensorInfoIT3_T6_EES8_S8_S8_NS6_IT4_S8_EES8_T5_
	.globl	_ZN2at6native20bitonicSortKVInPlaceILin1ELin1ELi16ELi16EslNS0_4LTOpIsLb1EEEjEEvNS_4cuda6detail10TensorInfoIT3_T6_EES8_S8_S8_NS6_IT4_S8_EES8_T5_
	.p2align	8
	.type	_ZN2at6native20bitonicSortKVInPlaceILin1ELin1ELi16ELi16EslNS0_4LTOpIsLb1EEEjEEvNS_4cuda6detail10TensorInfoIT3_T6_EES8_S8_S8_NS6_IT4_S8_EES8_T5_,@function
_ZN2at6native20bitonicSortKVInPlaceILin1ELin1ELi16ELi16EslNS0_4LTOpIsLb1EEEjEEvNS_4cuda6detail10TensorInfoIT3_T6_EES8_S8_S8_NS6_IT4_S8_EES8_T5_: ; @_ZN2at6native20bitonicSortKVInPlaceILin1ELin1ELi16ELi16EslNS0_4LTOpIsLb1EEEjEEvNS_4cuda6detail10TensorInfoIT3_T6_EES8_S8_S8_NS6_IT4_S8_EES8_T5_
; %bb.0:
	s_clause 0x2
	s_load_b64 s[2:3], s[0:1], 0x1c8
	s_load_u16 s7, s[0:1], 0x1d6
	s_load_b96 s[4:6], s[0:1], 0xd8
	s_lshr_b32 s8, ttmp7, 16
	s_wait_kmcnt 0x0
	s_mul_i32 s3, s3, s8
	s_and_b32 s8, ttmp7, 0xffff
	s_delay_alu instid0(SALU_CYCLE_1) | instskip(NEXT) | instid1(SALU_CYCLE_1)
	s_add_co_i32 s3, s3, s8
	s_mul_i32 s2, s3, s2
	s_delay_alu instid0(SALU_CYCLE_1) | instskip(NEXT) | instid1(SALU_CYCLE_1)
	s_add_co_i32 s3, s2, ttmp9
	s_mul_i32 s3, s3, s7
	s_delay_alu instid0(SALU_CYCLE_1)
	s_cmp_ge_u32 s3, s4
	s_cbranch_scc1 .LBB36_46
; %bb.1:
	s_load_b32 s2, s[0:1], 0xd0
	v_bfe_u32 v8, v0, 10, 10
	s_delay_alu instid0(VALU_DEP_1) | instskip(NEXT) | instid1(VALU_DEP_1)
	v_dual_mov_b32 v1, 0 :: v_dual_add_nc_u32 v6, s3, v8
	v_mov_b32_e32 v3, v6
	s_wait_kmcnt 0x0
	s_cmp_lt_i32 s2, 2
	s_cbranch_scc1 .LBB36_4
; %bb.2:
	s_add_co_i32 s8, s2, -1
	s_mov_b32 s9, 0
	v_mov_b32_e32 v1, 0
	s_lshl_b64 s[8:9], s[8:9], 2
	v_mov_b32_e32 v3, v6
	s_add_nc_u64 s[8:9], s[0:1], s[8:9]
	s_add_co_i32 s7, s2, 1
	s_add_nc_u64 s[2:3], s[8:9], 8
.LBB36_3:                               ; =>This Inner Loop Header: Depth=1
	s_clause 0x1
	s_load_b32 s8, s[2:3], 0x0
	s_load_b32 s9, s[2:3], 0x64
	s_add_co_i32 s7, s7, -1
	s_add_nc_u64 s[2:3], s[2:3], -4
	s_wait_kmcnt 0x0
	s_cvt_f32_u32 s10, s8
	s_sub_co_i32 s11, 0, s8
	s_wait_alu 0xfffe
	s_delay_alu instid0(SALU_CYCLE_1) | instskip(NEXT) | instid1(TRANS32_DEP_1)
	v_rcp_iflag_f32_e32 v2, s10
	v_readfirstlane_b32 s10, v2
	v_mov_b32_e32 v2, v3
	s_mul_f32 s10, s10, 0x4f7ffffe
	s_wait_alu 0xfffe
	s_delay_alu instid0(SALU_CYCLE_2) | instskip(SKIP_1) | instid1(SALU_CYCLE_2)
	s_cvt_u32_f32 s10, s10
	s_wait_alu 0xfffe
	s_mul_i32 s11, s11, s10
	s_wait_alu 0xfffe
	s_mul_hi_u32 s11, s10, s11
	s_wait_alu 0xfffe
	s_add_co_i32 s10, s10, s11
	s_cmp_gt_u32 s7, 2
	s_wait_alu 0xfffe
	v_mul_hi_u32 v3, v2, s10
	s_delay_alu instid0(VALU_DEP_1) | instskip(SKIP_1) | instid1(VALU_DEP_2)
	v_mul_lo_u32 v4, v3, s8
	v_add_nc_u32_e32 v5, 1, v3
	v_sub_nc_u32_e32 v4, v2, v4
	s_delay_alu instid0(VALU_DEP_1) | instskip(SKIP_2) | instid1(VALU_DEP_2)
	v_subrev_nc_u32_e32 v7, s8, v4
	v_cmp_le_u32_e32 vcc_lo, s8, v4
	s_wait_alu 0xfffd
	v_dual_cndmask_b32 v3, v3, v5 :: v_dual_cndmask_b32 v4, v4, v7
	s_delay_alu instid0(VALU_DEP_1) | instskip(NEXT) | instid1(VALU_DEP_2)
	v_add_nc_u32_e32 v5, 1, v3
	v_cmp_le_u32_e32 vcc_lo, s8, v4
	s_wait_alu 0xfffd
	s_delay_alu instid0(VALU_DEP_2) | instskip(NEXT) | instid1(VALU_DEP_1)
	v_cndmask_b32_e32 v3, v3, v5, vcc_lo
	v_mul_lo_u32 v4, v3, s8
	s_delay_alu instid0(VALU_DEP_1) | instskip(NEXT) | instid1(VALU_DEP_1)
	v_sub_nc_u32_e32 v2, v2, v4
	v_mad_co_u64_u32 v[1:2], null, s9, v2, v[1:2]
	s_cbranch_scc1 .LBB36_3
.LBB36_4:
	s_load_b32 s7, s[0:1], 0x1b8
	v_dual_mov_b32 v4, 0 :: v_dual_mov_b32 v9, v6
	s_add_nc_u64 s[2:3], s[0:1], 0x1c8
	s_wait_kmcnt 0x0
	s_cmp_lt_i32 s7, 2
	s_cbranch_scc1 .LBB36_7
; %bb.5:
	s_add_co_i32 s8, s7, -1
	s_mov_b32 s9, 0
	v_dual_mov_b32 v4, 0 :: v_dual_mov_b32 v9, v6
	s_wait_alu 0xfffe
	s_lshl_b64 s[8:9], s[8:9], 2
	s_add_co_i32 s7, s7, 1
	s_wait_alu 0xfffe
	s_add_nc_u64 s[8:9], s[0:1], s[8:9]
	s_wait_alu 0xfffe
	s_add_nc_u64 s[8:9], s[8:9], 0xf0
.LBB36_6:                               ; =>This Inner Loop Header: Depth=1
	s_clause 0x1
	s_load_b32 s10, s[8:9], 0x0
	s_load_b32 s11, s[8:9], 0x64
	s_add_co_i32 s7, s7, -1
	s_add_nc_u64 s[8:9], s[8:9], -4
	s_wait_kmcnt 0x0
	s_cvt_f32_u32 s12, s10
	s_sub_co_i32 s13, 0, s10
	s_wait_alu 0xfffe
	s_delay_alu instid0(SALU_CYCLE_1) | instskip(NEXT) | instid1(TRANS32_DEP_1)
	v_rcp_iflag_f32_e32 v2, s12
	v_readfirstlane_b32 s12, v2
	v_mov_b32_e32 v2, v9
	s_mul_f32 s12, s12, 0x4f7ffffe
	s_wait_alu 0xfffe
	s_delay_alu instid0(SALU_CYCLE_2) | instskip(SKIP_1) | instid1(SALU_CYCLE_2)
	s_cvt_u32_f32 s12, s12
	s_wait_alu 0xfffe
	s_mul_i32 s13, s13, s12
	s_wait_alu 0xfffe
	s_mul_hi_u32 s13, s12, s13
	s_wait_alu 0xfffe
	s_add_co_i32 s12, s12, s13
	s_cmp_gt_u32 s7, 2
	s_wait_alu 0xfffe
	v_mul_hi_u32 v5, v2, s12
	s_delay_alu instid0(VALU_DEP_1) | instskip(SKIP_1) | instid1(VALU_DEP_2)
	v_mul_lo_u32 v7, v5, s10
	v_add_nc_u32_e32 v9, 1, v5
	v_sub_nc_u32_e32 v7, v2, v7
	s_delay_alu instid0(VALU_DEP_1) | instskip(SKIP_3) | instid1(VALU_DEP_3)
	v_subrev_nc_u32_e32 v10, s10, v7
	v_cmp_le_u32_e32 vcc_lo, s10, v7
	s_wait_alu 0xfffd
	v_cndmask_b32_e32 v5, v5, v9, vcc_lo
	v_cndmask_b32_e32 v7, v7, v10, vcc_lo
	s_delay_alu instid0(VALU_DEP_2) | instskip(NEXT) | instid1(VALU_DEP_2)
	v_add_nc_u32_e32 v9, 1, v5
	v_cmp_le_u32_e32 vcc_lo, s10, v7
	s_wait_alu 0xfffd
	s_delay_alu instid0(VALU_DEP_2) | instskip(NEXT) | instid1(VALU_DEP_1)
	v_cndmask_b32_e32 v9, v5, v9, vcc_lo
	v_mul_lo_u32 v5, v9, s10
	s_delay_alu instid0(VALU_DEP_1) | instskip(NEXT) | instid1(VALU_DEP_1)
	v_sub_nc_u32_e32 v2, v2, v5
	v_mad_co_u64_u32 v[4:5], null, s11, v2, v[4:5]
	s_cbranch_scc1 .LBB36_6
.LBB36_7:
	s_clause 0x1
	s_load_b32 s12, s[0:1], 0x6c
	s_load_b32 s13, s[0:1], 0x154
	;; [unrolled: 1-line block ×3, first 2 shown]
	s_clause 0x2
	s_load_b32 s7, s[0:1], 0x1c0
	s_load_b64 s[10:11], s[0:1], 0x0
	s_load_b64 s[8:9], s[0:1], 0xe8
	v_and_b32_e32 v7, 0x3ff, v0
	v_cmp_gt_u32_e64 s0, s4, v6
	v_mov_b32_e32 v10, 0
	v_mov_b32_e32 v12, 0
	s_wait_kmcnt 0x0
	v_mad_co_u64_u32 v[2:3], null, s12, v3, v[1:2]
	v_mad_co_u64_u32 v[0:1], null, s13, v9, v[4:5]
	v_mov_b32_e32 v3, 0
	v_mov_b32_e32 v4, 0
	v_cmp_gt_u32_e32 vcc_lo, s5, v7
	v_mov_b32_e32 v5, 0
	v_mov_b32_e32 v6, 0
	s_and_b32 s4, s0, vcc_lo
	s_wait_alu 0xfffe
	s_and_saveexec_b32 s3, s4
	s_cbranch_execz .LBB36_9
; %bb.8:
	v_mad_co_u64_u32 v[5:6], null, v7, s6, v[2:3]
	v_mov_b32_e32 v6, 0
	v_mad_co_u64_u32 v[11:12], null, v7, s7, v[0:1]
	s_delay_alu instid0(VALU_DEP_2) | instskip(NEXT) | instid1(VALU_DEP_4)
	v_mov_b32_e32 v12, v6
	v_lshlrev_b64_e32 v[5:6], 1, v[5:6]
	s_delay_alu instid0(VALU_DEP_2) | instskip(NEXT) | instid1(VALU_DEP_2)
	v_lshlrev_b64_e32 v[11:12], 3, v[11:12]
	v_add_co_u32 v5, s1, s10, v5
	s_delay_alu instid0(VALU_DEP_1) | instskip(NEXT) | instid1(VALU_DEP_3)
	v_add_co_ci_u32_e64 v6, null, s11, v6, s1
	v_add_co_u32 v13, s1, s8, v11
	s_wait_alu 0xf1ff
	s_delay_alu instid0(VALU_DEP_4)
	v_add_co_ci_u32_e64 v14, null, s9, v12, s1
	global_load_u16 v12, v[5:6], off
	global_load_b64 v[5:6], v[13:14], off
.LBB36_9:
	s_wait_alu 0xfffe
	s_or_b32 exec_lo, exec_lo, s3
	s_and_b32 s3, 0xffff, s2
	v_lshl_add_u32 v13, v8, 6, 0x1000
	s_wait_alu 0xfffe
	v_add_nc_u32_e32 v1, s3, v7
	v_lshlrev_b32_e32 v11, 8, v8
	v_lshl_add_u32 v15, v8, 5, 0x1400
	v_cndmask_b32_e64 v14, 0, 1, s4
	v_lshl_add_u32 v8, v7, 1, v13
	v_cmp_gt_u32_e64 s1, s5, v1
	v_lshl_add_u32 v9, v7, 3, v11
	v_add_nc_u32_e32 v16, v15, v7
	s_wait_loadcnt 0x1
	ds_store_b16 v8, v12
	s_wait_loadcnt 0x0
	ds_store_b64 v9, v[5:6]
	ds_store_b8 v16, v14
	s_and_b32 s4, s0, s1
	s_wait_alu 0xfffe
	s_and_saveexec_b32 s5, s4
	s_cbranch_execz .LBB36_11
; %bb.10:
	v_mad_co_u64_u32 v[3:4], null, v1, s6, v[2:3]
	v_mov_b32_e32 v4, 0
	v_mad_co_u64_u32 v[5:6], null, v1, s7, v[0:1]
	s_delay_alu instid0(VALU_DEP_2) | instskip(NEXT) | instid1(VALU_DEP_4)
	v_mov_b32_e32 v6, v4
	v_lshlrev_b64_e32 v[3:4], 1, v[3:4]
	s_delay_alu instid0(VALU_DEP_2) | instskip(NEXT) | instid1(VALU_DEP_2)
	v_lshlrev_b64_e32 v[5:6], 3, v[5:6]
	v_add_co_u32 v3, s2, s10, v3
	s_wait_alu 0xf1ff
	s_delay_alu instid0(VALU_DEP_3) | instskip(NEXT) | instid1(VALU_DEP_3)
	v_add_co_ci_u32_e64 v4, null, s11, v4, s2
	v_add_co_u32 v5, s2, s8, v5
	s_wait_alu 0xf1ff
	v_add_co_ci_u32_e64 v6, null, s9, v6, s2
	global_load_u16 v10, v[3:4], off
	global_load_b64 v[3:4], v[5:6], off
.LBB36_11:
	s_wait_alu 0xfffe
	s_or_b32 exec_lo, exec_lo, s5
	v_lshl_add_u32 v5, s3, 1, v8
	v_lshlrev_b32_e32 v16, 1, v7
	v_lshl_add_u32 v6, s3, 3, v9
	v_cndmask_b32_e64 v12, 0, 1, s4
	v_add_nc_u32_e32 v14, v15, v1
	s_wait_loadcnt 0x1
	ds_store_b16 v5, v10
	s_wait_loadcnt 0x0
	ds_store_b64 v6, v[3:4]
	ds_store_b8 v14, v12
	v_add_nc_u32_e32 v4, v8, v16
	v_add_nc_u32_e32 v3, v15, v16
	s_wait_dscnt 0x0
	s_barrier_signal -1
	s_barrier_wait -1
	global_inv scope:SCOPE_SE
	ds_load_b32 v18, v4
	ds_load_u16 v14, v3
	v_and_b32_e32 v10, 1, v7
	s_wait_dscnt 0x1
	v_lshrrev_b32_e32 v17, 16, v18
	s_wait_dscnt 0x0
	v_lshrrev_b16 v12, 8, v14
	v_and_b32_e32 v19, 1, v14
	s_delay_alu instid0(VALU_DEP_3) | instskip(NEXT) | instid1(VALU_DEP_3)
	v_cmp_lt_i16_e64 s2, v18, v17
	v_cmp_ne_u16_e64 s4, v12, v10
	s_delay_alu instid0(VALU_DEP_3) | instskip(SKIP_1) | instid1(VALU_DEP_2)
	v_cmp_eq_u32_e64 s3, 1, v19
	s_wait_alu 0xf1ff
	v_cndmask_b32_e64 v17, 0, 1, s4
	s_and_b32 s2, s2, s3
	s_wait_alu 0xfffe
	s_delay_alu instid0(VALU_DEP_1) | instskip(NEXT) | instid1(VALU_DEP_1)
	v_cndmask_b32_e64 v17, v17, v7, s2
	v_and_b32_e32 v17, 1, v17
	s_delay_alu instid0(VALU_DEP_1)
	v_cmp_eq_u32_e64 s2, 1, v17
	v_lshl_add_u32 v17, v7, 3, v9
	s_and_saveexec_b32 s3, s2
	s_wait_alu 0xfffe
	s_xor_b32 s2, exec_lo, s3
	s_cbranch_execz .LBB36_13
; %bb.12:
	ds_load_b128 v[19:22], v17
	v_lshlrev_b16 v14, 8, v14
	v_alignbit_b32 v18, v18, v18, 16
	s_delay_alu instid0(VALU_DEP_2)
	v_or_b32_e32 v12, v12, v14
	s_wait_dscnt 0x0
	v_dual_mov_b32 v23, v19 :: v_dual_mov_b32 v24, v20
	ds_store_b32 v4, v18
	ds_store_b128 v17, v[21:24]
	ds_store_b16 v3, v12
.LBB36_13:
	s_wait_alu 0xfffe
	s_or_b32 exec_lo, exec_lo, s2
	v_sub_nc_u32_e32 v14, v16, v10
	s_wait_loadcnt_dscnt 0x0
	s_barrier_signal -1
	s_barrier_wait -1
	global_inv scope:SCOPE_SE
	v_add_nc_u32_e32 v10, v15, v14
	v_lshl_add_u32 v12, v14, 1, v13
	v_bfe_u32 v23, v7, 1, 1
	v_lshl_add_u32 v14, v14, 3, v11
	ds_load_u8 v18, v10
	ds_load_u16 v19, v12
	ds_load_u16 v22, v12 offset:4
	ds_load_u8 v20, v10 offset:2
	s_wait_dscnt 0x3
	v_and_b32_e32 v21, 1, v18
	s_wait_dscnt 0x1
	v_cmp_lt_i16_e64 s2, v19, v22
	s_wait_dscnt 0x0
	v_cmp_ne_u16_e64 s4, v20, v23
	v_cmp_eq_u32_e64 s3, 1, v21
	s_wait_alu 0xf1ff
	s_delay_alu instid0(VALU_DEP_2) | instskip(SKIP_2) | instid1(VALU_DEP_1)
	v_cndmask_b32_e64 v21, 0, 1, s4
	s_and_b32 s2, s2, s3
	s_wait_alu 0xfffe
	v_cndmask_b32_e64 v23, v21, v23, s2
	v_and_b32_e32 v21, 2, v7
	s_delay_alu instid0(VALU_DEP_2) | instskip(NEXT) | instid1(VALU_DEP_2)
	v_and_b32_e32 v23, 1, v23
	v_cmp_ne_u32_e64 s2, 0, v21
	s_delay_alu instid0(VALU_DEP_2)
	v_cmp_eq_u32_e64 s3, 1, v23
	s_and_saveexec_b32 s4, s3
	s_wait_alu 0xfffe
	s_xor_b32 s3, exec_lo, s4
	s_cbranch_execz .LBB36_15
; %bb.14:
	ds_load_2addr_b64 v[23:26], v14 offset1:2
	s_wait_dscnt 0x0
	ds_store_2addr_b64 v14, v[25:26], v[23:24] offset1:2
	ds_store_b16 v12, v22
	ds_store_b16 v12, v19 offset:4
	ds_store_b8 v10, v20
	ds_store_b8 v10, v18 offset:2
.LBB36_15:
	s_wait_alu 0xfffe
	s_or_b32 exec_lo, exec_lo, s3
	s_wait_loadcnt_dscnt 0x0
	s_barrier_signal -1
	s_barrier_wait -1
	global_inv scope:SCOPE_SE
	ds_load_b32 v20, v4
	ds_load_u16 v19, v3
	v_lshrrev_b32_e32 v21, 1, v21
	v_cndmask_b32_e64 v24, 0, 1, s2
	s_wait_dscnt 0x1
	v_lshrrev_b32_e32 v22, 16, v20
	s_wait_dscnt 0x0
	v_lshrrev_b16 v18, 8, v19
	v_and_b32_e32 v23, 1, v19
	s_delay_alu instid0(VALU_DEP_3) | instskip(NEXT) | instid1(VALU_DEP_3)
	v_cmp_lt_i16_e64 s2, v20, v22
	v_cmp_ne_u16_e64 s4, v18, v21
	s_delay_alu instid0(VALU_DEP_3) | instskip(SKIP_1) | instid1(VALU_DEP_2)
	v_cmp_eq_u32_e64 s3, 1, v23
	s_wait_alu 0xf1ff
	v_cndmask_b32_e64 v21, 0, 1, s4
	s_and_b32 s2, s2, s3
	s_mov_b32 s3, exec_lo
	s_wait_alu 0xfffe
	s_delay_alu instid0(VALU_DEP_1) | instskip(NEXT) | instid1(VALU_DEP_1)
	v_cndmask_b32_e64 v21, v21, v24, s2
	v_and_b32_e32 v21, 1, v21
	s_delay_alu instid0(VALU_DEP_1)
	v_cmpx_eq_u32_e32 1, v21
	s_cbranch_execz .LBB36_17
; %bb.16:
	ds_load_b128 v[21:24], v17
	v_lshlrev_b16 v26, 8, v19
	v_alignbit_b32 v25, v20, v20, 16
	s_delay_alu instid0(VALU_DEP_2)
	v_or_b32_e32 v18, v18, v26
	s_wait_dscnt 0x0
	v_dual_mov_b32 v19, v23 :: v_dual_mov_b32 v20, v24
	ds_store_b32 v4, v25
	ds_store_b128 v17, v[19:22]
	ds_store_b16 v3, v18
.LBB36_17:
	s_or_b32 exec_lo, exec_lo, s3
	v_and_b32_e32 v17, 3, v7
	s_wait_loadcnt_dscnt 0x0
	s_barrier_signal -1
	s_barrier_wait -1
	global_inv scope:SCOPE_SE
	v_sub_nc_u32_e32 v20, v16, v17
	v_bfe_u32 v25, v7, 2, 1
	s_delay_alu instid0(VALU_DEP_2)
	v_add_nc_u32_e32 v17, v15, v20
	v_lshl_add_u32 v18, v20, 1, v13
	v_lshl_add_u32 v20, v20, 3, v11
	ds_load_u8 v21, v17
	ds_load_u16 v22, v18
	ds_load_u16 v24, v18 offset:8
	ds_load_u8 v23, v17 offset:4
	s_wait_dscnt 0x3
	v_and_b32_e32 v19, 1, v21
	s_wait_dscnt 0x1
	v_cmp_lt_i16_e64 s2, v22, v24
	s_wait_dscnt 0x0
	v_cmp_ne_u16_e64 s4, v23, v25
	v_cmp_eq_u32_e64 s3, 1, v19
	s_wait_alu 0xf1ff
	s_delay_alu instid0(VALU_DEP_2) | instskip(SKIP_3) | instid1(VALU_DEP_1)
	v_cndmask_b32_e64 v19, 0, 1, s4
	s_mov_b32 s4, exec_lo
	s_and_b32 s2, s2, s3
	s_wait_alu 0xfffe
	v_cndmask_b32_e64 v25, v19, v25, s2
	v_and_b32_e32 v19, 4, v7
	s_delay_alu instid0(VALU_DEP_2) | instskip(NEXT) | instid1(VALU_DEP_2)
	v_and_b32_e32 v25, 1, v25
	v_cmp_ne_u32_e64 s2, 0, v19
	s_delay_alu instid0(VALU_DEP_2)
	v_cmpx_eq_u32_e32 1, v25
	s_cbranch_execz .LBB36_19
; %bb.18:
	ds_load_2addr_b64 v[25:28], v20 offset1:4
	s_wait_dscnt 0x0
	ds_store_2addr_b64 v20, v[27:28], v[25:26] offset1:4
	ds_store_b16 v18, v24
	ds_store_b16 v18, v22 offset:8
	ds_store_b8 v17, v23
	ds_store_b8 v17, v21 offset:4
.LBB36_19:
	s_or_b32 exec_lo, exec_lo, s4
	s_wait_loadcnt_dscnt 0x0
	s_barrier_signal -1
	s_barrier_wait -1
	global_inv scope:SCOPE_SE
	ds_load_u8 v22, v10
	ds_load_u16 v23, v12
	ds_load_u16 v25, v12 offset:4
	ds_load_u8 v24, v10 offset:2
	v_lshrrev_b32_e32 v19, 2, v19
	v_cndmask_b32_e64 v21, 0, 1, s2
	s_wait_dscnt 0x3
	v_and_b32_e32 v26, 1, v22
	s_wait_dscnt 0x1
	v_cmp_lt_i16_e64 s2, v23, v25
	s_wait_dscnt 0x0
	v_cmp_ne_u16_e64 s4, v24, v19
	v_cmp_eq_u32_e64 s3, 1, v26
	s_wait_alu 0xf1ff
	s_delay_alu instid0(VALU_DEP_2) | instskip(SKIP_3) | instid1(VALU_DEP_1)
	v_cndmask_b32_e64 v26, 0, 1, s4
	s_and_b32 s2, s2, s3
	s_mov_b32 s3, exec_lo
	s_wait_alu 0xfffe
	v_cndmask_b32_e64 v26, v26, v21, s2
	s_delay_alu instid0(VALU_DEP_1) | instskip(NEXT) | instid1(VALU_DEP_1)
	v_and_b32_e32 v26, 1, v26
	v_cmpx_eq_u32_e32 1, v26
	s_cbranch_execz .LBB36_21
; %bb.20:
	ds_load_2addr_b64 v[26:29], v14 offset1:2
	s_wait_dscnt 0x0
	ds_store_2addr_b64 v14, v[28:29], v[26:27] offset1:2
	ds_store_b16 v12, v25
	ds_store_b16 v12, v23 offset:4
	ds_store_b8 v10, v24
	ds_store_b8 v10, v22 offset:2
.LBB36_21:
	s_or_b32 exec_lo, exec_lo, s3
	s_wait_loadcnt_dscnt 0x0
	s_barrier_signal -1
	s_barrier_wait -1
	global_inv scope:SCOPE_SE
	ds_load_b32 v24, v4
	ds_load_u16 v23, v3
	s_wait_dscnt 0x1
	v_lshrrev_b32_e32 v25, 16, v24
	s_wait_dscnt 0x0
	v_lshrrev_b16 v22, 8, v23
	v_and_b32_e32 v26, 1, v23
	s_delay_alu instid0(VALU_DEP_3) | instskip(NEXT) | instid1(VALU_DEP_3)
	v_cmp_lt_i16_e64 s2, v24, v25
	v_cmp_ne_u16_e64 s4, v22, v19
	s_delay_alu instid0(VALU_DEP_3) | instskip(SKIP_1) | instid1(VALU_DEP_2)
	v_cmp_eq_u32_e64 s3, 1, v26
	s_wait_alu 0xf1ff
	v_cndmask_b32_e64 v19, 0, 1, s4
	s_and_b32 s2, s2, s3
	s_wait_alu 0xfffe
	s_delay_alu instid0(VALU_DEP_1) | instskip(NEXT) | instid1(VALU_DEP_1)
	v_cndmask_b32_e64 v19, v19, v21, s2
	v_and_b32_e32 v19, 1, v19
	s_delay_alu instid0(VALU_DEP_1)
	v_cmp_eq_u32_e64 s2, 1, v19
	v_lshl_add_u32 v19, v16, 3, v11
	s_and_saveexec_b32 s3, s2
	s_cbranch_execz .LBB36_23
; %bb.22:
	ds_load_b128 v[25:28], v19
	v_lshlrev_b16 v29, 8, v23
	v_alignbit_b32 v21, v24, v24, 16
	s_delay_alu instid0(VALU_DEP_2)
	v_or_b32_e32 v22, v22, v29
	s_wait_dscnt 0x0
	v_dual_mov_b32 v23, v27 :: v_dual_mov_b32 v24, v28
	ds_store_b32 v4, v21
	ds_store_b128 v19, v[23:26]
	ds_store_b16 v3, v22
.LBB36_23:
	s_wait_alu 0xfffe
	s_or_b32 exec_lo, exec_lo, s3
	v_and_b32_e32 v21, 7, v7
	s_wait_loadcnt_dscnt 0x0
	s_barrier_signal -1
	s_barrier_wait -1
	global_inv scope:SCOPE_SE
	v_sub_nc_u32_e32 v23, v16, v21
	v_bfe_u32 v29, v7, 3, 1
	s_delay_alu instid0(VALU_DEP_2)
	v_add_nc_u32_e32 v21, v15, v23
	v_lshl_add_u32 v22, v23, 1, v13
	v_lshl_add_u32 v23, v23, 3, v11
	ds_load_u8 v25, v21
	ds_load_u16 v26, v22
	ds_load_u16 v28, v22 offset:16
	ds_load_u8 v27, v21 offset:8
	s_wait_dscnt 0x3
	v_and_b32_e32 v24, 1, v25
	s_wait_dscnt 0x1
	v_cmp_lt_i16_e64 s2, v26, v28
	s_wait_dscnt 0x0
	v_cmp_ne_u16_e64 s4, v27, v29
	v_cmp_eq_u32_e64 s3, 1, v24
	s_wait_alu 0xf1ff
	s_delay_alu instid0(VALU_DEP_2) | instskip(SKIP_3) | instid1(VALU_DEP_1)
	v_cndmask_b32_e64 v24, 0, 1, s4
	s_mov_b32 s4, exec_lo
	s_and_b32 s2, s2, s3
	s_wait_alu 0xfffe
	v_cndmask_b32_e64 v29, v24, v29, s2
	v_and_b32_e32 v24, 8, v7
	s_delay_alu instid0(VALU_DEP_2) | instskip(NEXT) | instid1(VALU_DEP_2)
	v_and_b32_e32 v29, 1, v29
	v_cmp_ne_u32_e64 s2, 0, v24
	s_delay_alu instid0(VALU_DEP_2)
	v_cmpx_eq_u32_e32 1, v29
	s_cbranch_execz .LBB36_25
; %bb.24:
	ds_load_2addr_b64 v[29:32], v23 offset1:8
	s_wait_dscnt 0x0
	ds_store_2addr_b64 v23, v[31:32], v[29:30] offset1:8
	ds_store_b16 v22, v28
	ds_store_b16 v22, v26 offset:16
	ds_store_b8 v21, v27
	ds_store_b8 v21, v25 offset:8
.LBB36_25:
	s_or_b32 exec_lo, exec_lo, s4
	s_wait_loadcnt_dscnt 0x0
	s_barrier_signal -1
	s_barrier_wait -1
	global_inv scope:SCOPE_SE
	ds_load_u8 v26, v17
	ds_load_u16 v27, v18
	ds_load_u16 v29, v18 offset:8
	ds_load_u8 v28, v17 offset:4
	v_lshrrev_b32_e32 v24, 3, v24
	v_cndmask_b32_e64 v25, 0, 1, s2
	s_wait_dscnt 0x3
	v_and_b32_e32 v30, 1, v26
	s_wait_dscnt 0x1
	v_cmp_lt_i16_e64 s2, v27, v29
	s_wait_dscnt 0x0
	v_cmp_ne_u16_e64 s4, v28, v24
	v_cmp_eq_u32_e64 s3, 1, v30
	s_wait_alu 0xf1ff
	s_delay_alu instid0(VALU_DEP_2) | instskip(SKIP_3) | instid1(VALU_DEP_1)
	v_cndmask_b32_e64 v30, 0, 1, s4
	s_and_b32 s2, s2, s3
	s_mov_b32 s3, exec_lo
	s_wait_alu 0xfffe
	v_cndmask_b32_e64 v30, v30, v25, s2
	s_delay_alu instid0(VALU_DEP_1) | instskip(NEXT) | instid1(VALU_DEP_1)
	v_and_b32_e32 v30, 1, v30
	v_cmpx_eq_u32_e32 1, v30
	s_cbranch_execz .LBB36_27
; %bb.26:
	ds_load_2addr_b64 v[30:33], v20 offset1:4
	s_wait_dscnt 0x0
	ds_store_2addr_b64 v20, v[32:33], v[30:31] offset1:4
	ds_store_b16 v18, v29
	ds_store_b16 v18, v27 offset:8
	ds_store_b8 v17, v28
	ds_store_b8 v17, v26 offset:4
.LBB36_27:
	s_or_b32 exec_lo, exec_lo, s3
	s_wait_loadcnt_dscnt 0x0
	s_barrier_signal -1
	s_barrier_wait -1
	global_inv scope:SCOPE_SE
	ds_load_u8 v26, v10
	ds_load_u16 v27, v12
	ds_load_u16 v29, v12 offset:4
	ds_load_u8 v28, v10 offset:2
	s_wait_dscnt 0x3
	v_and_b32_e32 v30, 1, v26
	s_wait_dscnt 0x1
	v_cmp_lt_i16_e64 s2, v27, v29
	s_wait_dscnt 0x0
	v_cmp_ne_u16_e64 s4, v28, v24
	v_cmp_eq_u32_e64 s3, 1, v30
	s_wait_alu 0xf1ff
	s_delay_alu instid0(VALU_DEP_2) | instskip(SKIP_3) | instid1(VALU_DEP_1)
	v_cndmask_b32_e64 v30, 0, 1, s4
	s_and_b32 s2, s2, s3
	s_mov_b32 s3, exec_lo
	s_wait_alu 0xfffe
	v_cndmask_b32_e64 v30, v30, v25, s2
	s_delay_alu instid0(VALU_DEP_1) | instskip(NEXT) | instid1(VALU_DEP_1)
	v_and_b32_e32 v30, 1, v30
	v_cmpx_eq_u32_e32 1, v30
	s_cbranch_execz .LBB36_29
; %bb.28:
	ds_load_2addr_b64 v[30:33], v14 offset1:2
	s_wait_dscnt 0x0
	ds_store_2addr_b64 v14, v[32:33], v[30:31] offset1:2
	ds_store_b16 v12, v29
	ds_store_b16 v12, v27 offset:4
	ds_store_b8 v10, v28
	ds_store_b8 v10, v26 offset:2
.LBB36_29:
	s_or_b32 exec_lo, exec_lo, s3
	s_wait_loadcnt_dscnt 0x0
	s_barrier_signal -1
	s_barrier_wait -1
	global_inv scope:SCOPE_SE
	ds_load_b32 v28, v4
	ds_load_u16 v27, v3
	s_wait_dscnt 0x1
	v_lshrrev_b32_e32 v29, 16, v28
	s_wait_dscnt 0x0
	v_lshrrev_b16 v26, 8, v27
	v_and_b32_e32 v30, 1, v27
	s_delay_alu instid0(VALU_DEP_3) | instskip(NEXT) | instid1(VALU_DEP_3)
	v_cmp_lt_i16_e64 s2, v28, v29
	v_cmp_ne_u16_e64 s4, v26, v24
	s_delay_alu instid0(VALU_DEP_3) | instskip(SKIP_1) | instid1(VALU_DEP_2)
	v_cmp_eq_u32_e64 s3, 1, v30
	s_wait_alu 0xf1ff
	v_cndmask_b32_e64 v24, 0, 1, s4
	s_and_b32 s2, s2, s3
	s_mov_b32 s3, exec_lo
	s_wait_alu 0xfffe
	s_delay_alu instid0(VALU_DEP_1) | instskip(NEXT) | instid1(VALU_DEP_1)
	v_cndmask_b32_e64 v24, v24, v25, s2
	v_and_b32_e32 v24, 1, v24
	s_delay_alu instid0(VALU_DEP_1)
	v_cmpx_eq_u32_e32 1, v24
	s_cbranch_execz .LBB36_31
; %bb.30:
	ds_load_b128 v[29:32], v19
	v_lshlrev_b16 v25, 8, v27
	v_alignbit_b32 v24, v28, v28, 16
	s_delay_alu instid0(VALU_DEP_2)
	v_or_b32_e32 v25, v26, v25
	s_wait_dscnt 0x0
	v_dual_mov_b32 v27, v31 :: v_dual_mov_b32 v28, v32
	ds_store_b32 v4, v24
	ds_store_b128 v19, v[27:30]
	ds_store_b16 v3, v25
.LBB36_31:
	s_or_b32 exec_lo, exec_lo, s3
	v_and_b32_e32 v24, 15, v7
	s_wait_loadcnt_dscnt 0x0
	s_barrier_signal -1
	s_barrier_wait -1
	global_inv scope:SCOPE_SE
	v_sub_nc_u32_e32 v16, v16, v24
	s_delay_alu instid0(VALU_DEP_1)
	v_add_nc_u32_e32 v15, v15, v16
	v_lshl_add_u32 v13, v16, 1, v13
	ds_load_u8 v24, v15
	ds_load_u8 v27, v15 offset:16
	ds_load_u16 v25, v13
	ds_load_u16 v26, v13 offset:32
	s_wait_dscnt 0x2
	v_and_b32_e32 v27, 0xff, v27
	v_and_b32_e32 v28, 1, v24
	s_wait_dscnt 0x0
	v_cmp_ge_i16_e64 s3, v25, v26
	s_delay_alu instid0(VALU_DEP_3) | instskip(NEXT) | instid1(VALU_DEP_3)
	v_cmp_ne_u16_e64 s4, 0, v27
	v_cmp_eq_u32_e64 s2, 1, v28
	s_xor_b32 s2, s2, -1
	s_wait_alu 0xfffe
	s_or_b32 s2, s3, s2
	s_wait_alu 0xfffe
	s_and_b32 s3, s2, s4
	s_wait_alu 0xfffe
	s_and_saveexec_b32 s2, s3
	s_cbranch_execz .LBB36_33
; %bb.32:
	v_lshl_add_u32 v11, v16, 3, v11
	v_mov_b32_e32 v16, 1
	ds_load_2addr_b64 v[27:30], v11 offset1:16
	s_wait_dscnt 0x0
	ds_store_2addr_b64 v11, v[29:30], v[27:28] offset1:16
	ds_store_b16 v13, v26
	ds_store_b16 v13, v25 offset:32
	ds_store_b8 v15, v16
	ds_store_b8 v15, v24 offset:16
.LBB36_33:
	s_wait_alu 0xfffe
	s_or_b32 exec_lo, exec_lo, s2
	s_wait_loadcnt_dscnt 0x0
	s_barrier_signal -1
	s_barrier_wait -1
	global_inv scope:SCOPE_SE
	ds_load_u8 v11, v21
	ds_load_u8 v16, v21 offset:8
	ds_load_u16 v13, v22
	ds_load_u16 v15, v22 offset:16
	s_wait_dscnt 0x3
	v_and_b32_e32 v24, 1, v11
	s_wait_dscnt 0x2
	v_and_b32_e32 v16, 0xff, v16
	s_wait_dscnt 0x0
	v_cmp_ge_i16_e64 s3, v13, v15
	v_cmp_eq_u32_e64 s2, 1, v24
	s_delay_alu instid0(VALU_DEP_3)
	v_cmp_ne_u16_e64 s4, 0, v16
	s_xor_b32 s2, s2, -1
	s_wait_alu 0xfffe
	s_or_b32 s2, s3, s2
	s_wait_alu 0xfffe
	s_and_b32 s3, s2, s4
	s_wait_alu 0xfffe
	s_and_saveexec_b32 s2, s3
	s_cbranch_execz .LBB36_35
; %bb.34:
	ds_load_2addr_b64 v[24:27], v23 offset1:8
	v_mov_b32_e32 v16, 1
	s_wait_dscnt 0x0
	ds_store_2addr_b64 v23, v[26:27], v[24:25] offset1:8
	ds_store_b16 v22, v15
	ds_store_b16 v22, v13 offset:16
	ds_store_b8 v21, v16
	ds_store_b8 v21, v11 offset:8
.LBB36_35:
	s_wait_alu 0xfffe
	s_or_b32 exec_lo, exec_lo, s2
	s_wait_loadcnt_dscnt 0x0
	s_barrier_signal -1
	s_barrier_wait -1
	global_inv scope:SCOPE_SE
	ds_load_u8 v11, v17
	ds_load_u8 v16, v17 offset:4
	ds_load_u16 v13, v18
	ds_load_u16 v15, v18 offset:8
	s_wait_dscnt 0x3
	v_and_b32_e32 v21, 1, v11
	s_wait_dscnt 0x2
	v_and_b32_e32 v16, 0xff, v16
	s_wait_dscnt 0x0
	v_cmp_ge_i16_e64 s3, v13, v15
	v_cmp_eq_u32_e64 s2, 1, v21
	s_delay_alu instid0(VALU_DEP_3)
	v_cmp_ne_u16_e64 s4, 0, v16
	s_xor_b32 s2, s2, -1
	s_wait_alu 0xfffe
	s_or_b32 s2, s3, s2
	s_wait_alu 0xfffe
	s_and_b32 s3, s2, s4
	s_wait_alu 0xfffe
	s_and_saveexec_b32 s2, s3
	s_cbranch_execz .LBB36_37
; %bb.36:
	ds_load_2addr_b64 v[21:24], v20 offset1:4
	v_mov_b32_e32 v16, 1
	s_wait_dscnt 0x0
	ds_store_2addr_b64 v20, v[23:24], v[21:22] offset1:4
	ds_store_b16 v18, v15
	ds_store_b16 v18, v13 offset:8
	ds_store_b8 v17, v16
	ds_store_b8 v17, v11 offset:4
.LBB36_37:
	;; [unrolled: 37-line block ×3, first 2 shown]
	s_wait_alu 0xfffe
	s_or_b32 exec_lo, exec_lo, s2
	s_wait_loadcnt_dscnt 0x0
	s_barrier_signal -1
	s_barrier_wait -1
	global_inv scope:SCOPE_SE
	ds_load_u16 v10, v3
	ds_load_b32 v11, v4
	s_wait_dscnt 0x1
	v_and_b32_e32 v12, 1, v10
	s_wait_dscnt 0x0
	v_lshrrev_b32_e32 v13, 16, v11
	v_lshrrev_b16 v14, 8, v10
	s_delay_alu instid0(VALU_DEP_3) | instskip(NEXT) | instid1(VALU_DEP_3)
	v_cmp_eq_u32_e64 s2, 1, v12
	v_cmp_ge_i16_e64 s3, v11, v13
	s_delay_alu instid0(VALU_DEP_3)
	v_cmp_ne_u16_e64 s4, 0, v14
	s_xor_b32 s2, s2, -1
	s_wait_alu 0xfffe
	s_or_b32 s2, s3, s2
	s_wait_alu 0xfffe
	s_and_b32 s3, s2, s4
	s_wait_alu 0xfffe
	s_and_saveexec_b32 s2, s3
	s_cbranch_execz .LBB36_41
; %bb.40:
	ds_load_b128 v[12:15], v19
	v_lshlrev_b16 v17, 8, v10
	v_alignbit_b32 v16, v11, v11, 16
	s_wait_dscnt 0x0
	v_dual_mov_b32 v10, v14 :: v_dual_mov_b32 v11, v15
	s_delay_alu instid0(VALU_DEP_3)
	v_or_b32_e32 v14, 1, v17
	ds_store_b32 v4, v16
	ds_store_b128 v19, v[10:13]
	ds_store_b16 v3, v14
.LBB36_41:
	s_wait_alu 0xfffe
	s_or_b32 exec_lo, exec_lo, s2
	s_wait_loadcnt_dscnt 0x0
	s_barrier_signal -1
	s_barrier_wait -1
	global_inv scope:SCOPE_SE
	s_and_saveexec_b32 s2, s0
	s_cbranch_execz .LBB36_46
; %bb.42:
	s_and_saveexec_b32 s0, vcc_lo
	s_cbranch_execz .LBB36_44
; %bb.43:
	v_mad_co_u64_u32 v[3:4], null, v7, s6, v[2:3]
	v_mov_b32_e32 v4, 0
	v_mad_co_u64_u32 v[10:11], null, v7, s7, v[0:1]
	ds_load_u16 v12, v8
	ds_load_b64 v[7:8], v9
	v_mov_b32_e32 v11, v4
	v_lshlrev_b64_e32 v[3:4], 1, v[3:4]
	s_delay_alu instid0(VALU_DEP_2) | instskip(NEXT) | instid1(VALU_DEP_2)
	v_lshlrev_b64_e32 v[9:10], 3, v[10:11]
	v_add_co_u32 v3, vcc_lo, s10, v3
	s_wait_alu 0xfffd
	s_delay_alu instid0(VALU_DEP_3) | instskip(NEXT) | instid1(VALU_DEP_3)
	v_add_co_ci_u32_e64 v4, null, s11, v4, vcc_lo
	v_add_co_u32 v9, vcc_lo, s8, v9
	s_wait_alu 0xfffd
	v_add_co_ci_u32_e64 v10, null, s9, v10, vcc_lo
	s_wait_dscnt 0x1
	global_store_b16 v[3:4], v12, off
	s_wait_dscnt 0x0
	global_store_b64 v[9:10], v[7:8], off
.LBB36_44:
	s_wait_alu 0xfffe
	s_or_b32 exec_lo, exec_lo, s0
	s_delay_alu instid0(SALU_CYCLE_1)
	s_and_b32 exec_lo, exec_lo, s1
	s_cbranch_execz .LBB36_46
; %bb.45:
	v_mad_co_u64_u32 v[2:3], null, v1, s6, v[2:3]
	v_mov_b32_e32 v3, 0
	v_mad_co_u64_u32 v[0:1], null, v1, s7, v[0:1]
	ds_load_u16 v7, v5
	ds_load_b64 v[4:5], v6
	v_mov_b32_e32 v1, v3
	v_lshlrev_b64_e32 v[2:3], 1, v[2:3]
	s_delay_alu instid0(VALU_DEP_2) | instskip(NEXT) | instid1(VALU_DEP_2)
	v_lshlrev_b64_e32 v[0:1], 3, v[0:1]
	v_add_co_u32 v2, vcc_lo, s10, v2
	s_wait_alu 0xfffd
	s_delay_alu instid0(VALU_DEP_3) | instskip(NEXT) | instid1(VALU_DEP_3)
	v_add_co_ci_u32_e64 v3, null, s11, v3, vcc_lo
	v_add_co_u32 v0, vcc_lo, s8, v0
	s_wait_alu 0xfffd
	v_add_co_ci_u32_e64 v1, null, s9, v1, vcc_lo
	s_wait_dscnt 0x1
	global_store_b16 v[2:3], v7, off
	s_wait_dscnt 0x0
	global_store_b64 v[0:1], v[4:5], off
.LBB36_46:
	s_endpgm
	.section	.rodata,"a",@progbits
	.p2align	6, 0x0
	.amdhsa_kernel _ZN2at6native20bitonicSortKVInPlaceILin1ELin1ELi16ELi16EslNS0_4LTOpIsLb1EEEjEEvNS_4cuda6detail10TensorInfoIT3_T6_EES8_S8_S8_NS6_IT4_S8_EES8_T5_
		.amdhsa_group_segment_fixed_size 5632
		.amdhsa_private_segment_fixed_size 0
		.amdhsa_kernarg_size 712
		.amdhsa_user_sgpr_count 2
		.amdhsa_user_sgpr_dispatch_ptr 0
		.amdhsa_user_sgpr_queue_ptr 0
		.amdhsa_user_sgpr_kernarg_segment_ptr 1
		.amdhsa_user_sgpr_dispatch_id 0
		.amdhsa_user_sgpr_private_segment_size 0
		.amdhsa_wavefront_size32 1
		.amdhsa_uses_dynamic_stack 0
		.amdhsa_enable_private_segment 0
		.amdhsa_system_sgpr_workgroup_id_x 1
		.amdhsa_system_sgpr_workgroup_id_y 1
		.amdhsa_system_sgpr_workgroup_id_z 1
		.amdhsa_system_sgpr_workgroup_info 0
		.amdhsa_system_vgpr_workitem_id 1
		.amdhsa_next_free_vgpr 34
		.amdhsa_next_free_sgpr 14
		.amdhsa_reserve_vcc 1
		.amdhsa_float_round_mode_32 0
		.amdhsa_float_round_mode_16_64 0
		.amdhsa_float_denorm_mode_32 3
		.amdhsa_float_denorm_mode_16_64 3
		.amdhsa_fp16_overflow 0
		.amdhsa_workgroup_processor_mode 1
		.amdhsa_memory_ordered 1
		.amdhsa_forward_progress 1
		.amdhsa_inst_pref_size 39
		.amdhsa_round_robin_scheduling 0
		.amdhsa_exception_fp_ieee_invalid_op 0
		.amdhsa_exception_fp_denorm_src 0
		.amdhsa_exception_fp_ieee_div_zero 0
		.amdhsa_exception_fp_ieee_overflow 0
		.amdhsa_exception_fp_ieee_underflow 0
		.amdhsa_exception_fp_ieee_inexact 0
		.amdhsa_exception_int_div_zero 0
	.end_amdhsa_kernel
	.section	.text._ZN2at6native20bitonicSortKVInPlaceILin1ELin1ELi16ELi16EslNS0_4LTOpIsLb1EEEjEEvNS_4cuda6detail10TensorInfoIT3_T6_EES8_S8_S8_NS6_IT4_S8_EES8_T5_,"axG",@progbits,_ZN2at6native20bitonicSortKVInPlaceILin1ELin1ELi16ELi16EslNS0_4LTOpIsLb1EEEjEEvNS_4cuda6detail10TensorInfoIT3_T6_EES8_S8_S8_NS6_IT4_S8_EES8_T5_,comdat
.Lfunc_end36:
	.size	_ZN2at6native20bitonicSortKVInPlaceILin1ELin1ELi16ELi16EslNS0_4LTOpIsLb1EEEjEEvNS_4cuda6detail10TensorInfoIT3_T6_EES8_S8_S8_NS6_IT4_S8_EES8_T5_, .Lfunc_end36-_ZN2at6native20bitonicSortKVInPlaceILin1ELin1ELi16ELi16EslNS0_4LTOpIsLb1EEEjEEvNS_4cuda6detail10TensorInfoIT3_T6_EES8_S8_S8_NS6_IT4_S8_EES8_T5_
                                        ; -- End function
	.set _ZN2at6native20bitonicSortKVInPlaceILin1ELin1ELi16ELi16EslNS0_4LTOpIsLb1EEEjEEvNS_4cuda6detail10TensorInfoIT3_T6_EES8_S8_S8_NS6_IT4_S8_EES8_T5_.num_vgpr, 34
	.set _ZN2at6native20bitonicSortKVInPlaceILin1ELin1ELi16ELi16EslNS0_4LTOpIsLb1EEEjEEvNS_4cuda6detail10TensorInfoIT3_T6_EES8_S8_S8_NS6_IT4_S8_EES8_T5_.num_agpr, 0
	.set _ZN2at6native20bitonicSortKVInPlaceILin1ELin1ELi16ELi16EslNS0_4LTOpIsLb1EEEjEEvNS_4cuda6detail10TensorInfoIT3_T6_EES8_S8_S8_NS6_IT4_S8_EES8_T5_.numbered_sgpr, 14
	.set _ZN2at6native20bitonicSortKVInPlaceILin1ELin1ELi16ELi16EslNS0_4LTOpIsLb1EEEjEEvNS_4cuda6detail10TensorInfoIT3_T6_EES8_S8_S8_NS6_IT4_S8_EES8_T5_.num_named_barrier, 0
	.set _ZN2at6native20bitonicSortKVInPlaceILin1ELin1ELi16ELi16EslNS0_4LTOpIsLb1EEEjEEvNS_4cuda6detail10TensorInfoIT3_T6_EES8_S8_S8_NS6_IT4_S8_EES8_T5_.private_seg_size, 0
	.set _ZN2at6native20bitonicSortKVInPlaceILin1ELin1ELi16ELi16EslNS0_4LTOpIsLb1EEEjEEvNS_4cuda6detail10TensorInfoIT3_T6_EES8_S8_S8_NS6_IT4_S8_EES8_T5_.uses_vcc, 1
	.set _ZN2at6native20bitonicSortKVInPlaceILin1ELin1ELi16ELi16EslNS0_4LTOpIsLb1EEEjEEvNS_4cuda6detail10TensorInfoIT3_T6_EES8_S8_S8_NS6_IT4_S8_EES8_T5_.uses_flat_scratch, 0
	.set _ZN2at6native20bitonicSortKVInPlaceILin1ELin1ELi16ELi16EslNS0_4LTOpIsLb1EEEjEEvNS_4cuda6detail10TensorInfoIT3_T6_EES8_S8_S8_NS6_IT4_S8_EES8_T5_.has_dyn_sized_stack, 0
	.set _ZN2at6native20bitonicSortKVInPlaceILin1ELin1ELi16ELi16EslNS0_4LTOpIsLb1EEEjEEvNS_4cuda6detail10TensorInfoIT3_T6_EES8_S8_S8_NS6_IT4_S8_EES8_T5_.has_recursion, 0
	.set _ZN2at6native20bitonicSortKVInPlaceILin1ELin1ELi16ELi16EslNS0_4LTOpIsLb1EEEjEEvNS_4cuda6detail10TensorInfoIT3_T6_EES8_S8_S8_NS6_IT4_S8_EES8_T5_.has_indirect_call, 0
	.section	.AMDGPU.csdata,"",@progbits
; Kernel info:
; codeLenInByte = 4972
; TotalNumSgprs: 16
; NumVgprs: 34
; ScratchSize: 0
; MemoryBound: 0
; FloatMode: 240
; IeeeMode: 1
; LDSByteSize: 5632 bytes/workgroup (compile time only)
; SGPRBlocks: 0
; VGPRBlocks: 4
; NumSGPRsForWavesPerEU: 16
; NumVGPRsForWavesPerEU: 34
; Occupancy: 16
; WaveLimiterHint : 1
; COMPUTE_PGM_RSRC2:SCRATCH_EN: 0
; COMPUTE_PGM_RSRC2:USER_SGPR: 2
; COMPUTE_PGM_RSRC2:TRAP_HANDLER: 0
; COMPUTE_PGM_RSRC2:TGID_X_EN: 1
; COMPUTE_PGM_RSRC2:TGID_Y_EN: 1
; COMPUTE_PGM_RSRC2:TGID_Z_EN: 1
; COMPUTE_PGM_RSRC2:TIDIG_COMP_CNT: 1
	.section	.text._ZN2at6native20bitonicSortKVInPlaceILin1ELin1ELi16ELi16EslNS0_4GTOpIsLb1EEEjEEvNS_4cuda6detail10TensorInfoIT3_T6_EES8_S8_S8_NS6_IT4_S8_EES8_T5_,"axG",@progbits,_ZN2at6native20bitonicSortKVInPlaceILin1ELin1ELi16ELi16EslNS0_4GTOpIsLb1EEEjEEvNS_4cuda6detail10TensorInfoIT3_T6_EES8_S8_S8_NS6_IT4_S8_EES8_T5_,comdat
	.protected	_ZN2at6native20bitonicSortKVInPlaceILin1ELin1ELi16ELi16EslNS0_4GTOpIsLb1EEEjEEvNS_4cuda6detail10TensorInfoIT3_T6_EES8_S8_S8_NS6_IT4_S8_EES8_T5_ ; -- Begin function _ZN2at6native20bitonicSortKVInPlaceILin1ELin1ELi16ELi16EslNS0_4GTOpIsLb1EEEjEEvNS_4cuda6detail10TensorInfoIT3_T6_EES8_S8_S8_NS6_IT4_S8_EES8_T5_
	.globl	_ZN2at6native20bitonicSortKVInPlaceILin1ELin1ELi16ELi16EslNS0_4GTOpIsLb1EEEjEEvNS_4cuda6detail10TensorInfoIT3_T6_EES8_S8_S8_NS6_IT4_S8_EES8_T5_
	.p2align	8
	.type	_ZN2at6native20bitonicSortKVInPlaceILin1ELin1ELi16ELi16EslNS0_4GTOpIsLb1EEEjEEvNS_4cuda6detail10TensorInfoIT3_T6_EES8_S8_S8_NS6_IT4_S8_EES8_T5_,@function
_ZN2at6native20bitonicSortKVInPlaceILin1ELin1ELi16ELi16EslNS0_4GTOpIsLb1EEEjEEvNS_4cuda6detail10TensorInfoIT3_T6_EES8_S8_S8_NS6_IT4_S8_EES8_T5_: ; @_ZN2at6native20bitonicSortKVInPlaceILin1ELin1ELi16ELi16EslNS0_4GTOpIsLb1EEEjEEvNS_4cuda6detail10TensorInfoIT3_T6_EES8_S8_S8_NS6_IT4_S8_EES8_T5_
; %bb.0:
	s_clause 0x2
	s_load_b64 s[2:3], s[0:1], 0x1c8
	s_load_u16 s7, s[0:1], 0x1d6
	s_load_b96 s[4:6], s[0:1], 0xd8
	s_lshr_b32 s8, ttmp7, 16
	s_wait_kmcnt 0x0
	s_mul_i32 s3, s3, s8
	s_and_b32 s8, ttmp7, 0xffff
	s_delay_alu instid0(SALU_CYCLE_1) | instskip(NEXT) | instid1(SALU_CYCLE_1)
	s_add_co_i32 s3, s3, s8
	s_mul_i32 s2, s3, s2
	s_delay_alu instid0(SALU_CYCLE_1) | instskip(NEXT) | instid1(SALU_CYCLE_1)
	s_add_co_i32 s3, s2, ttmp9
	s_mul_i32 s3, s3, s7
	s_delay_alu instid0(SALU_CYCLE_1)
	s_cmp_ge_u32 s3, s4
	s_cbranch_scc1 .LBB37_46
; %bb.1:
	s_load_b32 s2, s[0:1], 0xd0
	v_bfe_u32 v8, v0, 10, 10
	s_delay_alu instid0(VALU_DEP_1) | instskip(NEXT) | instid1(VALU_DEP_1)
	v_dual_mov_b32 v1, 0 :: v_dual_add_nc_u32 v6, s3, v8
	v_mov_b32_e32 v3, v6
	s_wait_kmcnt 0x0
	s_cmp_lt_i32 s2, 2
	s_cbranch_scc1 .LBB37_4
; %bb.2:
	s_add_co_i32 s8, s2, -1
	s_mov_b32 s9, 0
	v_mov_b32_e32 v1, 0
	s_lshl_b64 s[8:9], s[8:9], 2
	v_mov_b32_e32 v3, v6
	s_add_nc_u64 s[8:9], s[0:1], s[8:9]
	s_add_co_i32 s7, s2, 1
	s_add_nc_u64 s[2:3], s[8:9], 8
.LBB37_3:                               ; =>This Inner Loop Header: Depth=1
	s_clause 0x1
	s_load_b32 s8, s[2:3], 0x0
	s_load_b32 s9, s[2:3], 0x64
	s_add_co_i32 s7, s7, -1
	s_add_nc_u64 s[2:3], s[2:3], -4
	s_wait_kmcnt 0x0
	s_cvt_f32_u32 s10, s8
	s_sub_co_i32 s11, 0, s8
	s_wait_alu 0xfffe
	s_delay_alu instid0(SALU_CYCLE_1) | instskip(NEXT) | instid1(TRANS32_DEP_1)
	v_rcp_iflag_f32_e32 v2, s10
	v_readfirstlane_b32 s10, v2
	v_mov_b32_e32 v2, v3
	s_mul_f32 s10, s10, 0x4f7ffffe
	s_wait_alu 0xfffe
	s_delay_alu instid0(SALU_CYCLE_2) | instskip(SKIP_1) | instid1(SALU_CYCLE_2)
	s_cvt_u32_f32 s10, s10
	s_wait_alu 0xfffe
	s_mul_i32 s11, s11, s10
	s_wait_alu 0xfffe
	s_mul_hi_u32 s11, s10, s11
	s_wait_alu 0xfffe
	s_add_co_i32 s10, s10, s11
	s_cmp_gt_u32 s7, 2
	s_wait_alu 0xfffe
	v_mul_hi_u32 v3, v2, s10
	s_delay_alu instid0(VALU_DEP_1) | instskip(SKIP_1) | instid1(VALU_DEP_2)
	v_mul_lo_u32 v4, v3, s8
	v_add_nc_u32_e32 v5, 1, v3
	v_sub_nc_u32_e32 v4, v2, v4
	s_delay_alu instid0(VALU_DEP_1) | instskip(SKIP_2) | instid1(VALU_DEP_2)
	v_subrev_nc_u32_e32 v7, s8, v4
	v_cmp_le_u32_e32 vcc_lo, s8, v4
	s_wait_alu 0xfffd
	v_dual_cndmask_b32 v3, v3, v5 :: v_dual_cndmask_b32 v4, v4, v7
	s_delay_alu instid0(VALU_DEP_1) | instskip(NEXT) | instid1(VALU_DEP_2)
	v_add_nc_u32_e32 v5, 1, v3
	v_cmp_le_u32_e32 vcc_lo, s8, v4
	s_wait_alu 0xfffd
	s_delay_alu instid0(VALU_DEP_2) | instskip(NEXT) | instid1(VALU_DEP_1)
	v_cndmask_b32_e32 v3, v3, v5, vcc_lo
	v_mul_lo_u32 v4, v3, s8
	s_delay_alu instid0(VALU_DEP_1) | instskip(NEXT) | instid1(VALU_DEP_1)
	v_sub_nc_u32_e32 v2, v2, v4
	v_mad_co_u64_u32 v[1:2], null, s9, v2, v[1:2]
	s_cbranch_scc1 .LBB37_3
.LBB37_4:
	s_load_b32 s7, s[0:1], 0x1b8
	v_dual_mov_b32 v4, 0 :: v_dual_mov_b32 v9, v6
	s_add_nc_u64 s[2:3], s[0:1], 0x1c8
	s_wait_kmcnt 0x0
	s_cmp_lt_i32 s7, 2
	s_cbranch_scc1 .LBB37_7
; %bb.5:
	s_add_co_i32 s8, s7, -1
	s_mov_b32 s9, 0
	v_dual_mov_b32 v4, 0 :: v_dual_mov_b32 v9, v6
	s_wait_alu 0xfffe
	s_lshl_b64 s[8:9], s[8:9], 2
	s_add_co_i32 s7, s7, 1
	s_wait_alu 0xfffe
	s_add_nc_u64 s[8:9], s[0:1], s[8:9]
	s_wait_alu 0xfffe
	s_add_nc_u64 s[8:9], s[8:9], 0xf0
.LBB37_6:                               ; =>This Inner Loop Header: Depth=1
	s_clause 0x1
	s_load_b32 s10, s[8:9], 0x0
	s_load_b32 s11, s[8:9], 0x64
	s_add_co_i32 s7, s7, -1
	s_add_nc_u64 s[8:9], s[8:9], -4
	s_wait_kmcnt 0x0
	s_cvt_f32_u32 s12, s10
	s_sub_co_i32 s13, 0, s10
	s_wait_alu 0xfffe
	s_delay_alu instid0(SALU_CYCLE_1) | instskip(NEXT) | instid1(TRANS32_DEP_1)
	v_rcp_iflag_f32_e32 v2, s12
	v_readfirstlane_b32 s12, v2
	v_mov_b32_e32 v2, v9
	s_mul_f32 s12, s12, 0x4f7ffffe
	s_wait_alu 0xfffe
	s_delay_alu instid0(SALU_CYCLE_2) | instskip(SKIP_1) | instid1(SALU_CYCLE_2)
	s_cvt_u32_f32 s12, s12
	s_wait_alu 0xfffe
	s_mul_i32 s13, s13, s12
	s_wait_alu 0xfffe
	s_mul_hi_u32 s13, s12, s13
	s_wait_alu 0xfffe
	s_add_co_i32 s12, s12, s13
	s_cmp_gt_u32 s7, 2
	s_wait_alu 0xfffe
	v_mul_hi_u32 v5, v2, s12
	s_delay_alu instid0(VALU_DEP_1) | instskip(SKIP_1) | instid1(VALU_DEP_2)
	v_mul_lo_u32 v7, v5, s10
	v_add_nc_u32_e32 v9, 1, v5
	v_sub_nc_u32_e32 v7, v2, v7
	s_delay_alu instid0(VALU_DEP_1) | instskip(SKIP_3) | instid1(VALU_DEP_3)
	v_subrev_nc_u32_e32 v10, s10, v7
	v_cmp_le_u32_e32 vcc_lo, s10, v7
	s_wait_alu 0xfffd
	v_cndmask_b32_e32 v5, v5, v9, vcc_lo
	v_cndmask_b32_e32 v7, v7, v10, vcc_lo
	s_delay_alu instid0(VALU_DEP_2) | instskip(NEXT) | instid1(VALU_DEP_2)
	v_add_nc_u32_e32 v9, 1, v5
	v_cmp_le_u32_e32 vcc_lo, s10, v7
	s_wait_alu 0xfffd
	s_delay_alu instid0(VALU_DEP_2) | instskip(NEXT) | instid1(VALU_DEP_1)
	v_cndmask_b32_e32 v9, v5, v9, vcc_lo
	v_mul_lo_u32 v5, v9, s10
	s_delay_alu instid0(VALU_DEP_1) | instskip(NEXT) | instid1(VALU_DEP_1)
	v_sub_nc_u32_e32 v2, v2, v5
	v_mad_co_u64_u32 v[4:5], null, s11, v2, v[4:5]
	s_cbranch_scc1 .LBB37_6
.LBB37_7:
	s_clause 0x1
	s_load_b32 s12, s[0:1], 0x6c
	s_load_b32 s13, s[0:1], 0x154
	;; [unrolled: 1-line block ×3, first 2 shown]
	s_clause 0x2
	s_load_b32 s7, s[0:1], 0x1c0
	s_load_b64 s[10:11], s[0:1], 0x0
	s_load_b64 s[8:9], s[0:1], 0xe8
	v_and_b32_e32 v7, 0x3ff, v0
	v_cmp_gt_u32_e64 s0, s4, v6
	v_mov_b32_e32 v10, 0
	v_mov_b32_e32 v12, 0
	s_wait_kmcnt 0x0
	v_mad_co_u64_u32 v[2:3], null, s12, v3, v[1:2]
	v_mad_co_u64_u32 v[0:1], null, s13, v9, v[4:5]
	v_mov_b32_e32 v3, 0
	v_mov_b32_e32 v4, 0
	v_cmp_gt_u32_e32 vcc_lo, s5, v7
	v_mov_b32_e32 v5, 0
	v_mov_b32_e32 v6, 0
	s_and_b32 s4, s0, vcc_lo
	s_wait_alu 0xfffe
	s_and_saveexec_b32 s3, s4
	s_cbranch_execz .LBB37_9
; %bb.8:
	v_mad_co_u64_u32 v[5:6], null, v7, s6, v[2:3]
	v_mov_b32_e32 v6, 0
	v_mad_co_u64_u32 v[11:12], null, v7, s7, v[0:1]
	s_delay_alu instid0(VALU_DEP_2) | instskip(NEXT) | instid1(VALU_DEP_4)
	v_mov_b32_e32 v12, v6
	v_lshlrev_b64_e32 v[5:6], 1, v[5:6]
	s_delay_alu instid0(VALU_DEP_2) | instskip(NEXT) | instid1(VALU_DEP_2)
	v_lshlrev_b64_e32 v[11:12], 3, v[11:12]
	v_add_co_u32 v5, s1, s10, v5
	s_delay_alu instid0(VALU_DEP_1) | instskip(NEXT) | instid1(VALU_DEP_3)
	v_add_co_ci_u32_e64 v6, null, s11, v6, s1
	v_add_co_u32 v13, s1, s8, v11
	s_wait_alu 0xf1ff
	s_delay_alu instid0(VALU_DEP_4)
	v_add_co_ci_u32_e64 v14, null, s9, v12, s1
	global_load_u16 v12, v[5:6], off
	global_load_b64 v[5:6], v[13:14], off
.LBB37_9:
	s_wait_alu 0xfffe
	s_or_b32 exec_lo, exec_lo, s3
	s_and_b32 s3, 0xffff, s2
	v_lshl_add_u32 v13, v8, 6, 0x1000
	s_wait_alu 0xfffe
	v_add_nc_u32_e32 v1, s3, v7
	v_lshlrev_b32_e32 v11, 8, v8
	v_lshl_add_u32 v15, v8, 5, 0x1400
	v_cndmask_b32_e64 v14, 0, 1, s4
	v_lshl_add_u32 v8, v7, 1, v13
	v_cmp_gt_u32_e64 s1, s5, v1
	v_lshl_add_u32 v9, v7, 3, v11
	v_add_nc_u32_e32 v16, v15, v7
	s_wait_loadcnt 0x1
	ds_store_b16 v8, v12
	s_wait_loadcnt 0x0
	ds_store_b64 v9, v[5:6]
	ds_store_b8 v16, v14
	s_and_b32 s4, s0, s1
	s_wait_alu 0xfffe
	s_and_saveexec_b32 s5, s4
	s_cbranch_execz .LBB37_11
; %bb.10:
	v_mad_co_u64_u32 v[3:4], null, v1, s6, v[2:3]
	v_mov_b32_e32 v4, 0
	v_mad_co_u64_u32 v[5:6], null, v1, s7, v[0:1]
	s_delay_alu instid0(VALU_DEP_2) | instskip(NEXT) | instid1(VALU_DEP_4)
	v_mov_b32_e32 v6, v4
	v_lshlrev_b64_e32 v[3:4], 1, v[3:4]
	s_delay_alu instid0(VALU_DEP_2) | instskip(NEXT) | instid1(VALU_DEP_2)
	v_lshlrev_b64_e32 v[5:6], 3, v[5:6]
	v_add_co_u32 v3, s2, s10, v3
	s_wait_alu 0xf1ff
	s_delay_alu instid0(VALU_DEP_3) | instskip(NEXT) | instid1(VALU_DEP_3)
	v_add_co_ci_u32_e64 v4, null, s11, v4, s2
	v_add_co_u32 v5, s2, s8, v5
	s_wait_alu 0xf1ff
	v_add_co_ci_u32_e64 v6, null, s9, v6, s2
	global_load_u16 v10, v[3:4], off
	global_load_b64 v[3:4], v[5:6], off
.LBB37_11:
	s_wait_alu 0xfffe
	s_or_b32 exec_lo, exec_lo, s5
	v_lshl_add_u32 v5, s3, 1, v8
	v_lshlrev_b32_e32 v16, 1, v7
	v_lshl_add_u32 v6, s3, 3, v9
	v_cndmask_b32_e64 v12, 0, 1, s4
	v_add_nc_u32_e32 v14, v15, v1
	s_wait_loadcnt 0x1
	ds_store_b16 v5, v10
	s_wait_loadcnt 0x0
	ds_store_b64 v6, v[3:4]
	ds_store_b8 v14, v12
	v_add_nc_u32_e32 v4, v8, v16
	v_add_nc_u32_e32 v3, v15, v16
	s_wait_dscnt 0x0
	s_barrier_signal -1
	s_barrier_wait -1
	global_inv scope:SCOPE_SE
	ds_load_b32 v18, v4
	ds_load_u16 v14, v3
	v_and_b32_e32 v10, 1, v7
	s_wait_dscnt 0x1
	v_lshrrev_b32_e32 v17, 16, v18
	s_wait_dscnt 0x0
	v_lshrrev_b16 v12, 8, v14
	v_and_b32_e32 v19, 1, v14
	s_delay_alu instid0(VALU_DEP_3) | instskip(NEXT) | instid1(VALU_DEP_3)
	v_cmp_gt_i16_e64 s2, v18, v17
	v_cmp_ne_u16_e64 s4, v12, v10
	s_delay_alu instid0(VALU_DEP_3) | instskip(SKIP_1) | instid1(VALU_DEP_2)
	v_cmp_eq_u32_e64 s3, 1, v19
	s_wait_alu 0xf1ff
	v_cndmask_b32_e64 v17, 0, 1, s4
	s_and_b32 s2, s2, s3
	s_wait_alu 0xfffe
	s_delay_alu instid0(VALU_DEP_1) | instskip(NEXT) | instid1(VALU_DEP_1)
	v_cndmask_b32_e64 v17, v17, v7, s2
	v_and_b32_e32 v17, 1, v17
	s_delay_alu instid0(VALU_DEP_1)
	v_cmp_eq_u32_e64 s2, 1, v17
	v_lshl_add_u32 v17, v7, 3, v9
	s_and_saveexec_b32 s3, s2
	s_wait_alu 0xfffe
	s_xor_b32 s2, exec_lo, s3
	s_cbranch_execz .LBB37_13
; %bb.12:
	ds_load_b128 v[19:22], v17
	v_lshlrev_b16 v14, 8, v14
	v_alignbit_b32 v18, v18, v18, 16
	s_delay_alu instid0(VALU_DEP_2)
	v_or_b32_e32 v12, v12, v14
	s_wait_dscnt 0x0
	v_dual_mov_b32 v23, v19 :: v_dual_mov_b32 v24, v20
	ds_store_b32 v4, v18
	ds_store_b128 v17, v[21:24]
	ds_store_b16 v3, v12
.LBB37_13:
	s_wait_alu 0xfffe
	s_or_b32 exec_lo, exec_lo, s2
	v_sub_nc_u32_e32 v14, v16, v10
	s_wait_loadcnt_dscnt 0x0
	s_barrier_signal -1
	s_barrier_wait -1
	global_inv scope:SCOPE_SE
	v_add_nc_u32_e32 v10, v15, v14
	v_lshl_add_u32 v12, v14, 1, v13
	v_bfe_u32 v23, v7, 1, 1
	v_lshl_add_u32 v14, v14, 3, v11
	ds_load_u8 v18, v10
	ds_load_u16 v19, v12
	ds_load_u16 v22, v12 offset:4
	ds_load_u8 v20, v10 offset:2
	s_wait_dscnt 0x3
	v_and_b32_e32 v21, 1, v18
	s_wait_dscnt 0x1
	v_cmp_gt_i16_e64 s2, v19, v22
	s_wait_dscnt 0x0
	v_cmp_ne_u16_e64 s4, v20, v23
	v_cmp_eq_u32_e64 s3, 1, v21
	s_wait_alu 0xf1ff
	s_delay_alu instid0(VALU_DEP_2) | instskip(SKIP_2) | instid1(VALU_DEP_1)
	v_cndmask_b32_e64 v21, 0, 1, s4
	s_and_b32 s2, s2, s3
	s_wait_alu 0xfffe
	v_cndmask_b32_e64 v23, v21, v23, s2
	v_and_b32_e32 v21, 2, v7
	s_delay_alu instid0(VALU_DEP_2) | instskip(NEXT) | instid1(VALU_DEP_2)
	v_and_b32_e32 v23, 1, v23
	v_cmp_ne_u32_e64 s2, 0, v21
	s_delay_alu instid0(VALU_DEP_2)
	v_cmp_eq_u32_e64 s3, 1, v23
	s_and_saveexec_b32 s4, s3
	s_wait_alu 0xfffe
	s_xor_b32 s3, exec_lo, s4
	s_cbranch_execz .LBB37_15
; %bb.14:
	ds_load_2addr_b64 v[23:26], v14 offset1:2
	s_wait_dscnt 0x0
	ds_store_2addr_b64 v14, v[25:26], v[23:24] offset1:2
	ds_store_b16 v12, v22
	ds_store_b16 v12, v19 offset:4
	ds_store_b8 v10, v20
	ds_store_b8 v10, v18 offset:2
.LBB37_15:
	s_wait_alu 0xfffe
	s_or_b32 exec_lo, exec_lo, s3
	s_wait_loadcnt_dscnt 0x0
	s_barrier_signal -1
	s_barrier_wait -1
	global_inv scope:SCOPE_SE
	ds_load_b32 v20, v4
	ds_load_u16 v19, v3
	v_lshrrev_b32_e32 v21, 1, v21
	v_cndmask_b32_e64 v24, 0, 1, s2
	s_wait_dscnt 0x1
	v_lshrrev_b32_e32 v22, 16, v20
	s_wait_dscnt 0x0
	v_lshrrev_b16 v18, 8, v19
	v_and_b32_e32 v23, 1, v19
	s_delay_alu instid0(VALU_DEP_3) | instskip(NEXT) | instid1(VALU_DEP_3)
	v_cmp_gt_i16_e64 s2, v20, v22
	v_cmp_ne_u16_e64 s4, v18, v21
	s_delay_alu instid0(VALU_DEP_3) | instskip(SKIP_1) | instid1(VALU_DEP_2)
	v_cmp_eq_u32_e64 s3, 1, v23
	s_wait_alu 0xf1ff
	v_cndmask_b32_e64 v21, 0, 1, s4
	s_and_b32 s2, s2, s3
	s_mov_b32 s3, exec_lo
	s_wait_alu 0xfffe
	s_delay_alu instid0(VALU_DEP_1) | instskip(NEXT) | instid1(VALU_DEP_1)
	v_cndmask_b32_e64 v21, v21, v24, s2
	v_and_b32_e32 v21, 1, v21
	s_delay_alu instid0(VALU_DEP_1)
	v_cmpx_eq_u32_e32 1, v21
	s_cbranch_execz .LBB37_17
; %bb.16:
	ds_load_b128 v[21:24], v17
	v_lshlrev_b16 v26, 8, v19
	v_alignbit_b32 v25, v20, v20, 16
	s_delay_alu instid0(VALU_DEP_2)
	v_or_b32_e32 v18, v18, v26
	s_wait_dscnt 0x0
	v_dual_mov_b32 v19, v23 :: v_dual_mov_b32 v20, v24
	ds_store_b32 v4, v25
	ds_store_b128 v17, v[19:22]
	ds_store_b16 v3, v18
.LBB37_17:
	s_or_b32 exec_lo, exec_lo, s3
	v_and_b32_e32 v17, 3, v7
	s_wait_loadcnt_dscnt 0x0
	s_barrier_signal -1
	s_barrier_wait -1
	global_inv scope:SCOPE_SE
	v_sub_nc_u32_e32 v20, v16, v17
	v_bfe_u32 v25, v7, 2, 1
	s_delay_alu instid0(VALU_DEP_2)
	v_add_nc_u32_e32 v17, v15, v20
	v_lshl_add_u32 v18, v20, 1, v13
	v_lshl_add_u32 v20, v20, 3, v11
	ds_load_u8 v21, v17
	ds_load_u16 v22, v18
	ds_load_u16 v24, v18 offset:8
	ds_load_u8 v23, v17 offset:4
	s_wait_dscnt 0x3
	v_and_b32_e32 v19, 1, v21
	s_wait_dscnt 0x1
	v_cmp_gt_i16_e64 s2, v22, v24
	s_wait_dscnt 0x0
	v_cmp_ne_u16_e64 s4, v23, v25
	v_cmp_eq_u32_e64 s3, 1, v19
	s_wait_alu 0xf1ff
	s_delay_alu instid0(VALU_DEP_2) | instskip(SKIP_3) | instid1(VALU_DEP_1)
	v_cndmask_b32_e64 v19, 0, 1, s4
	s_mov_b32 s4, exec_lo
	s_and_b32 s2, s2, s3
	s_wait_alu 0xfffe
	v_cndmask_b32_e64 v25, v19, v25, s2
	v_and_b32_e32 v19, 4, v7
	s_delay_alu instid0(VALU_DEP_2) | instskip(NEXT) | instid1(VALU_DEP_2)
	v_and_b32_e32 v25, 1, v25
	v_cmp_ne_u32_e64 s2, 0, v19
	s_delay_alu instid0(VALU_DEP_2)
	v_cmpx_eq_u32_e32 1, v25
	s_cbranch_execz .LBB37_19
; %bb.18:
	ds_load_2addr_b64 v[25:28], v20 offset1:4
	s_wait_dscnt 0x0
	ds_store_2addr_b64 v20, v[27:28], v[25:26] offset1:4
	ds_store_b16 v18, v24
	ds_store_b16 v18, v22 offset:8
	ds_store_b8 v17, v23
	ds_store_b8 v17, v21 offset:4
.LBB37_19:
	s_or_b32 exec_lo, exec_lo, s4
	s_wait_loadcnt_dscnt 0x0
	s_barrier_signal -1
	s_barrier_wait -1
	global_inv scope:SCOPE_SE
	ds_load_u8 v22, v10
	ds_load_u16 v23, v12
	ds_load_u16 v25, v12 offset:4
	ds_load_u8 v24, v10 offset:2
	v_lshrrev_b32_e32 v19, 2, v19
	v_cndmask_b32_e64 v21, 0, 1, s2
	s_wait_dscnt 0x3
	v_and_b32_e32 v26, 1, v22
	s_wait_dscnt 0x1
	v_cmp_gt_i16_e64 s2, v23, v25
	s_wait_dscnt 0x0
	v_cmp_ne_u16_e64 s4, v24, v19
	v_cmp_eq_u32_e64 s3, 1, v26
	s_wait_alu 0xf1ff
	s_delay_alu instid0(VALU_DEP_2) | instskip(SKIP_3) | instid1(VALU_DEP_1)
	v_cndmask_b32_e64 v26, 0, 1, s4
	s_and_b32 s2, s2, s3
	s_mov_b32 s3, exec_lo
	s_wait_alu 0xfffe
	v_cndmask_b32_e64 v26, v26, v21, s2
	s_delay_alu instid0(VALU_DEP_1) | instskip(NEXT) | instid1(VALU_DEP_1)
	v_and_b32_e32 v26, 1, v26
	v_cmpx_eq_u32_e32 1, v26
	s_cbranch_execz .LBB37_21
; %bb.20:
	ds_load_2addr_b64 v[26:29], v14 offset1:2
	s_wait_dscnt 0x0
	ds_store_2addr_b64 v14, v[28:29], v[26:27] offset1:2
	ds_store_b16 v12, v25
	ds_store_b16 v12, v23 offset:4
	ds_store_b8 v10, v24
	ds_store_b8 v10, v22 offset:2
.LBB37_21:
	s_or_b32 exec_lo, exec_lo, s3
	s_wait_loadcnt_dscnt 0x0
	s_barrier_signal -1
	s_barrier_wait -1
	global_inv scope:SCOPE_SE
	ds_load_b32 v24, v4
	ds_load_u16 v23, v3
	s_wait_dscnt 0x1
	v_lshrrev_b32_e32 v25, 16, v24
	s_wait_dscnt 0x0
	v_lshrrev_b16 v22, 8, v23
	v_and_b32_e32 v26, 1, v23
	s_delay_alu instid0(VALU_DEP_3) | instskip(NEXT) | instid1(VALU_DEP_3)
	v_cmp_gt_i16_e64 s2, v24, v25
	v_cmp_ne_u16_e64 s4, v22, v19
	s_delay_alu instid0(VALU_DEP_3) | instskip(SKIP_1) | instid1(VALU_DEP_2)
	v_cmp_eq_u32_e64 s3, 1, v26
	s_wait_alu 0xf1ff
	v_cndmask_b32_e64 v19, 0, 1, s4
	s_and_b32 s2, s2, s3
	s_wait_alu 0xfffe
	s_delay_alu instid0(VALU_DEP_1) | instskip(NEXT) | instid1(VALU_DEP_1)
	v_cndmask_b32_e64 v19, v19, v21, s2
	v_and_b32_e32 v19, 1, v19
	s_delay_alu instid0(VALU_DEP_1)
	v_cmp_eq_u32_e64 s2, 1, v19
	v_lshl_add_u32 v19, v16, 3, v11
	s_and_saveexec_b32 s3, s2
	s_cbranch_execz .LBB37_23
; %bb.22:
	ds_load_b128 v[25:28], v19
	v_lshlrev_b16 v29, 8, v23
	v_alignbit_b32 v21, v24, v24, 16
	s_delay_alu instid0(VALU_DEP_2)
	v_or_b32_e32 v22, v22, v29
	s_wait_dscnt 0x0
	v_dual_mov_b32 v23, v27 :: v_dual_mov_b32 v24, v28
	ds_store_b32 v4, v21
	ds_store_b128 v19, v[23:26]
	ds_store_b16 v3, v22
.LBB37_23:
	s_wait_alu 0xfffe
	s_or_b32 exec_lo, exec_lo, s3
	v_and_b32_e32 v21, 7, v7
	s_wait_loadcnt_dscnt 0x0
	s_barrier_signal -1
	s_barrier_wait -1
	global_inv scope:SCOPE_SE
	v_sub_nc_u32_e32 v23, v16, v21
	v_bfe_u32 v29, v7, 3, 1
	s_delay_alu instid0(VALU_DEP_2)
	v_add_nc_u32_e32 v21, v15, v23
	v_lshl_add_u32 v22, v23, 1, v13
	v_lshl_add_u32 v23, v23, 3, v11
	ds_load_u8 v25, v21
	ds_load_u16 v26, v22
	ds_load_u16 v28, v22 offset:16
	ds_load_u8 v27, v21 offset:8
	s_wait_dscnt 0x3
	v_and_b32_e32 v24, 1, v25
	s_wait_dscnt 0x1
	v_cmp_gt_i16_e64 s2, v26, v28
	s_wait_dscnt 0x0
	v_cmp_ne_u16_e64 s4, v27, v29
	v_cmp_eq_u32_e64 s3, 1, v24
	s_wait_alu 0xf1ff
	s_delay_alu instid0(VALU_DEP_2) | instskip(SKIP_3) | instid1(VALU_DEP_1)
	v_cndmask_b32_e64 v24, 0, 1, s4
	s_mov_b32 s4, exec_lo
	s_and_b32 s2, s2, s3
	s_wait_alu 0xfffe
	v_cndmask_b32_e64 v29, v24, v29, s2
	v_and_b32_e32 v24, 8, v7
	s_delay_alu instid0(VALU_DEP_2) | instskip(NEXT) | instid1(VALU_DEP_2)
	v_and_b32_e32 v29, 1, v29
	v_cmp_ne_u32_e64 s2, 0, v24
	s_delay_alu instid0(VALU_DEP_2)
	v_cmpx_eq_u32_e32 1, v29
	s_cbranch_execz .LBB37_25
; %bb.24:
	ds_load_2addr_b64 v[29:32], v23 offset1:8
	s_wait_dscnt 0x0
	ds_store_2addr_b64 v23, v[31:32], v[29:30] offset1:8
	ds_store_b16 v22, v28
	ds_store_b16 v22, v26 offset:16
	ds_store_b8 v21, v27
	ds_store_b8 v21, v25 offset:8
.LBB37_25:
	s_or_b32 exec_lo, exec_lo, s4
	s_wait_loadcnt_dscnt 0x0
	s_barrier_signal -1
	s_barrier_wait -1
	global_inv scope:SCOPE_SE
	ds_load_u8 v26, v17
	ds_load_u16 v27, v18
	ds_load_u16 v29, v18 offset:8
	ds_load_u8 v28, v17 offset:4
	v_lshrrev_b32_e32 v24, 3, v24
	v_cndmask_b32_e64 v25, 0, 1, s2
	s_wait_dscnt 0x3
	v_and_b32_e32 v30, 1, v26
	s_wait_dscnt 0x1
	v_cmp_gt_i16_e64 s2, v27, v29
	s_wait_dscnt 0x0
	v_cmp_ne_u16_e64 s4, v28, v24
	v_cmp_eq_u32_e64 s3, 1, v30
	s_wait_alu 0xf1ff
	s_delay_alu instid0(VALU_DEP_2) | instskip(SKIP_3) | instid1(VALU_DEP_1)
	v_cndmask_b32_e64 v30, 0, 1, s4
	s_and_b32 s2, s2, s3
	s_mov_b32 s3, exec_lo
	s_wait_alu 0xfffe
	v_cndmask_b32_e64 v30, v30, v25, s2
	s_delay_alu instid0(VALU_DEP_1) | instskip(NEXT) | instid1(VALU_DEP_1)
	v_and_b32_e32 v30, 1, v30
	v_cmpx_eq_u32_e32 1, v30
	s_cbranch_execz .LBB37_27
; %bb.26:
	ds_load_2addr_b64 v[30:33], v20 offset1:4
	s_wait_dscnt 0x0
	ds_store_2addr_b64 v20, v[32:33], v[30:31] offset1:4
	ds_store_b16 v18, v29
	ds_store_b16 v18, v27 offset:8
	ds_store_b8 v17, v28
	ds_store_b8 v17, v26 offset:4
.LBB37_27:
	s_or_b32 exec_lo, exec_lo, s3
	s_wait_loadcnt_dscnt 0x0
	s_barrier_signal -1
	s_barrier_wait -1
	global_inv scope:SCOPE_SE
	ds_load_u8 v26, v10
	ds_load_u16 v27, v12
	ds_load_u16 v29, v12 offset:4
	ds_load_u8 v28, v10 offset:2
	s_wait_dscnt 0x3
	v_and_b32_e32 v30, 1, v26
	s_wait_dscnt 0x1
	v_cmp_gt_i16_e64 s2, v27, v29
	s_wait_dscnt 0x0
	v_cmp_ne_u16_e64 s4, v28, v24
	v_cmp_eq_u32_e64 s3, 1, v30
	s_wait_alu 0xf1ff
	s_delay_alu instid0(VALU_DEP_2) | instskip(SKIP_3) | instid1(VALU_DEP_1)
	v_cndmask_b32_e64 v30, 0, 1, s4
	s_and_b32 s2, s2, s3
	s_mov_b32 s3, exec_lo
	s_wait_alu 0xfffe
	v_cndmask_b32_e64 v30, v30, v25, s2
	s_delay_alu instid0(VALU_DEP_1) | instskip(NEXT) | instid1(VALU_DEP_1)
	v_and_b32_e32 v30, 1, v30
	v_cmpx_eq_u32_e32 1, v30
	s_cbranch_execz .LBB37_29
; %bb.28:
	ds_load_2addr_b64 v[30:33], v14 offset1:2
	s_wait_dscnt 0x0
	ds_store_2addr_b64 v14, v[32:33], v[30:31] offset1:2
	ds_store_b16 v12, v29
	ds_store_b16 v12, v27 offset:4
	ds_store_b8 v10, v28
	ds_store_b8 v10, v26 offset:2
.LBB37_29:
	s_or_b32 exec_lo, exec_lo, s3
	s_wait_loadcnt_dscnt 0x0
	s_barrier_signal -1
	s_barrier_wait -1
	global_inv scope:SCOPE_SE
	ds_load_b32 v28, v4
	ds_load_u16 v27, v3
	s_wait_dscnt 0x1
	v_lshrrev_b32_e32 v29, 16, v28
	s_wait_dscnt 0x0
	v_lshrrev_b16 v26, 8, v27
	v_and_b32_e32 v30, 1, v27
	s_delay_alu instid0(VALU_DEP_3) | instskip(NEXT) | instid1(VALU_DEP_3)
	v_cmp_gt_i16_e64 s2, v28, v29
	v_cmp_ne_u16_e64 s4, v26, v24
	s_delay_alu instid0(VALU_DEP_3) | instskip(SKIP_1) | instid1(VALU_DEP_2)
	v_cmp_eq_u32_e64 s3, 1, v30
	s_wait_alu 0xf1ff
	v_cndmask_b32_e64 v24, 0, 1, s4
	s_and_b32 s2, s2, s3
	s_mov_b32 s3, exec_lo
	s_wait_alu 0xfffe
	s_delay_alu instid0(VALU_DEP_1) | instskip(NEXT) | instid1(VALU_DEP_1)
	v_cndmask_b32_e64 v24, v24, v25, s2
	v_and_b32_e32 v24, 1, v24
	s_delay_alu instid0(VALU_DEP_1)
	v_cmpx_eq_u32_e32 1, v24
	s_cbranch_execz .LBB37_31
; %bb.30:
	ds_load_b128 v[29:32], v19
	v_lshlrev_b16 v25, 8, v27
	v_alignbit_b32 v24, v28, v28, 16
	s_delay_alu instid0(VALU_DEP_2)
	v_or_b32_e32 v25, v26, v25
	s_wait_dscnt 0x0
	v_dual_mov_b32 v27, v31 :: v_dual_mov_b32 v28, v32
	ds_store_b32 v4, v24
	ds_store_b128 v19, v[27:30]
	ds_store_b16 v3, v25
.LBB37_31:
	s_or_b32 exec_lo, exec_lo, s3
	v_and_b32_e32 v24, 15, v7
	s_wait_loadcnt_dscnt 0x0
	s_barrier_signal -1
	s_barrier_wait -1
	global_inv scope:SCOPE_SE
	v_sub_nc_u32_e32 v16, v16, v24
	s_delay_alu instid0(VALU_DEP_1)
	v_add_nc_u32_e32 v15, v15, v16
	v_lshl_add_u32 v13, v16, 1, v13
	ds_load_u8 v24, v15
	ds_load_u8 v27, v15 offset:16
	ds_load_u16 v25, v13
	ds_load_u16 v26, v13 offset:32
	s_wait_dscnt 0x2
	v_and_b32_e32 v27, 0xff, v27
	v_and_b32_e32 v28, 1, v24
	s_wait_dscnt 0x0
	v_cmp_le_i16_e64 s3, v25, v26
	s_delay_alu instid0(VALU_DEP_3) | instskip(NEXT) | instid1(VALU_DEP_3)
	v_cmp_ne_u16_e64 s4, 0, v27
	v_cmp_eq_u32_e64 s2, 1, v28
	s_xor_b32 s2, s2, -1
	s_wait_alu 0xfffe
	s_or_b32 s2, s3, s2
	s_wait_alu 0xfffe
	s_and_b32 s3, s2, s4
	s_wait_alu 0xfffe
	s_and_saveexec_b32 s2, s3
	s_cbranch_execz .LBB37_33
; %bb.32:
	v_lshl_add_u32 v11, v16, 3, v11
	v_mov_b32_e32 v16, 1
	ds_load_2addr_b64 v[27:30], v11 offset1:16
	s_wait_dscnt 0x0
	ds_store_2addr_b64 v11, v[29:30], v[27:28] offset1:16
	ds_store_b16 v13, v26
	ds_store_b16 v13, v25 offset:32
	ds_store_b8 v15, v16
	ds_store_b8 v15, v24 offset:16
.LBB37_33:
	s_wait_alu 0xfffe
	s_or_b32 exec_lo, exec_lo, s2
	s_wait_loadcnt_dscnt 0x0
	s_barrier_signal -1
	s_barrier_wait -1
	global_inv scope:SCOPE_SE
	ds_load_u8 v11, v21
	ds_load_u8 v16, v21 offset:8
	ds_load_u16 v13, v22
	ds_load_u16 v15, v22 offset:16
	s_wait_dscnt 0x3
	v_and_b32_e32 v24, 1, v11
	s_wait_dscnt 0x2
	v_and_b32_e32 v16, 0xff, v16
	s_wait_dscnt 0x0
	v_cmp_le_i16_e64 s3, v13, v15
	v_cmp_eq_u32_e64 s2, 1, v24
	s_delay_alu instid0(VALU_DEP_3)
	v_cmp_ne_u16_e64 s4, 0, v16
	s_xor_b32 s2, s2, -1
	s_wait_alu 0xfffe
	s_or_b32 s2, s3, s2
	s_wait_alu 0xfffe
	s_and_b32 s3, s2, s4
	s_wait_alu 0xfffe
	s_and_saveexec_b32 s2, s3
	s_cbranch_execz .LBB37_35
; %bb.34:
	ds_load_2addr_b64 v[24:27], v23 offset1:8
	v_mov_b32_e32 v16, 1
	s_wait_dscnt 0x0
	ds_store_2addr_b64 v23, v[26:27], v[24:25] offset1:8
	ds_store_b16 v22, v15
	ds_store_b16 v22, v13 offset:16
	ds_store_b8 v21, v16
	ds_store_b8 v21, v11 offset:8
.LBB37_35:
	s_wait_alu 0xfffe
	s_or_b32 exec_lo, exec_lo, s2
	s_wait_loadcnt_dscnt 0x0
	s_barrier_signal -1
	s_barrier_wait -1
	global_inv scope:SCOPE_SE
	ds_load_u8 v11, v17
	ds_load_u8 v16, v17 offset:4
	ds_load_u16 v13, v18
	ds_load_u16 v15, v18 offset:8
	s_wait_dscnt 0x3
	v_and_b32_e32 v21, 1, v11
	s_wait_dscnt 0x2
	v_and_b32_e32 v16, 0xff, v16
	s_wait_dscnt 0x0
	v_cmp_le_i16_e64 s3, v13, v15
	v_cmp_eq_u32_e64 s2, 1, v21
	s_delay_alu instid0(VALU_DEP_3)
	v_cmp_ne_u16_e64 s4, 0, v16
	s_xor_b32 s2, s2, -1
	s_wait_alu 0xfffe
	s_or_b32 s2, s3, s2
	s_wait_alu 0xfffe
	s_and_b32 s3, s2, s4
	s_wait_alu 0xfffe
	s_and_saveexec_b32 s2, s3
	s_cbranch_execz .LBB37_37
; %bb.36:
	ds_load_2addr_b64 v[21:24], v20 offset1:4
	v_mov_b32_e32 v16, 1
	s_wait_dscnt 0x0
	ds_store_2addr_b64 v20, v[23:24], v[21:22] offset1:4
	ds_store_b16 v18, v15
	ds_store_b16 v18, v13 offset:8
	ds_store_b8 v17, v16
	ds_store_b8 v17, v11 offset:4
.LBB37_37:
	;; [unrolled: 37-line block ×3, first 2 shown]
	s_wait_alu 0xfffe
	s_or_b32 exec_lo, exec_lo, s2
	s_wait_loadcnt_dscnt 0x0
	s_barrier_signal -1
	s_barrier_wait -1
	global_inv scope:SCOPE_SE
	ds_load_u16 v10, v3
	ds_load_b32 v11, v4
	s_wait_dscnt 0x1
	v_and_b32_e32 v12, 1, v10
	s_wait_dscnt 0x0
	v_lshrrev_b32_e32 v13, 16, v11
	v_lshrrev_b16 v14, 8, v10
	s_delay_alu instid0(VALU_DEP_3) | instskip(NEXT) | instid1(VALU_DEP_3)
	v_cmp_eq_u32_e64 s2, 1, v12
	v_cmp_le_i16_e64 s3, v11, v13
	s_delay_alu instid0(VALU_DEP_3)
	v_cmp_ne_u16_e64 s4, 0, v14
	s_xor_b32 s2, s2, -1
	s_wait_alu 0xfffe
	s_or_b32 s2, s3, s2
	s_wait_alu 0xfffe
	s_and_b32 s3, s2, s4
	s_wait_alu 0xfffe
	s_and_saveexec_b32 s2, s3
	s_cbranch_execz .LBB37_41
; %bb.40:
	ds_load_b128 v[12:15], v19
	v_lshlrev_b16 v17, 8, v10
	v_alignbit_b32 v16, v11, v11, 16
	s_wait_dscnt 0x0
	v_dual_mov_b32 v10, v14 :: v_dual_mov_b32 v11, v15
	s_delay_alu instid0(VALU_DEP_3)
	v_or_b32_e32 v14, 1, v17
	ds_store_b32 v4, v16
	ds_store_b128 v19, v[10:13]
	ds_store_b16 v3, v14
.LBB37_41:
	s_wait_alu 0xfffe
	s_or_b32 exec_lo, exec_lo, s2
	s_wait_loadcnt_dscnt 0x0
	s_barrier_signal -1
	s_barrier_wait -1
	global_inv scope:SCOPE_SE
	s_and_saveexec_b32 s2, s0
	s_cbranch_execz .LBB37_46
; %bb.42:
	s_and_saveexec_b32 s0, vcc_lo
	s_cbranch_execz .LBB37_44
; %bb.43:
	v_mad_co_u64_u32 v[3:4], null, v7, s6, v[2:3]
	v_mov_b32_e32 v4, 0
	v_mad_co_u64_u32 v[10:11], null, v7, s7, v[0:1]
	ds_load_u16 v12, v8
	ds_load_b64 v[7:8], v9
	v_mov_b32_e32 v11, v4
	v_lshlrev_b64_e32 v[3:4], 1, v[3:4]
	s_delay_alu instid0(VALU_DEP_2) | instskip(NEXT) | instid1(VALU_DEP_2)
	v_lshlrev_b64_e32 v[9:10], 3, v[10:11]
	v_add_co_u32 v3, vcc_lo, s10, v3
	s_wait_alu 0xfffd
	s_delay_alu instid0(VALU_DEP_3) | instskip(NEXT) | instid1(VALU_DEP_3)
	v_add_co_ci_u32_e64 v4, null, s11, v4, vcc_lo
	v_add_co_u32 v9, vcc_lo, s8, v9
	s_wait_alu 0xfffd
	v_add_co_ci_u32_e64 v10, null, s9, v10, vcc_lo
	s_wait_dscnt 0x1
	global_store_b16 v[3:4], v12, off
	s_wait_dscnt 0x0
	global_store_b64 v[9:10], v[7:8], off
.LBB37_44:
	s_wait_alu 0xfffe
	s_or_b32 exec_lo, exec_lo, s0
	s_delay_alu instid0(SALU_CYCLE_1)
	s_and_b32 exec_lo, exec_lo, s1
	s_cbranch_execz .LBB37_46
; %bb.45:
	v_mad_co_u64_u32 v[2:3], null, v1, s6, v[2:3]
	v_mov_b32_e32 v3, 0
	v_mad_co_u64_u32 v[0:1], null, v1, s7, v[0:1]
	ds_load_u16 v7, v5
	ds_load_b64 v[4:5], v6
	v_mov_b32_e32 v1, v3
	v_lshlrev_b64_e32 v[2:3], 1, v[2:3]
	s_delay_alu instid0(VALU_DEP_2) | instskip(NEXT) | instid1(VALU_DEP_2)
	v_lshlrev_b64_e32 v[0:1], 3, v[0:1]
	v_add_co_u32 v2, vcc_lo, s10, v2
	s_wait_alu 0xfffd
	s_delay_alu instid0(VALU_DEP_3) | instskip(NEXT) | instid1(VALU_DEP_3)
	v_add_co_ci_u32_e64 v3, null, s11, v3, vcc_lo
	v_add_co_u32 v0, vcc_lo, s8, v0
	s_wait_alu 0xfffd
	v_add_co_ci_u32_e64 v1, null, s9, v1, vcc_lo
	s_wait_dscnt 0x1
	global_store_b16 v[2:3], v7, off
	s_wait_dscnt 0x0
	global_store_b64 v[0:1], v[4:5], off
.LBB37_46:
	s_endpgm
	.section	.rodata,"a",@progbits
	.p2align	6, 0x0
	.amdhsa_kernel _ZN2at6native20bitonicSortKVInPlaceILin1ELin1ELi16ELi16EslNS0_4GTOpIsLb1EEEjEEvNS_4cuda6detail10TensorInfoIT3_T6_EES8_S8_S8_NS6_IT4_S8_EES8_T5_
		.amdhsa_group_segment_fixed_size 5632
		.amdhsa_private_segment_fixed_size 0
		.amdhsa_kernarg_size 712
		.amdhsa_user_sgpr_count 2
		.amdhsa_user_sgpr_dispatch_ptr 0
		.amdhsa_user_sgpr_queue_ptr 0
		.amdhsa_user_sgpr_kernarg_segment_ptr 1
		.amdhsa_user_sgpr_dispatch_id 0
		.amdhsa_user_sgpr_private_segment_size 0
		.amdhsa_wavefront_size32 1
		.amdhsa_uses_dynamic_stack 0
		.amdhsa_enable_private_segment 0
		.amdhsa_system_sgpr_workgroup_id_x 1
		.amdhsa_system_sgpr_workgroup_id_y 1
		.amdhsa_system_sgpr_workgroup_id_z 1
		.amdhsa_system_sgpr_workgroup_info 0
		.amdhsa_system_vgpr_workitem_id 1
		.amdhsa_next_free_vgpr 34
		.amdhsa_next_free_sgpr 14
		.amdhsa_reserve_vcc 1
		.amdhsa_float_round_mode_32 0
		.amdhsa_float_round_mode_16_64 0
		.amdhsa_float_denorm_mode_32 3
		.amdhsa_float_denorm_mode_16_64 3
		.amdhsa_fp16_overflow 0
		.amdhsa_workgroup_processor_mode 1
		.amdhsa_memory_ordered 1
		.amdhsa_forward_progress 1
		.amdhsa_inst_pref_size 39
		.amdhsa_round_robin_scheduling 0
		.amdhsa_exception_fp_ieee_invalid_op 0
		.amdhsa_exception_fp_denorm_src 0
		.amdhsa_exception_fp_ieee_div_zero 0
		.amdhsa_exception_fp_ieee_overflow 0
		.amdhsa_exception_fp_ieee_underflow 0
		.amdhsa_exception_fp_ieee_inexact 0
		.amdhsa_exception_int_div_zero 0
	.end_amdhsa_kernel
	.section	.text._ZN2at6native20bitonicSortKVInPlaceILin1ELin1ELi16ELi16EslNS0_4GTOpIsLb1EEEjEEvNS_4cuda6detail10TensorInfoIT3_T6_EES8_S8_S8_NS6_IT4_S8_EES8_T5_,"axG",@progbits,_ZN2at6native20bitonicSortKVInPlaceILin1ELin1ELi16ELi16EslNS0_4GTOpIsLb1EEEjEEvNS_4cuda6detail10TensorInfoIT3_T6_EES8_S8_S8_NS6_IT4_S8_EES8_T5_,comdat
.Lfunc_end37:
	.size	_ZN2at6native20bitonicSortKVInPlaceILin1ELin1ELi16ELi16EslNS0_4GTOpIsLb1EEEjEEvNS_4cuda6detail10TensorInfoIT3_T6_EES8_S8_S8_NS6_IT4_S8_EES8_T5_, .Lfunc_end37-_ZN2at6native20bitonicSortKVInPlaceILin1ELin1ELi16ELi16EslNS0_4GTOpIsLb1EEEjEEvNS_4cuda6detail10TensorInfoIT3_T6_EES8_S8_S8_NS6_IT4_S8_EES8_T5_
                                        ; -- End function
	.set _ZN2at6native20bitonicSortKVInPlaceILin1ELin1ELi16ELi16EslNS0_4GTOpIsLb1EEEjEEvNS_4cuda6detail10TensorInfoIT3_T6_EES8_S8_S8_NS6_IT4_S8_EES8_T5_.num_vgpr, 34
	.set _ZN2at6native20bitonicSortKVInPlaceILin1ELin1ELi16ELi16EslNS0_4GTOpIsLb1EEEjEEvNS_4cuda6detail10TensorInfoIT3_T6_EES8_S8_S8_NS6_IT4_S8_EES8_T5_.num_agpr, 0
	.set _ZN2at6native20bitonicSortKVInPlaceILin1ELin1ELi16ELi16EslNS0_4GTOpIsLb1EEEjEEvNS_4cuda6detail10TensorInfoIT3_T6_EES8_S8_S8_NS6_IT4_S8_EES8_T5_.numbered_sgpr, 14
	.set _ZN2at6native20bitonicSortKVInPlaceILin1ELin1ELi16ELi16EslNS0_4GTOpIsLb1EEEjEEvNS_4cuda6detail10TensorInfoIT3_T6_EES8_S8_S8_NS6_IT4_S8_EES8_T5_.num_named_barrier, 0
	.set _ZN2at6native20bitonicSortKVInPlaceILin1ELin1ELi16ELi16EslNS0_4GTOpIsLb1EEEjEEvNS_4cuda6detail10TensorInfoIT3_T6_EES8_S8_S8_NS6_IT4_S8_EES8_T5_.private_seg_size, 0
	.set _ZN2at6native20bitonicSortKVInPlaceILin1ELin1ELi16ELi16EslNS0_4GTOpIsLb1EEEjEEvNS_4cuda6detail10TensorInfoIT3_T6_EES8_S8_S8_NS6_IT4_S8_EES8_T5_.uses_vcc, 1
	.set _ZN2at6native20bitonicSortKVInPlaceILin1ELin1ELi16ELi16EslNS0_4GTOpIsLb1EEEjEEvNS_4cuda6detail10TensorInfoIT3_T6_EES8_S8_S8_NS6_IT4_S8_EES8_T5_.uses_flat_scratch, 0
	.set _ZN2at6native20bitonicSortKVInPlaceILin1ELin1ELi16ELi16EslNS0_4GTOpIsLb1EEEjEEvNS_4cuda6detail10TensorInfoIT3_T6_EES8_S8_S8_NS6_IT4_S8_EES8_T5_.has_dyn_sized_stack, 0
	.set _ZN2at6native20bitonicSortKVInPlaceILin1ELin1ELi16ELi16EslNS0_4GTOpIsLb1EEEjEEvNS_4cuda6detail10TensorInfoIT3_T6_EES8_S8_S8_NS6_IT4_S8_EES8_T5_.has_recursion, 0
	.set _ZN2at6native20bitonicSortKVInPlaceILin1ELin1ELi16ELi16EslNS0_4GTOpIsLb1EEEjEEvNS_4cuda6detail10TensorInfoIT3_T6_EES8_S8_S8_NS6_IT4_S8_EES8_T5_.has_indirect_call, 0
	.section	.AMDGPU.csdata,"",@progbits
; Kernel info:
; codeLenInByte = 4972
; TotalNumSgprs: 16
; NumVgprs: 34
; ScratchSize: 0
; MemoryBound: 0
; FloatMode: 240
; IeeeMode: 1
; LDSByteSize: 5632 bytes/workgroup (compile time only)
; SGPRBlocks: 0
; VGPRBlocks: 4
; NumSGPRsForWavesPerEU: 16
; NumVGPRsForWavesPerEU: 34
; Occupancy: 16
; WaveLimiterHint : 1
; COMPUTE_PGM_RSRC2:SCRATCH_EN: 0
; COMPUTE_PGM_RSRC2:USER_SGPR: 2
; COMPUTE_PGM_RSRC2:TRAP_HANDLER: 0
; COMPUTE_PGM_RSRC2:TGID_X_EN: 1
; COMPUTE_PGM_RSRC2:TGID_Y_EN: 1
; COMPUTE_PGM_RSRC2:TGID_Z_EN: 1
; COMPUTE_PGM_RSRC2:TIDIG_COMP_CNT: 1
	.section	.text._ZN2at6native20bitonicSortKVInPlaceILin1ELin1ELi16ELi16EslNS0_4LTOpIsLb1EEEmEEvNS_4cuda6detail10TensorInfoIT3_T6_EES8_S8_S8_NS6_IT4_S8_EES8_T5_,"axG",@progbits,_ZN2at6native20bitonicSortKVInPlaceILin1ELin1ELi16ELi16EslNS0_4LTOpIsLb1EEEmEEvNS_4cuda6detail10TensorInfoIT3_T6_EES8_S8_S8_NS6_IT4_S8_EES8_T5_,comdat
	.protected	_ZN2at6native20bitonicSortKVInPlaceILin1ELin1ELi16ELi16EslNS0_4LTOpIsLb1EEEmEEvNS_4cuda6detail10TensorInfoIT3_T6_EES8_S8_S8_NS6_IT4_S8_EES8_T5_ ; -- Begin function _ZN2at6native20bitonicSortKVInPlaceILin1ELin1ELi16ELi16EslNS0_4LTOpIsLb1EEEmEEvNS_4cuda6detail10TensorInfoIT3_T6_EES8_S8_S8_NS6_IT4_S8_EES8_T5_
	.globl	_ZN2at6native20bitonicSortKVInPlaceILin1ELin1ELi16ELi16EslNS0_4LTOpIsLb1EEEmEEvNS_4cuda6detail10TensorInfoIT3_T6_EES8_S8_S8_NS6_IT4_S8_EES8_T5_
	.p2align	8
	.type	_ZN2at6native20bitonicSortKVInPlaceILin1ELin1ELi16ELi16EslNS0_4LTOpIsLb1EEEmEEvNS_4cuda6detail10TensorInfoIT3_T6_EES8_S8_S8_NS6_IT4_S8_EES8_T5_,@function
_ZN2at6native20bitonicSortKVInPlaceILin1ELin1ELi16ELi16EslNS0_4LTOpIsLb1EEEmEEvNS_4cuda6detail10TensorInfoIT3_T6_EES8_S8_S8_NS6_IT4_S8_EES8_T5_: ; @_ZN2at6native20bitonicSortKVInPlaceILin1ELin1ELi16ELi16EslNS0_4LTOpIsLb1EEEmEEvNS_4cuda6detail10TensorInfoIT3_T6_EES8_S8_S8_NS6_IT4_S8_EES8_T5_
; %bb.0:
	v_mov_b32_e32 v1, 0
	s_lshr_b32 s8, ttmp7, 16
	s_and_b32 s9, ttmp7, 0xffff
	global_load_u16 v1, v1, s[0:1] offset:886
	s_clause 0x1
	s_load_b64 s[2:3], s[0:1], 0x368
	s_load_b128 s[4:7], s[0:1], 0x1a0
	s_wait_kmcnt 0x0
	s_mul_i32 s3, s3, s8
	s_delay_alu instid0(SALU_CYCLE_1) | instskip(NEXT) | instid1(SALU_CYCLE_1)
	s_add_co_i32 s3, s3, s9
	s_mul_i32 s2, s3, s2
	s_delay_alu instid0(SALU_CYCLE_1) | instskip(SKIP_2) | instid1(VALU_DEP_1)
	s_add_co_i32 s2, s2, ttmp9
	s_wait_loadcnt 0x0
	v_and_b32_e32 v1, 0xffff, v1
	v_mul_hi_u32 v2, v1, s2
	v_mul_lo_u32 v1, v1, s2
	s_delay_alu instid0(VALU_DEP_1)
	v_cmp_le_u64_e32 vcc_lo, s[4:5], v[1:2]
	s_cbranch_vccnz .LBB38_56
; %bb.1:
	s_clause 0x1
	s_load_b32 s10, s[0:1], 0x198
	s_load_b64 s[8:9], s[0:1], 0x1b0
	v_bfe_u32 v16, v0, 10, 10
	s_delay_alu instid0(VALU_DEP_1) | instskip(NEXT) | instid1(VALU_DEP_1)
	v_add_co_u32 v4, vcc_lo, v1, v16
	v_add_co_ci_u32_e64 v5, null, 0, v2, vcc_lo
	v_mov_b32_e32 v2, 0
	v_mov_b32_e32 v3, 0
	s_delay_alu instid0(VALU_DEP_3)
	v_dual_mov_b32 v7, v5 :: v_dual_mov_b32 v6, v4
	s_wait_kmcnt 0x0
	s_cmp_lt_i32 s10, 2
	s_cbranch_scc1 .LBB38_9
; %bb.2:
	s_add_co_i32 s2, s10, -1
	s_mov_b32 s3, 0
	v_dual_mov_b32 v2, 0 :: v_dual_mov_b32 v11, v5
	s_wait_alu 0xfffe
	s_lshl_b64 s[12:13], s[2:3], 3
	v_dual_mov_b32 v3, 0 :: v_dual_mov_b32 v8, 0
	v_mov_b32_e32 v10, v4
	s_add_nc_u64 s[12:13], s[0:1], s[12:13]
	s_add_co_i32 s14, s10, 1
	s_add_nc_u64 s[10:11], s[12:13], 8
.LBB38_3:                               ; =>This Inner Loop Header: Depth=1
	s_load_b64 s[12:13], s[10:11], 0x0
                                        ; implicit-def: $vgpr6_vgpr7
	s_mov_b32 s2, exec_lo
	s_wait_kmcnt 0x0
	v_or_b32_e32 v9, s13, v11
	s_delay_alu instid0(VALU_DEP_1)
	v_cmpx_ne_u64_e32 0, v[8:9]
	s_wait_alu 0xfffe
	s_xor_b32 s15, exec_lo, s2
	s_cbranch_execz .LBB38_5
; %bb.4:                                ;   in Loop: Header=BB38_3 Depth=1
	s_cvt_f32_u32 s2, s12
	s_cvt_f32_u32 s16, s13
	s_sub_nc_u64 s[18:19], 0, s[12:13]
	s_wait_alu 0xfffe
	s_delay_alu instid0(SALU_CYCLE_1) | instskip(SKIP_1) | instid1(SALU_CYCLE_2)
	s_fmamk_f32 s2, s16, 0x4f800000, s2
	s_wait_alu 0xfffe
	v_s_rcp_f32 s2, s2
	s_delay_alu instid0(TRANS32_DEP_1) | instskip(SKIP_1) | instid1(SALU_CYCLE_2)
	s_mul_f32 s2, s2, 0x5f7ffffc
	s_wait_alu 0xfffe
	s_mul_f32 s16, s2, 0x2f800000
	s_wait_alu 0xfffe
	s_delay_alu instid0(SALU_CYCLE_2) | instskip(SKIP_1) | instid1(SALU_CYCLE_2)
	s_trunc_f32 s16, s16
	s_wait_alu 0xfffe
	s_fmamk_f32 s2, s16, 0xcf800000, s2
	s_cvt_u32_f32 s17, s16
	s_wait_alu 0xfffe
	s_delay_alu instid0(SALU_CYCLE_1) | instskip(SKIP_1) | instid1(SALU_CYCLE_2)
	s_cvt_u32_f32 s16, s2
	s_wait_alu 0xfffe
	s_mul_u64 s[20:21], s[18:19], s[16:17]
	s_delay_alu instid0(SALU_CYCLE_1)
	s_mul_hi_u32 s23, s16, s21
	s_mul_i32 s22, s16, s21
	s_mul_hi_u32 s2, s16, s20
	s_mul_i32 s25, s17, s20
	s_wait_alu 0xfffe
	s_add_nc_u64 s[22:23], s[2:3], s[22:23]
	s_mul_hi_u32 s24, s17, s20
	s_mul_hi_u32 s26, s17, s21
	s_add_co_u32 s2, s22, s25
	s_add_co_ci_u32 s2, s23, s24
	s_mul_i32 s20, s17, s21
	s_add_co_ci_u32 s21, s26, 0
	s_wait_alu 0xfffe
	s_add_nc_u64 s[20:21], s[2:3], s[20:21]
	s_delay_alu instid0(SALU_CYCLE_1)
	s_add_co_u32 s16, s16, s20
	s_cselect_b32 s2, -1, 0
	s_wait_alu 0xfffe
	s_cmp_lg_u32 s2, 0
	s_add_co_ci_u32 s17, s17, s21
	s_wait_alu 0xfffe
	s_mul_u64 s[18:19], s[18:19], s[16:17]
	s_delay_alu instid0(SALU_CYCLE_1)
	s_mul_hi_u32 s21, s16, s19
	s_mul_i32 s20, s16, s19
	s_mul_hi_u32 s2, s16, s18
	s_mul_i32 s23, s17, s18
	s_wait_alu 0xfffe
	s_add_nc_u64 s[20:21], s[2:3], s[20:21]
	s_mul_hi_u32 s22, s17, s18
	s_mul_hi_u32 s24, s17, s19
	s_add_co_u32 s2, s20, s23
	s_add_co_ci_u32 s2, s21, s22
	s_mul_i32 s18, s17, s19
	s_add_co_ci_u32 s19, s24, 0
	s_wait_alu 0xfffe
	s_add_nc_u64 s[18:19], s[2:3], s[18:19]
	s_delay_alu instid0(SALU_CYCLE_1)
	s_add_co_u32 s2, s16, s18
	s_cselect_b32 s16, -1, 0
	s_wait_alu 0xfffe
	v_mul_hi_u32 v1, v10, s2
	s_cmp_lg_u32 s16, 0
	v_mad_co_u64_u32 v[12:13], null, v11, s2, 0
	s_add_co_ci_u32 s16, s17, s19
	s_wait_alu 0xfffe
	v_mad_co_u64_u32 v[6:7], null, v10, s16, 0
	v_mad_co_u64_u32 v[14:15], null, v11, s16, 0
	s_delay_alu instid0(VALU_DEP_2) | instskip(SKIP_1) | instid1(VALU_DEP_3)
	v_add_co_u32 v1, vcc_lo, v1, v6
	s_wait_alu 0xfffd
	v_add_co_ci_u32_e64 v6, null, 0, v7, vcc_lo
	s_delay_alu instid0(VALU_DEP_2) | instskip(SKIP_1) | instid1(VALU_DEP_2)
	v_add_co_u32 v1, vcc_lo, v1, v12
	s_wait_alu 0xfffd
	v_add_co_ci_u32_e32 v1, vcc_lo, v6, v13, vcc_lo
	s_wait_alu 0xfffd
	v_add_co_ci_u32_e32 v6, vcc_lo, 0, v15, vcc_lo
	s_delay_alu instid0(VALU_DEP_2) | instskip(SKIP_1) | instid1(VALU_DEP_2)
	v_add_co_u32 v1, vcc_lo, v1, v14
	s_wait_alu 0xfffd
	v_add_co_ci_u32_e64 v9, null, 0, v6, vcc_lo
	s_delay_alu instid0(VALU_DEP_2) | instskip(SKIP_1) | instid1(VALU_DEP_3)
	v_mul_lo_u32 v12, s13, v1
	v_mad_co_u64_u32 v[6:7], null, s12, v1, 0
	v_mul_lo_u32 v13, s12, v9
	s_delay_alu instid0(VALU_DEP_2) | instskip(NEXT) | instid1(VALU_DEP_2)
	v_sub_co_u32 v6, vcc_lo, v10, v6
	v_add3_u32 v7, v7, v13, v12
	v_add_co_u32 v13, s2, v1, 2
	s_wait_alu 0xf1ff
	v_add_co_ci_u32_e64 v14, null, 0, v9, s2
	s_delay_alu instid0(VALU_DEP_3) | instskip(SKIP_3) | instid1(VALU_DEP_3)
	v_sub_nc_u32_e32 v12, v11, v7
	v_sub_co_u32 v15, s2, v6, s12
	s_wait_alu 0xfffd
	v_sub_co_ci_u32_e64 v7, null, v11, v7, vcc_lo
	v_subrev_co_ci_u32_e64 v12, null, s13, v12, vcc_lo
	s_delay_alu instid0(VALU_DEP_3) | instskip(SKIP_1) | instid1(VALU_DEP_2)
	v_cmp_le_u32_e32 vcc_lo, s12, v15
	s_wait_alu 0xf1ff
	v_subrev_co_ci_u32_e64 v12, null, 0, v12, s2
	s_wait_alu 0xfffd
	v_cndmask_b32_e64 v15, 0, -1, vcc_lo
	v_cmp_eq_u32_e64 s2, s13, v7
	s_delay_alu instid0(VALU_DEP_3)
	v_cmp_le_u32_e32 vcc_lo, s13, v12
	s_wait_alu 0xfffd
	v_cndmask_b32_e64 v17, 0, -1, vcc_lo
	v_cmp_le_u32_e32 vcc_lo, s12, v6
	s_wait_alu 0xfffd
	v_cndmask_b32_e64 v6, 0, -1, vcc_lo
	;; [unrolled: 3-line block ×3, first 2 shown]
	v_cmp_eq_u32_e32 vcc_lo, s13, v12
	s_wait_alu 0xf1ff
	s_delay_alu instid0(VALU_DEP_2)
	v_cndmask_b32_e64 v6, v18, v6, s2
	s_wait_alu 0xfffd
	v_cndmask_b32_e32 v12, v17, v15, vcc_lo
	v_add_co_u32 v15, vcc_lo, v1, 1
	s_wait_alu 0xfffd
	v_add_co_ci_u32_e64 v17, null, 0, v9, vcc_lo
	s_delay_alu instid0(VALU_DEP_3) | instskip(SKIP_1) | instid1(VALU_DEP_2)
	v_cmp_ne_u32_e32 vcc_lo, 0, v12
	s_wait_alu 0xfffd
	v_dual_cndmask_b32 v7, v17, v14 :: v_dual_cndmask_b32 v12, v15, v13
	v_cmp_ne_u32_e32 vcc_lo, 0, v6
	s_wait_alu 0xfffd
	s_delay_alu instid0(VALU_DEP_2) | instskip(NEXT) | instid1(VALU_DEP_3)
	v_cndmask_b32_e32 v7, v9, v7, vcc_lo
	v_cndmask_b32_e32 v6, v1, v12, vcc_lo
.LBB38_5:                               ;   in Loop: Header=BB38_3 Depth=1
	s_wait_alu 0xfffe
	s_and_not1_saveexec_b32 s2, s15
	s_cbranch_execz .LBB38_7
; %bb.6:                                ;   in Loop: Header=BB38_3 Depth=1
	v_cvt_f32_u32_e32 v1, s12
	s_sub_co_i32 s15, 0, s12
	s_delay_alu instid0(VALU_DEP_1) | instskip(NEXT) | instid1(TRANS32_DEP_1)
	v_rcp_iflag_f32_e32 v1, v1
	v_mul_f32_e32 v1, 0x4f7ffffe, v1
	s_delay_alu instid0(VALU_DEP_1) | instskip(SKIP_1) | instid1(VALU_DEP_1)
	v_cvt_u32_f32_e32 v1, v1
	s_wait_alu 0xfffe
	v_mul_lo_u32 v6, s15, v1
	s_delay_alu instid0(VALU_DEP_1) | instskip(NEXT) | instid1(VALU_DEP_1)
	v_mul_hi_u32 v6, v1, v6
	v_add_nc_u32_e32 v1, v1, v6
	s_delay_alu instid0(VALU_DEP_1) | instskip(NEXT) | instid1(VALU_DEP_1)
	v_mul_hi_u32 v1, v10, v1
	v_mul_lo_u32 v6, v1, s12
	v_add_nc_u32_e32 v7, 1, v1
	s_delay_alu instid0(VALU_DEP_2) | instskip(NEXT) | instid1(VALU_DEP_1)
	v_sub_nc_u32_e32 v6, v10, v6
	v_subrev_nc_u32_e32 v9, s12, v6
	v_cmp_le_u32_e32 vcc_lo, s12, v6
	s_wait_alu 0xfffd
	s_delay_alu instid0(VALU_DEP_2) | instskip(NEXT) | instid1(VALU_DEP_1)
	v_dual_cndmask_b32 v6, v6, v9 :: v_dual_cndmask_b32 v1, v1, v7
	v_cmp_le_u32_e32 vcc_lo, s12, v6
	s_delay_alu instid0(VALU_DEP_2) | instskip(SKIP_1) | instid1(VALU_DEP_1)
	v_add_nc_u32_e32 v7, 1, v1
	s_wait_alu 0xfffd
	v_dual_cndmask_b32 v6, v1, v7 :: v_dual_mov_b32 v7, v8
.LBB38_7:                               ;   in Loop: Header=BB38_3 Depth=1
	s_wait_alu 0xfffe
	s_or_b32 exec_lo, exec_lo, s2
	s_load_b64 s[16:17], s[10:11], 0xc8
	s_delay_alu instid0(VALU_DEP_1)
	v_mul_lo_u32 v1, v7, s12
	v_mul_lo_u32 v9, v6, s13
	v_mad_co_u64_u32 v[12:13], null, v6, s12, 0
	s_add_co_i32 s14, s14, -1
	s_add_nc_u64 s[10:11], s[10:11], -8
	s_wait_alu 0xfffe
	s_cmp_gt_u32 s14, 2
	v_add3_u32 v1, v13, v9, v1
	v_sub_co_u32 v9, vcc_lo, v10, v12
	s_wait_alu 0xfffd
	s_delay_alu instid0(VALU_DEP_2) | instskip(SKIP_1) | instid1(VALU_DEP_2)
	v_sub_co_ci_u32_e64 v1, null, v11, v1, vcc_lo
	s_wait_kmcnt 0x0
	v_mul_lo_u32 v10, s17, v9
	s_delay_alu instid0(VALU_DEP_2) | instskip(SKIP_1) | instid1(VALU_DEP_1)
	v_mul_lo_u32 v1, s16, v1
	v_mad_co_u64_u32 v[2:3], null, s16, v9, v[2:3]
	v_add3_u32 v3, v10, v3, v1
	s_cbranch_scc0 .LBB38_9
; %bb.8:                                ;   in Loop: Header=BB38_3 Depth=1
	v_dual_mov_b32 v11, v7 :: v_dual_mov_b32 v10, v6
	s_branch .LBB38_3
.LBB38_9:
	s_clause 0x1
	s_load_b32 s14, s[0:1], 0x350
	s_load_b64 s[10:11], s[0:1], 0xd0
	v_dual_mov_b32 v8, 0 :: v_dual_mov_b32 v15, v5
	v_dual_mov_b32 v9, 0 :: v_dual_mov_b32 v14, v4
	s_add_nc_u64 s[12:13], s[0:1], 0x368
	s_wait_kmcnt 0x0
	s_cmp_lt_i32 s14, 2
	s_cbranch_scc1 .LBB38_17
; %bb.10:
	s_add_co_i32 s2, s14, -1
	s_mov_b32 s3, 0
	v_dual_mov_b32 v8, 0 :: v_dual_mov_b32 v13, v5
	s_wait_alu 0xfffe
	s_lshl_b64 s[16:17], s[2:3], 3
	v_dual_mov_b32 v9, 0 :: v_dual_mov_b32 v10, 0
	v_mov_b32_e32 v12, v4
	s_wait_alu 0xfffe
	s_add_nc_u64 s[16:17], s[0:1], s[16:17]
	s_add_co_i32 s18, s14, 1
	s_wait_alu 0xfffe
	s_add_nc_u64 s[14:15], s[16:17], 0x1c0
.LBB38_11:                              ; =>This Inner Loop Header: Depth=1
	s_load_b64 s[16:17], s[14:15], 0x0
                                        ; implicit-def: $vgpr14_vgpr15
	s_mov_b32 s2, exec_lo
	s_wait_kmcnt 0x0
	v_or_b32_e32 v11, s17, v13
	s_delay_alu instid0(VALU_DEP_1)
	v_cmpx_ne_u64_e32 0, v[10:11]
	s_wait_alu 0xfffe
	s_xor_b32 s19, exec_lo, s2
	s_cbranch_execz .LBB38_13
; %bb.12:                               ;   in Loop: Header=BB38_11 Depth=1
	s_cvt_f32_u32 s2, s16
	s_cvt_f32_u32 s20, s17
	s_sub_nc_u64 s[22:23], 0, s[16:17]
	s_wait_alu 0xfffe
	s_delay_alu instid0(SALU_CYCLE_1) | instskip(SKIP_1) | instid1(SALU_CYCLE_2)
	s_fmamk_f32 s2, s20, 0x4f800000, s2
	s_wait_alu 0xfffe
	v_s_rcp_f32 s2, s2
	s_delay_alu instid0(TRANS32_DEP_1) | instskip(SKIP_1) | instid1(SALU_CYCLE_2)
	s_mul_f32 s2, s2, 0x5f7ffffc
	s_wait_alu 0xfffe
	s_mul_f32 s20, s2, 0x2f800000
	s_wait_alu 0xfffe
	s_delay_alu instid0(SALU_CYCLE_2) | instskip(SKIP_1) | instid1(SALU_CYCLE_2)
	s_trunc_f32 s20, s20
	s_wait_alu 0xfffe
	s_fmamk_f32 s2, s20, 0xcf800000, s2
	s_cvt_u32_f32 s21, s20
	s_wait_alu 0xfffe
	s_delay_alu instid0(SALU_CYCLE_1) | instskip(SKIP_1) | instid1(SALU_CYCLE_2)
	s_cvt_u32_f32 s20, s2
	s_wait_alu 0xfffe
	s_mul_u64 s[24:25], s[22:23], s[20:21]
	s_delay_alu instid0(SALU_CYCLE_1)
	s_mul_hi_u32 s27, s20, s25
	s_mul_i32 s26, s20, s25
	s_mul_hi_u32 s2, s20, s24
	s_mul_i32 s29, s21, s24
	s_wait_alu 0xfffe
	s_add_nc_u64 s[26:27], s[2:3], s[26:27]
	s_mul_hi_u32 s28, s21, s24
	s_mul_hi_u32 s30, s21, s25
	s_add_co_u32 s2, s26, s29
	s_add_co_ci_u32 s2, s27, s28
	s_mul_i32 s24, s21, s25
	s_add_co_ci_u32 s25, s30, 0
	s_wait_alu 0xfffe
	s_add_nc_u64 s[24:25], s[2:3], s[24:25]
	s_delay_alu instid0(SALU_CYCLE_1)
	s_add_co_u32 s20, s20, s24
	s_cselect_b32 s2, -1, 0
	s_wait_alu 0xfffe
	s_cmp_lg_u32 s2, 0
	s_add_co_ci_u32 s21, s21, s25
	s_wait_alu 0xfffe
	s_mul_u64 s[22:23], s[22:23], s[20:21]
	s_delay_alu instid0(SALU_CYCLE_1)
	s_mul_hi_u32 s25, s20, s23
	s_mul_i32 s24, s20, s23
	s_mul_hi_u32 s2, s20, s22
	s_mul_i32 s27, s21, s22
	s_wait_alu 0xfffe
	s_add_nc_u64 s[24:25], s[2:3], s[24:25]
	s_mul_hi_u32 s26, s21, s22
	s_mul_hi_u32 s28, s21, s23
	s_add_co_u32 s2, s24, s27
	s_add_co_ci_u32 s2, s25, s26
	s_mul_i32 s22, s21, s23
	s_add_co_ci_u32 s23, s28, 0
	s_wait_alu 0xfffe
	s_add_nc_u64 s[22:23], s[2:3], s[22:23]
	s_delay_alu instid0(SALU_CYCLE_1)
	s_add_co_u32 s2, s20, s22
	s_cselect_b32 s20, -1, 0
	s_wait_alu 0xfffe
	v_mul_hi_u32 v1, v12, s2
	s_cmp_lg_u32 s20, 0
	v_mad_co_u64_u32 v[17:18], null, v13, s2, 0
	s_add_co_ci_u32 s20, s21, s23
	s_wait_alu 0xfffe
	v_mad_co_u64_u32 v[14:15], null, v12, s20, 0
	v_mad_co_u64_u32 v[19:20], null, v13, s20, 0
	s_delay_alu instid0(VALU_DEP_2) | instskip(SKIP_1) | instid1(VALU_DEP_3)
	v_add_co_u32 v1, vcc_lo, v1, v14
	s_wait_alu 0xfffd
	v_add_co_ci_u32_e64 v11, null, 0, v15, vcc_lo
	s_delay_alu instid0(VALU_DEP_2) | instskip(SKIP_1) | instid1(VALU_DEP_2)
	v_add_co_u32 v1, vcc_lo, v1, v17
	s_wait_alu 0xfffd
	v_add_co_ci_u32_e32 v1, vcc_lo, v11, v18, vcc_lo
	s_wait_alu 0xfffd
	v_add_co_ci_u32_e32 v11, vcc_lo, 0, v20, vcc_lo
	s_delay_alu instid0(VALU_DEP_2) | instskip(SKIP_1) | instid1(VALU_DEP_2)
	v_add_co_u32 v1, vcc_lo, v1, v19
	s_wait_alu 0xfffd
	v_add_co_ci_u32_e64 v11, null, 0, v11, vcc_lo
	s_delay_alu instid0(VALU_DEP_2) | instskip(SKIP_1) | instid1(VALU_DEP_3)
	v_mul_lo_u32 v17, s17, v1
	v_mad_co_u64_u32 v[14:15], null, s16, v1, 0
	v_mul_lo_u32 v18, s16, v11
	s_delay_alu instid0(VALU_DEP_2) | instskip(NEXT) | instid1(VALU_DEP_2)
	v_sub_co_u32 v14, vcc_lo, v12, v14
	v_add3_u32 v15, v15, v18, v17
	v_add_co_u32 v18, s2, v1, 2
	s_wait_alu 0xf1ff
	v_add_co_ci_u32_e64 v19, null, 0, v11, s2
	s_delay_alu instid0(VALU_DEP_3) | instskip(SKIP_3) | instid1(VALU_DEP_3)
	v_sub_nc_u32_e32 v17, v13, v15
	v_sub_co_u32 v20, s2, v14, s16
	s_wait_alu 0xfffd
	v_sub_co_ci_u32_e64 v15, null, v13, v15, vcc_lo
	v_subrev_co_ci_u32_e64 v17, null, s17, v17, vcc_lo
	s_delay_alu instid0(VALU_DEP_3) | instskip(SKIP_1) | instid1(VALU_DEP_2)
	v_cmp_le_u32_e32 vcc_lo, s16, v20
	s_wait_alu 0xf1ff
	v_subrev_co_ci_u32_e64 v17, null, 0, v17, s2
	s_wait_alu 0xfffd
	v_cndmask_b32_e64 v20, 0, -1, vcc_lo
	v_cmp_eq_u32_e64 s2, s17, v15
	s_delay_alu instid0(VALU_DEP_3)
	v_cmp_le_u32_e32 vcc_lo, s17, v17
	s_wait_alu 0xfffd
	v_cndmask_b32_e64 v21, 0, -1, vcc_lo
	v_cmp_le_u32_e32 vcc_lo, s16, v14
	s_wait_alu 0xfffd
	v_cndmask_b32_e64 v14, 0, -1, vcc_lo
	v_cmp_le_u32_e32 vcc_lo, s17, v15
	s_wait_alu 0xfffd
	v_cndmask_b32_e64 v22, 0, -1, vcc_lo
	v_cmp_eq_u32_e32 vcc_lo, s17, v17
	s_wait_alu 0xf1ff
	s_delay_alu instid0(VALU_DEP_2)
	v_cndmask_b32_e64 v14, v22, v14, s2
	s_wait_alu 0xfffd
	v_cndmask_b32_e32 v17, v21, v20, vcc_lo
	v_add_co_u32 v20, vcc_lo, v1, 1
	s_wait_alu 0xfffd
	v_add_co_ci_u32_e64 v21, null, 0, v11, vcc_lo
	s_delay_alu instid0(VALU_DEP_3) | instskip(SKIP_1) | instid1(VALU_DEP_2)
	v_cmp_ne_u32_e32 vcc_lo, 0, v17
	s_wait_alu 0xfffd
	v_cndmask_b32_e32 v15, v21, v19, vcc_lo
	v_cndmask_b32_e32 v17, v20, v18, vcc_lo
	v_cmp_ne_u32_e32 vcc_lo, 0, v14
	s_wait_alu 0xfffd
	s_delay_alu instid0(VALU_DEP_2)
	v_dual_cndmask_b32 v15, v11, v15 :: v_dual_cndmask_b32 v14, v1, v17
.LBB38_13:                              ;   in Loop: Header=BB38_11 Depth=1
	s_wait_alu 0xfffe
	s_and_not1_saveexec_b32 s2, s19
	s_cbranch_execz .LBB38_15
; %bb.14:                               ;   in Loop: Header=BB38_11 Depth=1
	v_cvt_f32_u32_e32 v1, s16
	s_sub_co_i32 s19, 0, s16
	s_delay_alu instid0(VALU_DEP_1) | instskip(NEXT) | instid1(TRANS32_DEP_1)
	v_rcp_iflag_f32_e32 v1, v1
	v_mul_f32_e32 v1, 0x4f7ffffe, v1
	s_delay_alu instid0(VALU_DEP_1) | instskip(SKIP_1) | instid1(VALU_DEP_1)
	v_cvt_u32_f32_e32 v1, v1
	s_wait_alu 0xfffe
	v_mul_lo_u32 v11, s19, v1
	s_delay_alu instid0(VALU_DEP_1) | instskip(NEXT) | instid1(VALU_DEP_1)
	v_mul_hi_u32 v11, v1, v11
	v_add_nc_u32_e32 v1, v1, v11
	s_delay_alu instid0(VALU_DEP_1) | instskip(NEXT) | instid1(VALU_DEP_1)
	v_mul_hi_u32 v1, v12, v1
	v_mul_lo_u32 v11, v1, s16
	s_delay_alu instid0(VALU_DEP_1) | instskip(NEXT) | instid1(VALU_DEP_1)
	v_sub_nc_u32_e32 v11, v12, v11
	v_subrev_nc_u32_e32 v15, s16, v11
	v_cmp_le_u32_e32 vcc_lo, s16, v11
	s_wait_alu 0xfffd
	s_delay_alu instid0(VALU_DEP_2) | instskip(NEXT) | instid1(VALU_DEP_1)
	v_dual_cndmask_b32 v11, v11, v15 :: v_dual_add_nc_u32 v14, 1, v1
	v_cndmask_b32_e32 v1, v1, v14, vcc_lo
	v_mov_b32_e32 v15, v10
	s_delay_alu instid0(VALU_DEP_3) | instskip(NEXT) | instid1(VALU_DEP_3)
	v_cmp_le_u32_e32 vcc_lo, s16, v11
	v_add_nc_u32_e32 v14, 1, v1
	s_wait_alu 0xfffd
	s_delay_alu instid0(VALU_DEP_1)
	v_cndmask_b32_e32 v14, v1, v14, vcc_lo
.LBB38_15:                              ;   in Loop: Header=BB38_11 Depth=1
	s_wait_alu 0xfffe
	s_or_b32 exec_lo, exec_lo, s2
	s_load_b64 s[20:21], s[14:15], 0xc8
	v_mul_lo_u32 v1, v15, s16
	v_mul_lo_u32 v11, v14, s17
	v_mad_co_u64_u32 v[17:18], null, v14, s16, 0
	s_add_co_i32 s18, s18, -1
	s_add_nc_u64 s[14:15], s[14:15], -8
	s_wait_alu 0xfffe
	s_cmp_gt_u32 s18, 2
	v_add3_u32 v1, v18, v11, v1
	v_sub_co_u32 v11, vcc_lo, v12, v17
	s_wait_alu 0xfffd
	s_delay_alu instid0(VALU_DEP_2) | instskip(SKIP_1) | instid1(VALU_DEP_2)
	v_sub_co_ci_u32_e64 v1, null, v13, v1, vcc_lo
	s_wait_kmcnt 0x0
	v_mul_lo_u32 v12, s21, v11
	s_delay_alu instid0(VALU_DEP_2) | instskip(SKIP_1) | instid1(VALU_DEP_1)
	v_mul_lo_u32 v1, s20, v1
	v_mad_co_u64_u32 v[8:9], null, s20, v11, v[8:9]
	v_add3_u32 v9, v12, v9, v1
	s_cbranch_scc0 .LBB38_17
; %bb.16:                               ;   in Loop: Header=BB38_11 Depth=1
	v_dual_mov_b32 v12, v14 :: v_dual_mov_b32 v13, v15
	s_branch .LBB38_11
.LBB38_17:
	s_load_b64 s[2:3], s[0:1], 0x288
	v_mul_lo_u32 v17, s11, v6
	v_mul_lo_u32 v18, s10, v7
	v_mad_co_u64_u32 v[6:7], null, s10, v6, 0
	v_cmp_gt_u64_e32 vcc_lo, s[4:5], v[4:5]
	s_clause 0x2
	s_load_b64 s[10:11], s[0:1], 0x358
	s_load_b64 s[4:5], s[0:1], 0x0
	;; [unrolled: 1-line block ×3, first 2 shown]
	v_mov_b32_e32 v1, 0
	v_lshlrev_b64_e32 v[12:13], 1, v[2:3]
	v_and_b32_e32 v2, 0x3ff, v0
	v_add3_u32 v7, v7, v18, v17
	s_delay_alu instid0(VALU_DEP_4)
	v_mov_b32_e32 v3, v1
	s_wait_kmcnt 0x0
	v_mul_lo_u32 v4, s3, v14
	v_mul_lo_u32 v5, s2, v15
	v_mad_co_u64_u32 v[10:11], null, s2, v14, 0
	s_load_b32 s2, s[12:13], 0xc
	v_lshlrev_b64_e32 v[14:15], 3, v[8:9]
	v_lshlrev_b64_e32 v[8:9], 1, v[6:7]
	v_mov_b32_e32 v6, 0
	v_mov_b32_e32 v7, 0
	v_add3_u32 v11, v11, v5, v4
	v_mov_b32_e32 v4, 0
	v_add_co_u32 v0, s1, s4, v8
	s_delay_alu instid0(VALU_DEP_1) | instskip(NEXT) | instid1(VALU_DEP_4)
	v_add_co_ci_u32_e64 v8, null, s5, v9, s1
	v_lshlrev_b64_e32 v[10:11], 3, v[10:11]
	v_cmp_gt_u64_e64 s0, s[6:7], v[2:3]
	v_mov_b32_e32 v5, 0
	s_delay_alu instid0(VALU_DEP_3) | instskip(SKIP_1) | instid1(VALU_DEP_4)
	v_add_co_u32 v9, s1, s14, v10
	s_wait_alu 0xf1ff
	v_add_co_ci_u32_e64 v10, null, s15, v11, s1
	v_add_co_u32 v3, s1, v0, v12
	s_wait_alu 0xf1ff
	v_add_co_ci_u32_e64 v8, null, v8, v13, s1
	;; [unrolled: 3-line block ×3, first 2 shown]
	v_mov_b32_e32 v14, 0
	s_and_b32 s4, vcc_lo, s0
	s_wait_alu 0xfffe
	s_and_saveexec_b32 s3, s4
	s_cbranch_execz .LBB38_19
; %bb.18:
	v_mad_co_u64_u32 v[6:7], null, s8, v2, 0
	v_mad_co_u64_u32 v[11:12], null, s10, v2, 0
	s_delay_alu instid0(VALU_DEP_1) | instskip(NEXT) | instid1(VALU_DEP_1)
	v_dual_mov_b32 v0, v7 :: v_dual_mov_b32 v7, v12
	v_mad_co_u64_u32 v[12:13], null, s9, v2, v[0:1]
	s_delay_alu instid0(VALU_DEP_2) | instskip(NEXT) | instid1(VALU_DEP_1)
	v_mad_co_u64_u32 v[13:14], null, s11, v2, v[7:8]
	v_dual_mov_b32 v7, v12 :: v_dual_mov_b32 v12, v13
	s_delay_alu instid0(VALU_DEP_1) | instskip(NEXT) | instid1(VALU_DEP_2)
	v_lshlrev_b64_e32 v[6:7], 1, v[6:7]
	v_lshlrev_b64_e32 v[11:12], 3, v[11:12]
	s_delay_alu instid0(VALU_DEP_2) | instskip(SKIP_1) | instid1(VALU_DEP_3)
	v_add_co_u32 v6, s1, v3, v6
	s_wait_alu 0xf1ff
	v_add_co_ci_u32_e64 v7, null, v8, v7, s1
	s_delay_alu instid0(VALU_DEP_3)
	v_add_co_u32 v11, s1, v9, v11
	s_wait_alu 0xf1ff
	v_add_co_ci_u32_e64 v12, null, v10, v12, s1
	global_load_u16 v14, v[6:7], off
	global_load_b64 v[6:7], v[11:12], off
.LBB38_19:
	s_wait_alu 0xfffe
	s_or_b32 exec_lo, exec_lo, s3
	s_wait_kmcnt 0x0
	s_and_b32 s3, 0xffff, s2
	v_lshl_add_u32 v15, v16, 6, 0x1000
	s_wait_alu 0xfffe
	v_add_nc_u32_e32 v0, s3, v2
	v_lshlrev_b32_e32 v13, 8, v16
	v_lshl_add_u32 v16, v16, 5, 0x1400
	v_cndmask_b32_e64 v17, 0, 1, s4
	v_lshl_add_u32 v11, v2, 1, v15
	v_cmp_gt_u64_e64 s1, s[6:7], v[0:1]
	v_lshl_add_u32 v12, v2, 3, v13
	v_add_nc_u32_e32 v18, v16, v2
	s_wait_loadcnt 0x1
	ds_store_b16 v11, v14
	s_wait_loadcnt 0x0
	ds_store_b64 v12, v[6:7]
	ds_store_b8 v18, v17
	s_and_b32 s4, vcc_lo, s1
	s_wait_alu 0xfffe
	s_and_saveexec_b32 s5, s4
	s_cbranch_execz .LBB38_21
; %bb.20:
	v_mad_co_u64_u32 v[4:5], null, s8, v0, 0
	v_mad_co_u64_u32 v[6:7], null, s10, v0, 0
	s_delay_alu instid0(VALU_DEP_2) | instskip(NEXT) | instid1(VALU_DEP_2)
	v_mov_b32_e32 v1, v5
	v_mov_b32_e32 v5, v7
	s_delay_alu instid0(VALU_DEP_2) | instskip(NEXT) | instid1(VALU_DEP_2)
	v_mad_co_u64_u32 v[17:18], null, s9, v0, v[1:2]
	v_mad_co_u64_u32 v[18:19], null, s11, v0, v[5:6]
	s_delay_alu instid0(VALU_DEP_2) | instskip(NEXT) | instid1(VALU_DEP_2)
	v_mov_b32_e32 v5, v17
	v_mov_b32_e32 v7, v18
	s_delay_alu instid0(VALU_DEP_2) | instskip(NEXT) | instid1(VALU_DEP_2)
	v_lshlrev_b64_e32 v[4:5], 1, v[4:5]
	v_lshlrev_b64_e32 v[6:7], 3, v[6:7]
	s_delay_alu instid0(VALU_DEP_2) | instskip(SKIP_1) | instid1(VALU_DEP_3)
	v_add_co_u32 v4, s2, v3, v4
	s_wait_alu 0xf1ff
	v_add_co_ci_u32_e64 v5, null, v8, v5, s2
	s_delay_alu instid0(VALU_DEP_3)
	v_add_co_u32 v6, s2, v9, v6
	s_wait_alu 0xf1ff
	v_add_co_ci_u32_e64 v7, null, v10, v7, s2
	global_load_u16 v1, v[4:5], off
	global_load_b64 v[4:5], v[6:7], off
.LBB38_21:
	s_wait_alu 0xfffe
	s_or_b32 exec_lo, exec_lo, s5
	v_lshl_add_u32 v6, s3, 1, v11
	v_lshlrev_b32_e32 v18, 1, v2
	v_lshl_add_u32 v7, s3, 3, v12
	v_cndmask_b32_e64 v14, 0, 1, s4
	v_add_nc_u32_e32 v17, v16, v0
	s_wait_loadcnt 0x1
	ds_store_b16 v6, v1
	s_wait_loadcnt 0x0
	ds_store_b64 v7, v[4:5]
	ds_store_b8 v17, v14
	v_add_nc_u32_e32 v4, v11, v18
	v_add_nc_u32_e32 v1, v16, v18
	s_wait_dscnt 0x0
	s_barrier_signal -1
	s_barrier_wait -1
	global_inv scope:SCOPE_SE
	ds_load_b32 v20, v4
	ds_load_u16 v17, v1
	v_and_b32_e32 v5, 1, v2
	s_wait_dscnt 0x1
	v_lshrrev_b32_e32 v19, 16, v20
	s_wait_dscnt 0x0
	v_lshrrev_b16 v14, 8, v17
	v_and_b32_e32 v21, 1, v17
	s_delay_alu instid0(VALU_DEP_3) | instskip(NEXT) | instid1(VALU_DEP_3)
	v_cmp_lt_i16_e64 s2, v20, v19
	v_cmp_ne_u16_e64 s4, v14, v5
	s_delay_alu instid0(VALU_DEP_3) | instskip(SKIP_1) | instid1(VALU_DEP_2)
	v_cmp_eq_u32_e64 s3, 1, v21
	s_wait_alu 0xf1ff
	v_cndmask_b32_e64 v19, 0, 1, s4
	s_and_b32 s2, s2, s3
	s_wait_alu 0xfffe
	s_delay_alu instid0(VALU_DEP_1) | instskip(NEXT) | instid1(VALU_DEP_1)
	v_cndmask_b32_e64 v19, v19, v2, s2
	v_and_b32_e32 v19, 1, v19
	s_delay_alu instid0(VALU_DEP_1)
	v_cmp_eq_u32_e64 s2, 1, v19
	v_lshl_add_u32 v19, v2, 3, v12
	s_and_saveexec_b32 s3, s2
	s_wait_alu 0xfffe
	s_xor_b32 s2, exec_lo, s3
	s_cbranch_execz .LBB38_23
; %bb.22:
	ds_load_b128 v[21:24], v19
	v_lshlrev_b16 v17, 8, v17
	v_alignbit_b32 v20, v20, v20, 16
	s_delay_alu instid0(VALU_DEP_2)
	v_or_b32_e32 v14, v14, v17
	s_wait_dscnt 0x0
	v_dual_mov_b32 v25, v21 :: v_dual_mov_b32 v26, v22
	ds_store_b32 v4, v20
	ds_store_b128 v19, v[23:26]
	ds_store_b16 v1, v14
.LBB38_23:
	s_wait_alu 0xfffe
	s_or_b32 exec_lo, exec_lo, s2
	v_sub_nc_u32_e32 v17, v18, v5
	s_wait_loadcnt_dscnt 0x0
	s_barrier_signal -1
	s_barrier_wait -1
	global_inv scope:SCOPE_SE
	v_add_nc_u32_e32 v5, v16, v17
	v_lshl_add_u32 v14, v17, 1, v15
	v_bfe_u32 v25, v2, 1, 1
	v_lshl_add_u32 v17, v17, 3, v13
	ds_load_u8 v20, v5
	ds_load_u16 v21, v14
	ds_load_u16 v24, v14 offset:4
	ds_load_u8 v22, v5 offset:2
	s_wait_dscnt 0x3
	v_and_b32_e32 v23, 1, v20
	s_wait_dscnt 0x1
	v_cmp_lt_i16_e64 s2, v21, v24
	s_wait_dscnt 0x0
	v_cmp_ne_u16_e64 s4, v22, v25
	v_cmp_eq_u32_e64 s3, 1, v23
	s_wait_alu 0xf1ff
	s_delay_alu instid0(VALU_DEP_2) | instskip(SKIP_2) | instid1(VALU_DEP_1)
	v_cndmask_b32_e64 v23, 0, 1, s4
	s_and_b32 s2, s2, s3
	s_wait_alu 0xfffe
	v_cndmask_b32_e64 v25, v23, v25, s2
	v_and_b32_e32 v23, 2, v2
	s_delay_alu instid0(VALU_DEP_2) | instskip(NEXT) | instid1(VALU_DEP_2)
	v_and_b32_e32 v25, 1, v25
	v_cmp_ne_u32_e64 s2, 0, v23
	s_delay_alu instid0(VALU_DEP_2)
	v_cmp_eq_u32_e64 s3, 1, v25
	s_and_saveexec_b32 s4, s3
	s_wait_alu 0xfffe
	s_xor_b32 s3, exec_lo, s4
	s_cbranch_execz .LBB38_25
; %bb.24:
	ds_load_2addr_b64 v[25:28], v17 offset1:2
	s_wait_dscnt 0x0
	ds_store_2addr_b64 v17, v[27:28], v[25:26] offset1:2
	ds_store_b16 v14, v24
	ds_store_b16 v14, v21 offset:4
	ds_store_b8 v5, v22
	ds_store_b8 v5, v20 offset:2
.LBB38_25:
	s_wait_alu 0xfffe
	s_or_b32 exec_lo, exec_lo, s3
	s_wait_loadcnt_dscnt 0x0
	s_barrier_signal -1
	s_barrier_wait -1
	global_inv scope:SCOPE_SE
	ds_load_b32 v22, v4
	ds_load_u16 v21, v1
	v_lshrrev_b32_e32 v23, 1, v23
	v_cndmask_b32_e64 v26, 0, 1, s2
	s_wait_dscnt 0x1
	v_lshrrev_b32_e32 v24, 16, v22
	s_wait_dscnt 0x0
	v_lshrrev_b16 v20, 8, v21
	v_and_b32_e32 v25, 1, v21
	s_delay_alu instid0(VALU_DEP_3) | instskip(NEXT) | instid1(VALU_DEP_3)
	v_cmp_lt_i16_e64 s2, v22, v24
	v_cmp_ne_u16_e64 s4, v20, v23
	s_delay_alu instid0(VALU_DEP_3) | instskip(SKIP_1) | instid1(VALU_DEP_2)
	v_cmp_eq_u32_e64 s3, 1, v25
	s_wait_alu 0xf1ff
	v_cndmask_b32_e64 v23, 0, 1, s4
	s_and_b32 s2, s2, s3
	s_mov_b32 s3, exec_lo
	s_wait_alu 0xfffe
	s_delay_alu instid0(VALU_DEP_1) | instskip(NEXT) | instid1(VALU_DEP_1)
	v_cndmask_b32_e64 v23, v23, v26, s2
	v_and_b32_e32 v23, 1, v23
	s_delay_alu instid0(VALU_DEP_1)
	v_cmpx_eq_u32_e32 1, v23
	s_cbranch_execz .LBB38_27
; %bb.26:
	ds_load_b128 v[23:26], v19
	v_lshlrev_b16 v28, 8, v21
	v_alignbit_b32 v27, v22, v22, 16
	s_delay_alu instid0(VALU_DEP_2)
	v_or_b32_e32 v20, v20, v28
	s_wait_dscnt 0x0
	v_dual_mov_b32 v21, v25 :: v_dual_mov_b32 v22, v26
	ds_store_b32 v4, v27
	ds_store_b128 v19, v[21:24]
	ds_store_b16 v1, v20
.LBB38_27:
	s_or_b32 exec_lo, exec_lo, s3
	v_and_b32_e32 v19, 3, v2
	s_wait_loadcnt_dscnt 0x0
	s_barrier_signal -1
	s_barrier_wait -1
	global_inv scope:SCOPE_SE
	v_sub_nc_u32_e32 v22, v18, v19
	v_bfe_u32 v27, v2, 2, 1
	s_delay_alu instid0(VALU_DEP_2)
	v_add_nc_u32_e32 v19, v16, v22
	v_lshl_add_u32 v20, v22, 1, v15
	v_lshl_add_u32 v22, v22, 3, v13
	ds_load_u8 v23, v19
	ds_load_u16 v24, v20
	ds_load_u16 v26, v20 offset:8
	ds_load_u8 v25, v19 offset:4
	s_wait_dscnt 0x3
	v_and_b32_e32 v21, 1, v23
	s_wait_dscnt 0x1
	v_cmp_lt_i16_e64 s2, v24, v26
	s_wait_dscnt 0x0
	v_cmp_ne_u16_e64 s4, v25, v27
	v_cmp_eq_u32_e64 s3, 1, v21
	s_wait_alu 0xf1ff
	s_delay_alu instid0(VALU_DEP_2) | instskip(SKIP_3) | instid1(VALU_DEP_1)
	v_cndmask_b32_e64 v21, 0, 1, s4
	s_mov_b32 s4, exec_lo
	s_and_b32 s2, s2, s3
	s_wait_alu 0xfffe
	v_cndmask_b32_e64 v27, v21, v27, s2
	v_and_b32_e32 v21, 4, v2
	s_delay_alu instid0(VALU_DEP_2) | instskip(NEXT) | instid1(VALU_DEP_2)
	v_and_b32_e32 v27, 1, v27
	v_cmp_ne_u32_e64 s2, 0, v21
	s_delay_alu instid0(VALU_DEP_2)
	v_cmpx_eq_u32_e32 1, v27
	s_cbranch_execz .LBB38_29
; %bb.28:
	ds_load_2addr_b64 v[27:30], v22 offset1:4
	s_wait_dscnt 0x0
	ds_store_2addr_b64 v22, v[29:30], v[27:28] offset1:4
	ds_store_b16 v20, v26
	ds_store_b16 v20, v24 offset:8
	ds_store_b8 v19, v25
	ds_store_b8 v19, v23 offset:4
.LBB38_29:
	s_or_b32 exec_lo, exec_lo, s4
	s_wait_loadcnt_dscnt 0x0
	s_barrier_signal -1
	s_barrier_wait -1
	global_inv scope:SCOPE_SE
	ds_load_u8 v24, v5
	ds_load_u16 v25, v14
	ds_load_u16 v27, v14 offset:4
	ds_load_u8 v26, v5 offset:2
	v_lshrrev_b32_e32 v21, 2, v21
	v_cndmask_b32_e64 v23, 0, 1, s2
	s_wait_dscnt 0x3
	v_and_b32_e32 v28, 1, v24
	s_wait_dscnt 0x1
	v_cmp_lt_i16_e64 s2, v25, v27
	s_wait_dscnt 0x0
	v_cmp_ne_u16_e64 s4, v26, v21
	v_cmp_eq_u32_e64 s3, 1, v28
	s_wait_alu 0xf1ff
	s_delay_alu instid0(VALU_DEP_2) | instskip(SKIP_3) | instid1(VALU_DEP_1)
	v_cndmask_b32_e64 v28, 0, 1, s4
	s_and_b32 s2, s2, s3
	s_mov_b32 s3, exec_lo
	s_wait_alu 0xfffe
	v_cndmask_b32_e64 v28, v28, v23, s2
	s_delay_alu instid0(VALU_DEP_1) | instskip(NEXT) | instid1(VALU_DEP_1)
	v_and_b32_e32 v28, 1, v28
	v_cmpx_eq_u32_e32 1, v28
	s_cbranch_execz .LBB38_31
; %bb.30:
	ds_load_2addr_b64 v[28:31], v17 offset1:2
	s_wait_dscnt 0x0
	ds_store_2addr_b64 v17, v[30:31], v[28:29] offset1:2
	ds_store_b16 v14, v27
	ds_store_b16 v14, v25 offset:4
	ds_store_b8 v5, v26
	ds_store_b8 v5, v24 offset:2
.LBB38_31:
	s_or_b32 exec_lo, exec_lo, s3
	s_wait_loadcnt_dscnt 0x0
	s_barrier_signal -1
	s_barrier_wait -1
	global_inv scope:SCOPE_SE
	ds_load_b32 v26, v4
	ds_load_u16 v25, v1
	s_wait_dscnt 0x1
	v_lshrrev_b32_e32 v27, 16, v26
	s_wait_dscnt 0x0
	v_lshrrev_b16 v24, 8, v25
	v_and_b32_e32 v28, 1, v25
	s_delay_alu instid0(VALU_DEP_3) | instskip(NEXT) | instid1(VALU_DEP_3)
	v_cmp_lt_i16_e64 s2, v26, v27
	v_cmp_ne_u16_e64 s4, v24, v21
	s_delay_alu instid0(VALU_DEP_3) | instskip(SKIP_1) | instid1(VALU_DEP_2)
	v_cmp_eq_u32_e64 s3, 1, v28
	s_wait_alu 0xf1ff
	v_cndmask_b32_e64 v21, 0, 1, s4
	s_and_b32 s2, s2, s3
	s_wait_alu 0xfffe
	s_delay_alu instid0(VALU_DEP_1) | instskip(NEXT) | instid1(VALU_DEP_1)
	v_cndmask_b32_e64 v21, v21, v23, s2
	v_and_b32_e32 v21, 1, v21
	s_delay_alu instid0(VALU_DEP_1)
	v_cmp_eq_u32_e64 s2, 1, v21
	v_lshl_add_u32 v21, v18, 3, v13
	s_and_saveexec_b32 s3, s2
	s_cbranch_execz .LBB38_33
; %bb.32:
	ds_load_b128 v[27:30], v21
	v_lshlrev_b16 v31, 8, v25
	v_alignbit_b32 v23, v26, v26, 16
	s_delay_alu instid0(VALU_DEP_2)
	v_or_b32_e32 v24, v24, v31
	s_wait_dscnt 0x0
	v_dual_mov_b32 v25, v29 :: v_dual_mov_b32 v26, v30
	ds_store_b32 v4, v23
	ds_store_b128 v21, v[25:28]
	ds_store_b16 v1, v24
.LBB38_33:
	s_wait_alu 0xfffe
	s_or_b32 exec_lo, exec_lo, s3
	v_and_b32_e32 v23, 7, v2
	s_wait_loadcnt_dscnt 0x0
	s_barrier_signal -1
	s_barrier_wait -1
	global_inv scope:SCOPE_SE
	v_sub_nc_u32_e32 v25, v18, v23
	v_bfe_u32 v31, v2, 3, 1
	s_delay_alu instid0(VALU_DEP_2)
	v_add_nc_u32_e32 v23, v16, v25
	v_lshl_add_u32 v24, v25, 1, v15
	v_lshl_add_u32 v25, v25, 3, v13
	ds_load_u8 v27, v23
	ds_load_u16 v28, v24
	ds_load_u16 v30, v24 offset:16
	ds_load_u8 v29, v23 offset:8
	s_wait_dscnt 0x3
	v_and_b32_e32 v26, 1, v27
	s_wait_dscnt 0x1
	v_cmp_lt_i16_e64 s2, v28, v30
	s_wait_dscnt 0x0
	v_cmp_ne_u16_e64 s4, v29, v31
	v_cmp_eq_u32_e64 s3, 1, v26
	s_wait_alu 0xf1ff
	s_delay_alu instid0(VALU_DEP_2) | instskip(SKIP_3) | instid1(VALU_DEP_1)
	v_cndmask_b32_e64 v26, 0, 1, s4
	s_mov_b32 s4, exec_lo
	s_and_b32 s2, s2, s3
	s_wait_alu 0xfffe
	v_cndmask_b32_e64 v31, v26, v31, s2
	v_and_b32_e32 v26, 8, v2
	s_delay_alu instid0(VALU_DEP_2) | instskip(NEXT) | instid1(VALU_DEP_2)
	v_and_b32_e32 v31, 1, v31
	v_cmp_ne_u32_e64 s2, 0, v26
	s_delay_alu instid0(VALU_DEP_2)
	v_cmpx_eq_u32_e32 1, v31
	s_cbranch_execz .LBB38_35
; %bb.34:
	ds_load_2addr_b64 v[31:34], v25 offset1:8
	s_wait_dscnt 0x0
	ds_store_2addr_b64 v25, v[33:34], v[31:32] offset1:8
	ds_store_b16 v24, v30
	ds_store_b16 v24, v28 offset:16
	ds_store_b8 v23, v29
	ds_store_b8 v23, v27 offset:8
.LBB38_35:
	s_or_b32 exec_lo, exec_lo, s4
	s_wait_loadcnt_dscnt 0x0
	s_barrier_signal -1
	s_barrier_wait -1
	global_inv scope:SCOPE_SE
	ds_load_u8 v28, v19
	ds_load_u16 v29, v20
	ds_load_u16 v31, v20 offset:8
	ds_load_u8 v30, v19 offset:4
	v_lshrrev_b32_e32 v26, 3, v26
	v_cndmask_b32_e64 v27, 0, 1, s2
	s_wait_dscnt 0x3
	v_and_b32_e32 v32, 1, v28
	s_wait_dscnt 0x1
	v_cmp_lt_i16_e64 s2, v29, v31
	s_wait_dscnt 0x0
	v_cmp_ne_u16_e64 s4, v30, v26
	v_cmp_eq_u32_e64 s3, 1, v32
	s_wait_alu 0xf1ff
	s_delay_alu instid0(VALU_DEP_2) | instskip(SKIP_3) | instid1(VALU_DEP_1)
	v_cndmask_b32_e64 v32, 0, 1, s4
	s_and_b32 s2, s2, s3
	s_mov_b32 s3, exec_lo
	s_wait_alu 0xfffe
	v_cndmask_b32_e64 v32, v32, v27, s2
	s_delay_alu instid0(VALU_DEP_1) | instskip(NEXT) | instid1(VALU_DEP_1)
	v_and_b32_e32 v32, 1, v32
	v_cmpx_eq_u32_e32 1, v32
	s_cbranch_execz .LBB38_37
; %bb.36:
	ds_load_2addr_b64 v[32:35], v22 offset1:4
	s_wait_dscnt 0x0
	ds_store_2addr_b64 v22, v[34:35], v[32:33] offset1:4
	ds_store_b16 v20, v31
	ds_store_b16 v20, v29 offset:8
	ds_store_b8 v19, v30
	ds_store_b8 v19, v28 offset:4
.LBB38_37:
	s_or_b32 exec_lo, exec_lo, s3
	s_wait_loadcnt_dscnt 0x0
	s_barrier_signal -1
	s_barrier_wait -1
	global_inv scope:SCOPE_SE
	ds_load_u8 v28, v5
	ds_load_u16 v29, v14
	ds_load_u16 v31, v14 offset:4
	ds_load_u8 v30, v5 offset:2
	s_wait_dscnt 0x3
	v_and_b32_e32 v32, 1, v28
	s_wait_dscnt 0x1
	v_cmp_lt_i16_e64 s2, v29, v31
	s_wait_dscnt 0x0
	v_cmp_ne_u16_e64 s4, v30, v26
	v_cmp_eq_u32_e64 s3, 1, v32
	s_wait_alu 0xf1ff
	s_delay_alu instid0(VALU_DEP_2) | instskip(SKIP_3) | instid1(VALU_DEP_1)
	v_cndmask_b32_e64 v32, 0, 1, s4
	s_and_b32 s2, s2, s3
	s_mov_b32 s3, exec_lo
	s_wait_alu 0xfffe
	v_cndmask_b32_e64 v32, v32, v27, s2
	s_delay_alu instid0(VALU_DEP_1) | instskip(NEXT) | instid1(VALU_DEP_1)
	v_and_b32_e32 v32, 1, v32
	v_cmpx_eq_u32_e32 1, v32
	s_cbranch_execz .LBB38_39
; %bb.38:
	ds_load_2addr_b64 v[32:35], v17 offset1:2
	s_wait_dscnt 0x0
	ds_store_2addr_b64 v17, v[34:35], v[32:33] offset1:2
	ds_store_b16 v14, v31
	ds_store_b16 v14, v29 offset:4
	ds_store_b8 v5, v30
	ds_store_b8 v5, v28 offset:2
.LBB38_39:
	s_or_b32 exec_lo, exec_lo, s3
	s_wait_loadcnt_dscnt 0x0
	s_barrier_signal -1
	s_barrier_wait -1
	global_inv scope:SCOPE_SE
	ds_load_b32 v30, v4
	ds_load_u16 v29, v1
	s_wait_dscnt 0x1
	v_lshrrev_b32_e32 v31, 16, v30
	s_wait_dscnt 0x0
	v_lshrrev_b16 v28, 8, v29
	v_and_b32_e32 v32, 1, v29
	s_delay_alu instid0(VALU_DEP_3) | instskip(NEXT) | instid1(VALU_DEP_3)
	v_cmp_lt_i16_e64 s2, v30, v31
	v_cmp_ne_u16_e64 s4, v28, v26
	s_delay_alu instid0(VALU_DEP_3) | instskip(SKIP_1) | instid1(VALU_DEP_2)
	v_cmp_eq_u32_e64 s3, 1, v32
	s_wait_alu 0xf1ff
	v_cndmask_b32_e64 v26, 0, 1, s4
	s_and_b32 s2, s2, s3
	s_mov_b32 s3, exec_lo
	s_wait_alu 0xfffe
	s_delay_alu instid0(VALU_DEP_1) | instskip(NEXT) | instid1(VALU_DEP_1)
	v_cndmask_b32_e64 v26, v26, v27, s2
	v_and_b32_e32 v26, 1, v26
	s_delay_alu instid0(VALU_DEP_1)
	v_cmpx_eq_u32_e32 1, v26
	s_cbranch_execz .LBB38_41
; %bb.40:
	ds_load_b128 v[31:34], v21
	v_lshlrev_b16 v27, 8, v29
	v_alignbit_b32 v26, v30, v30, 16
	s_delay_alu instid0(VALU_DEP_2)
	v_or_b32_e32 v27, v28, v27
	s_wait_dscnt 0x0
	v_dual_mov_b32 v29, v33 :: v_dual_mov_b32 v30, v34
	ds_store_b32 v4, v26
	ds_store_b128 v21, v[29:32]
	ds_store_b16 v1, v27
.LBB38_41:
	s_or_b32 exec_lo, exec_lo, s3
	v_and_b32_e32 v26, 15, v2
	s_wait_loadcnt_dscnt 0x0
	s_barrier_signal -1
	s_barrier_wait -1
	global_inv scope:SCOPE_SE
	v_sub_nc_u32_e32 v18, v18, v26
	s_delay_alu instid0(VALU_DEP_1)
	v_add_nc_u32_e32 v16, v16, v18
	v_lshl_add_u32 v15, v18, 1, v15
	ds_load_u8 v26, v16
	ds_load_u8 v29, v16 offset:16
	ds_load_u16 v27, v15
	ds_load_u16 v28, v15 offset:32
	s_wait_dscnt 0x2
	v_and_b32_e32 v29, 0xff, v29
	v_and_b32_e32 v30, 1, v26
	s_wait_dscnt 0x0
	v_cmp_ge_i16_e64 s3, v27, v28
	s_delay_alu instid0(VALU_DEP_3) | instskip(NEXT) | instid1(VALU_DEP_3)
	v_cmp_ne_u16_e64 s4, 0, v29
	v_cmp_eq_u32_e64 s2, 1, v30
	s_xor_b32 s2, s2, -1
	s_wait_alu 0xfffe
	s_or_b32 s2, s3, s2
	s_wait_alu 0xfffe
	s_and_b32 s3, s2, s4
	s_wait_alu 0xfffe
	s_and_saveexec_b32 s2, s3
	s_cbranch_execz .LBB38_43
; %bb.42:
	v_lshl_add_u32 v13, v18, 3, v13
	v_mov_b32_e32 v18, 1
	ds_load_2addr_b64 v[29:32], v13 offset1:16
	s_wait_dscnt 0x0
	ds_store_2addr_b64 v13, v[31:32], v[29:30] offset1:16
	ds_store_b16 v15, v28
	ds_store_b16 v15, v27 offset:32
	ds_store_b8 v16, v18
	ds_store_b8 v16, v26 offset:16
.LBB38_43:
	s_wait_alu 0xfffe
	s_or_b32 exec_lo, exec_lo, s2
	s_wait_loadcnt_dscnt 0x0
	s_barrier_signal -1
	s_barrier_wait -1
	global_inv scope:SCOPE_SE
	ds_load_u8 v13, v23
	ds_load_u8 v18, v23 offset:8
	ds_load_u16 v15, v24
	ds_load_u16 v16, v24 offset:16
	s_wait_dscnt 0x3
	v_and_b32_e32 v26, 1, v13
	s_wait_dscnt 0x2
	v_and_b32_e32 v18, 0xff, v18
	s_wait_dscnt 0x0
	v_cmp_ge_i16_e64 s3, v15, v16
	v_cmp_eq_u32_e64 s2, 1, v26
	s_delay_alu instid0(VALU_DEP_3)
	v_cmp_ne_u16_e64 s4, 0, v18
	s_xor_b32 s2, s2, -1
	s_wait_alu 0xfffe
	s_or_b32 s2, s3, s2
	s_wait_alu 0xfffe
	s_and_b32 s3, s2, s4
	s_wait_alu 0xfffe
	s_and_saveexec_b32 s2, s3
	s_cbranch_execz .LBB38_45
; %bb.44:
	ds_load_2addr_b64 v[26:29], v25 offset1:8
	v_mov_b32_e32 v18, 1
	s_wait_dscnt 0x0
	ds_store_2addr_b64 v25, v[28:29], v[26:27] offset1:8
	ds_store_b16 v24, v16
	ds_store_b16 v24, v15 offset:16
	ds_store_b8 v23, v18
	ds_store_b8 v23, v13 offset:8
.LBB38_45:
	s_wait_alu 0xfffe
	s_or_b32 exec_lo, exec_lo, s2
	s_wait_loadcnt_dscnt 0x0
	s_barrier_signal -1
	s_barrier_wait -1
	global_inv scope:SCOPE_SE
	ds_load_u8 v13, v19
	ds_load_u8 v18, v19 offset:4
	ds_load_u16 v15, v20
	ds_load_u16 v16, v20 offset:8
	s_wait_dscnt 0x3
	v_and_b32_e32 v23, 1, v13
	s_wait_dscnt 0x2
	v_and_b32_e32 v18, 0xff, v18
	s_wait_dscnt 0x0
	v_cmp_ge_i16_e64 s3, v15, v16
	v_cmp_eq_u32_e64 s2, 1, v23
	s_delay_alu instid0(VALU_DEP_3)
	v_cmp_ne_u16_e64 s4, 0, v18
	s_xor_b32 s2, s2, -1
	s_wait_alu 0xfffe
	s_or_b32 s2, s3, s2
	s_wait_alu 0xfffe
	s_and_b32 s3, s2, s4
	s_wait_alu 0xfffe
	s_and_saveexec_b32 s2, s3
	s_cbranch_execz .LBB38_47
; %bb.46:
	ds_load_2addr_b64 v[23:26], v22 offset1:4
	v_mov_b32_e32 v18, 1
	s_wait_dscnt 0x0
	ds_store_2addr_b64 v22, v[25:26], v[23:24] offset1:4
	ds_store_b16 v20, v16
	ds_store_b16 v20, v15 offset:8
	ds_store_b8 v19, v18
	ds_store_b8 v19, v13 offset:4
.LBB38_47:
	;; [unrolled: 37-line block ×3, first 2 shown]
	s_wait_alu 0xfffe
	s_or_b32 exec_lo, exec_lo, s2
	s_wait_loadcnt_dscnt 0x0
	s_barrier_signal -1
	s_barrier_wait -1
	global_inv scope:SCOPE_SE
	ds_load_u16 v5, v1
	ds_load_b32 v13, v4
	s_wait_dscnt 0x1
	v_and_b32_e32 v14, 1, v5
	s_wait_dscnt 0x0
	v_lshrrev_b32_e32 v15, 16, v13
	v_lshrrev_b16 v16, 8, v5
	s_delay_alu instid0(VALU_DEP_3) | instskip(NEXT) | instid1(VALU_DEP_3)
	v_cmp_eq_u32_e64 s2, 1, v14
	v_cmp_ge_i16_e64 s3, v13, v15
	s_delay_alu instid0(VALU_DEP_3)
	v_cmp_ne_u16_e64 s4, 0, v16
	s_xor_b32 s2, s2, -1
	s_wait_alu 0xfffe
	s_or_b32 s2, s3, s2
	s_wait_alu 0xfffe
	s_and_b32 s3, s2, s4
	s_wait_alu 0xfffe
	s_and_saveexec_b32 s2, s3
	s_cbranch_execz .LBB38_51
; %bb.50:
	ds_load_b128 v[14:17], v21
	v_lshlrev_b16 v5, 8, v5
	v_alignbit_b32 v13, v13, v13, 16
	s_delay_alu instid0(VALU_DEP_2)
	v_or_b32_e32 v5, 1, v5
	s_wait_dscnt 0x0
	v_dual_mov_b32 v18, v14 :: v_dual_mov_b32 v19, v15
	ds_store_b32 v4, v13
	ds_store_b128 v21, v[16:19]
	ds_store_b16 v1, v5
.LBB38_51:
	s_wait_alu 0xfffe
	s_or_b32 exec_lo, exec_lo, s2
	s_wait_loadcnt_dscnt 0x0
	s_barrier_signal -1
	s_barrier_wait -1
	global_inv scope:SCOPE_SE
	s_and_saveexec_b32 s2, vcc_lo
	s_cbranch_execz .LBB38_56
; %bb.52:
	s_and_saveexec_b32 s2, s0
	s_cbranch_execz .LBB38_54
; %bb.53:
	v_mad_co_u64_u32 v[4:5], null, s8, v2, 0
	v_mad_co_u64_u32 v[13:14], null, s10, v2, 0
	s_delay_alu instid0(VALU_DEP_2) | instskip(NEXT) | instid1(VALU_DEP_2)
	v_mov_b32_e32 v1, v5
	v_mov_b32_e32 v5, v14
	s_delay_alu instid0(VALU_DEP_2) | instskip(NEXT) | instid1(VALU_DEP_2)
	v_mad_co_u64_u32 v[14:15], null, s9, v2, v[1:2]
	v_mad_co_u64_u32 v[1:2], null, s11, v2, v[5:6]
	ds_load_u16 v15, v11
	ds_load_b64 v[11:12], v12
	v_dual_mov_b32 v5, v14 :: v_dual_mov_b32 v14, v1
	s_delay_alu instid0(VALU_DEP_1) | instskip(NEXT) | instid1(VALU_DEP_2)
	v_lshlrev_b64_e32 v[1:2], 1, v[4:5]
	v_lshlrev_b64_e32 v[4:5], 3, v[13:14]
	s_delay_alu instid0(VALU_DEP_2) | instskip(SKIP_1) | instid1(VALU_DEP_3)
	v_add_co_u32 v1, vcc_lo, v3, v1
	s_wait_alu 0xfffd
	v_add_co_ci_u32_e64 v2, null, v8, v2, vcc_lo
	s_delay_alu instid0(VALU_DEP_3)
	v_add_co_u32 v4, vcc_lo, v9, v4
	s_wait_alu 0xfffd
	v_add_co_ci_u32_e64 v5, null, v10, v5, vcc_lo
	s_wait_dscnt 0x1
	global_store_b16 v[1:2], v15, off
	s_wait_dscnt 0x0
	global_store_b64 v[4:5], v[11:12], off
.LBB38_54:
	s_wait_alu 0xfffe
	s_or_b32 exec_lo, exec_lo, s2
	s_delay_alu instid0(SALU_CYCLE_1)
	s_and_b32 exec_lo, exec_lo, s1
	s_cbranch_execz .LBB38_56
; %bb.55:
	v_mad_co_u64_u32 v[1:2], null, s8, v0, 0
	v_mad_co_u64_u32 v[4:5], null, s10, v0, 0
	s_delay_alu instid0(VALU_DEP_2) | instskip(NEXT) | instid1(VALU_DEP_2)
	v_mad_co_u64_u32 v[11:12], null, s9, v0, v[2:3]
	v_mad_co_u64_u32 v[12:13], null, s11, v0, v[5:6]
	s_delay_alu instid0(VALU_DEP_2) | instskip(SKIP_4) | instid1(VALU_DEP_2)
	v_mov_b32_e32 v2, v11
	ds_load_u16 v11, v6
	ds_load_b64 v[6:7], v7
	v_mov_b32_e32 v5, v12
	v_lshlrev_b64_e32 v[0:1], 1, v[1:2]
	v_lshlrev_b64_e32 v[4:5], 3, v[4:5]
	s_delay_alu instid0(VALU_DEP_2) | instskip(SKIP_1) | instid1(VALU_DEP_3)
	v_add_co_u32 v0, vcc_lo, v3, v0
	s_wait_alu 0xfffd
	v_add_co_ci_u32_e64 v1, null, v8, v1, vcc_lo
	s_delay_alu instid0(VALU_DEP_3)
	v_add_co_u32 v2, vcc_lo, v9, v4
	s_wait_alu 0xfffd
	v_add_co_ci_u32_e64 v3, null, v10, v5, vcc_lo
	s_wait_dscnt 0x1
	global_store_b16 v[0:1], v11, off
	s_wait_dscnt 0x0
	global_store_b64 v[2:3], v[6:7], off
.LBB38_56:
	s_endpgm
	.section	.rodata,"a",@progbits
	.p2align	6, 0x0
	.amdhsa_kernel _ZN2at6native20bitonicSortKVInPlaceILin1ELin1ELi16ELi16EslNS0_4LTOpIsLb1EEEmEEvNS_4cuda6detail10TensorInfoIT3_T6_EES8_S8_S8_NS6_IT4_S8_EES8_T5_
		.amdhsa_group_segment_fixed_size 5632
		.amdhsa_private_segment_fixed_size 0
		.amdhsa_kernarg_size 1128
		.amdhsa_user_sgpr_count 2
		.amdhsa_user_sgpr_dispatch_ptr 0
		.amdhsa_user_sgpr_queue_ptr 0
		.amdhsa_user_sgpr_kernarg_segment_ptr 1
		.amdhsa_user_sgpr_dispatch_id 0
		.amdhsa_user_sgpr_private_segment_size 0
		.amdhsa_wavefront_size32 1
		.amdhsa_uses_dynamic_stack 0
		.amdhsa_enable_private_segment 0
		.amdhsa_system_sgpr_workgroup_id_x 1
		.amdhsa_system_sgpr_workgroup_id_y 1
		.amdhsa_system_sgpr_workgroup_id_z 1
		.amdhsa_system_sgpr_workgroup_info 0
		.amdhsa_system_vgpr_workitem_id 1
		.amdhsa_next_free_vgpr 36
		.amdhsa_next_free_sgpr 31
		.amdhsa_reserve_vcc 1
		.amdhsa_float_round_mode_32 0
		.amdhsa_float_round_mode_16_64 0
		.amdhsa_float_denorm_mode_32 3
		.amdhsa_float_denorm_mode_16_64 3
		.amdhsa_fp16_overflow 0
		.amdhsa_workgroup_processor_mode 1
		.amdhsa_memory_ordered 1
		.amdhsa_forward_progress 1
		.amdhsa_inst_pref_size 55
		.amdhsa_round_robin_scheduling 0
		.amdhsa_exception_fp_ieee_invalid_op 0
		.amdhsa_exception_fp_denorm_src 0
		.amdhsa_exception_fp_ieee_div_zero 0
		.amdhsa_exception_fp_ieee_overflow 0
		.amdhsa_exception_fp_ieee_underflow 0
		.amdhsa_exception_fp_ieee_inexact 0
		.amdhsa_exception_int_div_zero 0
	.end_amdhsa_kernel
	.section	.text._ZN2at6native20bitonicSortKVInPlaceILin1ELin1ELi16ELi16EslNS0_4LTOpIsLb1EEEmEEvNS_4cuda6detail10TensorInfoIT3_T6_EES8_S8_S8_NS6_IT4_S8_EES8_T5_,"axG",@progbits,_ZN2at6native20bitonicSortKVInPlaceILin1ELin1ELi16ELi16EslNS0_4LTOpIsLb1EEEmEEvNS_4cuda6detail10TensorInfoIT3_T6_EES8_S8_S8_NS6_IT4_S8_EES8_T5_,comdat
.Lfunc_end38:
	.size	_ZN2at6native20bitonicSortKVInPlaceILin1ELin1ELi16ELi16EslNS0_4LTOpIsLb1EEEmEEvNS_4cuda6detail10TensorInfoIT3_T6_EES8_S8_S8_NS6_IT4_S8_EES8_T5_, .Lfunc_end38-_ZN2at6native20bitonicSortKVInPlaceILin1ELin1ELi16ELi16EslNS0_4LTOpIsLb1EEEmEEvNS_4cuda6detail10TensorInfoIT3_T6_EES8_S8_S8_NS6_IT4_S8_EES8_T5_
                                        ; -- End function
	.set _ZN2at6native20bitonicSortKVInPlaceILin1ELin1ELi16ELi16EslNS0_4LTOpIsLb1EEEmEEvNS_4cuda6detail10TensorInfoIT3_T6_EES8_S8_S8_NS6_IT4_S8_EES8_T5_.num_vgpr, 36
	.set _ZN2at6native20bitonicSortKVInPlaceILin1ELin1ELi16ELi16EslNS0_4LTOpIsLb1EEEmEEvNS_4cuda6detail10TensorInfoIT3_T6_EES8_S8_S8_NS6_IT4_S8_EES8_T5_.num_agpr, 0
	.set _ZN2at6native20bitonicSortKVInPlaceILin1ELin1ELi16ELi16EslNS0_4LTOpIsLb1EEEmEEvNS_4cuda6detail10TensorInfoIT3_T6_EES8_S8_S8_NS6_IT4_S8_EES8_T5_.numbered_sgpr, 31
	.set _ZN2at6native20bitonicSortKVInPlaceILin1ELin1ELi16ELi16EslNS0_4LTOpIsLb1EEEmEEvNS_4cuda6detail10TensorInfoIT3_T6_EES8_S8_S8_NS6_IT4_S8_EES8_T5_.num_named_barrier, 0
	.set _ZN2at6native20bitonicSortKVInPlaceILin1ELin1ELi16ELi16EslNS0_4LTOpIsLb1EEEmEEvNS_4cuda6detail10TensorInfoIT3_T6_EES8_S8_S8_NS6_IT4_S8_EES8_T5_.private_seg_size, 0
	.set _ZN2at6native20bitonicSortKVInPlaceILin1ELin1ELi16ELi16EslNS0_4LTOpIsLb1EEEmEEvNS_4cuda6detail10TensorInfoIT3_T6_EES8_S8_S8_NS6_IT4_S8_EES8_T5_.uses_vcc, 1
	.set _ZN2at6native20bitonicSortKVInPlaceILin1ELin1ELi16ELi16EslNS0_4LTOpIsLb1EEEmEEvNS_4cuda6detail10TensorInfoIT3_T6_EES8_S8_S8_NS6_IT4_S8_EES8_T5_.uses_flat_scratch, 0
	.set _ZN2at6native20bitonicSortKVInPlaceILin1ELin1ELi16ELi16EslNS0_4LTOpIsLb1EEEmEEvNS_4cuda6detail10TensorInfoIT3_T6_EES8_S8_S8_NS6_IT4_S8_EES8_T5_.has_dyn_sized_stack, 0
	.set _ZN2at6native20bitonicSortKVInPlaceILin1ELin1ELi16ELi16EslNS0_4LTOpIsLb1EEEmEEvNS_4cuda6detail10TensorInfoIT3_T6_EES8_S8_S8_NS6_IT4_S8_EES8_T5_.has_recursion, 0
	.set _ZN2at6native20bitonicSortKVInPlaceILin1ELin1ELi16ELi16EslNS0_4LTOpIsLb1EEEmEEvNS_4cuda6detail10TensorInfoIT3_T6_EES8_S8_S8_NS6_IT4_S8_EES8_T5_.has_indirect_call, 0
	.section	.AMDGPU.csdata,"",@progbits
; Kernel info:
; codeLenInByte = 6980
; TotalNumSgprs: 33
; NumVgprs: 36
; ScratchSize: 0
; MemoryBound: 0
; FloatMode: 240
; IeeeMode: 1
; LDSByteSize: 5632 bytes/workgroup (compile time only)
; SGPRBlocks: 0
; VGPRBlocks: 4
; NumSGPRsForWavesPerEU: 33
; NumVGPRsForWavesPerEU: 36
; Occupancy: 16
; WaveLimiterHint : 1
; COMPUTE_PGM_RSRC2:SCRATCH_EN: 0
; COMPUTE_PGM_RSRC2:USER_SGPR: 2
; COMPUTE_PGM_RSRC2:TRAP_HANDLER: 0
; COMPUTE_PGM_RSRC2:TGID_X_EN: 1
; COMPUTE_PGM_RSRC2:TGID_Y_EN: 1
; COMPUTE_PGM_RSRC2:TGID_Z_EN: 1
; COMPUTE_PGM_RSRC2:TIDIG_COMP_CNT: 1
	.section	.text._ZN2at6native20bitonicSortKVInPlaceILin1ELin1ELi16ELi16EslNS0_4GTOpIsLb1EEEmEEvNS_4cuda6detail10TensorInfoIT3_T6_EES8_S8_S8_NS6_IT4_S8_EES8_T5_,"axG",@progbits,_ZN2at6native20bitonicSortKVInPlaceILin1ELin1ELi16ELi16EslNS0_4GTOpIsLb1EEEmEEvNS_4cuda6detail10TensorInfoIT3_T6_EES8_S8_S8_NS6_IT4_S8_EES8_T5_,comdat
	.protected	_ZN2at6native20bitonicSortKVInPlaceILin1ELin1ELi16ELi16EslNS0_4GTOpIsLb1EEEmEEvNS_4cuda6detail10TensorInfoIT3_T6_EES8_S8_S8_NS6_IT4_S8_EES8_T5_ ; -- Begin function _ZN2at6native20bitonicSortKVInPlaceILin1ELin1ELi16ELi16EslNS0_4GTOpIsLb1EEEmEEvNS_4cuda6detail10TensorInfoIT3_T6_EES8_S8_S8_NS6_IT4_S8_EES8_T5_
	.globl	_ZN2at6native20bitonicSortKVInPlaceILin1ELin1ELi16ELi16EslNS0_4GTOpIsLb1EEEmEEvNS_4cuda6detail10TensorInfoIT3_T6_EES8_S8_S8_NS6_IT4_S8_EES8_T5_
	.p2align	8
	.type	_ZN2at6native20bitonicSortKVInPlaceILin1ELin1ELi16ELi16EslNS0_4GTOpIsLb1EEEmEEvNS_4cuda6detail10TensorInfoIT3_T6_EES8_S8_S8_NS6_IT4_S8_EES8_T5_,@function
_ZN2at6native20bitonicSortKVInPlaceILin1ELin1ELi16ELi16EslNS0_4GTOpIsLb1EEEmEEvNS_4cuda6detail10TensorInfoIT3_T6_EES8_S8_S8_NS6_IT4_S8_EES8_T5_: ; @_ZN2at6native20bitonicSortKVInPlaceILin1ELin1ELi16ELi16EslNS0_4GTOpIsLb1EEEmEEvNS_4cuda6detail10TensorInfoIT3_T6_EES8_S8_S8_NS6_IT4_S8_EES8_T5_
; %bb.0:
	v_mov_b32_e32 v1, 0
	s_lshr_b32 s8, ttmp7, 16
	s_and_b32 s9, ttmp7, 0xffff
	global_load_u16 v1, v1, s[0:1] offset:886
	s_clause 0x1
	s_load_b64 s[2:3], s[0:1], 0x368
	s_load_b128 s[4:7], s[0:1], 0x1a0
	s_wait_kmcnt 0x0
	s_mul_i32 s3, s3, s8
	s_delay_alu instid0(SALU_CYCLE_1) | instskip(NEXT) | instid1(SALU_CYCLE_1)
	s_add_co_i32 s3, s3, s9
	s_mul_i32 s2, s3, s2
	s_delay_alu instid0(SALU_CYCLE_1) | instskip(SKIP_2) | instid1(VALU_DEP_1)
	s_add_co_i32 s2, s2, ttmp9
	s_wait_loadcnt 0x0
	v_and_b32_e32 v1, 0xffff, v1
	v_mul_hi_u32 v2, v1, s2
	v_mul_lo_u32 v1, v1, s2
	s_delay_alu instid0(VALU_DEP_1)
	v_cmp_le_u64_e32 vcc_lo, s[4:5], v[1:2]
	s_cbranch_vccnz .LBB39_56
; %bb.1:
	s_clause 0x1
	s_load_b32 s10, s[0:1], 0x198
	s_load_b64 s[8:9], s[0:1], 0x1b0
	v_bfe_u32 v16, v0, 10, 10
	s_delay_alu instid0(VALU_DEP_1) | instskip(NEXT) | instid1(VALU_DEP_1)
	v_add_co_u32 v4, vcc_lo, v1, v16
	v_add_co_ci_u32_e64 v5, null, 0, v2, vcc_lo
	v_mov_b32_e32 v2, 0
	v_mov_b32_e32 v3, 0
	s_delay_alu instid0(VALU_DEP_3)
	v_dual_mov_b32 v7, v5 :: v_dual_mov_b32 v6, v4
	s_wait_kmcnt 0x0
	s_cmp_lt_i32 s10, 2
	s_cbranch_scc1 .LBB39_9
; %bb.2:
	s_add_co_i32 s2, s10, -1
	s_mov_b32 s3, 0
	v_dual_mov_b32 v2, 0 :: v_dual_mov_b32 v11, v5
	s_wait_alu 0xfffe
	s_lshl_b64 s[12:13], s[2:3], 3
	v_dual_mov_b32 v3, 0 :: v_dual_mov_b32 v8, 0
	v_mov_b32_e32 v10, v4
	s_add_nc_u64 s[12:13], s[0:1], s[12:13]
	s_add_co_i32 s14, s10, 1
	s_add_nc_u64 s[10:11], s[12:13], 8
.LBB39_3:                               ; =>This Inner Loop Header: Depth=1
	s_load_b64 s[12:13], s[10:11], 0x0
                                        ; implicit-def: $vgpr6_vgpr7
	s_mov_b32 s2, exec_lo
	s_wait_kmcnt 0x0
	v_or_b32_e32 v9, s13, v11
	s_delay_alu instid0(VALU_DEP_1)
	v_cmpx_ne_u64_e32 0, v[8:9]
	s_wait_alu 0xfffe
	s_xor_b32 s15, exec_lo, s2
	s_cbranch_execz .LBB39_5
; %bb.4:                                ;   in Loop: Header=BB39_3 Depth=1
	s_cvt_f32_u32 s2, s12
	s_cvt_f32_u32 s16, s13
	s_sub_nc_u64 s[18:19], 0, s[12:13]
	s_wait_alu 0xfffe
	s_delay_alu instid0(SALU_CYCLE_1) | instskip(SKIP_1) | instid1(SALU_CYCLE_2)
	s_fmamk_f32 s2, s16, 0x4f800000, s2
	s_wait_alu 0xfffe
	v_s_rcp_f32 s2, s2
	s_delay_alu instid0(TRANS32_DEP_1) | instskip(SKIP_1) | instid1(SALU_CYCLE_2)
	s_mul_f32 s2, s2, 0x5f7ffffc
	s_wait_alu 0xfffe
	s_mul_f32 s16, s2, 0x2f800000
	s_wait_alu 0xfffe
	s_delay_alu instid0(SALU_CYCLE_2) | instskip(SKIP_1) | instid1(SALU_CYCLE_2)
	s_trunc_f32 s16, s16
	s_wait_alu 0xfffe
	s_fmamk_f32 s2, s16, 0xcf800000, s2
	s_cvt_u32_f32 s17, s16
	s_wait_alu 0xfffe
	s_delay_alu instid0(SALU_CYCLE_1) | instskip(SKIP_1) | instid1(SALU_CYCLE_2)
	s_cvt_u32_f32 s16, s2
	s_wait_alu 0xfffe
	s_mul_u64 s[20:21], s[18:19], s[16:17]
	s_delay_alu instid0(SALU_CYCLE_1)
	s_mul_hi_u32 s23, s16, s21
	s_mul_i32 s22, s16, s21
	s_mul_hi_u32 s2, s16, s20
	s_mul_i32 s25, s17, s20
	s_wait_alu 0xfffe
	s_add_nc_u64 s[22:23], s[2:3], s[22:23]
	s_mul_hi_u32 s24, s17, s20
	s_mul_hi_u32 s26, s17, s21
	s_add_co_u32 s2, s22, s25
	s_add_co_ci_u32 s2, s23, s24
	s_mul_i32 s20, s17, s21
	s_add_co_ci_u32 s21, s26, 0
	s_wait_alu 0xfffe
	s_add_nc_u64 s[20:21], s[2:3], s[20:21]
	s_delay_alu instid0(SALU_CYCLE_1)
	s_add_co_u32 s16, s16, s20
	s_cselect_b32 s2, -1, 0
	s_wait_alu 0xfffe
	s_cmp_lg_u32 s2, 0
	s_add_co_ci_u32 s17, s17, s21
	s_wait_alu 0xfffe
	s_mul_u64 s[18:19], s[18:19], s[16:17]
	s_delay_alu instid0(SALU_CYCLE_1)
	s_mul_hi_u32 s21, s16, s19
	s_mul_i32 s20, s16, s19
	s_mul_hi_u32 s2, s16, s18
	s_mul_i32 s23, s17, s18
	s_wait_alu 0xfffe
	s_add_nc_u64 s[20:21], s[2:3], s[20:21]
	s_mul_hi_u32 s22, s17, s18
	s_mul_hi_u32 s24, s17, s19
	s_add_co_u32 s2, s20, s23
	s_add_co_ci_u32 s2, s21, s22
	s_mul_i32 s18, s17, s19
	s_add_co_ci_u32 s19, s24, 0
	s_wait_alu 0xfffe
	s_add_nc_u64 s[18:19], s[2:3], s[18:19]
	s_delay_alu instid0(SALU_CYCLE_1)
	s_add_co_u32 s2, s16, s18
	s_cselect_b32 s16, -1, 0
	s_wait_alu 0xfffe
	v_mul_hi_u32 v1, v10, s2
	s_cmp_lg_u32 s16, 0
	v_mad_co_u64_u32 v[12:13], null, v11, s2, 0
	s_add_co_ci_u32 s16, s17, s19
	s_wait_alu 0xfffe
	v_mad_co_u64_u32 v[6:7], null, v10, s16, 0
	v_mad_co_u64_u32 v[14:15], null, v11, s16, 0
	s_delay_alu instid0(VALU_DEP_2) | instskip(SKIP_1) | instid1(VALU_DEP_3)
	v_add_co_u32 v1, vcc_lo, v1, v6
	s_wait_alu 0xfffd
	v_add_co_ci_u32_e64 v6, null, 0, v7, vcc_lo
	s_delay_alu instid0(VALU_DEP_2) | instskip(SKIP_1) | instid1(VALU_DEP_2)
	v_add_co_u32 v1, vcc_lo, v1, v12
	s_wait_alu 0xfffd
	v_add_co_ci_u32_e32 v1, vcc_lo, v6, v13, vcc_lo
	s_wait_alu 0xfffd
	v_add_co_ci_u32_e32 v6, vcc_lo, 0, v15, vcc_lo
	s_delay_alu instid0(VALU_DEP_2) | instskip(SKIP_1) | instid1(VALU_DEP_2)
	v_add_co_u32 v1, vcc_lo, v1, v14
	s_wait_alu 0xfffd
	v_add_co_ci_u32_e64 v9, null, 0, v6, vcc_lo
	s_delay_alu instid0(VALU_DEP_2) | instskip(SKIP_1) | instid1(VALU_DEP_3)
	v_mul_lo_u32 v12, s13, v1
	v_mad_co_u64_u32 v[6:7], null, s12, v1, 0
	v_mul_lo_u32 v13, s12, v9
	s_delay_alu instid0(VALU_DEP_2) | instskip(NEXT) | instid1(VALU_DEP_2)
	v_sub_co_u32 v6, vcc_lo, v10, v6
	v_add3_u32 v7, v7, v13, v12
	v_add_co_u32 v13, s2, v1, 2
	s_wait_alu 0xf1ff
	v_add_co_ci_u32_e64 v14, null, 0, v9, s2
	s_delay_alu instid0(VALU_DEP_3) | instskip(SKIP_3) | instid1(VALU_DEP_3)
	v_sub_nc_u32_e32 v12, v11, v7
	v_sub_co_u32 v15, s2, v6, s12
	s_wait_alu 0xfffd
	v_sub_co_ci_u32_e64 v7, null, v11, v7, vcc_lo
	v_subrev_co_ci_u32_e64 v12, null, s13, v12, vcc_lo
	s_delay_alu instid0(VALU_DEP_3) | instskip(SKIP_1) | instid1(VALU_DEP_2)
	v_cmp_le_u32_e32 vcc_lo, s12, v15
	s_wait_alu 0xf1ff
	v_subrev_co_ci_u32_e64 v12, null, 0, v12, s2
	s_wait_alu 0xfffd
	v_cndmask_b32_e64 v15, 0, -1, vcc_lo
	v_cmp_eq_u32_e64 s2, s13, v7
	s_delay_alu instid0(VALU_DEP_3)
	v_cmp_le_u32_e32 vcc_lo, s13, v12
	s_wait_alu 0xfffd
	v_cndmask_b32_e64 v17, 0, -1, vcc_lo
	v_cmp_le_u32_e32 vcc_lo, s12, v6
	s_wait_alu 0xfffd
	v_cndmask_b32_e64 v6, 0, -1, vcc_lo
	;; [unrolled: 3-line block ×3, first 2 shown]
	v_cmp_eq_u32_e32 vcc_lo, s13, v12
	s_wait_alu 0xf1ff
	s_delay_alu instid0(VALU_DEP_2)
	v_cndmask_b32_e64 v6, v18, v6, s2
	s_wait_alu 0xfffd
	v_cndmask_b32_e32 v12, v17, v15, vcc_lo
	v_add_co_u32 v15, vcc_lo, v1, 1
	s_wait_alu 0xfffd
	v_add_co_ci_u32_e64 v17, null, 0, v9, vcc_lo
	s_delay_alu instid0(VALU_DEP_3) | instskip(SKIP_1) | instid1(VALU_DEP_2)
	v_cmp_ne_u32_e32 vcc_lo, 0, v12
	s_wait_alu 0xfffd
	v_dual_cndmask_b32 v7, v17, v14 :: v_dual_cndmask_b32 v12, v15, v13
	v_cmp_ne_u32_e32 vcc_lo, 0, v6
	s_wait_alu 0xfffd
	s_delay_alu instid0(VALU_DEP_2) | instskip(NEXT) | instid1(VALU_DEP_3)
	v_cndmask_b32_e32 v7, v9, v7, vcc_lo
	v_cndmask_b32_e32 v6, v1, v12, vcc_lo
.LBB39_5:                               ;   in Loop: Header=BB39_3 Depth=1
	s_wait_alu 0xfffe
	s_and_not1_saveexec_b32 s2, s15
	s_cbranch_execz .LBB39_7
; %bb.6:                                ;   in Loop: Header=BB39_3 Depth=1
	v_cvt_f32_u32_e32 v1, s12
	s_sub_co_i32 s15, 0, s12
	s_delay_alu instid0(VALU_DEP_1) | instskip(NEXT) | instid1(TRANS32_DEP_1)
	v_rcp_iflag_f32_e32 v1, v1
	v_mul_f32_e32 v1, 0x4f7ffffe, v1
	s_delay_alu instid0(VALU_DEP_1) | instskip(SKIP_1) | instid1(VALU_DEP_1)
	v_cvt_u32_f32_e32 v1, v1
	s_wait_alu 0xfffe
	v_mul_lo_u32 v6, s15, v1
	s_delay_alu instid0(VALU_DEP_1) | instskip(NEXT) | instid1(VALU_DEP_1)
	v_mul_hi_u32 v6, v1, v6
	v_add_nc_u32_e32 v1, v1, v6
	s_delay_alu instid0(VALU_DEP_1) | instskip(NEXT) | instid1(VALU_DEP_1)
	v_mul_hi_u32 v1, v10, v1
	v_mul_lo_u32 v6, v1, s12
	v_add_nc_u32_e32 v7, 1, v1
	s_delay_alu instid0(VALU_DEP_2) | instskip(NEXT) | instid1(VALU_DEP_1)
	v_sub_nc_u32_e32 v6, v10, v6
	v_subrev_nc_u32_e32 v9, s12, v6
	v_cmp_le_u32_e32 vcc_lo, s12, v6
	s_wait_alu 0xfffd
	s_delay_alu instid0(VALU_DEP_2) | instskip(NEXT) | instid1(VALU_DEP_1)
	v_dual_cndmask_b32 v6, v6, v9 :: v_dual_cndmask_b32 v1, v1, v7
	v_cmp_le_u32_e32 vcc_lo, s12, v6
	s_delay_alu instid0(VALU_DEP_2) | instskip(SKIP_1) | instid1(VALU_DEP_1)
	v_add_nc_u32_e32 v7, 1, v1
	s_wait_alu 0xfffd
	v_dual_cndmask_b32 v6, v1, v7 :: v_dual_mov_b32 v7, v8
.LBB39_7:                               ;   in Loop: Header=BB39_3 Depth=1
	s_wait_alu 0xfffe
	s_or_b32 exec_lo, exec_lo, s2
	s_load_b64 s[16:17], s[10:11], 0xc8
	s_delay_alu instid0(VALU_DEP_1)
	v_mul_lo_u32 v1, v7, s12
	v_mul_lo_u32 v9, v6, s13
	v_mad_co_u64_u32 v[12:13], null, v6, s12, 0
	s_add_co_i32 s14, s14, -1
	s_add_nc_u64 s[10:11], s[10:11], -8
	s_wait_alu 0xfffe
	s_cmp_gt_u32 s14, 2
	v_add3_u32 v1, v13, v9, v1
	v_sub_co_u32 v9, vcc_lo, v10, v12
	s_wait_alu 0xfffd
	s_delay_alu instid0(VALU_DEP_2) | instskip(SKIP_1) | instid1(VALU_DEP_2)
	v_sub_co_ci_u32_e64 v1, null, v11, v1, vcc_lo
	s_wait_kmcnt 0x0
	v_mul_lo_u32 v10, s17, v9
	s_delay_alu instid0(VALU_DEP_2) | instskip(SKIP_1) | instid1(VALU_DEP_1)
	v_mul_lo_u32 v1, s16, v1
	v_mad_co_u64_u32 v[2:3], null, s16, v9, v[2:3]
	v_add3_u32 v3, v10, v3, v1
	s_cbranch_scc0 .LBB39_9
; %bb.8:                                ;   in Loop: Header=BB39_3 Depth=1
	v_dual_mov_b32 v11, v7 :: v_dual_mov_b32 v10, v6
	s_branch .LBB39_3
.LBB39_9:
	s_clause 0x1
	s_load_b32 s14, s[0:1], 0x350
	s_load_b64 s[10:11], s[0:1], 0xd0
	v_dual_mov_b32 v8, 0 :: v_dual_mov_b32 v15, v5
	v_dual_mov_b32 v9, 0 :: v_dual_mov_b32 v14, v4
	s_add_nc_u64 s[12:13], s[0:1], 0x368
	s_wait_kmcnt 0x0
	s_cmp_lt_i32 s14, 2
	s_cbranch_scc1 .LBB39_17
; %bb.10:
	s_add_co_i32 s2, s14, -1
	s_mov_b32 s3, 0
	v_dual_mov_b32 v8, 0 :: v_dual_mov_b32 v13, v5
	s_wait_alu 0xfffe
	s_lshl_b64 s[16:17], s[2:3], 3
	v_dual_mov_b32 v9, 0 :: v_dual_mov_b32 v10, 0
	v_mov_b32_e32 v12, v4
	s_wait_alu 0xfffe
	s_add_nc_u64 s[16:17], s[0:1], s[16:17]
	s_add_co_i32 s18, s14, 1
	s_wait_alu 0xfffe
	s_add_nc_u64 s[14:15], s[16:17], 0x1c0
.LBB39_11:                              ; =>This Inner Loop Header: Depth=1
	s_load_b64 s[16:17], s[14:15], 0x0
                                        ; implicit-def: $vgpr14_vgpr15
	s_mov_b32 s2, exec_lo
	s_wait_kmcnt 0x0
	v_or_b32_e32 v11, s17, v13
	s_delay_alu instid0(VALU_DEP_1)
	v_cmpx_ne_u64_e32 0, v[10:11]
	s_wait_alu 0xfffe
	s_xor_b32 s19, exec_lo, s2
	s_cbranch_execz .LBB39_13
; %bb.12:                               ;   in Loop: Header=BB39_11 Depth=1
	s_cvt_f32_u32 s2, s16
	s_cvt_f32_u32 s20, s17
	s_sub_nc_u64 s[22:23], 0, s[16:17]
	s_wait_alu 0xfffe
	s_delay_alu instid0(SALU_CYCLE_1) | instskip(SKIP_1) | instid1(SALU_CYCLE_2)
	s_fmamk_f32 s2, s20, 0x4f800000, s2
	s_wait_alu 0xfffe
	v_s_rcp_f32 s2, s2
	s_delay_alu instid0(TRANS32_DEP_1) | instskip(SKIP_1) | instid1(SALU_CYCLE_2)
	s_mul_f32 s2, s2, 0x5f7ffffc
	s_wait_alu 0xfffe
	s_mul_f32 s20, s2, 0x2f800000
	s_wait_alu 0xfffe
	s_delay_alu instid0(SALU_CYCLE_2) | instskip(SKIP_1) | instid1(SALU_CYCLE_2)
	s_trunc_f32 s20, s20
	s_wait_alu 0xfffe
	s_fmamk_f32 s2, s20, 0xcf800000, s2
	s_cvt_u32_f32 s21, s20
	s_wait_alu 0xfffe
	s_delay_alu instid0(SALU_CYCLE_1) | instskip(SKIP_1) | instid1(SALU_CYCLE_2)
	s_cvt_u32_f32 s20, s2
	s_wait_alu 0xfffe
	s_mul_u64 s[24:25], s[22:23], s[20:21]
	s_delay_alu instid0(SALU_CYCLE_1)
	s_mul_hi_u32 s27, s20, s25
	s_mul_i32 s26, s20, s25
	s_mul_hi_u32 s2, s20, s24
	s_mul_i32 s29, s21, s24
	s_wait_alu 0xfffe
	s_add_nc_u64 s[26:27], s[2:3], s[26:27]
	s_mul_hi_u32 s28, s21, s24
	s_mul_hi_u32 s30, s21, s25
	s_add_co_u32 s2, s26, s29
	s_add_co_ci_u32 s2, s27, s28
	s_mul_i32 s24, s21, s25
	s_add_co_ci_u32 s25, s30, 0
	s_wait_alu 0xfffe
	s_add_nc_u64 s[24:25], s[2:3], s[24:25]
	s_delay_alu instid0(SALU_CYCLE_1)
	s_add_co_u32 s20, s20, s24
	s_cselect_b32 s2, -1, 0
	s_wait_alu 0xfffe
	s_cmp_lg_u32 s2, 0
	s_add_co_ci_u32 s21, s21, s25
	s_wait_alu 0xfffe
	s_mul_u64 s[22:23], s[22:23], s[20:21]
	s_delay_alu instid0(SALU_CYCLE_1)
	s_mul_hi_u32 s25, s20, s23
	s_mul_i32 s24, s20, s23
	s_mul_hi_u32 s2, s20, s22
	s_mul_i32 s27, s21, s22
	s_wait_alu 0xfffe
	s_add_nc_u64 s[24:25], s[2:3], s[24:25]
	s_mul_hi_u32 s26, s21, s22
	s_mul_hi_u32 s28, s21, s23
	s_add_co_u32 s2, s24, s27
	s_add_co_ci_u32 s2, s25, s26
	s_mul_i32 s22, s21, s23
	s_add_co_ci_u32 s23, s28, 0
	s_wait_alu 0xfffe
	s_add_nc_u64 s[22:23], s[2:3], s[22:23]
	s_delay_alu instid0(SALU_CYCLE_1)
	s_add_co_u32 s2, s20, s22
	s_cselect_b32 s20, -1, 0
	s_wait_alu 0xfffe
	v_mul_hi_u32 v1, v12, s2
	s_cmp_lg_u32 s20, 0
	v_mad_co_u64_u32 v[17:18], null, v13, s2, 0
	s_add_co_ci_u32 s20, s21, s23
	s_wait_alu 0xfffe
	v_mad_co_u64_u32 v[14:15], null, v12, s20, 0
	v_mad_co_u64_u32 v[19:20], null, v13, s20, 0
	s_delay_alu instid0(VALU_DEP_2) | instskip(SKIP_1) | instid1(VALU_DEP_3)
	v_add_co_u32 v1, vcc_lo, v1, v14
	s_wait_alu 0xfffd
	v_add_co_ci_u32_e64 v11, null, 0, v15, vcc_lo
	s_delay_alu instid0(VALU_DEP_2) | instskip(SKIP_1) | instid1(VALU_DEP_2)
	v_add_co_u32 v1, vcc_lo, v1, v17
	s_wait_alu 0xfffd
	v_add_co_ci_u32_e32 v1, vcc_lo, v11, v18, vcc_lo
	s_wait_alu 0xfffd
	v_add_co_ci_u32_e32 v11, vcc_lo, 0, v20, vcc_lo
	s_delay_alu instid0(VALU_DEP_2) | instskip(SKIP_1) | instid1(VALU_DEP_2)
	v_add_co_u32 v1, vcc_lo, v1, v19
	s_wait_alu 0xfffd
	v_add_co_ci_u32_e64 v11, null, 0, v11, vcc_lo
	s_delay_alu instid0(VALU_DEP_2) | instskip(SKIP_1) | instid1(VALU_DEP_3)
	v_mul_lo_u32 v17, s17, v1
	v_mad_co_u64_u32 v[14:15], null, s16, v1, 0
	v_mul_lo_u32 v18, s16, v11
	s_delay_alu instid0(VALU_DEP_2) | instskip(NEXT) | instid1(VALU_DEP_2)
	v_sub_co_u32 v14, vcc_lo, v12, v14
	v_add3_u32 v15, v15, v18, v17
	v_add_co_u32 v18, s2, v1, 2
	s_wait_alu 0xf1ff
	v_add_co_ci_u32_e64 v19, null, 0, v11, s2
	s_delay_alu instid0(VALU_DEP_3) | instskip(SKIP_3) | instid1(VALU_DEP_3)
	v_sub_nc_u32_e32 v17, v13, v15
	v_sub_co_u32 v20, s2, v14, s16
	s_wait_alu 0xfffd
	v_sub_co_ci_u32_e64 v15, null, v13, v15, vcc_lo
	v_subrev_co_ci_u32_e64 v17, null, s17, v17, vcc_lo
	s_delay_alu instid0(VALU_DEP_3) | instskip(SKIP_1) | instid1(VALU_DEP_2)
	v_cmp_le_u32_e32 vcc_lo, s16, v20
	s_wait_alu 0xf1ff
	v_subrev_co_ci_u32_e64 v17, null, 0, v17, s2
	s_wait_alu 0xfffd
	v_cndmask_b32_e64 v20, 0, -1, vcc_lo
	v_cmp_eq_u32_e64 s2, s17, v15
	s_delay_alu instid0(VALU_DEP_3)
	v_cmp_le_u32_e32 vcc_lo, s17, v17
	s_wait_alu 0xfffd
	v_cndmask_b32_e64 v21, 0, -1, vcc_lo
	v_cmp_le_u32_e32 vcc_lo, s16, v14
	s_wait_alu 0xfffd
	v_cndmask_b32_e64 v14, 0, -1, vcc_lo
	;; [unrolled: 3-line block ×3, first 2 shown]
	v_cmp_eq_u32_e32 vcc_lo, s17, v17
	s_wait_alu 0xf1ff
	s_delay_alu instid0(VALU_DEP_2)
	v_cndmask_b32_e64 v14, v22, v14, s2
	s_wait_alu 0xfffd
	v_cndmask_b32_e32 v17, v21, v20, vcc_lo
	v_add_co_u32 v20, vcc_lo, v1, 1
	s_wait_alu 0xfffd
	v_add_co_ci_u32_e64 v21, null, 0, v11, vcc_lo
	s_delay_alu instid0(VALU_DEP_3) | instskip(SKIP_1) | instid1(VALU_DEP_2)
	v_cmp_ne_u32_e32 vcc_lo, 0, v17
	s_wait_alu 0xfffd
	v_cndmask_b32_e32 v15, v21, v19, vcc_lo
	v_cndmask_b32_e32 v17, v20, v18, vcc_lo
	v_cmp_ne_u32_e32 vcc_lo, 0, v14
	s_wait_alu 0xfffd
	s_delay_alu instid0(VALU_DEP_2)
	v_dual_cndmask_b32 v15, v11, v15 :: v_dual_cndmask_b32 v14, v1, v17
.LBB39_13:                              ;   in Loop: Header=BB39_11 Depth=1
	s_wait_alu 0xfffe
	s_and_not1_saveexec_b32 s2, s19
	s_cbranch_execz .LBB39_15
; %bb.14:                               ;   in Loop: Header=BB39_11 Depth=1
	v_cvt_f32_u32_e32 v1, s16
	s_sub_co_i32 s19, 0, s16
	s_delay_alu instid0(VALU_DEP_1) | instskip(NEXT) | instid1(TRANS32_DEP_1)
	v_rcp_iflag_f32_e32 v1, v1
	v_mul_f32_e32 v1, 0x4f7ffffe, v1
	s_delay_alu instid0(VALU_DEP_1) | instskip(SKIP_1) | instid1(VALU_DEP_1)
	v_cvt_u32_f32_e32 v1, v1
	s_wait_alu 0xfffe
	v_mul_lo_u32 v11, s19, v1
	s_delay_alu instid0(VALU_DEP_1) | instskip(NEXT) | instid1(VALU_DEP_1)
	v_mul_hi_u32 v11, v1, v11
	v_add_nc_u32_e32 v1, v1, v11
	s_delay_alu instid0(VALU_DEP_1) | instskip(NEXT) | instid1(VALU_DEP_1)
	v_mul_hi_u32 v1, v12, v1
	v_mul_lo_u32 v11, v1, s16
	s_delay_alu instid0(VALU_DEP_1) | instskip(NEXT) | instid1(VALU_DEP_1)
	v_sub_nc_u32_e32 v11, v12, v11
	v_subrev_nc_u32_e32 v15, s16, v11
	v_cmp_le_u32_e32 vcc_lo, s16, v11
	s_wait_alu 0xfffd
	s_delay_alu instid0(VALU_DEP_2) | instskip(NEXT) | instid1(VALU_DEP_1)
	v_dual_cndmask_b32 v11, v11, v15 :: v_dual_add_nc_u32 v14, 1, v1
	v_cndmask_b32_e32 v1, v1, v14, vcc_lo
	v_mov_b32_e32 v15, v10
	s_delay_alu instid0(VALU_DEP_3) | instskip(NEXT) | instid1(VALU_DEP_3)
	v_cmp_le_u32_e32 vcc_lo, s16, v11
	v_add_nc_u32_e32 v14, 1, v1
	s_wait_alu 0xfffd
	s_delay_alu instid0(VALU_DEP_1)
	v_cndmask_b32_e32 v14, v1, v14, vcc_lo
.LBB39_15:                              ;   in Loop: Header=BB39_11 Depth=1
	s_wait_alu 0xfffe
	s_or_b32 exec_lo, exec_lo, s2
	s_load_b64 s[20:21], s[14:15], 0xc8
	v_mul_lo_u32 v1, v15, s16
	v_mul_lo_u32 v11, v14, s17
	v_mad_co_u64_u32 v[17:18], null, v14, s16, 0
	s_add_co_i32 s18, s18, -1
	s_add_nc_u64 s[14:15], s[14:15], -8
	s_wait_alu 0xfffe
	s_cmp_gt_u32 s18, 2
	v_add3_u32 v1, v18, v11, v1
	v_sub_co_u32 v11, vcc_lo, v12, v17
	s_wait_alu 0xfffd
	s_delay_alu instid0(VALU_DEP_2) | instskip(SKIP_1) | instid1(VALU_DEP_2)
	v_sub_co_ci_u32_e64 v1, null, v13, v1, vcc_lo
	s_wait_kmcnt 0x0
	v_mul_lo_u32 v12, s21, v11
	s_delay_alu instid0(VALU_DEP_2) | instskip(SKIP_1) | instid1(VALU_DEP_1)
	v_mul_lo_u32 v1, s20, v1
	v_mad_co_u64_u32 v[8:9], null, s20, v11, v[8:9]
	v_add3_u32 v9, v12, v9, v1
	s_cbranch_scc0 .LBB39_17
; %bb.16:                               ;   in Loop: Header=BB39_11 Depth=1
	v_dual_mov_b32 v12, v14 :: v_dual_mov_b32 v13, v15
	s_branch .LBB39_11
.LBB39_17:
	s_load_b64 s[2:3], s[0:1], 0x288
	v_mul_lo_u32 v17, s11, v6
	v_mul_lo_u32 v18, s10, v7
	v_mad_co_u64_u32 v[6:7], null, s10, v6, 0
	v_cmp_gt_u64_e32 vcc_lo, s[4:5], v[4:5]
	s_clause 0x2
	s_load_b64 s[10:11], s[0:1], 0x358
	s_load_b64 s[4:5], s[0:1], 0x0
	;; [unrolled: 1-line block ×3, first 2 shown]
	v_mov_b32_e32 v1, 0
	v_lshlrev_b64_e32 v[12:13], 1, v[2:3]
	v_and_b32_e32 v2, 0x3ff, v0
	v_add3_u32 v7, v7, v18, v17
	s_delay_alu instid0(VALU_DEP_4)
	v_mov_b32_e32 v3, v1
	s_wait_kmcnt 0x0
	v_mul_lo_u32 v4, s3, v14
	v_mul_lo_u32 v5, s2, v15
	v_mad_co_u64_u32 v[10:11], null, s2, v14, 0
	s_load_b32 s2, s[12:13], 0xc
	v_lshlrev_b64_e32 v[14:15], 3, v[8:9]
	v_lshlrev_b64_e32 v[8:9], 1, v[6:7]
	v_mov_b32_e32 v6, 0
	v_mov_b32_e32 v7, 0
	v_add3_u32 v11, v11, v5, v4
	v_mov_b32_e32 v4, 0
	v_add_co_u32 v0, s1, s4, v8
	s_delay_alu instid0(VALU_DEP_1) | instskip(NEXT) | instid1(VALU_DEP_4)
	v_add_co_ci_u32_e64 v8, null, s5, v9, s1
	v_lshlrev_b64_e32 v[10:11], 3, v[10:11]
	v_cmp_gt_u64_e64 s0, s[6:7], v[2:3]
	v_mov_b32_e32 v5, 0
	s_delay_alu instid0(VALU_DEP_3) | instskip(SKIP_1) | instid1(VALU_DEP_4)
	v_add_co_u32 v9, s1, s14, v10
	s_wait_alu 0xf1ff
	v_add_co_ci_u32_e64 v10, null, s15, v11, s1
	v_add_co_u32 v3, s1, v0, v12
	s_wait_alu 0xf1ff
	v_add_co_ci_u32_e64 v8, null, v8, v13, s1
	;; [unrolled: 3-line block ×3, first 2 shown]
	v_mov_b32_e32 v14, 0
	s_and_b32 s4, vcc_lo, s0
	s_wait_alu 0xfffe
	s_and_saveexec_b32 s3, s4
	s_cbranch_execz .LBB39_19
; %bb.18:
	v_mad_co_u64_u32 v[6:7], null, s8, v2, 0
	v_mad_co_u64_u32 v[11:12], null, s10, v2, 0
	s_delay_alu instid0(VALU_DEP_1) | instskip(NEXT) | instid1(VALU_DEP_1)
	v_dual_mov_b32 v0, v7 :: v_dual_mov_b32 v7, v12
	v_mad_co_u64_u32 v[12:13], null, s9, v2, v[0:1]
	s_delay_alu instid0(VALU_DEP_2) | instskip(NEXT) | instid1(VALU_DEP_1)
	v_mad_co_u64_u32 v[13:14], null, s11, v2, v[7:8]
	v_dual_mov_b32 v7, v12 :: v_dual_mov_b32 v12, v13
	s_delay_alu instid0(VALU_DEP_1) | instskip(NEXT) | instid1(VALU_DEP_2)
	v_lshlrev_b64_e32 v[6:7], 1, v[6:7]
	v_lshlrev_b64_e32 v[11:12], 3, v[11:12]
	s_delay_alu instid0(VALU_DEP_2) | instskip(SKIP_1) | instid1(VALU_DEP_3)
	v_add_co_u32 v6, s1, v3, v6
	s_wait_alu 0xf1ff
	v_add_co_ci_u32_e64 v7, null, v8, v7, s1
	s_delay_alu instid0(VALU_DEP_3)
	v_add_co_u32 v11, s1, v9, v11
	s_wait_alu 0xf1ff
	v_add_co_ci_u32_e64 v12, null, v10, v12, s1
	global_load_u16 v14, v[6:7], off
	global_load_b64 v[6:7], v[11:12], off
.LBB39_19:
	s_wait_alu 0xfffe
	s_or_b32 exec_lo, exec_lo, s3
	s_wait_kmcnt 0x0
	s_and_b32 s3, 0xffff, s2
	v_lshl_add_u32 v15, v16, 6, 0x1000
	s_wait_alu 0xfffe
	v_add_nc_u32_e32 v0, s3, v2
	v_lshlrev_b32_e32 v13, 8, v16
	v_lshl_add_u32 v16, v16, 5, 0x1400
	v_cndmask_b32_e64 v17, 0, 1, s4
	v_lshl_add_u32 v11, v2, 1, v15
	v_cmp_gt_u64_e64 s1, s[6:7], v[0:1]
	v_lshl_add_u32 v12, v2, 3, v13
	v_add_nc_u32_e32 v18, v16, v2
	s_wait_loadcnt 0x1
	ds_store_b16 v11, v14
	s_wait_loadcnt 0x0
	ds_store_b64 v12, v[6:7]
	ds_store_b8 v18, v17
	s_and_b32 s4, vcc_lo, s1
	s_wait_alu 0xfffe
	s_and_saveexec_b32 s5, s4
	s_cbranch_execz .LBB39_21
; %bb.20:
	v_mad_co_u64_u32 v[4:5], null, s8, v0, 0
	v_mad_co_u64_u32 v[6:7], null, s10, v0, 0
	s_delay_alu instid0(VALU_DEP_2) | instskip(NEXT) | instid1(VALU_DEP_2)
	v_mov_b32_e32 v1, v5
	v_mov_b32_e32 v5, v7
	s_delay_alu instid0(VALU_DEP_2) | instskip(NEXT) | instid1(VALU_DEP_2)
	v_mad_co_u64_u32 v[17:18], null, s9, v0, v[1:2]
	v_mad_co_u64_u32 v[18:19], null, s11, v0, v[5:6]
	s_delay_alu instid0(VALU_DEP_2) | instskip(NEXT) | instid1(VALU_DEP_2)
	v_mov_b32_e32 v5, v17
	v_mov_b32_e32 v7, v18
	s_delay_alu instid0(VALU_DEP_2) | instskip(NEXT) | instid1(VALU_DEP_2)
	v_lshlrev_b64_e32 v[4:5], 1, v[4:5]
	v_lshlrev_b64_e32 v[6:7], 3, v[6:7]
	s_delay_alu instid0(VALU_DEP_2) | instskip(SKIP_1) | instid1(VALU_DEP_3)
	v_add_co_u32 v4, s2, v3, v4
	s_wait_alu 0xf1ff
	v_add_co_ci_u32_e64 v5, null, v8, v5, s2
	s_delay_alu instid0(VALU_DEP_3)
	v_add_co_u32 v6, s2, v9, v6
	s_wait_alu 0xf1ff
	v_add_co_ci_u32_e64 v7, null, v10, v7, s2
	global_load_u16 v1, v[4:5], off
	global_load_b64 v[4:5], v[6:7], off
.LBB39_21:
	s_wait_alu 0xfffe
	s_or_b32 exec_lo, exec_lo, s5
	v_lshl_add_u32 v6, s3, 1, v11
	v_lshlrev_b32_e32 v18, 1, v2
	v_lshl_add_u32 v7, s3, 3, v12
	v_cndmask_b32_e64 v14, 0, 1, s4
	v_add_nc_u32_e32 v17, v16, v0
	s_wait_loadcnt 0x1
	ds_store_b16 v6, v1
	s_wait_loadcnt 0x0
	ds_store_b64 v7, v[4:5]
	ds_store_b8 v17, v14
	v_add_nc_u32_e32 v4, v11, v18
	v_add_nc_u32_e32 v1, v16, v18
	s_wait_dscnt 0x0
	s_barrier_signal -1
	s_barrier_wait -1
	global_inv scope:SCOPE_SE
	ds_load_b32 v20, v4
	ds_load_u16 v17, v1
	v_and_b32_e32 v5, 1, v2
	s_wait_dscnt 0x1
	v_lshrrev_b32_e32 v19, 16, v20
	s_wait_dscnt 0x0
	v_lshrrev_b16 v14, 8, v17
	v_and_b32_e32 v21, 1, v17
	s_delay_alu instid0(VALU_DEP_3) | instskip(NEXT) | instid1(VALU_DEP_3)
	v_cmp_gt_i16_e64 s2, v20, v19
	v_cmp_ne_u16_e64 s4, v14, v5
	s_delay_alu instid0(VALU_DEP_3) | instskip(SKIP_1) | instid1(VALU_DEP_2)
	v_cmp_eq_u32_e64 s3, 1, v21
	s_wait_alu 0xf1ff
	v_cndmask_b32_e64 v19, 0, 1, s4
	s_and_b32 s2, s2, s3
	s_wait_alu 0xfffe
	s_delay_alu instid0(VALU_DEP_1) | instskip(NEXT) | instid1(VALU_DEP_1)
	v_cndmask_b32_e64 v19, v19, v2, s2
	v_and_b32_e32 v19, 1, v19
	s_delay_alu instid0(VALU_DEP_1)
	v_cmp_eq_u32_e64 s2, 1, v19
	v_lshl_add_u32 v19, v2, 3, v12
	s_and_saveexec_b32 s3, s2
	s_wait_alu 0xfffe
	s_xor_b32 s2, exec_lo, s3
	s_cbranch_execz .LBB39_23
; %bb.22:
	ds_load_b128 v[21:24], v19
	v_lshlrev_b16 v17, 8, v17
	v_alignbit_b32 v20, v20, v20, 16
	s_delay_alu instid0(VALU_DEP_2)
	v_or_b32_e32 v14, v14, v17
	s_wait_dscnt 0x0
	v_dual_mov_b32 v25, v21 :: v_dual_mov_b32 v26, v22
	ds_store_b32 v4, v20
	ds_store_b128 v19, v[23:26]
	ds_store_b16 v1, v14
.LBB39_23:
	s_wait_alu 0xfffe
	s_or_b32 exec_lo, exec_lo, s2
	v_sub_nc_u32_e32 v17, v18, v5
	s_wait_loadcnt_dscnt 0x0
	s_barrier_signal -1
	s_barrier_wait -1
	global_inv scope:SCOPE_SE
	v_add_nc_u32_e32 v5, v16, v17
	v_lshl_add_u32 v14, v17, 1, v15
	v_bfe_u32 v25, v2, 1, 1
	v_lshl_add_u32 v17, v17, 3, v13
	ds_load_u8 v20, v5
	ds_load_u16 v21, v14
	ds_load_u16 v24, v14 offset:4
	ds_load_u8 v22, v5 offset:2
	s_wait_dscnt 0x3
	v_and_b32_e32 v23, 1, v20
	s_wait_dscnt 0x1
	v_cmp_gt_i16_e64 s2, v21, v24
	s_wait_dscnt 0x0
	v_cmp_ne_u16_e64 s4, v22, v25
	v_cmp_eq_u32_e64 s3, 1, v23
	s_wait_alu 0xf1ff
	s_delay_alu instid0(VALU_DEP_2) | instskip(SKIP_2) | instid1(VALU_DEP_1)
	v_cndmask_b32_e64 v23, 0, 1, s4
	s_and_b32 s2, s2, s3
	s_wait_alu 0xfffe
	v_cndmask_b32_e64 v25, v23, v25, s2
	v_and_b32_e32 v23, 2, v2
	s_delay_alu instid0(VALU_DEP_2) | instskip(NEXT) | instid1(VALU_DEP_2)
	v_and_b32_e32 v25, 1, v25
	v_cmp_ne_u32_e64 s2, 0, v23
	s_delay_alu instid0(VALU_DEP_2)
	v_cmp_eq_u32_e64 s3, 1, v25
	s_and_saveexec_b32 s4, s3
	s_wait_alu 0xfffe
	s_xor_b32 s3, exec_lo, s4
	s_cbranch_execz .LBB39_25
; %bb.24:
	ds_load_2addr_b64 v[25:28], v17 offset1:2
	s_wait_dscnt 0x0
	ds_store_2addr_b64 v17, v[27:28], v[25:26] offset1:2
	ds_store_b16 v14, v24
	ds_store_b16 v14, v21 offset:4
	ds_store_b8 v5, v22
	ds_store_b8 v5, v20 offset:2
.LBB39_25:
	s_wait_alu 0xfffe
	s_or_b32 exec_lo, exec_lo, s3
	s_wait_loadcnt_dscnt 0x0
	s_barrier_signal -1
	s_barrier_wait -1
	global_inv scope:SCOPE_SE
	ds_load_b32 v22, v4
	ds_load_u16 v21, v1
	v_lshrrev_b32_e32 v23, 1, v23
	v_cndmask_b32_e64 v26, 0, 1, s2
	s_wait_dscnt 0x1
	v_lshrrev_b32_e32 v24, 16, v22
	s_wait_dscnt 0x0
	v_lshrrev_b16 v20, 8, v21
	v_and_b32_e32 v25, 1, v21
	s_delay_alu instid0(VALU_DEP_3) | instskip(NEXT) | instid1(VALU_DEP_3)
	v_cmp_gt_i16_e64 s2, v22, v24
	v_cmp_ne_u16_e64 s4, v20, v23
	s_delay_alu instid0(VALU_DEP_3) | instskip(SKIP_1) | instid1(VALU_DEP_2)
	v_cmp_eq_u32_e64 s3, 1, v25
	s_wait_alu 0xf1ff
	v_cndmask_b32_e64 v23, 0, 1, s4
	s_and_b32 s2, s2, s3
	s_mov_b32 s3, exec_lo
	s_wait_alu 0xfffe
	s_delay_alu instid0(VALU_DEP_1) | instskip(NEXT) | instid1(VALU_DEP_1)
	v_cndmask_b32_e64 v23, v23, v26, s2
	v_and_b32_e32 v23, 1, v23
	s_delay_alu instid0(VALU_DEP_1)
	v_cmpx_eq_u32_e32 1, v23
	s_cbranch_execz .LBB39_27
; %bb.26:
	ds_load_b128 v[23:26], v19
	v_lshlrev_b16 v28, 8, v21
	v_alignbit_b32 v27, v22, v22, 16
	s_delay_alu instid0(VALU_DEP_2)
	v_or_b32_e32 v20, v20, v28
	s_wait_dscnt 0x0
	v_dual_mov_b32 v21, v25 :: v_dual_mov_b32 v22, v26
	ds_store_b32 v4, v27
	ds_store_b128 v19, v[21:24]
	ds_store_b16 v1, v20
.LBB39_27:
	s_or_b32 exec_lo, exec_lo, s3
	v_and_b32_e32 v19, 3, v2
	s_wait_loadcnt_dscnt 0x0
	s_barrier_signal -1
	s_barrier_wait -1
	global_inv scope:SCOPE_SE
	v_sub_nc_u32_e32 v22, v18, v19
	v_bfe_u32 v27, v2, 2, 1
	s_delay_alu instid0(VALU_DEP_2)
	v_add_nc_u32_e32 v19, v16, v22
	v_lshl_add_u32 v20, v22, 1, v15
	v_lshl_add_u32 v22, v22, 3, v13
	ds_load_u8 v23, v19
	ds_load_u16 v24, v20
	ds_load_u16 v26, v20 offset:8
	ds_load_u8 v25, v19 offset:4
	s_wait_dscnt 0x3
	v_and_b32_e32 v21, 1, v23
	s_wait_dscnt 0x1
	v_cmp_gt_i16_e64 s2, v24, v26
	s_wait_dscnt 0x0
	v_cmp_ne_u16_e64 s4, v25, v27
	v_cmp_eq_u32_e64 s3, 1, v21
	s_wait_alu 0xf1ff
	s_delay_alu instid0(VALU_DEP_2) | instskip(SKIP_3) | instid1(VALU_DEP_1)
	v_cndmask_b32_e64 v21, 0, 1, s4
	s_mov_b32 s4, exec_lo
	s_and_b32 s2, s2, s3
	s_wait_alu 0xfffe
	v_cndmask_b32_e64 v27, v21, v27, s2
	v_and_b32_e32 v21, 4, v2
	s_delay_alu instid0(VALU_DEP_2) | instskip(NEXT) | instid1(VALU_DEP_2)
	v_and_b32_e32 v27, 1, v27
	v_cmp_ne_u32_e64 s2, 0, v21
	s_delay_alu instid0(VALU_DEP_2)
	v_cmpx_eq_u32_e32 1, v27
	s_cbranch_execz .LBB39_29
; %bb.28:
	ds_load_2addr_b64 v[27:30], v22 offset1:4
	s_wait_dscnt 0x0
	ds_store_2addr_b64 v22, v[29:30], v[27:28] offset1:4
	ds_store_b16 v20, v26
	ds_store_b16 v20, v24 offset:8
	ds_store_b8 v19, v25
	ds_store_b8 v19, v23 offset:4
.LBB39_29:
	s_or_b32 exec_lo, exec_lo, s4
	s_wait_loadcnt_dscnt 0x0
	s_barrier_signal -1
	s_barrier_wait -1
	global_inv scope:SCOPE_SE
	ds_load_u8 v24, v5
	ds_load_u16 v25, v14
	ds_load_u16 v27, v14 offset:4
	ds_load_u8 v26, v5 offset:2
	v_lshrrev_b32_e32 v21, 2, v21
	v_cndmask_b32_e64 v23, 0, 1, s2
	s_wait_dscnt 0x3
	v_and_b32_e32 v28, 1, v24
	s_wait_dscnt 0x1
	v_cmp_gt_i16_e64 s2, v25, v27
	s_wait_dscnt 0x0
	v_cmp_ne_u16_e64 s4, v26, v21
	v_cmp_eq_u32_e64 s3, 1, v28
	s_wait_alu 0xf1ff
	s_delay_alu instid0(VALU_DEP_2) | instskip(SKIP_3) | instid1(VALU_DEP_1)
	v_cndmask_b32_e64 v28, 0, 1, s4
	s_and_b32 s2, s2, s3
	s_mov_b32 s3, exec_lo
	s_wait_alu 0xfffe
	v_cndmask_b32_e64 v28, v28, v23, s2
	s_delay_alu instid0(VALU_DEP_1) | instskip(NEXT) | instid1(VALU_DEP_1)
	v_and_b32_e32 v28, 1, v28
	v_cmpx_eq_u32_e32 1, v28
	s_cbranch_execz .LBB39_31
; %bb.30:
	ds_load_2addr_b64 v[28:31], v17 offset1:2
	s_wait_dscnt 0x0
	ds_store_2addr_b64 v17, v[30:31], v[28:29] offset1:2
	ds_store_b16 v14, v27
	ds_store_b16 v14, v25 offset:4
	ds_store_b8 v5, v26
	ds_store_b8 v5, v24 offset:2
.LBB39_31:
	s_or_b32 exec_lo, exec_lo, s3
	s_wait_loadcnt_dscnt 0x0
	s_barrier_signal -1
	s_barrier_wait -1
	global_inv scope:SCOPE_SE
	ds_load_b32 v26, v4
	ds_load_u16 v25, v1
	s_wait_dscnt 0x1
	v_lshrrev_b32_e32 v27, 16, v26
	s_wait_dscnt 0x0
	v_lshrrev_b16 v24, 8, v25
	v_and_b32_e32 v28, 1, v25
	s_delay_alu instid0(VALU_DEP_3) | instskip(NEXT) | instid1(VALU_DEP_3)
	v_cmp_gt_i16_e64 s2, v26, v27
	v_cmp_ne_u16_e64 s4, v24, v21
	s_delay_alu instid0(VALU_DEP_3) | instskip(SKIP_1) | instid1(VALU_DEP_2)
	v_cmp_eq_u32_e64 s3, 1, v28
	s_wait_alu 0xf1ff
	v_cndmask_b32_e64 v21, 0, 1, s4
	s_and_b32 s2, s2, s3
	s_wait_alu 0xfffe
	s_delay_alu instid0(VALU_DEP_1) | instskip(NEXT) | instid1(VALU_DEP_1)
	v_cndmask_b32_e64 v21, v21, v23, s2
	v_and_b32_e32 v21, 1, v21
	s_delay_alu instid0(VALU_DEP_1)
	v_cmp_eq_u32_e64 s2, 1, v21
	v_lshl_add_u32 v21, v18, 3, v13
	s_and_saveexec_b32 s3, s2
	s_cbranch_execz .LBB39_33
; %bb.32:
	ds_load_b128 v[27:30], v21
	v_lshlrev_b16 v31, 8, v25
	v_alignbit_b32 v23, v26, v26, 16
	s_delay_alu instid0(VALU_DEP_2)
	v_or_b32_e32 v24, v24, v31
	s_wait_dscnt 0x0
	v_dual_mov_b32 v25, v29 :: v_dual_mov_b32 v26, v30
	ds_store_b32 v4, v23
	ds_store_b128 v21, v[25:28]
	ds_store_b16 v1, v24
.LBB39_33:
	s_wait_alu 0xfffe
	s_or_b32 exec_lo, exec_lo, s3
	v_and_b32_e32 v23, 7, v2
	s_wait_loadcnt_dscnt 0x0
	s_barrier_signal -1
	s_barrier_wait -1
	global_inv scope:SCOPE_SE
	v_sub_nc_u32_e32 v25, v18, v23
	v_bfe_u32 v31, v2, 3, 1
	s_delay_alu instid0(VALU_DEP_2)
	v_add_nc_u32_e32 v23, v16, v25
	v_lshl_add_u32 v24, v25, 1, v15
	v_lshl_add_u32 v25, v25, 3, v13
	ds_load_u8 v27, v23
	ds_load_u16 v28, v24
	ds_load_u16 v30, v24 offset:16
	ds_load_u8 v29, v23 offset:8
	s_wait_dscnt 0x3
	v_and_b32_e32 v26, 1, v27
	s_wait_dscnt 0x1
	v_cmp_gt_i16_e64 s2, v28, v30
	s_wait_dscnt 0x0
	v_cmp_ne_u16_e64 s4, v29, v31
	v_cmp_eq_u32_e64 s3, 1, v26
	s_wait_alu 0xf1ff
	s_delay_alu instid0(VALU_DEP_2) | instskip(SKIP_3) | instid1(VALU_DEP_1)
	v_cndmask_b32_e64 v26, 0, 1, s4
	s_mov_b32 s4, exec_lo
	s_and_b32 s2, s2, s3
	s_wait_alu 0xfffe
	v_cndmask_b32_e64 v31, v26, v31, s2
	v_and_b32_e32 v26, 8, v2
	s_delay_alu instid0(VALU_DEP_2) | instskip(NEXT) | instid1(VALU_DEP_2)
	v_and_b32_e32 v31, 1, v31
	v_cmp_ne_u32_e64 s2, 0, v26
	s_delay_alu instid0(VALU_DEP_2)
	v_cmpx_eq_u32_e32 1, v31
	s_cbranch_execz .LBB39_35
; %bb.34:
	ds_load_2addr_b64 v[31:34], v25 offset1:8
	s_wait_dscnt 0x0
	ds_store_2addr_b64 v25, v[33:34], v[31:32] offset1:8
	ds_store_b16 v24, v30
	ds_store_b16 v24, v28 offset:16
	ds_store_b8 v23, v29
	ds_store_b8 v23, v27 offset:8
.LBB39_35:
	s_or_b32 exec_lo, exec_lo, s4
	s_wait_loadcnt_dscnt 0x0
	s_barrier_signal -1
	s_barrier_wait -1
	global_inv scope:SCOPE_SE
	ds_load_u8 v28, v19
	ds_load_u16 v29, v20
	ds_load_u16 v31, v20 offset:8
	ds_load_u8 v30, v19 offset:4
	v_lshrrev_b32_e32 v26, 3, v26
	v_cndmask_b32_e64 v27, 0, 1, s2
	s_wait_dscnt 0x3
	v_and_b32_e32 v32, 1, v28
	s_wait_dscnt 0x1
	v_cmp_gt_i16_e64 s2, v29, v31
	s_wait_dscnt 0x0
	v_cmp_ne_u16_e64 s4, v30, v26
	v_cmp_eq_u32_e64 s3, 1, v32
	s_wait_alu 0xf1ff
	s_delay_alu instid0(VALU_DEP_2) | instskip(SKIP_3) | instid1(VALU_DEP_1)
	v_cndmask_b32_e64 v32, 0, 1, s4
	s_and_b32 s2, s2, s3
	s_mov_b32 s3, exec_lo
	s_wait_alu 0xfffe
	v_cndmask_b32_e64 v32, v32, v27, s2
	s_delay_alu instid0(VALU_DEP_1) | instskip(NEXT) | instid1(VALU_DEP_1)
	v_and_b32_e32 v32, 1, v32
	v_cmpx_eq_u32_e32 1, v32
	s_cbranch_execz .LBB39_37
; %bb.36:
	ds_load_2addr_b64 v[32:35], v22 offset1:4
	s_wait_dscnt 0x0
	ds_store_2addr_b64 v22, v[34:35], v[32:33] offset1:4
	ds_store_b16 v20, v31
	ds_store_b16 v20, v29 offset:8
	ds_store_b8 v19, v30
	ds_store_b8 v19, v28 offset:4
.LBB39_37:
	s_or_b32 exec_lo, exec_lo, s3
	s_wait_loadcnt_dscnt 0x0
	s_barrier_signal -1
	s_barrier_wait -1
	global_inv scope:SCOPE_SE
	ds_load_u8 v28, v5
	ds_load_u16 v29, v14
	ds_load_u16 v31, v14 offset:4
	ds_load_u8 v30, v5 offset:2
	s_wait_dscnt 0x3
	v_and_b32_e32 v32, 1, v28
	s_wait_dscnt 0x1
	v_cmp_gt_i16_e64 s2, v29, v31
	s_wait_dscnt 0x0
	v_cmp_ne_u16_e64 s4, v30, v26
	v_cmp_eq_u32_e64 s3, 1, v32
	s_wait_alu 0xf1ff
	s_delay_alu instid0(VALU_DEP_2) | instskip(SKIP_3) | instid1(VALU_DEP_1)
	v_cndmask_b32_e64 v32, 0, 1, s4
	s_and_b32 s2, s2, s3
	s_mov_b32 s3, exec_lo
	s_wait_alu 0xfffe
	v_cndmask_b32_e64 v32, v32, v27, s2
	s_delay_alu instid0(VALU_DEP_1) | instskip(NEXT) | instid1(VALU_DEP_1)
	v_and_b32_e32 v32, 1, v32
	v_cmpx_eq_u32_e32 1, v32
	s_cbranch_execz .LBB39_39
; %bb.38:
	ds_load_2addr_b64 v[32:35], v17 offset1:2
	s_wait_dscnt 0x0
	ds_store_2addr_b64 v17, v[34:35], v[32:33] offset1:2
	ds_store_b16 v14, v31
	ds_store_b16 v14, v29 offset:4
	ds_store_b8 v5, v30
	ds_store_b8 v5, v28 offset:2
.LBB39_39:
	s_or_b32 exec_lo, exec_lo, s3
	s_wait_loadcnt_dscnt 0x0
	s_barrier_signal -1
	s_barrier_wait -1
	global_inv scope:SCOPE_SE
	ds_load_b32 v30, v4
	ds_load_u16 v29, v1
	s_wait_dscnt 0x1
	v_lshrrev_b32_e32 v31, 16, v30
	s_wait_dscnt 0x0
	v_lshrrev_b16 v28, 8, v29
	v_and_b32_e32 v32, 1, v29
	s_delay_alu instid0(VALU_DEP_3) | instskip(NEXT) | instid1(VALU_DEP_3)
	v_cmp_gt_i16_e64 s2, v30, v31
	v_cmp_ne_u16_e64 s4, v28, v26
	s_delay_alu instid0(VALU_DEP_3) | instskip(SKIP_1) | instid1(VALU_DEP_2)
	v_cmp_eq_u32_e64 s3, 1, v32
	s_wait_alu 0xf1ff
	v_cndmask_b32_e64 v26, 0, 1, s4
	s_and_b32 s2, s2, s3
	s_mov_b32 s3, exec_lo
	s_wait_alu 0xfffe
	s_delay_alu instid0(VALU_DEP_1) | instskip(NEXT) | instid1(VALU_DEP_1)
	v_cndmask_b32_e64 v26, v26, v27, s2
	v_and_b32_e32 v26, 1, v26
	s_delay_alu instid0(VALU_DEP_1)
	v_cmpx_eq_u32_e32 1, v26
	s_cbranch_execz .LBB39_41
; %bb.40:
	ds_load_b128 v[31:34], v21
	v_lshlrev_b16 v27, 8, v29
	v_alignbit_b32 v26, v30, v30, 16
	s_delay_alu instid0(VALU_DEP_2)
	v_or_b32_e32 v27, v28, v27
	s_wait_dscnt 0x0
	v_dual_mov_b32 v29, v33 :: v_dual_mov_b32 v30, v34
	ds_store_b32 v4, v26
	ds_store_b128 v21, v[29:32]
	ds_store_b16 v1, v27
.LBB39_41:
	s_or_b32 exec_lo, exec_lo, s3
	v_and_b32_e32 v26, 15, v2
	s_wait_loadcnt_dscnt 0x0
	s_barrier_signal -1
	s_barrier_wait -1
	global_inv scope:SCOPE_SE
	v_sub_nc_u32_e32 v18, v18, v26
	s_delay_alu instid0(VALU_DEP_1)
	v_add_nc_u32_e32 v16, v16, v18
	v_lshl_add_u32 v15, v18, 1, v15
	ds_load_u8 v26, v16
	ds_load_u8 v29, v16 offset:16
	ds_load_u16 v27, v15
	ds_load_u16 v28, v15 offset:32
	s_wait_dscnt 0x2
	v_and_b32_e32 v29, 0xff, v29
	v_and_b32_e32 v30, 1, v26
	s_wait_dscnt 0x0
	v_cmp_le_i16_e64 s3, v27, v28
	s_delay_alu instid0(VALU_DEP_3) | instskip(NEXT) | instid1(VALU_DEP_3)
	v_cmp_ne_u16_e64 s4, 0, v29
	v_cmp_eq_u32_e64 s2, 1, v30
	s_xor_b32 s2, s2, -1
	s_wait_alu 0xfffe
	s_or_b32 s2, s3, s2
	s_wait_alu 0xfffe
	s_and_b32 s3, s2, s4
	s_wait_alu 0xfffe
	s_and_saveexec_b32 s2, s3
	s_cbranch_execz .LBB39_43
; %bb.42:
	v_lshl_add_u32 v13, v18, 3, v13
	v_mov_b32_e32 v18, 1
	ds_load_2addr_b64 v[29:32], v13 offset1:16
	s_wait_dscnt 0x0
	ds_store_2addr_b64 v13, v[31:32], v[29:30] offset1:16
	ds_store_b16 v15, v28
	ds_store_b16 v15, v27 offset:32
	ds_store_b8 v16, v18
	ds_store_b8 v16, v26 offset:16
.LBB39_43:
	s_wait_alu 0xfffe
	s_or_b32 exec_lo, exec_lo, s2
	s_wait_loadcnt_dscnt 0x0
	s_barrier_signal -1
	s_barrier_wait -1
	global_inv scope:SCOPE_SE
	ds_load_u8 v13, v23
	ds_load_u8 v18, v23 offset:8
	ds_load_u16 v15, v24
	ds_load_u16 v16, v24 offset:16
	s_wait_dscnt 0x3
	v_and_b32_e32 v26, 1, v13
	s_wait_dscnt 0x2
	v_and_b32_e32 v18, 0xff, v18
	s_wait_dscnt 0x0
	v_cmp_le_i16_e64 s3, v15, v16
	v_cmp_eq_u32_e64 s2, 1, v26
	s_delay_alu instid0(VALU_DEP_3)
	v_cmp_ne_u16_e64 s4, 0, v18
	s_xor_b32 s2, s2, -1
	s_wait_alu 0xfffe
	s_or_b32 s2, s3, s2
	s_wait_alu 0xfffe
	s_and_b32 s3, s2, s4
	s_wait_alu 0xfffe
	s_and_saveexec_b32 s2, s3
	s_cbranch_execz .LBB39_45
; %bb.44:
	ds_load_2addr_b64 v[26:29], v25 offset1:8
	v_mov_b32_e32 v18, 1
	s_wait_dscnt 0x0
	ds_store_2addr_b64 v25, v[28:29], v[26:27] offset1:8
	ds_store_b16 v24, v16
	ds_store_b16 v24, v15 offset:16
	ds_store_b8 v23, v18
	ds_store_b8 v23, v13 offset:8
.LBB39_45:
	s_wait_alu 0xfffe
	s_or_b32 exec_lo, exec_lo, s2
	s_wait_loadcnt_dscnt 0x0
	s_barrier_signal -1
	s_barrier_wait -1
	global_inv scope:SCOPE_SE
	ds_load_u8 v13, v19
	ds_load_u8 v18, v19 offset:4
	ds_load_u16 v15, v20
	ds_load_u16 v16, v20 offset:8
	s_wait_dscnt 0x3
	v_and_b32_e32 v23, 1, v13
	s_wait_dscnt 0x2
	v_and_b32_e32 v18, 0xff, v18
	s_wait_dscnt 0x0
	v_cmp_le_i16_e64 s3, v15, v16
	v_cmp_eq_u32_e64 s2, 1, v23
	s_delay_alu instid0(VALU_DEP_3)
	v_cmp_ne_u16_e64 s4, 0, v18
	s_xor_b32 s2, s2, -1
	s_wait_alu 0xfffe
	s_or_b32 s2, s3, s2
	s_wait_alu 0xfffe
	s_and_b32 s3, s2, s4
	s_wait_alu 0xfffe
	s_and_saveexec_b32 s2, s3
	s_cbranch_execz .LBB39_47
; %bb.46:
	ds_load_2addr_b64 v[23:26], v22 offset1:4
	v_mov_b32_e32 v18, 1
	s_wait_dscnt 0x0
	ds_store_2addr_b64 v22, v[25:26], v[23:24] offset1:4
	ds_store_b16 v20, v16
	ds_store_b16 v20, v15 offset:8
	ds_store_b8 v19, v18
	ds_store_b8 v19, v13 offset:4
.LBB39_47:
	;; [unrolled: 37-line block ×3, first 2 shown]
	s_wait_alu 0xfffe
	s_or_b32 exec_lo, exec_lo, s2
	s_wait_loadcnt_dscnt 0x0
	s_barrier_signal -1
	s_barrier_wait -1
	global_inv scope:SCOPE_SE
	ds_load_u16 v5, v1
	ds_load_b32 v13, v4
	s_wait_dscnt 0x1
	v_and_b32_e32 v14, 1, v5
	s_wait_dscnt 0x0
	v_lshrrev_b32_e32 v15, 16, v13
	v_lshrrev_b16 v16, 8, v5
	s_delay_alu instid0(VALU_DEP_3) | instskip(NEXT) | instid1(VALU_DEP_3)
	v_cmp_eq_u32_e64 s2, 1, v14
	v_cmp_le_i16_e64 s3, v13, v15
	s_delay_alu instid0(VALU_DEP_3)
	v_cmp_ne_u16_e64 s4, 0, v16
	s_xor_b32 s2, s2, -1
	s_wait_alu 0xfffe
	s_or_b32 s2, s3, s2
	s_wait_alu 0xfffe
	s_and_b32 s3, s2, s4
	s_wait_alu 0xfffe
	s_and_saveexec_b32 s2, s3
	s_cbranch_execz .LBB39_51
; %bb.50:
	ds_load_b128 v[14:17], v21
	v_lshlrev_b16 v5, 8, v5
	v_alignbit_b32 v13, v13, v13, 16
	s_delay_alu instid0(VALU_DEP_2)
	v_or_b32_e32 v5, 1, v5
	s_wait_dscnt 0x0
	v_dual_mov_b32 v18, v14 :: v_dual_mov_b32 v19, v15
	ds_store_b32 v4, v13
	ds_store_b128 v21, v[16:19]
	ds_store_b16 v1, v5
.LBB39_51:
	s_wait_alu 0xfffe
	s_or_b32 exec_lo, exec_lo, s2
	s_wait_loadcnt_dscnt 0x0
	s_barrier_signal -1
	s_barrier_wait -1
	global_inv scope:SCOPE_SE
	s_and_saveexec_b32 s2, vcc_lo
	s_cbranch_execz .LBB39_56
; %bb.52:
	s_and_saveexec_b32 s2, s0
	s_cbranch_execz .LBB39_54
; %bb.53:
	v_mad_co_u64_u32 v[4:5], null, s8, v2, 0
	v_mad_co_u64_u32 v[13:14], null, s10, v2, 0
	s_delay_alu instid0(VALU_DEP_2) | instskip(NEXT) | instid1(VALU_DEP_2)
	v_mov_b32_e32 v1, v5
	v_mov_b32_e32 v5, v14
	s_delay_alu instid0(VALU_DEP_2) | instskip(NEXT) | instid1(VALU_DEP_2)
	v_mad_co_u64_u32 v[14:15], null, s9, v2, v[1:2]
	v_mad_co_u64_u32 v[1:2], null, s11, v2, v[5:6]
	ds_load_u16 v15, v11
	ds_load_b64 v[11:12], v12
	v_dual_mov_b32 v5, v14 :: v_dual_mov_b32 v14, v1
	s_delay_alu instid0(VALU_DEP_1) | instskip(NEXT) | instid1(VALU_DEP_2)
	v_lshlrev_b64_e32 v[1:2], 1, v[4:5]
	v_lshlrev_b64_e32 v[4:5], 3, v[13:14]
	s_delay_alu instid0(VALU_DEP_2) | instskip(SKIP_1) | instid1(VALU_DEP_3)
	v_add_co_u32 v1, vcc_lo, v3, v1
	s_wait_alu 0xfffd
	v_add_co_ci_u32_e64 v2, null, v8, v2, vcc_lo
	s_delay_alu instid0(VALU_DEP_3)
	v_add_co_u32 v4, vcc_lo, v9, v4
	s_wait_alu 0xfffd
	v_add_co_ci_u32_e64 v5, null, v10, v5, vcc_lo
	s_wait_dscnt 0x1
	global_store_b16 v[1:2], v15, off
	s_wait_dscnt 0x0
	global_store_b64 v[4:5], v[11:12], off
.LBB39_54:
	s_wait_alu 0xfffe
	s_or_b32 exec_lo, exec_lo, s2
	s_delay_alu instid0(SALU_CYCLE_1)
	s_and_b32 exec_lo, exec_lo, s1
	s_cbranch_execz .LBB39_56
; %bb.55:
	v_mad_co_u64_u32 v[1:2], null, s8, v0, 0
	v_mad_co_u64_u32 v[4:5], null, s10, v0, 0
	s_delay_alu instid0(VALU_DEP_2) | instskip(NEXT) | instid1(VALU_DEP_2)
	v_mad_co_u64_u32 v[11:12], null, s9, v0, v[2:3]
	v_mad_co_u64_u32 v[12:13], null, s11, v0, v[5:6]
	s_delay_alu instid0(VALU_DEP_2) | instskip(SKIP_4) | instid1(VALU_DEP_2)
	v_mov_b32_e32 v2, v11
	ds_load_u16 v11, v6
	ds_load_b64 v[6:7], v7
	v_mov_b32_e32 v5, v12
	v_lshlrev_b64_e32 v[0:1], 1, v[1:2]
	v_lshlrev_b64_e32 v[4:5], 3, v[4:5]
	s_delay_alu instid0(VALU_DEP_2) | instskip(SKIP_1) | instid1(VALU_DEP_3)
	v_add_co_u32 v0, vcc_lo, v3, v0
	s_wait_alu 0xfffd
	v_add_co_ci_u32_e64 v1, null, v8, v1, vcc_lo
	s_delay_alu instid0(VALU_DEP_3)
	v_add_co_u32 v2, vcc_lo, v9, v4
	s_wait_alu 0xfffd
	v_add_co_ci_u32_e64 v3, null, v10, v5, vcc_lo
	s_wait_dscnt 0x1
	global_store_b16 v[0:1], v11, off
	s_wait_dscnt 0x0
	global_store_b64 v[2:3], v[6:7], off
.LBB39_56:
	s_endpgm
	.section	.rodata,"a",@progbits
	.p2align	6, 0x0
	.amdhsa_kernel _ZN2at6native20bitonicSortKVInPlaceILin1ELin1ELi16ELi16EslNS0_4GTOpIsLb1EEEmEEvNS_4cuda6detail10TensorInfoIT3_T6_EES8_S8_S8_NS6_IT4_S8_EES8_T5_
		.amdhsa_group_segment_fixed_size 5632
		.amdhsa_private_segment_fixed_size 0
		.amdhsa_kernarg_size 1128
		.amdhsa_user_sgpr_count 2
		.amdhsa_user_sgpr_dispatch_ptr 0
		.amdhsa_user_sgpr_queue_ptr 0
		.amdhsa_user_sgpr_kernarg_segment_ptr 1
		.amdhsa_user_sgpr_dispatch_id 0
		.amdhsa_user_sgpr_private_segment_size 0
		.amdhsa_wavefront_size32 1
		.amdhsa_uses_dynamic_stack 0
		.amdhsa_enable_private_segment 0
		.amdhsa_system_sgpr_workgroup_id_x 1
		.amdhsa_system_sgpr_workgroup_id_y 1
		.amdhsa_system_sgpr_workgroup_id_z 1
		.amdhsa_system_sgpr_workgroup_info 0
		.amdhsa_system_vgpr_workitem_id 1
		.amdhsa_next_free_vgpr 36
		.amdhsa_next_free_sgpr 31
		.amdhsa_reserve_vcc 1
		.amdhsa_float_round_mode_32 0
		.amdhsa_float_round_mode_16_64 0
		.amdhsa_float_denorm_mode_32 3
		.amdhsa_float_denorm_mode_16_64 3
		.amdhsa_fp16_overflow 0
		.amdhsa_workgroup_processor_mode 1
		.amdhsa_memory_ordered 1
		.amdhsa_forward_progress 1
		.amdhsa_inst_pref_size 55
		.amdhsa_round_robin_scheduling 0
		.amdhsa_exception_fp_ieee_invalid_op 0
		.amdhsa_exception_fp_denorm_src 0
		.amdhsa_exception_fp_ieee_div_zero 0
		.amdhsa_exception_fp_ieee_overflow 0
		.amdhsa_exception_fp_ieee_underflow 0
		.amdhsa_exception_fp_ieee_inexact 0
		.amdhsa_exception_int_div_zero 0
	.end_amdhsa_kernel
	.section	.text._ZN2at6native20bitonicSortKVInPlaceILin1ELin1ELi16ELi16EslNS0_4GTOpIsLb1EEEmEEvNS_4cuda6detail10TensorInfoIT3_T6_EES8_S8_S8_NS6_IT4_S8_EES8_T5_,"axG",@progbits,_ZN2at6native20bitonicSortKVInPlaceILin1ELin1ELi16ELi16EslNS0_4GTOpIsLb1EEEmEEvNS_4cuda6detail10TensorInfoIT3_T6_EES8_S8_S8_NS6_IT4_S8_EES8_T5_,comdat
.Lfunc_end39:
	.size	_ZN2at6native20bitonicSortKVInPlaceILin1ELin1ELi16ELi16EslNS0_4GTOpIsLb1EEEmEEvNS_4cuda6detail10TensorInfoIT3_T6_EES8_S8_S8_NS6_IT4_S8_EES8_T5_, .Lfunc_end39-_ZN2at6native20bitonicSortKVInPlaceILin1ELin1ELi16ELi16EslNS0_4GTOpIsLb1EEEmEEvNS_4cuda6detail10TensorInfoIT3_T6_EES8_S8_S8_NS6_IT4_S8_EES8_T5_
                                        ; -- End function
	.set _ZN2at6native20bitonicSortKVInPlaceILin1ELin1ELi16ELi16EslNS0_4GTOpIsLb1EEEmEEvNS_4cuda6detail10TensorInfoIT3_T6_EES8_S8_S8_NS6_IT4_S8_EES8_T5_.num_vgpr, 36
	.set _ZN2at6native20bitonicSortKVInPlaceILin1ELin1ELi16ELi16EslNS0_4GTOpIsLb1EEEmEEvNS_4cuda6detail10TensorInfoIT3_T6_EES8_S8_S8_NS6_IT4_S8_EES8_T5_.num_agpr, 0
	.set _ZN2at6native20bitonicSortKVInPlaceILin1ELin1ELi16ELi16EslNS0_4GTOpIsLb1EEEmEEvNS_4cuda6detail10TensorInfoIT3_T6_EES8_S8_S8_NS6_IT4_S8_EES8_T5_.numbered_sgpr, 31
	.set _ZN2at6native20bitonicSortKVInPlaceILin1ELin1ELi16ELi16EslNS0_4GTOpIsLb1EEEmEEvNS_4cuda6detail10TensorInfoIT3_T6_EES8_S8_S8_NS6_IT4_S8_EES8_T5_.num_named_barrier, 0
	.set _ZN2at6native20bitonicSortKVInPlaceILin1ELin1ELi16ELi16EslNS0_4GTOpIsLb1EEEmEEvNS_4cuda6detail10TensorInfoIT3_T6_EES8_S8_S8_NS6_IT4_S8_EES8_T5_.private_seg_size, 0
	.set _ZN2at6native20bitonicSortKVInPlaceILin1ELin1ELi16ELi16EslNS0_4GTOpIsLb1EEEmEEvNS_4cuda6detail10TensorInfoIT3_T6_EES8_S8_S8_NS6_IT4_S8_EES8_T5_.uses_vcc, 1
	.set _ZN2at6native20bitonicSortKVInPlaceILin1ELin1ELi16ELi16EslNS0_4GTOpIsLb1EEEmEEvNS_4cuda6detail10TensorInfoIT3_T6_EES8_S8_S8_NS6_IT4_S8_EES8_T5_.uses_flat_scratch, 0
	.set _ZN2at6native20bitonicSortKVInPlaceILin1ELin1ELi16ELi16EslNS0_4GTOpIsLb1EEEmEEvNS_4cuda6detail10TensorInfoIT3_T6_EES8_S8_S8_NS6_IT4_S8_EES8_T5_.has_dyn_sized_stack, 0
	.set _ZN2at6native20bitonicSortKVInPlaceILin1ELin1ELi16ELi16EslNS0_4GTOpIsLb1EEEmEEvNS_4cuda6detail10TensorInfoIT3_T6_EES8_S8_S8_NS6_IT4_S8_EES8_T5_.has_recursion, 0
	.set _ZN2at6native20bitonicSortKVInPlaceILin1ELin1ELi16ELi16EslNS0_4GTOpIsLb1EEEmEEvNS_4cuda6detail10TensorInfoIT3_T6_EES8_S8_S8_NS6_IT4_S8_EES8_T5_.has_indirect_call, 0
	.section	.AMDGPU.csdata,"",@progbits
; Kernel info:
; codeLenInByte = 6980
; TotalNumSgprs: 33
; NumVgprs: 36
; ScratchSize: 0
; MemoryBound: 0
; FloatMode: 240
; IeeeMode: 1
; LDSByteSize: 5632 bytes/workgroup (compile time only)
; SGPRBlocks: 0
; VGPRBlocks: 4
; NumSGPRsForWavesPerEU: 33
; NumVGPRsForWavesPerEU: 36
; Occupancy: 16
; WaveLimiterHint : 1
; COMPUTE_PGM_RSRC2:SCRATCH_EN: 0
; COMPUTE_PGM_RSRC2:USER_SGPR: 2
; COMPUTE_PGM_RSRC2:TRAP_HANDLER: 0
; COMPUTE_PGM_RSRC2:TGID_X_EN: 1
; COMPUTE_PGM_RSRC2:TGID_Y_EN: 1
; COMPUTE_PGM_RSRC2:TGID_Z_EN: 1
; COMPUTE_PGM_RSRC2:TIDIG_COMP_CNT: 1
	.section	.text._ZN2at6native20bitonicSortKVInPlaceILin2ELin1ELi16ELi16EdlNS0_4LTOpIdLb1EEEjEEvNS_4cuda6detail10TensorInfoIT3_T6_EES8_S8_S8_NS6_IT4_S8_EES8_T5_,"axG",@progbits,_ZN2at6native20bitonicSortKVInPlaceILin2ELin1ELi16ELi16EdlNS0_4LTOpIdLb1EEEjEEvNS_4cuda6detail10TensorInfoIT3_T6_EES8_S8_S8_NS6_IT4_S8_EES8_T5_,comdat
	.protected	_ZN2at6native20bitonicSortKVInPlaceILin2ELin1ELi16ELi16EdlNS0_4LTOpIdLb1EEEjEEvNS_4cuda6detail10TensorInfoIT3_T6_EES8_S8_S8_NS6_IT4_S8_EES8_T5_ ; -- Begin function _ZN2at6native20bitonicSortKVInPlaceILin2ELin1ELi16ELi16EdlNS0_4LTOpIdLb1EEEjEEvNS_4cuda6detail10TensorInfoIT3_T6_EES8_S8_S8_NS6_IT4_S8_EES8_T5_
	.globl	_ZN2at6native20bitonicSortKVInPlaceILin2ELin1ELi16ELi16EdlNS0_4LTOpIdLb1EEEjEEvNS_4cuda6detail10TensorInfoIT3_T6_EES8_S8_S8_NS6_IT4_S8_EES8_T5_
	.p2align	8
	.type	_ZN2at6native20bitonicSortKVInPlaceILin2ELin1ELi16ELi16EdlNS0_4LTOpIdLb1EEEjEEvNS_4cuda6detail10TensorInfoIT3_T6_EES8_S8_S8_NS6_IT4_S8_EES8_T5_,@function
_ZN2at6native20bitonicSortKVInPlaceILin2ELin1ELi16ELi16EdlNS0_4LTOpIdLb1EEEjEEvNS_4cuda6detail10TensorInfoIT3_T6_EES8_S8_S8_NS6_IT4_S8_EES8_T5_: ; @_ZN2at6native20bitonicSortKVInPlaceILin2ELin1ELi16ELi16EdlNS0_4LTOpIdLb1EEEjEEvNS_4cuda6detail10TensorInfoIT3_T6_EES8_S8_S8_NS6_IT4_S8_EES8_T5_
; %bb.0:
	s_clause 0x2
	s_load_b64 s[2:3], s[0:1], 0x1c8
	s_load_u16 s4, s[0:1], 0x1d6
	s_load_b96 s[8:10], s[0:1], 0xd8
	s_lshr_b32 s5, ttmp7, 16
	s_wait_kmcnt 0x0
	s_mul_i32 s3, s3, s5
	s_and_b32 s5, ttmp7, 0xffff
	s_delay_alu instid0(SALU_CYCLE_1) | instskip(NEXT) | instid1(SALU_CYCLE_1)
	s_add_co_i32 s3, s3, s5
	s_mul_i32 s2, s3, s2
	s_delay_alu instid0(SALU_CYCLE_1) | instskip(NEXT) | instid1(SALU_CYCLE_1)
	s_add_co_i32 s2, s2, ttmp9
	s_mul_i32 s2, s2, s4
	s_delay_alu instid0(SALU_CYCLE_1)
	s_cmp_ge_u32 s2, s8
	s_cbranch_scc1 .LBB40_43
; %bb.1:
	s_clause 0x1
	s_load_b32 s4, s[0:1], 0x1b8
	s_load_b64 s[12:13], s[0:1], 0x0
	v_bfe_u32 v9, v0, 10, 10
	s_delay_alu instid0(VALU_DEP_1) | instskip(SKIP_2) | instid1(VALU_DEP_2)
	v_add_nc_u32_e32 v3, s2, v9
	v_mov_b32_e32 v1, 0
	s_add_nc_u64 s[2:3], s[0:1], 0xe8
	v_mov_b32_e32 v4, v3
	s_wait_kmcnt 0x0
	s_cmp_lt_i32 s4, 2
	s_cbranch_scc1 .LBB40_4
; %bb.2:
	s_add_co_i32 s6, s4, -1
	s_mov_b32 s7, 0
	v_dual_mov_b32 v1, 0 :: v_dual_mov_b32 v4, v3
	s_lshl_b64 s[6:7], s[6:7], 2
	s_wait_alu 0xfffe
	s_add_nc_u64 s[14:15], s[2:3], s[6:7]
	s_add_co_i32 s6, s4, 1
	s_add_nc_u64 s[4:5], s[14:15], 8
.LBB40_3:                               ; =>This Inner Loop Header: Depth=1
	s_clause 0x1
	s_load_b32 s7, s[4:5], 0x0
	s_load_b32 s11, s[4:5], 0x64
	s_add_co_i32 s6, s6, -1
	s_add_nc_u64 s[4:5], s[4:5], -4
	s_wait_kmcnt 0x0
	s_cvt_f32_u32 s14, s7
	s_sub_co_i32 s15, 0, s7
	s_wait_alu 0xfffe
	s_delay_alu instid0(SALU_CYCLE_1) | instskip(NEXT) | instid1(TRANS32_DEP_1)
	v_rcp_iflag_f32_e32 v2, s14
	v_readfirstlane_b32 s14, v2
	v_mov_b32_e32 v2, v4
	s_mul_f32 s14, s14, 0x4f7ffffe
	s_wait_alu 0xfffe
	s_delay_alu instid0(SALU_CYCLE_2) | instskip(SKIP_1) | instid1(SALU_CYCLE_2)
	s_cvt_u32_f32 s14, s14
	s_wait_alu 0xfffe
	s_mul_i32 s15, s15, s14
	s_wait_alu 0xfffe
	s_mul_hi_u32 s15, s14, s15
	s_wait_alu 0xfffe
	s_add_co_i32 s14, s14, s15
	s_cmp_gt_u32 s6, 2
	s_wait_alu 0xfffe
	v_mul_hi_u32 v4, v2, s14
	s_delay_alu instid0(VALU_DEP_1) | instskip(SKIP_1) | instid1(VALU_DEP_2)
	v_mul_lo_u32 v5, v4, s7
	v_add_nc_u32_e32 v6, 1, v4
	v_sub_nc_u32_e32 v5, v2, v5
	s_delay_alu instid0(VALU_DEP_1) | instskip(SKIP_2) | instid1(VALU_DEP_2)
	v_subrev_nc_u32_e32 v7, s7, v5
	v_cmp_le_u32_e32 vcc_lo, s7, v5
	s_wait_alu 0xfffd
	v_dual_cndmask_b32 v4, v4, v6 :: v_dual_cndmask_b32 v5, v5, v7
	s_delay_alu instid0(VALU_DEP_1) | instskip(NEXT) | instid1(VALU_DEP_2)
	v_add_nc_u32_e32 v6, 1, v4
	v_cmp_le_u32_e32 vcc_lo, s7, v5
	s_wait_alu 0xfffd
	s_delay_alu instid0(VALU_DEP_2) | instskip(NEXT) | instid1(VALU_DEP_1)
	v_cndmask_b32_e32 v4, v4, v6, vcc_lo
	v_mul_lo_u32 v5, v4, s7
	s_delay_alu instid0(VALU_DEP_1) | instskip(NEXT) | instid1(VALU_DEP_1)
	v_sub_nc_u32_e32 v2, v2, v5
	v_mad_co_u64_u32 v[1:2], null, s11, v2, v[1:2]
	s_cbranch_scc1 .LBB40_3
.LBB40_4:
	s_load_b32 s6, s[0:1], 0x6c
	s_add_nc_u64 s[4:5], s[0:1], 0x1c8
	s_load_b32 s11, s[2:3], 0x6c
	s_load_b32 s4, s[4:5], 0xc
	s_clause 0x1
	s_load_b32 s7, s[0:1], 0x1c0
	s_load_b64 s[14:15], s[2:3], 0x0
	v_and_b32_e32 v11, 0x3ff, v0
	v_mov_b32_e32 v7, 0
	v_cmp_gt_u32_e64 s0, s8, v3
	v_mov_b32_e32 v8, 0
	s_delay_alu instid0(VALU_DEP_4)
	v_cmp_gt_u32_e32 vcc_lo, s9, v11
	s_and_b32 s2, s0, vcc_lo
	s_wait_kmcnt 0x0
	v_mad_co_u64_u32 v[4:5], null, s11, v4, v[1:2]
	v_mul_lo_u32 v6, s6, v3
	v_mov_b32_e32 v0, 0
	v_dual_mov_b32 v1, 0 :: v_dual_mov_b32 v2, 0
	v_mov_b32_e32 v3, 0
	s_wait_alu 0xfffe
	s_and_saveexec_b32 s3, s2
	s_cbranch_execz .LBB40_6
; %bb.5:
	s_delay_alu instid0(VALU_DEP_4) | instskip(SKIP_2) | instid1(VALU_DEP_2)
	v_mad_co_u64_u32 v[2:3], null, v11, s10, v[6:7]
	v_mov_b32_e32 v3, 0
	v_mad_co_u64_u32 v[7:8], null, v11, s7, v[4:5]
	v_mov_b32_e32 v8, v3
	s_delay_alu instid0(VALU_DEP_4) | instskip(NEXT) | instid1(VALU_DEP_2)
	v_lshlrev_b64_e32 v[2:3], 3, v[2:3]
	v_lshlrev_b64_e32 v[7:8], 3, v[7:8]
	s_delay_alu instid0(VALU_DEP_2) | instskip(NEXT) | instid1(VALU_DEP_1)
	v_add_co_u32 v2, s1, s12, v2
	v_add_co_ci_u32_e64 v3, null, s13, v3, s1
	s_delay_alu instid0(VALU_DEP_3) | instskip(SKIP_1) | instid1(VALU_DEP_4)
	v_add_co_u32 v7, s1, s14, v7
	s_wait_alu 0xf1ff
	v_add_co_ci_u32_e64 v8, null, s15, v8, s1
	global_load_b64 v[2:3], v[2:3], off
	global_load_b64 v[7:8], v[7:8], off
.LBB40_6:
	s_wait_alu 0xfffe
	s_or_b32 exec_lo, exec_lo, s3
	v_lshlrev_b32_e32 v15, 8, v9
	s_and_b32 s3, 0xffff, s4
	v_lshlrev_b32_e32 v16, 3, v11
	s_wait_alu 0xfffe
	v_add_nc_u32_e32 v5, s3, v11
	v_lshl_add_u32 v17, v9, 5, 0x2000
	v_mov_b32_e32 v9, 0
	v_mov_b32_e32 v10, 0
	v_add_nc_u32_e32 v14, 0x1000, v15
	v_cmp_gt_u32_e64 s1, s9, v5
	v_add_nc_u32_e32 v12, v15, v16
	v_cndmask_b32_e64 v18, 0, 1, s2
	v_add_nc_u32_e32 v19, v17, v11
	v_add_nc_u32_e32 v13, v14, v16
	s_and_b32 s4, s0, s1
	s_wait_loadcnt 0x1
	ds_store_b64 v12, v[2:3]
	s_wait_loadcnt 0x0
	ds_store_b64 v13, v[7:8]
	ds_store_b8 v19, v18
	s_and_saveexec_b32 s5, s4
	s_cbranch_execz .LBB40_8
; %bb.7:
	v_mad_co_u64_u32 v[0:1], null, v5, s10, v[6:7]
	v_mov_b32_e32 v1, 0
	v_mad_co_u64_u32 v[2:3], null, v5, s7, v[4:5]
	s_delay_alu instid0(VALU_DEP_2) | instskip(NEXT) | instid1(VALU_DEP_4)
	v_mov_b32_e32 v3, v1
	v_lshlrev_b64_e32 v[0:1], 3, v[0:1]
	s_delay_alu instid0(VALU_DEP_2) | instskip(NEXT) | instid1(VALU_DEP_2)
	v_lshlrev_b64_e32 v[2:3], 3, v[2:3]
	v_add_co_u32 v0, s2, s12, v0
	s_wait_alu 0xf1ff
	s_delay_alu instid0(VALU_DEP_3) | instskip(NEXT) | instid1(VALU_DEP_3)
	v_add_co_ci_u32_e64 v1, null, s13, v1, s2
	v_add_co_u32 v2, s2, s14, v2
	s_wait_alu 0xf1ff
	v_add_co_ci_u32_e64 v3, null, s15, v3, s2
	global_load_b64 v[0:1], v[0:1], off
	global_load_b64 v[9:10], v[2:3], off
.LBB40_8:
	s_or_b32 exec_lo, exec_lo, s5
	s_lshl_b32 s2, s3, 3
	v_cndmask_b32_e64 v2, 0, 1, s4
	s_wait_alu 0xfffe
	v_add_nc_u32_e32 v7, s2, v12
	v_add_nc_u32_e32 v8, s2, v13
	;; [unrolled: 1-line block ×3, first 2 shown]
	v_lshlrev_b32_e32 v20, 1, v11
	v_and_b32_e32 v18, 1, v11
	s_wait_loadcnt 0x1
	ds_store_b64 v7, v[0:1]
	s_wait_loadcnt 0x0
	ds_store_b64 v8, v[9:10]
	ds_store_b8 v3, v2
	v_add_nc_u32_e32 v9, v12, v16
	s_wait_dscnt 0x0
	s_barrier_signal -1
	s_barrier_wait -1
	global_inv scope:SCOPE_SE
	ds_load_b128 v[0:3], v9
	v_add_nc_u32_e32 v10, v17, v20
	ds_load_u16 v19, v10
	s_wait_dscnt 0x1
	v_cmp_u_f64_e64 s2, v[2:3], v[2:3]
	v_cmp_o_f64_e64 s3, v[0:1], v[0:1]
	v_cmp_lt_f64_e64 s4, v[0:1], v[2:3]
	s_wait_dscnt 0x0
	v_lshrrev_b16 v22, 8, v19
	v_and_b32_e32 v21, 1, v19
	s_delay_alu instid0(VALU_DEP_2) | instskip(NEXT) | instid1(VALU_DEP_2)
	v_cmp_ne_u16_e64 s6, v22, v18
	v_cmp_eq_u32_e64 s5, 1, v21
	s_wait_alu 0xf1ff
	s_delay_alu instid0(VALU_DEP_2)
	v_cndmask_b32_e64 v21, 0, 1, s6
	s_and_b32 s2, s2, s3
	s_wait_alu 0xfffe
	s_or_b32 s2, s2, s4
	s_wait_alu 0xfffe
	s_and_b32 s2, s2, s5
	s_wait_alu 0xfffe
	v_cndmask_b32_e64 v21, v21, v11, s2
	s_delay_alu instid0(VALU_DEP_1) | instskip(NEXT) | instid1(VALU_DEP_1)
	v_and_b32_e32 v21, 1, v21
	v_cmp_eq_u32_e64 s2, 1, v21
	v_add_nc_u32_e32 v21, v13, v16
	s_and_saveexec_b32 s3, s2
	s_wait_alu 0xfffe
	s_xor_b32 s2, exec_lo, s3
	s_cbranch_execz .LBB40_10
; %bb.9:
	ds_load_b128 v[23:26], v21
	v_mov_b32_e32 v29, v0
	v_lshlrev_b16 v0, 8, v19
	v_dual_mov_b32 v27, v2 :: v_dual_mov_b32 v28, v3
	v_mov_b32_e32 v30, v1
	s_delay_alu instid0(VALU_DEP_3)
	v_or_b32_e32 v0, v22, v0
	s_wait_dscnt 0x0
	v_dual_mov_b32 v31, v25 :: v_dual_mov_b32 v34, v24
	v_dual_mov_b32 v32, v26 :: v_dual_mov_b32 v33, v23
	ds_store_b128 v21, v[31:34]
	ds_store_b128 v9, v[27:30]
	ds_store_b16 v10, v0
.LBB40_10:
	s_wait_alu 0xfffe
	s_or_b32 exec_lo, exec_lo, s2
	v_sub_nc_u32_e32 v19, v20, v18
	s_wait_loadcnt_dscnt 0x0
	s_barrier_signal -1
	s_barrier_wait -1
	global_inv scope:SCOPE_SE
	v_lshl_add_u32 v16, v19, 3, v15
	v_add_nc_u32_e32 v18, v17, v19
	v_bfe_u32 v23, v11, 1, 1
	v_lshl_add_u32 v19, v19, 3, v14
	ds_load_2addr_b64 v[0:3], v16 offset1:2
	ds_load_u8 v22, v18
	ds_load_u8 v24, v18 offset:2
	s_wait_dscnt 0x1
	v_and_b32_e32 v25, 1, v22
	v_cmp_u_f64_e64 s2, v[2:3], v[2:3]
	v_cmp_o_f64_e64 s3, v[0:1], v[0:1]
	v_cmp_lt_f64_e64 s4, v[0:1], v[2:3]
	s_wait_dscnt 0x0
	v_cmp_ne_u16_e64 s5, v24, v23
	s_wait_alu 0xf1ff
	s_delay_alu instid0(VALU_DEP_1)
	v_cndmask_b32_e64 v26, 0, 1, s5
	v_cmp_eq_u32_e64 s5, 1, v25
	s_and_b32 s2, s2, s3
	s_wait_alu 0xfffe
	s_or_b32 s2, s2, s4
	s_wait_alu 0xfffe
	s_and_b32 s2, s2, s5
	s_wait_alu 0xfffe
	v_cndmask_b32_e64 v25, v26, v23, s2
	v_and_b32_e32 v23, 2, v11
	s_delay_alu instid0(VALU_DEP_2) | instskip(NEXT) | instid1(VALU_DEP_2)
	v_and_b32_e32 v25, 1, v25
	v_cmp_ne_u32_e64 s2, 0, v23
	s_delay_alu instid0(VALU_DEP_2)
	v_cmp_eq_u32_e64 s3, 1, v25
	s_and_saveexec_b32 s4, s3
	s_wait_alu 0xfffe
	s_xor_b32 s3, exec_lo, s4
	s_cbranch_execz .LBB40_12
; %bb.11:
	ds_load_2addr_b64 v[25:28], v19 offset1:2
	ds_store_2addr_b64 v16, v[2:3], v[0:1] offset1:2
	s_wait_dscnt 0x1
	ds_store_2addr_b64 v19, v[27:28], v[25:26] offset1:2
	ds_store_b8 v18, v24
	ds_store_b8 v18, v22 offset:2
.LBB40_12:
	s_wait_alu 0xfffe
	s_or_b32 exec_lo, exec_lo, s3
	s_wait_loadcnt_dscnt 0x0
	s_barrier_signal -1
	s_barrier_wait -1
	global_inv scope:SCOPE_SE
	ds_load_b128 v[0:3], v9
	ds_load_u16 v22, v10
	v_lshrrev_b32_e32 v24, 1, v23
	v_cndmask_b32_e64 v26, 0, 1, s2
	s_wait_dscnt 0x1
	v_cmp_u_f64_e64 s3, v[2:3], v[2:3]
	v_cmp_o_f64_e64 s4, v[0:1], v[0:1]
	v_cmp_lt_f64_e64 s5, v[0:1], v[2:3]
	s_wait_dscnt 0x0
	v_lshrrev_b16 v23, 8, v22
	v_and_b32_e32 v25, 1, v22
	s_delay_alu instid0(VALU_DEP_2) | instskip(NEXT) | instid1(VALU_DEP_2)
	v_cmp_ne_u16_e64 s6, v23, v24
	v_cmp_eq_u32_e64 s2, 1, v25
	s_wait_alu 0xf1ff
	s_delay_alu instid0(VALU_DEP_2)
	v_cndmask_b32_e64 v24, 0, 1, s6
	s_and_b32 s3, s3, s4
	s_wait_alu 0xfffe
	s_or_b32 s3, s3, s5
	s_wait_alu 0xfffe
	s_and_b32 s2, s3, s2
	s_mov_b32 s3, exec_lo
	s_wait_alu 0xfffe
	v_cndmask_b32_e64 v24, v24, v26, s2
	s_delay_alu instid0(VALU_DEP_1) | instskip(NEXT) | instid1(VALU_DEP_1)
	v_and_b32_e32 v24, 1, v24
	v_cmpx_eq_u32_e32 1, v24
	s_cbranch_execz .LBB40_14
; %bb.13:
	ds_load_b128 v[24:27], v21
	v_mov_b32_e32 v30, v0
	v_lshlrev_b16 v0, 8, v22
	v_dual_mov_b32 v28, v2 :: v_dual_mov_b32 v29, v3
	v_mov_b32_e32 v31, v1
	s_delay_alu instid0(VALU_DEP_3)
	v_or_b32_e32 v0, v23, v0
	s_wait_dscnt 0x0
	v_dual_mov_b32 v32, v26 :: v_dual_mov_b32 v35, v25
	v_dual_mov_b32 v33, v27 :: v_dual_mov_b32 v34, v24
	ds_store_b128 v21, v[32:35]
	ds_store_b128 v9, v[28:31]
	ds_store_b16 v10, v0
.LBB40_14:
	s_or_b32 exec_lo, exec_lo, s3
	v_and_b32_e32 v0, 3, v11
	s_wait_loadcnt_dscnt 0x0
	s_barrier_signal -1
	s_barrier_wait -1
	global_inv scope:SCOPE_SE
	v_sub_nc_u32_e32 v24, v20, v0
	v_bfe_u32 v23, v11, 2, 1
	s_delay_alu instid0(VALU_DEP_2)
	v_lshl_add_u32 v21, v24, 3, v15
	v_add_nc_u32_e32 v22, v17, v24
	v_lshl_add_u32 v24, v24, 3, v14
	ds_load_2addr_b64 v[0:3], v21 offset1:4
	ds_load_u8 v25, v22
	ds_load_u8 v26, v22 offset:4
	s_wait_dscnt 0x1
	v_and_b32_e32 v27, 1, v25
	v_cmp_u_f64_e64 s2, v[2:3], v[2:3]
	v_cmp_o_f64_e64 s3, v[0:1], v[0:1]
	v_cmp_lt_f64_e64 s4, v[0:1], v[2:3]
	s_wait_dscnt 0x0
	v_cmp_ne_u16_e64 s5, v26, v23
	s_wait_alu 0xf1ff
	s_delay_alu instid0(VALU_DEP_1)
	v_cndmask_b32_e64 v28, 0, 1, s5
	v_cmp_eq_u32_e64 s5, 1, v27
	s_and_b32 s2, s2, s3
	s_wait_alu 0xfffe
	s_or_b32 s2, s2, s4
	s_mov_b32 s4, exec_lo
	s_wait_alu 0xfffe
	s_and_b32 s2, s2, s5
	s_wait_alu 0xfffe
	v_cndmask_b32_e64 v27, v28, v23, s2
	v_and_b32_e32 v23, 4, v11
	s_delay_alu instid0(VALU_DEP_2) | instskip(NEXT) | instid1(VALU_DEP_2)
	v_and_b32_e32 v27, 1, v27
	v_cmp_ne_u32_e64 s2, 0, v23
	s_delay_alu instid0(VALU_DEP_2)
	v_cmpx_eq_u32_e32 1, v27
	s_cbranch_execz .LBB40_16
; %bb.15:
	ds_load_2addr_b64 v[27:30], v24 offset1:4
	ds_store_2addr_b64 v21, v[2:3], v[0:1] offset1:4
	s_wait_dscnt 0x1
	ds_store_2addr_b64 v24, v[29:30], v[27:28] offset1:4
	ds_store_b8 v22, v26
	ds_store_b8 v22, v25 offset:4
.LBB40_16:
	s_or_b32 exec_lo, exec_lo, s4
	s_wait_loadcnt_dscnt 0x0
	s_barrier_signal -1
	s_barrier_wait -1
	global_inv scope:SCOPE_SE
	ds_load_2addr_b64 v[0:3], v16 offset1:2
	ds_load_u8 v26, v18
	ds_load_u8 v27, v18 offset:2
	v_lshrrev_b32_e32 v23, 2, v23
	v_cndmask_b32_e64 v25, 0, 1, s2
	s_wait_dscnt 0x1
	v_and_b32_e32 v28, 1, v26
	v_cmp_u_f64_e64 s3, v[2:3], v[2:3]
	v_cmp_o_f64_e64 s4, v[0:1], v[0:1]
	v_cmp_lt_f64_e64 s5, v[0:1], v[2:3]
	s_wait_dscnt 0x0
	v_cmp_ne_u16_e64 s2, v27, v23
	s_wait_alu 0xf1ff
	s_delay_alu instid0(VALU_DEP_1)
	v_cndmask_b32_e64 v29, 0, 1, s2
	v_cmp_eq_u32_e64 s2, 1, v28
	s_and_b32 s3, s3, s4
	s_wait_alu 0xfffe
	s_or_b32 s3, s3, s5
	s_wait_alu 0xfffe
	s_and_b32 s2, s3, s2
	s_mov_b32 s3, exec_lo
	s_wait_alu 0xfffe
	v_cndmask_b32_e64 v28, v29, v25, s2
	s_delay_alu instid0(VALU_DEP_1) | instskip(NEXT) | instid1(VALU_DEP_1)
	v_and_b32_e32 v28, 1, v28
	v_cmpx_eq_u32_e32 1, v28
	s_cbranch_execz .LBB40_18
; %bb.17:
	ds_load_2addr_b64 v[28:31], v19 offset1:2
	ds_store_2addr_b64 v16, v[2:3], v[0:1] offset1:2
	s_wait_dscnt 0x1
	ds_store_2addr_b64 v19, v[30:31], v[28:29] offset1:2
	ds_store_b8 v18, v27
	ds_store_b8 v18, v26 offset:2
.LBB40_18:
	s_or_b32 exec_lo, exec_lo, s3
	s_wait_loadcnt_dscnt 0x0
	s_barrier_signal -1
	s_barrier_wait -1
	global_inv scope:SCOPE_SE
	ds_load_b128 v[0:3], v9
	ds_load_u16 v27, v10
	s_wait_dscnt 0x1
	v_cmp_u_f64_e64 s2, v[2:3], v[2:3]
	v_cmp_o_f64_e64 s3, v[0:1], v[0:1]
	v_cmp_lt_f64_e64 s4, v[0:1], v[2:3]
	s_wait_dscnt 0x0
	v_lshrrev_b16 v26, 8, v27
	v_and_b32_e32 v28, 1, v27
	s_delay_alu instid0(VALU_DEP_2) | instskip(NEXT) | instid1(VALU_DEP_2)
	v_cmp_ne_u16_e64 s6, v26, v23
	v_cmp_eq_u32_e64 s5, 1, v28
	s_wait_alu 0xf1ff
	s_delay_alu instid0(VALU_DEP_2)
	v_cndmask_b32_e64 v23, 0, 1, s6
	s_and_b32 s2, s2, s3
	s_wait_alu 0xfffe
	s_or_b32 s2, s2, s4
	s_wait_alu 0xfffe
	s_and_b32 s2, s2, s5
	s_wait_alu 0xfffe
	v_cndmask_b32_e64 v23, v23, v25, s2
	s_delay_alu instid0(VALU_DEP_1) | instskip(NEXT) | instid1(VALU_DEP_1)
	v_and_b32_e32 v23, 1, v23
	v_cmp_eq_u32_e64 s2, 1, v23
	v_lshl_add_u32 v23, v20, 3, v14
	s_and_saveexec_b32 s3, s2
	s_cbranch_execz .LBB40_20
; %bb.19:
	ds_load_b128 v[28:31], v23
	v_mov_b32_e32 v34, v0
	v_lshlrev_b16 v0, 8, v27
	v_dual_mov_b32 v32, v2 :: v_dual_mov_b32 v33, v3
	v_mov_b32_e32 v35, v1
	s_delay_alu instid0(VALU_DEP_3)
	v_or_b32_e32 v0, v26, v0
	s_wait_dscnt 0x0
	v_dual_mov_b32 v36, v30 :: v_dual_mov_b32 v39, v29
	v_dual_mov_b32 v37, v31 :: v_dual_mov_b32 v38, v28
	ds_store_b128 v23, v[36:39]
	ds_store_b128 v9, v[32:35]
	ds_store_b16 v10, v0
.LBB40_20:
	s_wait_alu 0xfffe
	s_or_b32 exec_lo, exec_lo, s3
	v_and_b32_e32 v0, 7, v11
	s_wait_loadcnt_dscnt 0x0
	s_barrier_signal -1
	s_barrier_wait -1
	global_inv scope:SCOPE_SE
	v_sub_nc_u32_e32 v27, v20, v0
	v_bfe_u32 v28, v11, 3, 1
	s_delay_alu instid0(VALU_DEP_2)
	v_lshl_add_u32 v25, v27, 3, v15
	v_add_nc_u32_e32 v26, v17, v27
	v_lshl_add_u32 v27, v27, 3, v14
	ds_load_2addr_b64 v[0:3], v25 offset1:8
	ds_load_u8 v29, v26
	ds_load_u8 v30, v26 offset:8
	s_wait_dscnt 0x1
	v_and_b32_e32 v31, 1, v29
	v_cmp_u_f64_e64 s2, v[2:3], v[2:3]
	v_cmp_o_f64_e64 s3, v[0:1], v[0:1]
	v_cmp_lt_f64_e64 s4, v[0:1], v[2:3]
	s_wait_dscnt 0x0
	v_cmp_ne_u16_e64 s5, v30, v28
	s_wait_alu 0xf1ff
	s_delay_alu instid0(VALU_DEP_1)
	v_cndmask_b32_e64 v32, 0, 1, s5
	v_cmp_eq_u32_e64 s5, 1, v31
	s_and_b32 s2, s2, s3
	s_wait_alu 0xfffe
	s_or_b32 s2, s2, s4
	s_mov_b32 s4, exec_lo
	s_wait_alu 0xfffe
	s_and_b32 s2, s2, s5
	s_wait_alu 0xfffe
	v_cndmask_b32_e64 v31, v32, v28, s2
	v_and_b32_e32 v28, 8, v11
	s_delay_alu instid0(VALU_DEP_2) | instskip(NEXT) | instid1(VALU_DEP_2)
	v_and_b32_e32 v31, 1, v31
	v_cmp_ne_u32_e64 s2, 0, v28
	s_delay_alu instid0(VALU_DEP_2)
	v_cmpx_eq_u32_e32 1, v31
	s_cbranch_execz .LBB40_22
; %bb.21:
	ds_load_2addr_b64 v[31:34], v27 offset1:8
	ds_store_2addr_b64 v25, v[2:3], v[0:1] offset1:8
	s_wait_dscnt 0x1
	ds_store_2addr_b64 v27, v[33:34], v[31:32] offset1:8
	ds_store_b8 v26, v30
	ds_store_b8 v26, v29 offset:8
.LBB40_22:
	s_or_b32 exec_lo, exec_lo, s4
	s_wait_loadcnt_dscnt 0x0
	s_barrier_signal -1
	s_barrier_wait -1
	global_inv scope:SCOPE_SE
	ds_load_2addr_b64 v[0:3], v21 offset1:4
	ds_load_u8 v30, v22
	ds_load_u8 v31, v22 offset:4
	v_lshrrev_b32_e32 v28, 3, v28
	v_cndmask_b32_e64 v29, 0, 1, s2
	s_wait_dscnt 0x1
	v_and_b32_e32 v32, 1, v30
	v_cmp_u_f64_e64 s3, v[2:3], v[2:3]
	v_cmp_o_f64_e64 s4, v[0:1], v[0:1]
	v_cmp_lt_f64_e64 s5, v[0:1], v[2:3]
	s_wait_dscnt 0x0
	v_cmp_ne_u16_e64 s2, v31, v28
	s_wait_alu 0xf1ff
	s_delay_alu instid0(VALU_DEP_1)
	v_cndmask_b32_e64 v33, 0, 1, s2
	v_cmp_eq_u32_e64 s2, 1, v32
	s_and_b32 s3, s3, s4
	s_wait_alu 0xfffe
	s_or_b32 s3, s3, s5
	s_wait_alu 0xfffe
	s_and_b32 s2, s3, s2
	s_mov_b32 s3, exec_lo
	s_wait_alu 0xfffe
	v_cndmask_b32_e64 v32, v33, v29, s2
	s_delay_alu instid0(VALU_DEP_1) | instskip(NEXT) | instid1(VALU_DEP_1)
	v_and_b32_e32 v32, 1, v32
	v_cmpx_eq_u32_e32 1, v32
	s_cbranch_execz .LBB40_24
; %bb.23:
	ds_load_2addr_b64 v[32:35], v24 offset1:4
	ds_store_2addr_b64 v21, v[2:3], v[0:1] offset1:4
	s_wait_dscnt 0x1
	ds_store_2addr_b64 v24, v[34:35], v[32:33] offset1:4
	ds_store_b8 v22, v31
	ds_store_b8 v22, v30 offset:4
.LBB40_24:
	s_or_b32 exec_lo, exec_lo, s3
	s_wait_loadcnt_dscnt 0x0
	s_barrier_signal -1
	s_barrier_wait -1
	global_inv scope:SCOPE_SE
	ds_load_2addr_b64 v[0:3], v16 offset1:2
	ds_load_u8 v30, v18
	ds_load_u8 v31, v18 offset:2
	s_wait_dscnt 0x1
	v_and_b32_e32 v32, 1, v30
	v_cmp_u_f64_e64 s2, v[2:3], v[2:3]
	v_cmp_o_f64_e64 s3, v[0:1], v[0:1]
	v_cmp_lt_f64_e64 s4, v[0:1], v[2:3]
	s_wait_dscnt 0x0
	v_cmp_ne_u16_e64 s5, v31, v28
	s_wait_alu 0xf1ff
	s_delay_alu instid0(VALU_DEP_1)
	v_cndmask_b32_e64 v33, 0, 1, s5
	v_cmp_eq_u32_e64 s5, 1, v32
	s_and_b32 s2, s2, s3
	s_mov_b32 s3, exec_lo
	s_wait_alu 0xfffe
	s_or_b32 s2, s2, s4
	s_wait_alu 0xfffe
	s_and_b32 s2, s2, s5
	s_wait_alu 0xfffe
	v_cndmask_b32_e64 v32, v33, v29, s2
	s_delay_alu instid0(VALU_DEP_1) | instskip(NEXT) | instid1(VALU_DEP_1)
	v_and_b32_e32 v32, 1, v32
	v_cmpx_eq_u32_e32 1, v32
	s_cbranch_execz .LBB40_26
; %bb.25:
	ds_load_2addr_b64 v[32:35], v19 offset1:2
	ds_store_2addr_b64 v16, v[2:3], v[0:1] offset1:2
	s_wait_dscnt 0x1
	ds_store_2addr_b64 v19, v[34:35], v[32:33] offset1:2
	ds_store_b8 v18, v31
	ds_store_b8 v18, v30 offset:2
.LBB40_26:
	s_or_b32 exec_lo, exec_lo, s3
	s_wait_loadcnt_dscnt 0x0
	s_barrier_signal -1
	s_barrier_wait -1
	global_inv scope:SCOPE_SE
	ds_load_b128 v[0:3], v9
	ds_load_u16 v31, v10
	s_wait_dscnt 0x1
	v_cmp_u_f64_e64 s2, v[2:3], v[2:3]
	v_cmp_o_f64_e64 s3, v[0:1], v[0:1]
	v_cmp_lt_f64_e64 s4, v[0:1], v[2:3]
	s_wait_dscnt 0x0
	v_lshrrev_b16 v30, 8, v31
	v_and_b32_e32 v32, 1, v31
	s_delay_alu instid0(VALU_DEP_2) | instskip(NEXT) | instid1(VALU_DEP_2)
	v_cmp_ne_u16_e64 s6, v30, v28
	v_cmp_eq_u32_e64 s5, 1, v32
	s_wait_alu 0xf1ff
	s_delay_alu instid0(VALU_DEP_2)
	v_cndmask_b32_e64 v28, 0, 1, s6
	s_and_b32 s2, s2, s3
	s_mov_b32 s3, exec_lo
	s_wait_alu 0xfffe
	s_or_b32 s2, s2, s4
	s_wait_alu 0xfffe
	s_and_b32 s2, s2, s5
	s_wait_alu 0xfffe
	v_cndmask_b32_e64 v28, v28, v29, s2
	s_delay_alu instid0(VALU_DEP_1) | instskip(NEXT) | instid1(VALU_DEP_1)
	v_and_b32_e32 v28, 1, v28
	v_cmpx_eq_u32_e32 1, v28
	s_cbranch_execz .LBB40_28
; %bb.27:
	ds_load_b128 v[32:35], v23
	v_mov_b32_e32 v38, v0
	v_lshlrev_b16 v0, 8, v31
	v_dual_mov_b32 v36, v2 :: v_dual_mov_b32 v37, v3
	v_mov_b32_e32 v39, v1
	s_delay_alu instid0(VALU_DEP_3)
	v_or_b32_e32 v0, v30, v0
	s_wait_dscnt 0x0
	v_dual_mov_b32 v40, v34 :: v_dual_mov_b32 v43, v33
	v_dual_mov_b32 v41, v35 :: v_dual_mov_b32 v42, v32
	ds_store_b128 v23, v[40:43]
	ds_store_b128 v9, v[36:39]
	ds_store_b16 v10, v0
.LBB40_28:
	s_or_b32 exec_lo, exec_lo, s3
	v_and_b32_e32 v0, 15, v11
	s_wait_loadcnt_dscnt 0x0
	s_barrier_signal -1
	s_barrier_wait -1
	global_inv scope:SCOPE_SE
	v_sub_nc_u32_e32 v20, v20, v0
	s_delay_alu instid0(VALU_DEP_1)
	v_lshl_add_u32 v15, v20, 3, v15
	v_add_nc_u32_e32 v17, v17, v20
	ds_load_2addr_b64 v[0:3], v15 offset1:16
	ds_load_u8 v28, v17
	ds_load_u8 v29, v17 offset:16
	s_wait_dscnt 0x1
	v_and_b32_e32 v30, 1, v28
	v_cmp_u_f64_e64 s2, v[2:3], v[2:3]
	v_cmp_o_f64_e64 s3, v[0:1], v[0:1]
	v_cmp_lt_f64_e64 s4, v[0:1], v[2:3]
	s_wait_dscnt 0x0
	v_and_b32_e32 v29, 0xff, v29
	v_cmp_eq_u32_e64 s5, 1, v30
	s_and_b32 s2, s2, s3
	s_wait_alu 0xfffe
	s_or_b32 s3, s2, s4
	v_cmp_ne_u16_e64 s2, 0, v29
	s_wait_alu 0xfffe
	s_and_b32 s3, s3, s5
	s_wait_alu 0xfffe
	s_xor_b32 s3, s3, -1
	s_wait_alu 0xfffe
	s_and_b32 s3, s3, s2
	s_wait_alu 0xfffe
	s_and_saveexec_b32 s2, s3
	s_cbranch_execz .LBB40_30
; %bb.29:
	v_lshl_add_u32 v14, v20, 3, v14
	v_mov_b32_e32 v20, 1
	ds_load_2addr_b64 v[29:32], v14 offset1:16
	ds_store_2addr_b64 v15, v[2:3], v[0:1] offset1:16
	s_wait_dscnt 0x1
	ds_store_2addr_b64 v14, v[31:32], v[29:30] offset1:16
	ds_store_b8 v17, v20
	ds_store_b8 v17, v28 offset:16
.LBB40_30:
	s_wait_alu 0xfffe
	s_or_b32 exec_lo, exec_lo, s2
	s_wait_loadcnt_dscnt 0x0
	s_barrier_signal -1
	s_barrier_wait -1
	global_inv scope:SCOPE_SE
	ds_load_2addr_b64 v[0:3], v25 offset1:8
	ds_load_u8 v14, v26
	ds_load_u8 v15, v26 offset:8
	s_wait_dscnt 0x1
	v_and_b32_e32 v17, 1, v14
	v_cmp_u_f64_e64 s2, v[2:3], v[2:3]
	v_cmp_o_f64_e64 s3, v[0:1], v[0:1]
	v_cmp_lt_f64_e64 s4, v[0:1], v[2:3]
	s_wait_dscnt 0x0
	v_and_b32_e32 v15, 0xff, v15
	v_cmp_eq_u32_e64 s5, 1, v17
	s_and_b32 s2, s2, s3
	s_wait_alu 0xfffe
	s_or_b32 s3, s2, s4
	v_cmp_ne_u16_e64 s2, 0, v15
	s_wait_alu 0xfffe
	s_and_b32 s3, s3, s5
	s_wait_alu 0xfffe
	s_xor_b32 s3, s3, -1
	s_wait_alu 0xfffe
	s_and_b32 s3, s3, s2
	s_wait_alu 0xfffe
	s_and_saveexec_b32 s2, s3
	s_cbranch_execz .LBB40_32
; %bb.31:
	ds_load_2addr_b64 v[28:31], v27 offset1:8
	v_mov_b32_e32 v15, 1
	ds_store_2addr_b64 v25, v[2:3], v[0:1] offset1:8
	s_wait_dscnt 0x1
	ds_store_2addr_b64 v27, v[30:31], v[28:29] offset1:8
	ds_store_b8 v26, v15
	ds_store_b8 v26, v14 offset:8
.LBB40_32:
	s_wait_alu 0xfffe
	s_or_b32 exec_lo, exec_lo, s2
	s_wait_loadcnt_dscnt 0x0
	s_barrier_signal -1
	s_barrier_wait -1
	global_inv scope:SCOPE_SE
	ds_load_2addr_b64 v[0:3], v21 offset1:4
	ds_load_u8 v14, v22
	ds_load_u8 v15, v22 offset:4
	s_wait_dscnt 0x1
	v_and_b32_e32 v17, 1, v14
	v_cmp_u_f64_e64 s2, v[2:3], v[2:3]
	v_cmp_o_f64_e64 s3, v[0:1], v[0:1]
	v_cmp_lt_f64_e64 s4, v[0:1], v[2:3]
	s_wait_dscnt 0x0
	v_and_b32_e32 v15, 0xff, v15
	v_cmp_eq_u32_e64 s5, 1, v17
	s_and_b32 s2, s2, s3
	s_wait_alu 0xfffe
	s_or_b32 s3, s2, s4
	v_cmp_ne_u16_e64 s2, 0, v15
	s_wait_alu 0xfffe
	s_and_b32 s3, s3, s5
	s_wait_alu 0xfffe
	s_xor_b32 s3, s3, -1
	s_wait_alu 0xfffe
	s_and_b32 s3, s3, s2
	s_wait_alu 0xfffe
	s_and_saveexec_b32 s2, s3
	s_cbranch_execz .LBB40_34
; %bb.33:
	ds_load_2addr_b64 v[25:28], v24 offset1:4
	v_mov_b32_e32 v15, 1
	ds_store_2addr_b64 v21, v[2:3], v[0:1] offset1:4
	s_wait_dscnt 0x1
	ds_store_2addr_b64 v24, v[27:28], v[25:26] offset1:4
	ds_store_b8 v22, v15
	ds_store_b8 v22, v14 offset:4
.LBB40_34:
	;; [unrolled: 39-line block ×3, first 2 shown]
	s_wait_alu 0xfffe
	s_or_b32 exec_lo, exec_lo, s2
	s_wait_loadcnt_dscnt 0x0
	s_barrier_signal -1
	s_barrier_wait -1
	global_inv scope:SCOPE_SE
	ds_load_b128 v[0:3], v9
	ds_load_u16 v14, v10
	s_wait_dscnt 0x1
	v_cmp_u_f64_e64 s2, v[2:3], v[2:3]
	v_cmp_o_f64_e64 s3, v[0:1], v[0:1]
	v_cmp_lt_f64_e64 s4, v[0:1], v[2:3]
	s_wait_dscnt 0x0
	v_and_b32_e32 v15, 1, v14
	v_lshrrev_b16 v16, 8, v14
	s_delay_alu instid0(VALU_DEP_2)
	v_cmp_eq_u32_e64 s5, 1, v15
	s_and_b32 s2, s2, s3
	s_wait_alu 0xfffe
	s_or_b32 s3, s2, s4
	v_cmp_ne_u16_e64 s2, 0, v16
	s_wait_alu 0xfffe
	s_and_b32 s3, s3, s5
	s_wait_alu 0xfffe
	s_xor_b32 s3, s3, -1
	s_wait_alu 0xfffe
	s_and_b32 s3, s3, s2
	s_wait_alu 0xfffe
	s_and_saveexec_b32 s2, s3
	s_cbranch_execz .LBB40_38
; %bb.37:
	ds_load_b128 v[15:18], v23
	v_mov_b32_e32 v21, v0
	v_lshlrev_b16 v0, 8, v14
	v_dual_mov_b32 v19, v2 :: v_dual_mov_b32 v20, v3
	v_mov_b32_e32 v22, v1
	s_delay_alu instid0(VALU_DEP_3)
	v_or_b32_e32 v0, 1, v0
	s_wait_dscnt 0x0
	v_dual_mov_b32 v24, v17 :: v_dual_mov_b32 v25, v18
	v_dual_mov_b32 v26, v15 :: v_dual_mov_b32 v27, v16
	ds_store_b128 v23, v[24:27]
	ds_store_b128 v9, v[19:22]
	ds_store_b16 v10, v0
.LBB40_38:
	s_wait_alu 0xfffe
	s_or_b32 exec_lo, exec_lo, s2
	s_wait_loadcnt_dscnt 0x0
	s_barrier_signal -1
	s_barrier_wait -1
	global_inv scope:SCOPE_SE
	s_and_saveexec_b32 s2, s0
	s_cbranch_execz .LBB40_43
; %bb.39:
	s_and_saveexec_b32 s0, vcc_lo
	s_cbranch_execz .LBB40_41
; %bb.40:
	v_mad_co_u64_u32 v[0:1], null, v11, s10, v[6:7]
	v_mov_b32_e32 v1, 0
	v_mad_co_u64_u32 v[2:3], null, v11, s7, v[4:5]
	ds_load_b64 v[9:10], v12
	ds_load_b64 v[11:12], v13
	v_mov_b32_e32 v3, v1
	v_lshlrev_b64_e32 v[0:1], 3, v[0:1]
	s_delay_alu instid0(VALU_DEP_2) | instskip(NEXT) | instid1(VALU_DEP_2)
	v_lshlrev_b64_e32 v[2:3], 3, v[2:3]
	v_add_co_u32 v0, vcc_lo, s12, v0
	s_wait_alu 0xfffd
	s_delay_alu instid0(VALU_DEP_3) | instskip(NEXT) | instid1(VALU_DEP_3)
	v_add_co_ci_u32_e64 v1, null, s13, v1, vcc_lo
	v_add_co_u32 v2, vcc_lo, s14, v2
	s_wait_alu 0xfffd
	v_add_co_ci_u32_e64 v3, null, s15, v3, vcc_lo
	s_wait_dscnt 0x1
	global_store_b64 v[0:1], v[9:10], off
	s_wait_dscnt 0x0
	global_store_b64 v[2:3], v[11:12], off
.LBB40_41:
	s_wait_alu 0xfffe
	s_or_b32 exec_lo, exec_lo, s0
	s_delay_alu instid0(SALU_CYCLE_1)
	s_and_b32 exec_lo, exec_lo, s1
	s_cbranch_execz .LBB40_43
; %bb.42:
	v_mad_co_u64_u32 v[0:1], null, v5, s10, v[6:7]
	v_mov_b32_e32 v1, 0
	v_mad_co_u64_u32 v[2:3], null, v5, s7, v[4:5]
	ds_load_b64 v[4:5], v7
	ds_load_b64 v[6:7], v8
	v_mov_b32_e32 v3, v1
	v_lshlrev_b64_e32 v[0:1], 3, v[0:1]
	s_delay_alu instid0(VALU_DEP_2) | instskip(NEXT) | instid1(VALU_DEP_2)
	v_lshlrev_b64_e32 v[2:3], 3, v[2:3]
	v_add_co_u32 v0, vcc_lo, s12, v0
	s_wait_alu 0xfffd
	s_delay_alu instid0(VALU_DEP_3) | instskip(NEXT) | instid1(VALU_DEP_3)
	v_add_co_ci_u32_e64 v1, null, s13, v1, vcc_lo
	v_add_co_u32 v2, vcc_lo, s14, v2
	s_wait_alu 0xfffd
	v_add_co_ci_u32_e64 v3, null, s15, v3, vcc_lo
	s_wait_dscnt 0x1
	global_store_b64 v[0:1], v[4:5], off
	s_wait_dscnt 0x0
	global_store_b64 v[2:3], v[6:7], off
.LBB40_43:
	s_endpgm
	.section	.rodata,"a",@progbits
	.p2align	6, 0x0
	.amdhsa_kernel _ZN2at6native20bitonicSortKVInPlaceILin2ELin1ELi16ELi16EdlNS0_4LTOpIdLb1EEEjEEvNS_4cuda6detail10TensorInfoIT3_T6_EES8_S8_S8_NS6_IT4_S8_EES8_T5_
		.amdhsa_group_segment_fixed_size 8704
		.amdhsa_private_segment_fixed_size 0
		.amdhsa_kernarg_size 712
		.amdhsa_user_sgpr_count 2
		.amdhsa_user_sgpr_dispatch_ptr 0
		.amdhsa_user_sgpr_queue_ptr 0
		.amdhsa_user_sgpr_kernarg_segment_ptr 1
		.amdhsa_user_sgpr_dispatch_id 0
		.amdhsa_user_sgpr_private_segment_size 0
		.amdhsa_wavefront_size32 1
		.amdhsa_uses_dynamic_stack 0
		.amdhsa_enable_private_segment 0
		.amdhsa_system_sgpr_workgroup_id_x 1
		.amdhsa_system_sgpr_workgroup_id_y 1
		.amdhsa_system_sgpr_workgroup_id_z 1
		.amdhsa_system_sgpr_workgroup_info 0
		.amdhsa_system_vgpr_workitem_id 1
		.amdhsa_next_free_vgpr 44
		.amdhsa_next_free_sgpr 16
		.amdhsa_reserve_vcc 1
		.amdhsa_float_round_mode_32 0
		.amdhsa_float_round_mode_16_64 0
		.amdhsa_float_denorm_mode_32 3
		.amdhsa_float_denorm_mode_16_64 3
		.amdhsa_fp16_overflow 0
		.amdhsa_workgroup_processor_mode 1
		.amdhsa_memory_ordered 1
		.amdhsa_forward_progress 1
		.amdhsa_inst_pref_size 39
		.amdhsa_round_robin_scheduling 0
		.amdhsa_exception_fp_ieee_invalid_op 0
		.amdhsa_exception_fp_denorm_src 0
		.amdhsa_exception_fp_ieee_div_zero 0
		.amdhsa_exception_fp_ieee_overflow 0
		.amdhsa_exception_fp_ieee_underflow 0
		.amdhsa_exception_fp_ieee_inexact 0
		.amdhsa_exception_int_div_zero 0
	.end_amdhsa_kernel
	.section	.text._ZN2at6native20bitonicSortKVInPlaceILin2ELin1ELi16ELi16EdlNS0_4LTOpIdLb1EEEjEEvNS_4cuda6detail10TensorInfoIT3_T6_EES8_S8_S8_NS6_IT4_S8_EES8_T5_,"axG",@progbits,_ZN2at6native20bitonicSortKVInPlaceILin2ELin1ELi16ELi16EdlNS0_4LTOpIdLb1EEEjEEvNS_4cuda6detail10TensorInfoIT3_T6_EES8_S8_S8_NS6_IT4_S8_EES8_T5_,comdat
.Lfunc_end40:
	.size	_ZN2at6native20bitonicSortKVInPlaceILin2ELin1ELi16ELi16EdlNS0_4LTOpIdLb1EEEjEEvNS_4cuda6detail10TensorInfoIT3_T6_EES8_S8_S8_NS6_IT4_S8_EES8_T5_, .Lfunc_end40-_ZN2at6native20bitonicSortKVInPlaceILin2ELin1ELi16ELi16EdlNS0_4LTOpIdLb1EEEjEEvNS_4cuda6detail10TensorInfoIT3_T6_EES8_S8_S8_NS6_IT4_S8_EES8_T5_
                                        ; -- End function
	.set _ZN2at6native20bitonicSortKVInPlaceILin2ELin1ELi16ELi16EdlNS0_4LTOpIdLb1EEEjEEvNS_4cuda6detail10TensorInfoIT3_T6_EES8_S8_S8_NS6_IT4_S8_EES8_T5_.num_vgpr, 44
	.set _ZN2at6native20bitonicSortKVInPlaceILin2ELin1ELi16ELi16EdlNS0_4LTOpIdLb1EEEjEEvNS_4cuda6detail10TensorInfoIT3_T6_EES8_S8_S8_NS6_IT4_S8_EES8_T5_.num_agpr, 0
	.set _ZN2at6native20bitonicSortKVInPlaceILin2ELin1ELi16ELi16EdlNS0_4LTOpIdLb1EEEjEEvNS_4cuda6detail10TensorInfoIT3_T6_EES8_S8_S8_NS6_IT4_S8_EES8_T5_.numbered_sgpr, 16
	.set _ZN2at6native20bitonicSortKVInPlaceILin2ELin1ELi16ELi16EdlNS0_4LTOpIdLb1EEEjEEvNS_4cuda6detail10TensorInfoIT3_T6_EES8_S8_S8_NS6_IT4_S8_EES8_T5_.num_named_barrier, 0
	.set _ZN2at6native20bitonicSortKVInPlaceILin2ELin1ELi16ELi16EdlNS0_4LTOpIdLb1EEEjEEvNS_4cuda6detail10TensorInfoIT3_T6_EES8_S8_S8_NS6_IT4_S8_EES8_T5_.private_seg_size, 0
	.set _ZN2at6native20bitonicSortKVInPlaceILin2ELin1ELi16ELi16EdlNS0_4LTOpIdLb1EEEjEEvNS_4cuda6detail10TensorInfoIT3_T6_EES8_S8_S8_NS6_IT4_S8_EES8_T5_.uses_vcc, 1
	.set _ZN2at6native20bitonicSortKVInPlaceILin2ELin1ELi16ELi16EdlNS0_4LTOpIdLb1EEEjEEvNS_4cuda6detail10TensorInfoIT3_T6_EES8_S8_S8_NS6_IT4_S8_EES8_T5_.uses_flat_scratch, 0
	.set _ZN2at6native20bitonicSortKVInPlaceILin2ELin1ELi16ELi16EdlNS0_4LTOpIdLb1EEEjEEvNS_4cuda6detail10TensorInfoIT3_T6_EES8_S8_S8_NS6_IT4_S8_EES8_T5_.has_dyn_sized_stack, 0
	.set _ZN2at6native20bitonicSortKVInPlaceILin2ELin1ELi16ELi16EdlNS0_4LTOpIdLb1EEEjEEvNS_4cuda6detail10TensorInfoIT3_T6_EES8_S8_S8_NS6_IT4_S8_EES8_T5_.has_recursion, 0
	.set _ZN2at6native20bitonicSortKVInPlaceILin2ELin1ELi16ELi16EdlNS0_4LTOpIdLb1EEEjEEvNS_4cuda6detail10TensorInfoIT3_T6_EES8_S8_S8_NS6_IT4_S8_EES8_T5_.has_indirect_call, 0
	.section	.AMDGPU.csdata,"",@progbits
; Kernel info:
; codeLenInByte = 4992
; TotalNumSgprs: 18
; NumVgprs: 44
; ScratchSize: 0
; MemoryBound: 0
; FloatMode: 240
; IeeeMode: 1
; LDSByteSize: 8704 bytes/workgroup (compile time only)
; SGPRBlocks: 0
; VGPRBlocks: 5
; NumSGPRsForWavesPerEU: 18
; NumVGPRsForWavesPerEU: 44
; Occupancy: 16
; WaveLimiterHint : 1
; COMPUTE_PGM_RSRC2:SCRATCH_EN: 0
; COMPUTE_PGM_RSRC2:USER_SGPR: 2
; COMPUTE_PGM_RSRC2:TRAP_HANDLER: 0
; COMPUTE_PGM_RSRC2:TGID_X_EN: 1
; COMPUTE_PGM_RSRC2:TGID_Y_EN: 1
; COMPUTE_PGM_RSRC2:TGID_Z_EN: 1
; COMPUTE_PGM_RSRC2:TIDIG_COMP_CNT: 1
	.section	.text._ZN2at6native20bitonicSortKVInPlaceILin2ELin1ELi16ELi16EdlNS0_4GTOpIdLb1EEEjEEvNS_4cuda6detail10TensorInfoIT3_T6_EES8_S8_S8_NS6_IT4_S8_EES8_T5_,"axG",@progbits,_ZN2at6native20bitonicSortKVInPlaceILin2ELin1ELi16ELi16EdlNS0_4GTOpIdLb1EEEjEEvNS_4cuda6detail10TensorInfoIT3_T6_EES8_S8_S8_NS6_IT4_S8_EES8_T5_,comdat
	.protected	_ZN2at6native20bitonicSortKVInPlaceILin2ELin1ELi16ELi16EdlNS0_4GTOpIdLb1EEEjEEvNS_4cuda6detail10TensorInfoIT3_T6_EES8_S8_S8_NS6_IT4_S8_EES8_T5_ ; -- Begin function _ZN2at6native20bitonicSortKVInPlaceILin2ELin1ELi16ELi16EdlNS0_4GTOpIdLb1EEEjEEvNS_4cuda6detail10TensorInfoIT3_T6_EES8_S8_S8_NS6_IT4_S8_EES8_T5_
	.globl	_ZN2at6native20bitonicSortKVInPlaceILin2ELin1ELi16ELi16EdlNS0_4GTOpIdLb1EEEjEEvNS_4cuda6detail10TensorInfoIT3_T6_EES8_S8_S8_NS6_IT4_S8_EES8_T5_
	.p2align	8
	.type	_ZN2at6native20bitonicSortKVInPlaceILin2ELin1ELi16ELi16EdlNS0_4GTOpIdLb1EEEjEEvNS_4cuda6detail10TensorInfoIT3_T6_EES8_S8_S8_NS6_IT4_S8_EES8_T5_,@function
_ZN2at6native20bitonicSortKVInPlaceILin2ELin1ELi16ELi16EdlNS0_4GTOpIdLb1EEEjEEvNS_4cuda6detail10TensorInfoIT3_T6_EES8_S8_S8_NS6_IT4_S8_EES8_T5_: ; @_ZN2at6native20bitonicSortKVInPlaceILin2ELin1ELi16ELi16EdlNS0_4GTOpIdLb1EEEjEEvNS_4cuda6detail10TensorInfoIT3_T6_EES8_S8_S8_NS6_IT4_S8_EES8_T5_
; %bb.0:
	s_clause 0x2
	s_load_b64 s[2:3], s[0:1], 0x1c8
	s_load_u16 s4, s[0:1], 0x1d6
	s_load_b96 s[8:10], s[0:1], 0xd8
	s_lshr_b32 s5, ttmp7, 16
	s_wait_kmcnt 0x0
	s_mul_i32 s3, s3, s5
	s_and_b32 s5, ttmp7, 0xffff
	s_delay_alu instid0(SALU_CYCLE_1) | instskip(NEXT) | instid1(SALU_CYCLE_1)
	s_add_co_i32 s3, s3, s5
	s_mul_i32 s2, s3, s2
	s_delay_alu instid0(SALU_CYCLE_1) | instskip(NEXT) | instid1(SALU_CYCLE_1)
	s_add_co_i32 s2, s2, ttmp9
	s_mul_i32 s2, s2, s4
	s_delay_alu instid0(SALU_CYCLE_1)
	s_cmp_ge_u32 s2, s8
	s_cbranch_scc1 .LBB41_43
; %bb.1:
	s_clause 0x1
	s_load_b32 s4, s[0:1], 0x1b8
	s_load_b64 s[12:13], s[0:1], 0x0
	v_bfe_u32 v9, v0, 10, 10
	s_delay_alu instid0(VALU_DEP_1) | instskip(SKIP_2) | instid1(VALU_DEP_2)
	v_add_nc_u32_e32 v3, s2, v9
	v_mov_b32_e32 v1, 0
	s_add_nc_u64 s[2:3], s[0:1], 0xe8
	v_mov_b32_e32 v4, v3
	s_wait_kmcnt 0x0
	s_cmp_lt_i32 s4, 2
	s_cbranch_scc1 .LBB41_4
; %bb.2:
	s_add_co_i32 s6, s4, -1
	s_mov_b32 s7, 0
	v_dual_mov_b32 v1, 0 :: v_dual_mov_b32 v4, v3
	s_lshl_b64 s[6:7], s[6:7], 2
	s_wait_alu 0xfffe
	s_add_nc_u64 s[14:15], s[2:3], s[6:7]
	s_add_co_i32 s6, s4, 1
	s_add_nc_u64 s[4:5], s[14:15], 8
.LBB41_3:                               ; =>This Inner Loop Header: Depth=1
	s_clause 0x1
	s_load_b32 s7, s[4:5], 0x0
	s_load_b32 s11, s[4:5], 0x64
	s_add_co_i32 s6, s6, -1
	s_add_nc_u64 s[4:5], s[4:5], -4
	s_wait_kmcnt 0x0
	s_cvt_f32_u32 s14, s7
	s_sub_co_i32 s15, 0, s7
	s_wait_alu 0xfffe
	s_delay_alu instid0(SALU_CYCLE_1) | instskip(NEXT) | instid1(TRANS32_DEP_1)
	v_rcp_iflag_f32_e32 v2, s14
	v_readfirstlane_b32 s14, v2
	v_mov_b32_e32 v2, v4
	s_mul_f32 s14, s14, 0x4f7ffffe
	s_wait_alu 0xfffe
	s_delay_alu instid0(SALU_CYCLE_2) | instskip(SKIP_1) | instid1(SALU_CYCLE_2)
	s_cvt_u32_f32 s14, s14
	s_wait_alu 0xfffe
	s_mul_i32 s15, s15, s14
	s_wait_alu 0xfffe
	s_mul_hi_u32 s15, s14, s15
	s_wait_alu 0xfffe
	s_add_co_i32 s14, s14, s15
	s_cmp_gt_u32 s6, 2
	s_wait_alu 0xfffe
	v_mul_hi_u32 v4, v2, s14
	s_delay_alu instid0(VALU_DEP_1) | instskip(SKIP_1) | instid1(VALU_DEP_2)
	v_mul_lo_u32 v5, v4, s7
	v_add_nc_u32_e32 v6, 1, v4
	v_sub_nc_u32_e32 v5, v2, v5
	s_delay_alu instid0(VALU_DEP_1) | instskip(SKIP_2) | instid1(VALU_DEP_2)
	v_subrev_nc_u32_e32 v7, s7, v5
	v_cmp_le_u32_e32 vcc_lo, s7, v5
	s_wait_alu 0xfffd
	v_dual_cndmask_b32 v4, v4, v6 :: v_dual_cndmask_b32 v5, v5, v7
	s_delay_alu instid0(VALU_DEP_1) | instskip(NEXT) | instid1(VALU_DEP_2)
	v_add_nc_u32_e32 v6, 1, v4
	v_cmp_le_u32_e32 vcc_lo, s7, v5
	s_wait_alu 0xfffd
	s_delay_alu instid0(VALU_DEP_2) | instskip(NEXT) | instid1(VALU_DEP_1)
	v_cndmask_b32_e32 v4, v4, v6, vcc_lo
	v_mul_lo_u32 v5, v4, s7
	s_delay_alu instid0(VALU_DEP_1) | instskip(NEXT) | instid1(VALU_DEP_1)
	v_sub_nc_u32_e32 v2, v2, v5
	v_mad_co_u64_u32 v[1:2], null, s11, v2, v[1:2]
	s_cbranch_scc1 .LBB41_3
.LBB41_4:
	s_load_b32 s6, s[0:1], 0x6c
	s_add_nc_u64 s[4:5], s[0:1], 0x1c8
	s_load_b32 s11, s[2:3], 0x6c
	s_load_b32 s4, s[4:5], 0xc
	s_clause 0x1
	s_load_b32 s7, s[0:1], 0x1c0
	s_load_b64 s[14:15], s[2:3], 0x0
	v_and_b32_e32 v11, 0x3ff, v0
	v_mov_b32_e32 v7, 0
	v_cmp_gt_u32_e64 s0, s8, v3
	v_mov_b32_e32 v8, 0
	s_delay_alu instid0(VALU_DEP_4)
	v_cmp_gt_u32_e32 vcc_lo, s9, v11
	s_and_b32 s2, s0, vcc_lo
	s_wait_kmcnt 0x0
	v_mad_co_u64_u32 v[4:5], null, s11, v4, v[1:2]
	v_mul_lo_u32 v6, s6, v3
	v_mov_b32_e32 v0, 0
	v_dual_mov_b32 v1, 0 :: v_dual_mov_b32 v2, 0
	v_mov_b32_e32 v3, 0
	s_wait_alu 0xfffe
	s_and_saveexec_b32 s3, s2
	s_cbranch_execz .LBB41_6
; %bb.5:
	s_delay_alu instid0(VALU_DEP_4) | instskip(SKIP_2) | instid1(VALU_DEP_2)
	v_mad_co_u64_u32 v[2:3], null, v11, s10, v[6:7]
	v_mov_b32_e32 v3, 0
	v_mad_co_u64_u32 v[7:8], null, v11, s7, v[4:5]
	v_mov_b32_e32 v8, v3
	s_delay_alu instid0(VALU_DEP_4) | instskip(NEXT) | instid1(VALU_DEP_2)
	v_lshlrev_b64_e32 v[2:3], 3, v[2:3]
	v_lshlrev_b64_e32 v[7:8], 3, v[7:8]
	s_delay_alu instid0(VALU_DEP_2) | instskip(NEXT) | instid1(VALU_DEP_1)
	v_add_co_u32 v2, s1, s12, v2
	v_add_co_ci_u32_e64 v3, null, s13, v3, s1
	s_delay_alu instid0(VALU_DEP_3) | instskip(SKIP_1) | instid1(VALU_DEP_4)
	v_add_co_u32 v7, s1, s14, v7
	s_wait_alu 0xf1ff
	v_add_co_ci_u32_e64 v8, null, s15, v8, s1
	global_load_b64 v[2:3], v[2:3], off
	global_load_b64 v[7:8], v[7:8], off
.LBB41_6:
	s_wait_alu 0xfffe
	s_or_b32 exec_lo, exec_lo, s3
	v_lshlrev_b32_e32 v15, 8, v9
	s_and_b32 s3, 0xffff, s4
	v_lshlrev_b32_e32 v16, 3, v11
	s_wait_alu 0xfffe
	v_add_nc_u32_e32 v5, s3, v11
	v_lshl_add_u32 v17, v9, 5, 0x2000
	v_mov_b32_e32 v9, 0
	v_mov_b32_e32 v10, 0
	v_add_nc_u32_e32 v14, 0x1000, v15
	v_cmp_gt_u32_e64 s1, s9, v5
	v_add_nc_u32_e32 v12, v15, v16
	v_cndmask_b32_e64 v18, 0, 1, s2
	v_add_nc_u32_e32 v19, v17, v11
	v_add_nc_u32_e32 v13, v14, v16
	s_and_b32 s4, s0, s1
	s_wait_loadcnt 0x1
	ds_store_b64 v12, v[2:3]
	s_wait_loadcnt 0x0
	ds_store_b64 v13, v[7:8]
	ds_store_b8 v19, v18
	s_and_saveexec_b32 s5, s4
	s_cbranch_execz .LBB41_8
; %bb.7:
	v_mad_co_u64_u32 v[0:1], null, v5, s10, v[6:7]
	v_mov_b32_e32 v1, 0
	v_mad_co_u64_u32 v[2:3], null, v5, s7, v[4:5]
	s_delay_alu instid0(VALU_DEP_2) | instskip(NEXT) | instid1(VALU_DEP_4)
	v_mov_b32_e32 v3, v1
	v_lshlrev_b64_e32 v[0:1], 3, v[0:1]
	s_delay_alu instid0(VALU_DEP_2) | instskip(NEXT) | instid1(VALU_DEP_2)
	v_lshlrev_b64_e32 v[2:3], 3, v[2:3]
	v_add_co_u32 v0, s2, s12, v0
	s_wait_alu 0xf1ff
	s_delay_alu instid0(VALU_DEP_3) | instskip(NEXT) | instid1(VALU_DEP_3)
	v_add_co_ci_u32_e64 v1, null, s13, v1, s2
	v_add_co_u32 v2, s2, s14, v2
	s_wait_alu 0xf1ff
	v_add_co_ci_u32_e64 v3, null, s15, v3, s2
	global_load_b64 v[0:1], v[0:1], off
	global_load_b64 v[9:10], v[2:3], off
.LBB41_8:
	s_or_b32 exec_lo, exec_lo, s5
	s_lshl_b32 s2, s3, 3
	v_cndmask_b32_e64 v2, 0, 1, s4
	s_wait_alu 0xfffe
	v_add_nc_u32_e32 v7, s2, v12
	v_add_nc_u32_e32 v8, s2, v13
	;; [unrolled: 1-line block ×3, first 2 shown]
	v_lshlrev_b32_e32 v20, 1, v11
	v_and_b32_e32 v18, 1, v11
	s_wait_loadcnt 0x1
	ds_store_b64 v7, v[0:1]
	s_wait_loadcnt 0x0
	ds_store_b64 v8, v[9:10]
	ds_store_b8 v3, v2
	v_add_nc_u32_e32 v9, v12, v16
	s_wait_dscnt 0x0
	s_barrier_signal -1
	s_barrier_wait -1
	global_inv scope:SCOPE_SE
	ds_load_b128 v[0:3], v9
	v_add_nc_u32_e32 v10, v17, v20
	ds_load_u16 v19, v10
	s_wait_dscnt 0x1
	v_cmp_u_f64_e64 s2, v[0:1], v[0:1]
	v_cmp_o_f64_e64 s3, v[2:3], v[2:3]
	v_cmp_gt_f64_e64 s4, v[0:1], v[2:3]
	s_wait_dscnt 0x0
	v_lshrrev_b16 v22, 8, v19
	v_and_b32_e32 v21, 1, v19
	s_delay_alu instid0(VALU_DEP_2) | instskip(NEXT) | instid1(VALU_DEP_2)
	v_cmp_ne_u16_e64 s6, v22, v18
	v_cmp_eq_u32_e64 s5, 1, v21
	s_wait_alu 0xf1ff
	s_delay_alu instid0(VALU_DEP_2)
	v_cndmask_b32_e64 v21, 0, 1, s6
	s_and_b32 s2, s2, s3
	s_wait_alu 0xfffe
	s_or_b32 s2, s2, s4
	s_wait_alu 0xfffe
	s_and_b32 s2, s2, s5
	s_wait_alu 0xfffe
	v_cndmask_b32_e64 v21, v21, v11, s2
	s_delay_alu instid0(VALU_DEP_1) | instskip(NEXT) | instid1(VALU_DEP_1)
	v_and_b32_e32 v21, 1, v21
	v_cmp_eq_u32_e64 s2, 1, v21
	v_add_nc_u32_e32 v21, v13, v16
	s_and_saveexec_b32 s3, s2
	s_wait_alu 0xfffe
	s_xor_b32 s2, exec_lo, s3
	s_cbranch_execz .LBB41_10
; %bb.9:
	ds_load_b128 v[23:26], v21
	v_mov_b32_e32 v29, v0
	v_lshlrev_b16 v0, 8, v19
	v_dual_mov_b32 v27, v2 :: v_dual_mov_b32 v28, v3
	v_mov_b32_e32 v30, v1
	s_delay_alu instid0(VALU_DEP_3)
	v_or_b32_e32 v0, v22, v0
	s_wait_dscnt 0x0
	v_dual_mov_b32 v31, v25 :: v_dual_mov_b32 v34, v24
	v_dual_mov_b32 v32, v26 :: v_dual_mov_b32 v33, v23
	ds_store_b128 v21, v[31:34]
	ds_store_b128 v9, v[27:30]
	ds_store_b16 v10, v0
.LBB41_10:
	s_wait_alu 0xfffe
	s_or_b32 exec_lo, exec_lo, s2
	v_sub_nc_u32_e32 v19, v20, v18
	s_wait_loadcnt_dscnt 0x0
	s_barrier_signal -1
	s_barrier_wait -1
	global_inv scope:SCOPE_SE
	v_lshl_add_u32 v16, v19, 3, v15
	v_add_nc_u32_e32 v18, v17, v19
	v_bfe_u32 v23, v11, 1, 1
	v_lshl_add_u32 v19, v19, 3, v14
	ds_load_2addr_b64 v[0:3], v16 offset1:2
	ds_load_u8 v22, v18
	ds_load_u8 v24, v18 offset:2
	s_wait_dscnt 0x1
	v_and_b32_e32 v25, 1, v22
	v_cmp_u_f64_e64 s2, v[0:1], v[0:1]
	v_cmp_o_f64_e64 s3, v[2:3], v[2:3]
	v_cmp_gt_f64_e64 s4, v[0:1], v[2:3]
	s_wait_dscnt 0x0
	v_cmp_ne_u16_e64 s5, v24, v23
	s_wait_alu 0xf1ff
	s_delay_alu instid0(VALU_DEP_1)
	v_cndmask_b32_e64 v26, 0, 1, s5
	v_cmp_eq_u32_e64 s5, 1, v25
	s_and_b32 s2, s2, s3
	s_wait_alu 0xfffe
	s_or_b32 s2, s2, s4
	s_wait_alu 0xfffe
	s_and_b32 s2, s2, s5
	s_wait_alu 0xfffe
	v_cndmask_b32_e64 v25, v26, v23, s2
	v_and_b32_e32 v23, 2, v11
	s_delay_alu instid0(VALU_DEP_2) | instskip(NEXT) | instid1(VALU_DEP_2)
	v_and_b32_e32 v25, 1, v25
	v_cmp_ne_u32_e64 s2, 0, v23
	s_delay_alu instid0(VALU_DEP_2)
	v_cmp_eq_u32_e64 s3, 1, v25
	s_and_saveexec_b32 s4, s3
	s_wait_alu 0xfffe
	s_xor_b32 s3, exec_lo, s4
	s_cbranch_execz .LBB41_12
; %bb.11:
	ds_load_2addr_b64 v[25:28], v19 offset1:2
	ds_store_2addr_b64 v16, v[2:3], v[0:1] offset1:2
	s_wait_dscnt 0x1
	ds_store_2addr_b64 v19, v[27:28], v[25:26] offset1:2
	ds_store_b8 v18, v24
	ds_store_b8 v18, v22 offset:2
.LBB41_12:
	s_wait_alu 0xfffe
	s_or_b32 exec_lo, exec_lo, s3
	s_wait_loadcnt_dscnt 0x0
	s_barrier_signal -1
	s_barrier_wait -1
	global_inv scope:SCOPE_SE
	ds_load_b128 v[0:3], v9
	ds_load_u16 v22, v10
	v_lshrrev_b32_e32 v24, 1, v23
	v_cndmask_b32_e64 v26, 0, 1, s2
	s_wait_dscnt 0x1
	v_cmp_u_f64_e64 s3, v[0:1], v[0:1]
	v_cmp_o_f64_e64 s4, v[2:3], v[2:3]
	v_cmp_gt_f64_e64 s5, v[0:1], v[2:3]
	s_wait_dscnt 0x0
	v_lshrrev_b16 v23, 8, v22
	v_and_b32_e32 v25, 1, v22
	s_delay_alu instid0(VALU_DEP_2) | instskip(NEXT) | instid1(VALU_DEP_2)
	v_cmp_ne_u16_e64 s6, v23, v24
	v_cmp_eq_u32_e64 s2, 1, v25
	s_wait_alu 0xf1ff
	s_delay_alu instid0(VALU_DEP_2)
	v_cndmask_b32_e64 v24, 0, 1, s6
	s_and_b32 s3, s3, s4
	s_wait_alu 0xfffe
	s_or_b32 s3, s3, s5
	s_wait_alu 0xfffe
	s_and_b32 s2, s3, s2
	s_mov_b32 s3, exec_lo
	s_wait_alu 0xfffe
	v_cndmask_b32_e64 v24, v24, v26, s2
	s_delay_alu instid0(VALU_DEP_1) | instskip(NEXT) | instid1(VALU_DEP_1)
	v_and_b32_e32 v24, 1, v24
	v_cmpx_eq_u32_e32 1, v24
	s_cbranch_execz .LBB41_14
; %bb.13:
	ds_load_b128 v[24:27], v21
	v_mov_b32_e32 v30, v0
	v_lshlrev_b16 v0, 8, v22
	v_dual_mov_b32 v28, v2 :: v_dual_mov_b32 v29, v3
	v_mov_b32_e32 v31, v1
	s_delay_alu instid0(VALU_DEP_3)
	v_or_b32_e32 v0, v23, v0
	s_wait_dscnt 0x0
	v_dual_mov_b32 v32, v26 :: v_dual_mov_b32 v35, v25
	v_dual_mov_b32 v33, v27 :: v_dual_mov_b32 v34, v24
	ds_store_b128 v21, v[32:35]
	ds_store_b128 v9, v[28:31]
	ds_store_b16 v10, v0
.LBB41_14:
	s_or_b32 exec_lo, exec_lo, s3
	v_and_b32_e32 v0, 3, v11
	s_wait_loadcnt_dscnt 0x0
	s_barrier_signal -1
	s_barrier_wait -1
	global_inv scope:SCOPE_SE
	v_sub_nc_u32_e32 v24, v20, v0
	v_bfe_u32 v23, v11, 2, 1
	s_delay_alu instid0(VALU_DEP_2)
	v_lshl_add_u32 v21, v24, 3, v15
	v_add_nc_u32_e32 v22, v17, v24
	v_lshl_add_u32 v24, v24, 3, v14
	ds_load_2addr_b64 v[0:3], v21 offset1:4
	ds_load_u8 v25, v22
	ds_load_u8 v26, v22 offset:4
	s_wait_dscnt 0x1
	v_and_b32_e32 v27, 1, v25
	v_cmp_u_f64_e64 s2, v[0:1], v[0:1]
	v_cmp_o_f64_e64 s3, v[2:3], v[2:3]
	v_cmp_gt_f64_e64 s4, v[0:1], v[2:3]
	s_wait_dscnt 0x0
	v_cmp_ne_u16_e64 s5, v26, v23
	s_wait_alu 0xf1ff
	s_delay_alu instid0(VALU_DEP_1)
	v_cndmask_b32_e64 v28, 0, 1, s5
	v_cmp_eq_u32_e64 s5, 1, v27
	s_and_b32 s2, s2, s3
	s_wait_alu 0xfffe
	s_or_b32 s2, s2, s4
	s_mov_b32 s4, exec_lo
	s_wait_alu 0xfffe
	s_and_b32 s2, s2, s5
	s_wait_alu 0xfffe
	v_cndmask_b32_e64 v27, v28, v23, s2
	v_and_b32_e32 v23, 4, v11
	s_delay_alu instid0(VALU_DEP_2) | instskip(NEXT) | instid1(VALU_DEP_2)
	v_and_b32_e32 v27, 1, v27
	v_cmp_ne_u32_e64 s2, 0, v23
	s_delay_alu instid0(VALU_DEP_2)
	v_cmpx_eq_u32_e32 1, v27
	s_cbranch_execz .LBB41_16
; %bb.15:
	ds_load_2addr_b64 v[27:30], v24 offset1:4
	ds_store_2addr_b64 v21, v[2:3], v[0:1] offset1:4
	s_wait_dscnt 0x1
	ds_store_2addr_b64 v24, v[29:30], v[27:28] offset1:4
	ds_store_b8 v22, v26
	ds_store_b8 v22, v25 offset:4
.LBB41_16:
	s_or_b32 exec_lo, exec_lo, s4
	s_wait_loadcnt_dscnt 0x0
	s_barrier_signal -1
	s_barrier_wait -1
	global_inv scope:SCOPE_SE
	ds_load_2addr_b64 v[0:3], v16 offset1:2
	ds_load_u8 v26, v18
	ds_load_u8 v27, v18 offset:2
	v_lshrrev_b32_e32 v23, 2, v23
	v_cndmask_b32_e64 v25, 0, 1, s2
	s_wait_dscnt 0x1
	v_and_b32_e32 v28, 1, v26
	v_cmp_u_f64_e64 s3, v[0:1], v[0:1]
	v_cmp_o_f64_e64 s4, v[2:3], v[2:3]
	v_cmp_gt_f64_e64 s5, v[0:1], v[2:3]
	s_wait_dscnt 0x0
	v_cmp_ne_u16_e64 s2, v27, v23
	s_wait_alu 0xf1ff
	s_delay_alu instid0(VALU_DEP_1)
	v_cndmask_b32_e64 v29, 0, 1, s2
	v_cmp_eq_u32_e64 s2, 1, v28
	s_and_b32 s3, s3, s4
	s_wait_alu 0xfffe
	s_or_b32 s3, s3, s5
	s_wait_alu 0xfffe
	s_and_b32 s2, s3, s2
	s_mov_b32 s3, exec_lo
	s_wait_alu 0xfffe
	v_cndmask_b32_e64 v28, v29, v25, s2
	s_delay_alu instid0(VALU_DEP_1) | instskip(NEXT) | instid1(VALU_DEP_1)
	v_and_b32_e32 v28, 1, v28
	v_cmpx_eq_u32_e32 1, v28
	s_cbranch_execz .LBB41_18
; %bb.17:
	ds_load_2addr_b64 v[28:31], v19 offset1:2
	ds_store_2addr_b64 v16, v[2:3], v[0:1] offset1:2
	s_wait_dscnt 0x1
	ds_store_2addr_b64 v19, v[30:31], v[28:29] offset1:2
	ds_store_b8 v18, v27
	ds_store_b8 v18, v26 offset:2
.LBB41_18:
	s_or_b32 exec_lo, exec_lo, s3
	s_wait_loadcnt_dscnt 0x0
	s_barrier_signal -1
	s_barrier_wait -1
	global_inv scope:SCOPE_SE
	ds_load_b128 v[0:3], v9
	ds_load_u16 v27, v10
	s_wait_dscnt 0x1
	v_cmp_u_f64_e64 s2, v[0:1], v[0:1]
	v_cmp_o_f64_e64 s3, v[2:3], v[2:3]
	v_cmp_gt_f64_e64 s4, v[0:1], v[2:3]
	s_wait_dscnt 0x0
	v_lshrrev_b16 v26, 8, v27
	v_and_b32_e32 v28, 1, v27
	s_delay_alu instid0(VALU_DEP_2) | instskip(NEXT) | instid1(VALU_DEP_2)
	v_cmp_ne_u16_e64 s6, v26, v23
	v_cmp_eq_u32_e64 s5, 1, v28
	s_wait_alu 0xf1ff
	s_delay_alu instid0(VALU_DEP_2)
	v_cndmask_b32_e64 v23, 0, 1, s6
	s_and_b32 s2, s2, s3
	s_wait_alu 0xfffe
	s_or_b32 s2, s2, s4
	s_wait_alu 0xfffe
	s_and_b32 s2, s2, s5
	s_wait_alu 0xfffe
	v_cndmask_b32_e64 v23, v23, v25, s2
	s_delay_alu instid0(VALU_DEP_1) | instskip(NEXT) | instid1(VALU_DEP_1)
	v_and_b32_e32 v23, 1, v23
	v_cmp_eq_u32_e64 s2, 1, v23
	v_lshl_add_u32 v23, v20, 3, v14
	s_and_saveexec_b32 s3, s2
	s_cbranch_execz .LBB41_20
; %bb.19:
	ds_load_b128 v[28:31], v23
	v_mov_b32_e32 v34, v0
	v_lshlrev_b16 v0, 8, v27
	v_dual_mov_b32 v32, v2 :: v_dual_mov_b32 v33, v3
	v_mov_b32_e32 v35, v1
	s_delay_alu instid0(VALU_DEP_3)
	v_or_b32_e32 v0, v26, v0
	s_wait_dscnt 0x0
	v_dual_mov_b32 v36, v30 :: v_dual_mov_b32 v39, v29
	v_dual_mov_b32 v37, v31 :: v_dual_mov_b32 v38, v28
	ds_store_b128 v23, v[36:39]
	ds_store_b128 v9, v[32:35]
	ds_store_b16 v10, v0
.LBB41_20:
	s_wait_alu 0xfffe
	s_or_b32 exec_lo, exec_lo, s3
	v_and_b32_e32 v0, 7, v11
	s_wait_loadcnt_dscnt 0x0
	s_barrier_signal -1
	s_barrier_wait -1
	global_inv scope:SCOPE_SE
	v_sub_nc_u32_e32 v27, v20, v0
	v_bfe_u32 v28, v11, 3, 1
	s_delay_alu instid0(VALU_DEP_2)
	v_lshl_add_u32 v25, v27, 3, v15
	v_add_nc_u32_e32 v26, v17, v27
	v_lshl_add_u32 v27, v27, 3, v14
	ds_load_2addr_b64 v[0:3], v25 offset1:8
	ds_load_u8 v29, v26
	ds_load_u8 v30, v26 offset:8
	s_wait_dscnt 0x1
	v_and_b32_e32 v31, 1, v29
	v_cmp_u_f64_e64 s2, v[0:1], v[0:1]
	v_cmp_o_f64_e64 s3, v[2:3], v[2:3]
	v_cmp_gt_f64_e64 s4, v[0:1], v[2:3]
	s_wait_dscnt 0x0
	v_cmp_ne_u16_e64 s5, v30, v28
	s_wait_alu 0xf1ff
	s_delay_alu instid0(VALU_DEP_1)
	v_cndmask_b32_e64 v32, 0, 1, s5
	v_cmp_eq_u32_e64 s5, 1, v31
	s_and_b32 s2, s2, s3
	s_wait_alu 0xfffe
	s_or_b32 s2, s2, s4
	s_mov_b32 s4, exec_lo
	s_wait_alu 0xfffe
	s_and_b32 s2, s2, s5
	s_wait_alu 0xfffe
	v_cndmask_b32_e64 v31, v32, v28, s2
	v_and_b32_e32 v28, 8, v11
	s_delay_alu instid0(VALU_DEP_2) | instskip(NEXT) | instid1(VALU_DEP_2)
	v_and_b32_e32 v31, 1, v31
	v_cmp_ne_u32_e64 s2, 0, v28
	s_delay_alu instid0(VALU_DEP_2)
	v_cmpx_eq_u32_e32 1, v31
	s_cbranch_execz .LBB41_22
; %bb.21:
	ds_load_2addr_b64 v[31:34], v27 offset1:8
	ds_store_2addr_b64 v25, v[2:3], v[0:1] offset1:8
	s_wait_dscnt 0x1
	ds_store_2addr_b64 v27, v[33:34], v[31:32] offset1:8
	ds_store_b8 v26, v30
	ds_store_b8 v26, v29 offset:8
.LBB41_22:
	s_or_b32 exec_lo, exec_lo, s4
	s_wait_loadcnt_dscnt 0x0
	s_barrier_signal -1
	s_barrier_wait -1
	global_inv scope:SCOPE_SE
	ds_load_2addr_b64 v[0:3], v21 offset1:4
	ds_load_u8 v30, v22
	ds_load_u8 v31, v22 offset:4
	v_lshrrev_b32_e32 v28, 3, v28
	v_cndmask_b32_e64 v29, 0, 1, s2
	s_wait_dscnt 0x1
	v_and_b32_e32 v32, 1, v30
	v_cmp_u_f64_e64 s3, v[0:1], v[0:1]
	v_cmp_o_f64_e64 s4, v[2:3], v[2:3]
	v_cmp_gt_f64_e64 s5, v[0:1], v[2:3]
	s_wait_dscnt 0x0
	v_cmp_ne_u16_e64 s2, v31, v28
	s_wait_alu 0xf1ff
	s_delay_alu instid0(VALU_DEP_1)
	v_cndmask_b32_e64 v33, 0, 1, s2
	v_cmp_eq_u32_e64 s2, 1, v32
	s_and_b32 s3, s3, s4
	s_wait_alu 0xfffe
	s_or_b32 s3, s3, s5
	s_wait_alu 0xfffe
	s_and_b32 s2, s3, s2
	s_mov_b32 s3, exec_lo
	s_wait_alu 0xfffe
	v_cndmask_b32_e64 v32, v33, v29, s2
	s_delay_alu instid0(VALU_DEP_1) | instskip(NEXT) | instid1(VALU_DEP_1)
	v_and_b32_e32 v32, 1, v32
	v_cmpx_eq_u32_e32 1, v32
	s_cbranch_execz .LBB41_24
; %bb.23:
	ds_load_2addr_b64 v[32:35], v24 offset1:4
	ds_store_2addr_b64 v21, v[2:3], v[0:1] offset1:4
	s_wait_dscnt 0x1
	ds_store_2addr_b64 v24, v[34:35], v[32:33] offset1:4
	ds_store_b8 v22, v31
	ds_store_b8 v22, v30 offset:4
.LBB41_24:
	s_or_b32 exec_lo, exec_lo, s3
	s_wait_loadcnt_dscnt 0x0
	s_barrier_signal -1
	s_barrier_wait -1
	global_inv scope:SCOPE_SE
	ds_load_2addr_b64 v[0:3], v16 offset1:2
	ds_load_u8 v30, v18
	ds_load_u8 v31, v18 offset:2
	s_wait_dscnt 0x1
	v_and_b32_e32 v32, 1, v30
	v_cmp_u_f64_e64 s2, v[0:1], v[0:1]
	v_cmp_o_f64_e64 s3, v[2:3], v[2:3]
	v_cmp_gt_f64_e64 s4, v[0:1], v[2:3]
	s_wait_dscnt 0x0
	v_cmp_ne_u16_e64 s5, v31, v28
	s_wait_alu 0xf1ff
	s_delay_alu instid0(VALU_DEP_1)
	v_cndmask_b32_e64 v33, 0, 1, s5
	v_cmp_eq_u32_e64 s5, 1, v32
	s_and_b32 s2, s2, s3
	s_mov_b32 s3, exec_lo
	s_wait_alu 0xfffe
	s_or_b32 s2, s2, s4
	s_wait_alu 0xfffe
	s_and_b32 s2, s2, s5
	s_wait_alu 0xfffe
	v_cndmask_b32_e64 v32, v33, v29, s2
	s_delay_alu instid0(VALU_DEP_1) | instskip(NEXT) | instid1(VALU_DEP_1)
	v_and_b32_e32 v32, 1, v32
	v_cmpx_eq_u32_e32 1, v32
	s_cbranch_execz .LBB41_26
; %bb.25:
	ds_load_2addr_b64 v[32:35], v19 offset1:2
	ds_store_2addr_b64 v16, v[2:3], v[0:1] offset1:2
	s_wait_dscnt 0x1
	ds_store_2addr_b64 v19, v[34:35], v[32:33] offset1:2
	ds_store_b8 v18, v31
	ds_store_b8 v18, v30 offset:2
.LBB41_26:
	s_or_b32 exec_lo, exec_lo, s3
	s_wait_loadcnt_dscnt 0x0
	s_barrier_signal -1
	s_barrier_wait -1
	global_inv scope:SCOPE_SE
	ds_load_b128 v[0:3], v9
	ds_load_u16 v31, v10
	s_wait_dscnt 0x1
	v_cmp_u_f64_e64 s2, v[0:1], v[0:1]
	v_cmp_o_f64_e64 s3, v[2:3], v[2:3]
	v_cmp_gt_f64_e64 s4, v[0:1], v[2:3]
	s_wait_dscnt 0x0
	v_lshrrev_b16 v30, 8, v31
	v_and_b32_e32 v32, 1, v31
	s_delay_alu instid0(VALU_DEP_2) | instskip(NEXT) | instid1(VALU_DEP_2)
	v_cmp_ne_u16_e64 s6, v30, v28
	v_cmp_eq_u32_e64 s5, 1, v32
	s_wait_alu 0xf1ff
	s_delay_alu instid0(VALU_DEP_2)
	v_cndmask_b32_e64 v28, 0, 1, s6
	s_and_b32 s2, s2, s3
	s_mov_b32 s3, exec_lo
	s_wait_alu 0xfffe
	s_or_b32 s2, s2, s4
	s_wait_alu 0xfffe
	s_and_b32 s2, s2, s5
	s_wait_alu 0xfffe
	v_cndmask_b32_e64 v28, v28, v29, s2
	s_delay_alu instid0(VALU_DEP_1) | instskip(NEXT) | instid1(VALU_DEP_1)
	v_and_b32_e32 v28, 1, v28
	v_cmpx_eq_u32_e32 1, v28
	s_cbranch_execz .LBB41_28
; %bb.27:
	ds_load_b128 v[32:35], v23
	v_mov_b32_e32 v38, v0
	v_lshlrev_b16 v0, 8, v31
	v_dual_mov_b32 v36, v2 :: v_dual_mov_b32 v37, v3
	v_mov_b32_e32 v39, v1
	s_delay_alu instid0(VALU_DEP_3)
	v_or_b32_e32 v0, v30, v0
	s_wait_dscnt 0x0
	v_dual_mov_b32 v40, v34 :: v_dual_mov_b32 v43, v33
	v_dual_mov_b32 v41, v35 :: v_dual_mov_b32 v42, v32
	ds_store_b128 v23, v[40:43]
	ds_store_b128 v9, v[36:39]
	ds_store_b16 v10, v0
.LBB41_28:
	s_or_b32 exec_lo, exec_lo, s3
	v_and_b32_e32 v0, 15, v11
	s_wait_loadcnt_dscnt 0x0
	s_barrier_signal -1
	s_barrier_wait -1
	global_inv scope:SCOPE_SE
	v_sub_nc_u32_e32 v20, v20, v0
	s_delay_alu instid0(VALU_DEP_1)
	v_lshl_add_u32 v15, v20, 3, v15
	v_add_nc_u32_e32 v17, v17, v20
	ds_load_2addr_b64 v[0:3], v15 offset1:16
	ds_load_u8 v28, v17
	ds_load_u8 v29, v17 offset:16
	s_wait_dscnt 0x1
	v_and_b32_e32 v30, 1, v28
	v_cmp_u_f64_e64 s2, v[0:1], v[0:1]
	v_cmp_o_f64_e64 s3, v[2:3], v[2:3]
	v_cmp_gt_f64_e64 s4, v[0:1], v[2:3]
	s_wait_dscnt 0x0
	v_and_b32_e32 v29, 0xff, v29
	v_cmp_eq_u32_e64 s5, 1, v30
	s_and_b32 s2, s2, s3
	s_wait_alu 0xfffe
	s_or_b32 s3, s2, s4
	v_cmp_ne_u16_e64 s2, 0, v29
	s_wait_alu 0xfffe
	s_and_b32 s3, s3, s5
	s_wait_alu 0xfffe
	s_xor_b32 s3, s3, -1
	s_wait_alu 0xfffe
	s_and_b32 s3, s3, s2
	s_wait_alu 0xfffe
	s_and_saveexec_b32 s2, s3
	s_cbranch_execz .LBB41_30
; %bb.29:
	v_lshl_add_u32 v14, v20, 3, v14
	v_mov_b32_e32 v20, 1
	ds_load_2addr_b64 v[29:32], v14 offset1:16
	ds_store_2addr_b64 v15, v[2:3], v[0:1] offset1:16
	s_wait_dscnt 0x1
	ds_store_2addr_b64 v14, v[31:32], v[29:30] offset1:16
	ds_store_b8 v17, v20
	ds_store_b8 v17, v28 offset:16
.LBB41_30:
	s_wait_alu 0xfffe
	s_or_b32 exec_lo, exec_lo, s2
	s_wait_loadcnt_dscnt 0x0
	s_barrier_signal -1
	s_barrier_wait -1
	global_inv scope:SCOPE_SE
	ds_load_2addr_b64 v[0:3], v25 offset1:8
	ds_load_u8 v14, v26
	ds_load_u8 v15, v26 offset:8
	s_wait_dscnt 0x1
	v_and_b32_e32 v17, 1, v14
	v_cmp_u_f64_e64 s2, v[0:1], v[0:1]
	v_cmp_o_f64_e64 s3, v[2:3], v[2:3]
	v_cmp_gt_f64_e64 s4, v[0:1], v[2:3]
	s_wait_dscnt 0x0
	v_and_b32_e32 v15, 0xff, v15
	v_cmp_eq_u32_e64 s5, 1, v17
	s_and_b32 s2, s2, s3
	s_wait_alu 0xfffe
	s_or_b32 s3, s2, s4
	v_cmp_ne_u16_e64 s2, 0, v15
	s_wait_alu 0xfffe
	s_and_b32 s3, s3, s5
	s_wait_alu 0xfffe
	s_xor_b32 s3, s3, -1
	s_wait_alu 0xfffe
	s_and_b32 s3, s3, s2
	s_wait_alu 0xfffe
	s_and_saveexec_b32 s2, s3
	s_cbranch_execz .LBB41_32
; %bb.31:
	ds_load_2addr_b64 v[28:31], v27 offset1:8
	v_mov_b32_e32 v15, 1
	ds_store_2addr_b64 v25, v[2:3], v[0:1] offset1:8
	s_wait_dscnt 0x1
	ds_store_2addr_b64 v27, v[30:31], v[28:29] offset1:8
	ds_store_b8 v26, v15
	ds_store_b8 v26, v14 offset:8
.LBB41_32:
	s_wait_alu 0xfffe
	s_or_b32 exec_lo, exec_lo, s2
	s_wait_loadcnt_dscnt 0x0
	s_barrier_signal -1
	s_barrier_wait -1
	global_inv scope:SCOPE_SE
	ds_load_2addr_b64 v[0:3], v21 offset1:4
	ds_load_u8 v14, v22
	ds_load_u8 v15, v22 offset:4
	s_wait_dscnt 0x1
	v_and_b32_e32 v17, 1, v14
	v_cmp_u_f64_e64 s2, v[0:1], v[0:1]
	v_cmp_o_f64_e64 s3, v[2:3], v[2:3]
	v_cmp_gt_f64_e64 s4, v[0:1], v[2:3]
	s_wait_dscnt 0x0
	v_and_b32_e32 v15, 0xff, v15
	v_cmp_eq_u32_e64 s5, 1, v17
	s_and_b32 s2, s2, s3
	s_wait_alu 0xfffe
	s_or_b32 s3, s2, s4
	v_cmp_ne_u16_e64 s2, 0, v15
	s_wait_alu 0xfffe
	s_and_b32 s3, s3, s5
	s_wait_alu 0xfffe
	s_xor_b32 s3, s3, -1
	s_wait_alu 0xfffe
	s_and_b32 s3, s3, s2
	s_wait_alu 0xfffe
	s_and_saveexec_b32 s2, s3
	s_cbranch_execz .LBB41_34
; %bb.33:
	ds_load_2addr_b64 v[25:28], v24 offset1:4
	v_mov_b32_e32 v15, 1
	ds_store_2addr_b64 v21, v[2:3], v[0:1] offset1:4
	s_wait_dscnt 0x1
	ds_store_2addr_b64 v24, v[27:28], v[25:26] offset1:4
	ds_store_b8 v22, v15
	ds_store_b8 v22, v14 offset:4
.LBB41_34:
	;; [unrolled: 39-line block ×3, first 2 shown]
	s_wait_alu 0xfffe
	s_or_b32 exec_lo, exec_lo, s2
	s_wait_loadcnt_dscnt 0x0
	s_barrier_signal -1
	s_barrier_wait -1
	global_inv scope:SCOPE_SE
	ds_load_b128 v[0:3], v9
	ds_load_u16 v14, v10
	s_wait_dscnt 0x1
	v_cmp_u_f64_e64 s2, v[0:1], v[0:1]
	v_cmp_o_f64_e64 s3, v[2:3], v[2:3]
	v_cmp_gt_f64_e64 s4, v[0:1], v[2:3]
	s_wait_dscnt 0x0
	v_and_b32_e32 v15, 1, v14
	v_lshrrev_b16 v16, 8, v14
	s_delay_alu instid0(VALU_DEP_2)
	v_cmp_eq_u32_e64 s5, 1, v15
	s_and_b32 s2, s2, s3
	s_wait_alu 0xfffe
	s_or_b32 s3, s2, s4
	v_cmp_ne_u16_e64 s2, 0, v16
	s_wait_alu 0xfffe
	s_and_b32 s3, s3, s5
	s_wait_alu 0xfffe
	s_xor_b32 s3, s3, -1
	s_wait_alu 0xfffe
	s_and_b32 s3, s3, s2
	s_wait_alu 0xfffe
	s_and_saveexec_b32 s2, s3
	s_cbranch_execz .LBB41_38
; %bb.37:
	ds_load_b128 v[15:18], v23
	v_mov_b32_e32 v21, v0
	v_lshlrev_b16 v0, 8, v14
	v_dual_mov_b32 v19, v2 :: v_dual_mov_b32 v20, v3
	v_mov_b32_e32 v22, v1
	s_delay_alu instid0(VALU_DEP_3)
	v_or_b32_e32 v0, 1, v0
	s_wait_dscnt 0x0
	v_dual_mov_b32 v24, v17 :: v_dual_mov_b32 v25, v18
	v_dual_mov_b32 v26, v15 :: v_dual_mov_b32 v27, v16
	ds_store_b128 v23, v[24:27]
	ds_store_b128 v9, v[19:22]
	ds_store_b16 v10, v0
.LBB41_38:
	s_wait_alu 0xfffe
	s_or_b32 exec_lo, exec_lo, s2
	s_wait_loadcnt_dscnt 0x0
	s_barrier_signal -1
	s_barrier_wait -1
	global_inv scope:SCOPE_SE
	s_and_saveexec_b32 s2, s0
	s_cbranch_execz .LBB41_43
; %bb.39:
	s_and_saveexec_b32 s0, vcc_lo
	s_cbranch_execz .LBB41_41
; %bb.40:
	v_mad_co_u64_u32 v[0:1], null, v11, s10, v[6:7]
	v_mov_b32_e32 v1, 0
	v_mad_co_u64_u32 v[2:3], null, v11, s7, v[4:5]
	ds_load_b64 v[9:10], v12
	ds_load_b64 v[11:12], v13
	v_mov_b32_e32 v3, v1
	v_lshlrev_b64_e32 v[0:1], 3, v[0:1]
	s_delay_alu instid0(VALU_DEP_2) | instskip(NEXT) | instid1(VALU_DEP_2)
	v_lshlrev_b64_e32 v[2:3], 3, v[2:3]
	v_add_co_u32 v0, vcc_lo, s12, v0
	s_wait_alu 0xfffd
	s_delay_alu instid0(VALU_DEP_3) | instskip(NEXT) | instid1(VALU_DEP_3)
	v_add_co_ci_u32_e64 v1, null, s13, v1, vcc_lo
	v_add_co_u32 v2, vcc_lo, s14, v2
	s_wait_alu 0xfffd
	v_add_co_ci_u32_e64 v3, null, s15, v3, vcc_lo
	s_wait_dscnt 0x1
	global_store_b64 v[0:1], v[9:10], off
	s_wait_dscnt 0x0
	global_store_b64 v[2:3], v[11:12], off
.LBB41_41:
	s_wait_alu 0xfffe
	s_or_b32 exec_lo, exec_lo, s0
	s_delay_alu instid0(SALU_CYCLE_1)
	s_and_b32 exec_lo, exec_lo, s1
	s_cbranch_execz .LBB41_43
; %bb.42:
	v_mad_co_u64_u32 v[0:1], null, v5, s10, v[6:7]
	v_mov_b32_e32 v1, 0
	v_mad_co_u64_u32 v[2:3], null, v5, s7, v[4:5]
	ds_load_b64 v[4:5], v7
	ds_load_b64 v[6:7], v8
	v_mov_b32_e32 v3, v1
	v_lshlrev_b64_e32 v[0:1], 3, v[0:1]
	s_delay_alu instid0(VALU_DEP_2) | instskip(NEXT) | instid1(VALU_DEP_2)
	v_lshlrev_b64_e32 v[2:3], 3, v[2:3]
	v_add_co_u32 v0, vcc_lo, s12, v0
	s_wait_alu 0xfffd
	s_delay_alu instid0(VALU_DEP_3) | instskip(NEXT) | instid1(VALU_DEP_3)
	v_add_co_ci_u32_e64 v1, null, s13, v1, vcc_lo
	v_add_co_u32 v2, vcc_lo, s14, v2
	s_wait_alu 0xfffd
	v_add_co_ci_u32_e64 v3, null, s15, v3, vcc_lo
	s_wait_dscnt 0x1
	global_store_b64 v[0:1], v[4:5], off
	s_wait_dscnt 0x0
	global_store_b64 v[2:3], v[6:7], off
.LBB41_43:
	s_endpgm
	.section	.rodata,"a",@progbits
	.p2align	6, 0x0
	.amdhsa_kernel _ZN2at6native20bitonicSortKVInPlaceILin2ELin1ELi16ELi16EdlNS0_4GTOpIdLb1EEEjEEvNS_4cuda6detail10TensorInfoIT3_T6_EES8_S8_S8_NS6_IT4_S8_EES8_T5_
		.amdhsa_group_segment_fixed_size 8704
		.amdhsa_private_segment_fixed_size 0
		.amdhsa_kernarg_size 712
		.amdhsa_user_sgpr_count 2
		.amdhsa_user_sgpr_dispatch_ptr 0
		.amdhsa_user_sgpr_queue_ptr 0
		.amdhsa_user_sgpr_kernarg_segment_ptr 1
		.amdhsa_user_sgpr_dispatch_id 0
		.amdhsa_user_sgpr_private_segment_size 0
		.amdhsa_wavefront_size32 1
		.amdhsa_uses_dynamic_stack 0
		.amdhsa_enable_private_segment 0
		.amdhsa_system_sgpr_workgroup_id_x 1
		.amdhsa_system_sgpr_workgroup_id_y 1
		.amdhsa_system_sgpr_workgroup_id_z 1
		.amdhsa_system_sgpr_workgroup_info 0
		.amdhsa_system_vgpr_workitem_id 1
		.amdhsa_next_free_vgpr 44
		.amdhsa_next_free_sgpr 16
		.amdhsa_reserve_vcc 1
		.amdhsa_float_round_mode_32 0
		.amdhsa_float_round_mode_16_64 0
		.amdhsa_float_denorm_mode_32 3
		.amdhsa_float_denorm_mode_16_64 3
		.amdhsa_fp16_overflow 0
		.amdhsa_workgroup_processor_mode 1
		.amdhsa_memory_ordered 1
		.amdhsa_forward_progress 1
		.amdhsa_inst_pref_size 39
		.amdhsa_round_robin_scheduling 0
		.amdhsa_exception_fp_ieee_invalid_op 0
		.amdhsa_exception_fp_denorm_src 0
		.amdhsa_exception_fp_ieee_div_zero 0
		.amdhsa_exception_fp_ieee_overflow 0
		.amdhsa_exception_fp_ieee_underflow 0
		.amdhsa_exception_fp_ieee_inexact 0
		.amdhsa_exception_int_div_zero 0
	.end_amdhsa_kernel
	.section	.text._ZN2at6native20bitonicSortKVInPlaceILin2ELin1ELi16ELi16EdlNS0_4GTOpIdLb1EEEjEEvNS_4cuda6detail10TensorInfoIT3_T6_EES8_S8_S8_NS6_IT4_S8_EES8_T5_,"axG",@progbits,_ZN2at6native20bitonicSortKVInPlaceILin2ELin1ELi16ELi16EdlNS0_4GTOpIdLb1EEEjEEvNS_4cuda6detail10TensorInfoIT3_T6_EES8_S8_S8_NS6_IT4_S8_EES8_T5_,comdat
.Lfunc_end41:
	.size	_ZN2at6native20bitonicSortKVInPlaceILin2ELin1ELi16ELi16EdlNS0_4GTOpIdLb1EEEjEEvNS_4cuda6detail10TensorInfoIT3_T6_EES8_S8_S8_NS6_IT4_S8_EES8_T5_, .Lfunc_end41-_ZN2at6native20bitonicSortKVInPlaceILin2ELin1ELi16ELi16EdlNS0_4GTOpIdLb1EEEjEEvNS_4cuda6detail10TensorInfoIT3_T6_EES8_S8_S8_NS6_IT4_S8_EES8_T5_
                                        ; -- End function
	.set _ZN2at6native20bitonicSortKVInPlaceILin2ELin1ELi16ELi16EdlNS0_4GTOpIdLb1EEEjEEvNS_4cuda6detail10TensorInfoIT3_T6_EES8_S8_S8_NS6_IT4_S8_EES8_T5_.num_vgpr, 44
	.set _ZN2at6native20bitonicSortKVInPlaceILin2ELin1ELi16ELi16EdlNS0_4GTOpIdLb1EEEjEEvNS_4cuda6detail10TensorInfoIT3_T6_EES8_S8_S8_NS6_IT4_S8_EES8_T5_.num_agpr, 0
	.set _ZN2at6native20bitonicSortKVInPlaceILin2ELin1ELi16ELi16EdlNS0_4GTOpIdLb1EEEjEEvNS_4cuda6detail10TensorInfoIT3_T6_EES8_S8_S8_NS6_IT4_S8_EES8_T5_.numbered_sgpr, 16
	.set _ZN2at6native20bitonicSortKVInPlaceILin2ELin1ELi16ELi16EdlNS0_4GTOpIdLb1EEEjEEvNS_4cuda6detail10TensorInfoIT3_T6_EES8_S8_S8_NS6_IT4_S8_EES8_T5_.num_named_barrier, 0
	.set _ZN2at6native20bitonicSortKVInPlaceILin2ELin1ELi16ELi16EdlNS0_4GTOpIdLb1EEEjEEvNS_4cuda6detail10TensorInfoIT3_T6_EES8_S8_S8_NS6_IT4_S8_EES8_T5_.private_seg_size, 0
	.set _ZN2at6native20bitonicSortKVInPlaceILin2ELin1ELi16ELi16EdlNS0_4GTOpIdLb1EEEjEEvNS_4cuda6detail10TensorInfoIT3_T6_EES8_S8_S8_NS6_IT4_S8_EES8_T5_.uses_vcc, 1
	.set _ZN2at6native20bitonicSortKVInPlaceILin2ELin1ELi16ELi16EdlNS0_4GTOpIdLb1EEEjEEvNS_4cuda6detail10TensorInfoIT3_T6_EES8_S8_S8_NS6_IT4_S8_EES8_T5_.uses_flat_scratch, 0
	.set _ZN2at6native20bitonicSortKVInPlaceILin2ELin1ELi16ELi16EdlNS0_4GTOpIdLb1EEEjEEvNS_4cuda6detail10TensorInfoIT3_T6_EES8_S8_S8_NS6_IT4_S8_EES8_T5_.has_dyn_sized_stack, 0
	.set _ZN2at6native20bitonicSortKVInPlaceILin2ELin1ELi16ELi16EdlNS0_4GTOpIdLb1EEEjEEvNS_4cuda6detail10TensorInfoIT3_T6_EES8_S8_S8_NS6_IT4_S8_EES8_T5_.has_recursion, 0
	.set _ZN2at6native20bitonicSortKVInPlaceILin2ELin1ELi16ELi16EdlNS0_4GTOpIdLb1EEEjEEvNS_4cuda6detail10TensorInfoIT3_T6_EES8_S8_S8_NS6_IT4_S8_EES8_T5_.has_indirect_call, 0
	.section	.AMDGPU.csdata,"",@progbits
; Kernel info:
; codeLenInByte = 4992
; TotalNumSgprs: 18
; NumVgprs: 44
; ScratchSize: 0
; MemoryBound: 0
; FloatMode: 240
; IeeeMode: 1
; LDSByteSize: 8704 bytes/workgroup (compile time only)
; SGPRBlocks: 0
; VGPRBlocks: 5
; NumSGPRsForWavesPerEU: 18
; NumVGPRsForWavesPerEU: 44
; Occupancy: 16
; WaveLimiterHint : 1
; COMPUTE_PGM_RSRC2:SCRATCH_EN: 0
; COMPUTE_PGM_RSRC2:USER_SGPR: 2
; COMPUTE_PGM_RSRC2:TRAP_HANDLER: 0
; COMPUTE_PGM_RSRC2:TGID_X_EN: 1
; COMPUTE_PGM_RSRC2:TGID_Y_EN: 1
; COMPUTE_PGM_RSRC2:TGID_Z_EN: 1
; COMPUTE_PGM_RSRC2:TIDIG_COMP_CNT: 1
	.section	.text._ZN2at6native20bitonicSortKVInPlaceILi2ELin1ELi16ELi16EdlNS0_4LTOpIdLb1EEEjEEvNS_4cuda6detail10TensorInfoIT3_T6_EES8_S8_S8_NS6_IT4_S8_EES8_T5_,"axG",@progbits,_ZN2at6native20bitonicSortKVInPlaceILi2ELin1ELi16ELi16EdlNS0_4LTOpIdLb1EEEjEEvNS_4cuda6detail10TensorInfoIT3_T6_EES8_S8_S8_NS6_IT4_S8_EES8_T5_,comdat
	.protected	_ZN2at6native20bitonicSortKVInPlaceILi2ELin1ELi16ELi16EdlNS0_4LTOpIdLb1EEEjEEvNS_4cuda6detail10TensorInfoIT3_T6_EES8_S8_S8_NS6_IT4_S8_EES8_T5_ ; -- Begin function _ZN2at6native20bitonicSortKVInPlaceILi2ELin1ELi16ELi16EdlNS0_4LTOpIdLb1EEEjEEvNS_4cuda6detail10TensorInfoIT3_T6_EES8_S8_S8_NS6_IT4_S8_EES8_T5_
	.globl	_ZN2at6native20bitonicSortKVInPlaceILi2ELin1ELi16ELi16EdlNS0_4LTOpIdLb1EEEjEEvNS_4cuda6detail10TensorInfoIT3_T6_EES8_S8_S8_NS6_IT4_S8_EES8_T5_
	.p2align	8
	.type	_ZN2at6native20bitonicSortKVInPlaceILi2ELin1ELi16ELi16EdlNS0_4LTOpIdLb1EEEjEEvNS_4cuda6detail10TensorInfoIT3_T6_EES8_S8_S8_NS6_IT4_S8_EES8_T5_,@function
_ZN2at6native20bitonicSortKVInPlaceILi2ELin1ELi16ELi16EdlNS0_4LTOpIdLb1EEEjEEvNS_4cuda6detail10TensorInfoIT3_T6_EES8_S8_S8_NS6_IT4_S8_EES8_T5_: ; @_ZN2at6native20bitonicSortKVInPlaceILi2ELin1ELi16ELi16EdlNS0_4LTOpIdLb1EEEjEEvNS_4cuda6detail10TensorInfoIT3_T6_EES8_S8_S8_NS6_IT4_S8_EES8_T5_
; %bb.0:
	s_clause 0x2
	s_load_b64 s[2:3], s[0:1], 0x1c8
	s_load_u16 s4, s[0:1], 0x1d6
	s_load_b96 s[8:10], s[0:1], 0xd8
	s_lshr_b32 s5, ttmp7, 16
	s_wait_kmcnt 0x0
	s_mul_i32 s3, s3, s5
	s_and_b32 s5, ttmp7, 0xffff
	s_delay_alu instid0(SALU_CYCLE_1) | instskip(NEXT) | instid1(SALU_CYCLE_1)
	s_add_co_i32 s3, s3, s5
	s_mul_i32 s2, s3, s2
	s_delay_alu instid0(SALU_CYCLE_1) | instskip(NEXT) | instid1(SALU_CYCLE_1)
	s_add_co_i32 s2, s2, ttmp9
	s_mul_i32 s4, s2, s4
	s_delay_alu instid0(SALU_CYCLE_1)
	s_cmp_ge_u32 s4, s8
	s_cbranch_scc1 .LBB42_44
; %bb.1:
	s_clause 0x3
	s_load_b32 s11, s[0:1], 0xc
	s_load_b64 s[2:3], s[0:1], 0x6c
	s_load_b32 s14, s[0:1], 0x1b8
	s_load_b64 s[12:13], s[0:1], 0x0
	v_bfe_u32 v8, v0, 10, 10
	s_mov_b32 s7, 0
	s_delay_alu instid0(VALU_DEP_1) | instskip(SKIP_4) | instid1(SALU_CYCLE_1)
	v_add_nc_u32_e32 v4, s4, v8
	s_wait_kmcnt 0x0
	s_cvt_f32_u32 s5, s11
	s_sub_co_i32 s6, 0, s11
	s_wait_alu 0xfffe
	v_rcp_iflag_f32_e32 v1, s5
	s_delay_alu instid0(TRANS32_DEP_1) | instskip(SKIP_3) | instid1(SALU_CYCLE_2)
	v_readfirstlane_b32 s5, v1
	v_mov_b32_e32 v1, 0
	s_mul_f32 s5, s5, 0x4f7ffffe
	s_wait_alu 0xfffe
	s_cvt_u32_f32 s5, s5
	s_wait_alu 0xfffe
	s_delay_alu instid0(SALU_CYCLE_2) | instskip(NEXT) | instid1(SALU_CYCLE_1)
	s_mul_i32 s6, s6, s5
	s_mul_hi_u32 s4, s5, s6
	s_wait_alu 0xfffe
	s_add_co_i32 s5, s5, s4
	s_cmp_lt_i32 s14, 2
	s_wait_alu 0xfffe
	v_mad_co_u64_u32 v[2:3], null, v4, s5, 0
	s_add_nc_u64 s[4:5], s[0:1], 0xe8
	s_cbranch_scc1 .LBB42_4
; %bb.2:
	s_add_co_i32 s6, s14, -1
	v_mov_b32_e32 v1, 0
	s_lshl_b64 s[6:7], s[6:7], 2
	v_mov_b32_e32 v5, v4
	s_wait_alu 0xfffe
	s_add_nc_u64 s[6:7], s[4:5], s[6:7]
	s_add_co_i32 s14, s14, 1
	s_add_nc_u64 s[6:7], s[6:7], 8
.LBB42_3:                               ; =>This Inner Loop Header: Depth=1
	s_clause 0x1
	s_load_b32 s15, s[6:7], 0x0
	s_load_b32 s16, s[6:7], 0x64
	s_add_co_i32 s14, s14, -1
	s_add_nc_u64 s[6:7], s[6:7], -4
	s_wait_kmcnt 0x0
	s_cvt_f32_u32 s17, s15
	s_sub_co_i32 s18, 0, s15
	s_wait_alu 0xfffe
	s_delay_alu instid0(SALU_CYCLE_1) | instskip(NEXT) | instid1(TRANS32_DEP_1)
	v_rcp_iflag_f32_e32 v2, s17
	v_readfirstlane_b32 s17, v2
	v_mov_b32_e32 v2, v5
	s_mul_f32 s17, s17, 0x4f7ffffe
	s_wait_alu 0xfffe
	s_delay_alu instid0(SALU_CYCLE_2) | instskip(SKIP_1) | instid1(SALU_CYCLE_2)
	s_cvt_u32_f32 s17, s17
	s_wait_alu 0xfffe
	s_mul_i32 s18, s18, s17
	s_delay_alu instid0(SALU_CYCLE_1) | instskip(NEXT) | instid1(SALU_CYCLE_1)
	s_mul_hi_u32 s18, s17, s18
	s_add_co_i32 s17, s17, s18
	s_cmp_gt_u32 s14, 2
	s_wait_alu 0xfffe
	v_mul_hi_u32 v5, v2, s17
	s_delay_alu instid0(VALU_DEP_1) | instskip(SKIP_1) | instid1(VALU_DEP_2)
	v_mul_lo_u32 v6, v5, s15
	v_add_nc_u32_e32 v7, 1, v5
	v_sub_nc_u32_e32 v6, v2, v6
	s_delay_alu instid0(VALU_DEP_1) | instskip(SKIP_2) | instid1(VALU_DEP_2)
	v_subrev_nc_u32_e32 v9, s15, v6
	v_cmp_le_u32_e32 vcc_lo, s15, v6
	s_wait_alu 0xfffd
	v_dual_cndmask_b32 v5, v5, v7 :: v_dual_cndmask_b32 v6, v6, v9
	s_delay_alu instid0(VALU_DEP_1) | instskip(NEXT) | instid1(VALU_DEP_2)
	v_add_nc_u32_e32 v7, 1, v5
	v_cmp_le_u32_e32 vcc_lo, s15, v6
	s_wait_alu 0xfffd
	s_delay_alu instid0(VALU_DEP_2) | instskip(NEXT) | instid1(VALU_DEP_1)
	v_cndmask_b32_e32 v5, v5, v7, vcc_lo
	v_mul_lo_u32 v6, v5, s15
	s_delay_alu instid0(VALU_DEP_1) | instskip(NEXT) | instid1(VALU_DEP_1)
	v_sub_nc_u32_e32 v2, v2, v6
	v_mad_co_u64_u32 v[1:2], null, s16, v2, v[1:2]
	s_cbranch_scc1 .LBB42_3
	s_branch .LBB42_5
.LBB42_4:
	v_mov_b32_e32 v5, v4
.LBB42_5:
	v_mul_lo_u32 v2, v3, s11
	v_add_nc_u32_e32 v6, 1, v3
	s_load_b32 s16, s[4:5], 0x6c
	s_add_nc_u64 s[6:7], s[0:1], 0x1c8
	v_and_b32_e32 v10, 0x3ff, v0
	s_load_b32 s6, s[6:7], 0xc
	s_clause 0x1
	s_load_b32 s7, s[0:1], 0x1c0
	s_load_b64 s[14:15], s[4:5], 0x0
	v_cmp_gt_u32_e64 s0, s8, v4
	v_sub_nc_u32_e32 v2, v4, v2
	s_delay_alu instid0(VALU_DEP_1) | instskip(SKIP_2) | instid1(VALU_DEP_2)
	v_subrev_nc_u32_e32 v7, s11, v2
	v_cmp_le_u32_e32 vcc_lo, s11, v2
	s_wait_alu 0xfffd
	v_dual_cndmask_b32 v3, v3, v6 :: v_dual_cndmask_b32 v2, v2, v7
	s_delay_alu instid0(VALU_DEP_1) | instskip(NEXT) | instid1(VALU_DEP_2)
	v_add_nc_u32_e32 v6, 1, v3
	v_cmp_le_u32_e32 vcc_lo, s11, v2
	s_wait_alu 0xfffd
	s_delay_alu instid0(VALU_DEP_2) | instskip(SKIP_1) | instid1(VALU_DEP_2)
	v_cndmask_b32_e32 v2, v3, v6, vcc_lo
	v_cmp_gt_u32_e32 vcc_lo, s9, v10
	v_mul_lo_u32 v3, v2, s11
	s_delay_alu instid0(VALU_DEP_1) | instskip(SKIP_2) | instid1(VALU_DEP_2)
	v_sub_nc_u32_e32 v3, v4, v3
	s_wait_kmcnt 0x0
	v_mad_co_u64_u32 v[4:5], null, s16, v5, v[1:2]
	v_mul_lo_u32 v0, v3, s3
	s_delay_alu instid0(VALU_DEP_1)
	v_mad_co_u64_u32 v[5:6], null, v2, s2, v[0:1]
	v_mov_b32_e32 v6, 0
	v_mov_b32_e32 v0, 0
	v_dual_mov_b32 v2, 0 :: v_dual_mov_b32 v7, 0
	v_mov_b32_e32 v1, 0
	v_mov_b32_e32 v3, 0
	s_and_b32 s2, s0, vcc_lo
	s_wait_alu 0xfffe
	s_and_saveexec_b32 s3, s2
	s_cbranch_execz .LBB42_7
; %bb.6:
	v_mad_co_u64_u32 v[2:3], null, v10, s10, v[5:6]
	v_mov_b32_e32 v3, 0
	v_mad_co_u64_u32 v[6:7], null, v10, s7, v[4:5]
	s_delay_alu instid0(VALU_DEP_2) | instskip(NEXT) | instid1(VALU_DEP_4)
	v_mov_b32_e32 v7, v3
	v_lshlrev_b64_e32 v[2:3], 3, v[2:3]
	s_delay_alu instid0(VALU_DEP_2) | instskip(NEXT) | instid1(VALU_DEP_2)
	v_lshlrev_b64_e32 v[6:7], 3, v[6:7]
	v_add_co_u32 v2, s1, s12, v2
	s_delay_alu instid0(VALU_DEP_1) | instskip(NEXT) | instid1(VALU_DEP_3)
	v_add_co_ci_u32_e64 v3, null, s13, v3, s1
	v_add_co_u32 v6, s1, s14, v6
	s_wait_alu 0xf1ff
	s_delay_alu instid0(VALU_DEP_4)
	v_add_co_ci_u32_e64 v7, null, s15, v7, s1
	global_load_b64 v[2:3], v[2:3], off
	global_load_b64 v[6:7], v[6:7], off
.LBB42_7:
	s_wait_alu 0xfffe
	s_or_b32 exec_lo, exec_lo, s3
	v_lshlrev_b32_e32 v15, 8, v8
	s_and_b32 s3, 0xffff, s6
	v_lshlrev_b32_e32 v16, 3, v10
	s_wait_alu 0xfffe
	v_add_nc_u32_e32 v11, s3, v10
	v_lshl_add_u32 v17, v8, 5, 0x2000
	v_mov_b32_e32 v8, 0
	v_dual_mov_b32 v9, 0 :: v_dual_add_nc_u32 v14, 0x1000, v15
	s_delay_alu instid0(VALU_DEP_4) | instskip(SKIP_2) | instid1(VALU_DEP_4)
	v_cmp_gt_u32_e64 s1, s9, v11
	v_add_nc_u32_e32 v12, v15, v16
	v_cndmask_b32_e64 v18, 0, 1, s2
	v_add_nc_u32_e32 v13, v14, v16
	v_add_nc_u32_e32 v19, v17, v10
	s_and_b32 s4, s0, s1
	s_wait_loadcnt 0x1
	ds_store_b64 v12, v[2:3]
	s_wait_loadcnt 0x0
	ds_store_b64 v13, v[6:7]
	ds_store_b8 v19, v18
	s_wait_alu 0xfffe
	s_and_saveexec_b32 s5, s4
	s_cbranch_execz .LBB42_9
; %bb.8:
	v_mad_co_u64_u32 v[0:1], null, v11, s10, v[5:6]
	v_mov_b32_e32 v1, 0
	v_mad_co_u64_u32 v[2:3], null, v11, s7, v[4:5]
	s_delay_alu instid0(VALU_DEP_2) | instskip(NEXT) | instid1(VALU_DEP_4)
	v_mov_b32_e32 v3, v1
	v_lshlrev_b64_e32 v[0:1], 3, v[0:1]
	s_delay_alu instid0(VALU_DEP_2) | instskip(NEXT) | instid1(VALU_DEP_2)
	v_lshlrev_b64_e32 v[2:3], 3, v[2:3]
	v_add_co_u32 v0, s2, s12, v0
	s_wait_alu 0xf1ff
	s_delay_alu instid0(VALU_DEP_3) | instskip(NEXT) | instid1(VALU_DEP_3)
	v_add_co_ci_u32_e64 v1, null, s13, v1, s2
	v_add_co_u32 v2, s2, s14, v2
	s_wait_alu 0xf1ff
	v_add_co_ci_u32_e64 v3, null, s15, v3, s2
	global_load_b64 v[0:1], v[0:1], off
	global_load_b64 v[8:9], v[2:3], off
.LBB42_9:
	s_wait_alu 0xfffe
	s_or_b32 exec_lo, exec_lo, s5
	s_lshl_b32 s2, s3, 3
	v_cndmask_b32_e64 v2, 0, 1, s4
	s_wait_alu 0xfffe
	v_add_nc_u32_e32 v6, s2, v12
	v_add_nc_u32_e32 v7, s2, v13
	;; [unrolled: 1-line block ×3, first 2 shown]
	v_lshlrev_b32_e32 v20, 1, v10
	v_and_b32_e32 v18, 1, v10
	s_wait_loadcnt 0x1
	ds_store_b64 v6, v[0:1]
	s_wait_loadcnt 0x0
	ds_store_b64 v7, v[8:9]
	ds_store_b8 v3, v2
	v_add_nc_u32_e32 v8, v12, v16
	s_wait_dscnt 0x0
	s_barrier_signal -1
	s_barrier_wait -1
	global_inv scope:SCOPE_SE
	ds_load_b128 v[0:3], v8
	v_add_nc_u32_e32 v9, v17, v20
	ds_load_u16 v19, v9
	s_wait_dscnt 0x1
	v_cmp_u_f64_e64 s2, v[2:3], v[2:3]
	v_cmp_o_f64_e64 s3, v[0:1], v[0:1]
	v_cmp_lt_f64_e64 s4, v[0:1], v[2:3]
	s_wait_dscnt 0x0
	v_lshrrev_b16 v22, 8, v19
	v_and_b32_e32 v21, 1, v19
	s_delay_alu instid0(VALU_DEP_2) | instskip(NEXT) | instid1(VALU_DEP_2)
	v_cmp_ne_u16_e64 s6, v22, v18
	v_cmp_eq_u32_e64 s5, 1, v21
	s_wait_alu 0xf1ff
	s_delay_alu instid0(VALU_DEP_2)
	v_cndmask_b32_e64 v21, 0, 1, s6
	s_and_b32 s2, s2, s3
	s_wait_alu 0xfffe
	s_or_b32 s2, s2, s4
	s_wait_alu 0xfffe
	s_and_b32 s2, s2, s5
	s_wait_alu 0xfffe
	v_cndmask_b32_e64 v21, v21, v10, s2
	s_delay_alu instid0(VALU_DEP_1) | instskip(NEXT) | instid1(VALU_DEP_1)
	v_and_b32_e32 v21, 1, v21
	v_cmp_eq_u32_e64 s2, 1, v21
	v_add_nc_u32_e32 v21, v13, v16
	s_and_saveexec_b32 s3, s2
	s_wait_alu 0xfffe
	s_xor_b32 s2, exec_lo, s3
	s_cbranch_execz .LBB42_11
; %bb.10:
	ds_load_b128 v[23:26], v21
	v_mov_b32_e32 v29, v0
	v_lshlrev_b16 v0, 8, v19
	v_dual_mov_b32 v27, v2 :: v_dual_mov_b32 v28, v3
	v_mov_b32_e32 v30, v1
	s_delay_alu instid0(VALU_DEP_3)
	v_or_b32_e32 v0, v22, v0
	s_wait_dscnt 0x0
	v_dual_mov_b32 v31, v25 :: v_dual_mov_b32 v34, v24
	v_dual_mov_b32 v32, v26 :: v_dual_mov_b32 v33, v23
	ds_store_b128 v21, v[31:34]
	ds_store_b128 v8, v[27:30]
	ds_store_b16 v9, v0
.LBB42_11:
	s_wait_alu 0xfffe
	s_or_b32 exec_lo, exec_lo, s2
	v_sub_nc_u32_e32 v19, v20, v18
	s_wait_loadcnt_dscnt 0x0
	s_barrier_signal -1
	s_barrier_wait -1
	global_inv scope:SCOPE_SE
	v_lshl_add_u32 v16, v19, 3, v15
	v_add_nc_u32_e32 v18, v17, v19
	v_bfe_u32 v23, v10, 1, 1
	v_lshl_add_u32 v19, v19, 3, v14
	ds_load_2addr_b64 v[0:3], v16 offset1:2
	ds_load_u8 v22, v18
	ds_load_u8 v24, v18 offset:2
	s_wait_dscnt 0x1
	v_and_b32_e32 v25, 1, v22
	v_cmp_u_f64_e64 s2, v[2:3], v[2:3]
	v_cmp_o_f64_e64 s3, v[0:1], v[0:1]
	v_cmp_lt_f64_e64 s4, v[0:1], v[2:3]
	s_wait_dscnt 0x0
	v_cmp_ne_u16_e64 s5, v24, v23
	s_wait_alu 0xf1ff
	s_delay_alu instid0(VALU_DEP_1)
	v_cndmask_b32_e64 v26, 0, 1, s5
	v_cmp_eq_u32_e64 s5, 1, v25
	s_and_b32 s2, s2, s3
	s_wait_alu 0xfffe
	s_or_b32 s2, s2, s4
	s_wait_alu 0xfffe
	s_and_b32 s2, s2, s5
	s_wait_alu 0xfffe
	v_cndmask_b32_e64 v25, v26, v23, s2
	v_and_b32_e32 v23, 2, v10
	s_delay_alu instid0(VALU_DEP_2) | instskip(NEXT) | instid1(VALU_DEP_2)
	v_and_b32_e32 v25, 1, v25
	v_cmp_ne_u32_e64 s2, 0, v23
	s_delay_alu instid0(VALU_DEP_2)
	v_cmp_eq_u32_e64 s3, 1, v25
	s_and_saveexec_b32 s4, s3
	s_wait_alu 0xfffe
	s_xor_b32 s3, exec_lo, s4
	s_cbranch_execz .LBB42_13
; %bb.12:
	ds_load_2addr_b64 v[25:28], v19 offset1:2
	ds_store_2addr_b64 v16, v[2:3], v[0:1] offset1:2
	s_wait_dscnt 0x1
	ds_store_2addr_b64 v19, v[27:28], v[25:26] offset1:2
	ds_store_b8 v18, v24
	ds_store_b8 v18, v22 offset:2
.LBB42_13:
	s_wait_alu 0xfffe
	s_or_b32 exec_lo, exec_lo, s3
	s_wait_loadcnt_dscnt 0x0
	s_barrier_signal -1
	s_barrier_wait -1
	global_inv scope:SCOPE_SE
	ds_load_b128 v[0:3], v8
	ds_load_u16 v22, v9
	v_lshrrev_b32_e32 v24, 1, v23
	v_cndmask_b32_e64 v26, 0, 1, s2
	s_wait_dscnt 0x1
	v_cmp_u_f64_e64 s3, v[2:3], v[2:3]
	v_cmp_o_f64_e64 s4, v[0:1], v[0:1]
	v_cmp_lt_f64_e64 s5, v[0:1], v[2:3]
	s_wait_dscnt 0x0
	v_lshrrev_b16 v23, 8, v22
	v_and_b32_e32 v25, 1, v22
	s_delay_alu instid0(VALU_DEP_2) | instskip(NEXT) | instid1(VALU_DEP_2)
	v_cmp_ne_u16_e64 s6, v23, v24
	v_cmp_eq_u32_e64 s2, 1, v25
	s_wait_alu 0xf1ff
	s_delay_alu instid0(VALU_DEP_2)
	v_cndmask_b32_e64 v24, 0, 1, s6
	s_and_b32 s3, s3, s4
	s_wait_alu 0xfffe
	s_or_b32 s3, s3, s5
	s_wait_alu 0xfffe
	s_and_b32 s2, s3, s2
	s_mov_b32 s3, exec_lo
	s_wait_alu 0xfffe
	v_cndmask_b32_e64 v24, v24, v26, s2
	s_delay_alu instid0(VALU_DEP_1) | instskip(NEXT) | instid1(VALU_DEP_1)
	v_and_b32_e32 v24, 1, v24
	v_cmpx_eq_u32_e32 1, v24
	s_cbranch_execz .LBB42_15
; %bb.14:
	ds_load_b128 v[24:27], v21
	v_mov_b32_e32 v30, v0
	v_lshlrev_b16 v0, 8, v22
	v_dual_mov_b32 v28, v2 :: v_dual_mov_b32 v29, v3
	v_mov_b32_e32 v31, v1
	s_delay_alu instid0(VALU_DEP_3)
	v_or_b32_e32 v0, v23, v0
	s_wait_dscnt 0x0
	v_dual_mov_b32 v32, v26 :: v_dual_mov_b32 v35, v25
	v_dual_mov_b32 v33, v27 :: v_dual_mov_b32 v34, v24
	ds_store_b128 v21, v[32:35]
	ds_store_b128 v8, v[28:31]
	ds_store_b16 v9, v0
.LBB42_15:
	s_or_b32 exec_lo, exec_lo, s3
	v_and_b32_e32 v0, 3, v10
	s_wait_loadcnt_dscnt 0x0
	s_barrier_signal -1
	s_barrier_wait -1
	global_inv scope:SCOPE_SE
	v_sub_nc_u32_e32 v24, v20, v0
	v_bfe_u32 v23, v10, 2, 1
	s_delay_alu instid0(VALU_DEP_2)
	v_lshl_add_u32 v21, v24, 3, v15
	v_add_nc_u32_e32 v22, v17, v24
	v_lshl_add_u32 v24, v24, 3, v14
	ds_load_2addr_b64 v[0:3], v21 offset1:4
	ds_load_u8 v25, v22
	ds_load_u8 v26, v22 offset:4
	s_wait_dscnt 0x1
	v_and_b32_e32 v27, 1, v25
	v_cmp_u_f64_e64 s2, v[2:3], v[2:3]
	v_cmp_o_f64_e64 s3, v[0:1], v[0:1]
	v_cmp_lt_f64_e64 s4, v[0:1], v[2:3]
	s_wait_dscnt 0x0
	v_cmp_ne_u16_e64 s5, v26, v23
	s_wait_alu 0xf1ff
	s_delay_alu instid0(VALU_DEP_1)
	v_cndmask_b32_e64 v28, 0, 1, s5
	v_cmp_eq_u32_e64 s5, 1, v27
	s_and_b32 s2, s2, s3
	s_wait_alu 0xfffe
	s_or_b32 s2, s2, s4
	s_mov_b32 s4, exec_lo
	s_wait_alu 0xfffe
	s_and_b32 s2, s2, s5
	s_wait_alu 0xfffe
	v_cndmask_b32_e64 v27, v28, v23, s2
	v_and_b32_e32 v23, 4, v10
	s_delay_alu instid0(VALU_DEP_2) | instskip(NEXT) | instid1(VALU_DEP_2)
	v_and_b32_e32 v27, 1, v27
	v_cmp_ne_u32_e64 s2, 0, v23
	s_delay_alu instid0(VALU_DEP_2)
	v_cmpx_eq_u32_e32 1, v27
	s_cbranch_execz .LBB42_17
; %bb.16:
	ds_load_2addr_b64 v[27:30], v24 offset1:4
	ds_store_2addr_b64 v21, v[2:3], v[0:1] offset1:4
	s_wait_dscnt 0x1
	ds_store_2addr_b64 v24, v[29:30], v[27:28] offset1:4
	ds_store_b8 v22, v26
	ds_store_b8 v22, v25 offset:4
.LBB42_17:
	s_or_b32 exec_lo, exec_lo, s4
	s_wait_loadcnt_dscnt 0x0
	s_barrier_signal -1
	s_barrier_wait -1
	global_inv scope:SCOPE_SE
	ds_load_2addr_b64 v[0:3], v16 offset1:2
	ds_load_u8 v26, v18
	ds_load_u8 v27, v18 offset:2
	v_lshrrev_b32_e32 v23, 2, v23
	v_cndmask_b32_e64 v25, 0, 1, s2
	s_wait_dscnt 0x1
	v_and_b32_e32 v28, 1, v26
	v_cmp_u_f64_e64 s3, v[2:3], v[2:3]
	v_cmp_o_f64_e64 s4, v[0:1], v[0:1]
	v_cmp_lt_f64_e64 s5, v[0:1], v[2:3]
	s_wait_dscnt 0x0
	v_cmp_ne_u16_e64 s2, v27, v23
	s_wait_alu 0xf1ff
	s_delay_alu instid0(VALU_DEP_1)
	v_cndmask_b32_e64 v29, 0, 1, s2
	v_cmp_eq_u32_e64 s2, 1, v28
	s_and_b32 s3, s3, s4
	s_wait_alu 0xfffe
	s_or_b32 s3, s3, s5
	s_wait_alu 0xfffe
	s_and_b32 s2, s3, s2
	s_mov_b32 s3, exec_lo
	s_wait_alu 0xfffe
	v_cndmask_b32_e64 v28, v29, v25, s2
	s_delay_alu instid0(VALU_DEP_1) | instskip(NEXT) | instid1(VALU_DEP_1)
	v_and_b32_e32 v28, 1, v28
	v_cmpx_eq_u32_e32 1, v28
	s_cbranch_execz .LBB42_19
; %bb.18:
	ds_load_2addr_b64 v[28:31], v19 offset1:2
	ds_store_2addr_b64 v16, v[2:3], v[0:1] offset1:2
	s_wait_dscnt 0x1
	ds_store_2addr_b64 v19, v[30:31], v[28:29] offset1:2
	ds_store_b8 v18, v27
	ds_store_b8 v18, v26 offset:2
.LBB42_19:
	s_or_b32 exec_lo, exec_lo, s3
	s_wait_loadcnt_dscnt 0x0
	s_barrier_signal -1
	s_barrier_wait -1
	global_inv scope:SCOPE_SE
	ds_load_b128 v[0:3], v8
	ds_load_u16 v27, v9
	s_wait_dscnt 0x1
	v_cmp_u_f64_e64 s2, v[2:3], v[2:3]
	v_cmp_o_f64_e64 s3, v[0:1], v[0:1]
	v_cmp_lt_f64_e64 s4, v[0:1], v[2:3]
	s_wait_dscnt 0x0
	v_lshrrev_b16 v26, 8, v27
	v_and_b32_e32 v28, 1, v27
	s_delay_alu instid0(VALU_DEP_2) | instskip(NEXT) | instid1(VALU_DEP_2)
	v_cmp_ne_u16_e64 s6, v26, v23
	v_cmp_eq_u32_e64 s5, 1, v28
	s_wait_alu 0xf1ff
	s_delay_alu instid0(VALU_DEP_2)
	v_cndmask_b32_e64 v23, 0, 1, s6
	s_and_b32 s2, s2, s3
	s_wait_alu 0xfffe
	s_or_b32 s2, s2, s4
	s_wait_alu 0xfffe
	s_and_b32 s2, s2, s5
	s_wait_alu 0xfffe
	v_cndmask_b32_e64 v23, v23, v25, s2
	s_delay_alu instid0(VALU_DEP_1) | instskip(NEXT) | instid1(VALU_DEP_1)
	v_and_b32_e32 v23, 1, v23
	v_cmp_eq_u32_e64 s2, 1, v23
	v_lshl_add_u32 v23, v20, 3, v14
	s_and_saveexec_b32 s3, s2
	s_cbranch_execz .LBB42_21
; %bb.20:
	ds_load_b128 v[28:31], v23
	v_mov_b32_e32 v34, v0
	v_lshlrev_b16 v0, 8, v27
	v_dual_mov_b32 v32, v2 :: v_dual_mov_b32 v33, v3
	v_mov_b32_e32 v35, v1
	s_delay_alu instid0(VALU_DEP_3)
	v_or_b32_e32 v0, v26, v0
	s_wait_dscnt 0x0
	v_dual_mov_b32 v36, v30 :: v_dual_mov_b32 v39, v29
	v_dual_mov_b32 v37, v31 :: v_dual_mov_b32 v38, v28
	ds_store_b128 v23, v[36:39]
	ds_store_b128 v8, v[32:35]
	ds_store_b16 v9, v0
.LBB42_21:
	s_wait_alu 0xfffe
	s_or_b32 exec_lo, exec_lo, s3
	v_and_b32_e32 v0, 7, v10
	s_wait_loadcnt_dscnt 0x0
	s_barrier_signal -1
	s_barrier_wait -1
	global_inv scope:SCOPE_SE
	v_sub_nc_u32_e32 v27, v20, v0
	v_bfe_u32 v28, v10, 3, 1
	s_delay_alu instid0(VALU_DEP_2)
	v_lshl_add_u32 v25, v27, 3, v15
	v_add_nc_u32_e32 v26, v17, v27
	v_lshl_add_u32 v27, v27, 3, v14
	ds_load_2addr_b64 v[0:3], v25 offset1:8
	ds_load_u8 v29, v26
	ds_load_u8 v30, v26 offset:8
	s_wait_dscnt 0x1
	v_and_b32_e32 v31, 1, v29
	v_cmp_u_f64_e64 s2, v[2:3], v[2:3]
	v_cmp_o_f64_e64 s3, v[0:1], v[0:1]
	v_cmp_lt_f64_e64 s4, v[0:1], v[2:3]
	s_wait_dscnt 0x0
	v_cmp_ne_u16_e64 s5, v30, v28
	s_wait_alu 0xf1ff
	s_delay_alu instid0(VALU_DEP_1)
	v_cndmask_b32_e64 v32, 0, 1, s5
	v_cmp_eq_u32_e64 s5, 1, v31
	s_and_b32 s2, s2, s3
	s_wait_alu 0xfffe
	s_or_b32 s2, s2, s4
	s_mov_b32 s4, exec_lo
	s_wait_alu 0xfffe
	s_and_b32 s2, s2, s5
	s_wait_alu 0xfffe
	v_cndmask_b32_e64 v31, v32, v28, s2
	v_and_b32_e32 v28, 8, v10
	s_delay_alu instid0(VALU_DEP_2) | instskip(NEXT) | instid1(VALU_DEP_2)
	v_and_b32_e32 v31, 1, v31
	v_cmp_ne_u32_e64 s2, 0, v28
	s_delay_alu instid0(VALU_DEP_2)
	v_cmpx_eq_u32_e32 1, v31
	s_cbranch_execz .LBB42_23
; %bb.22:
	ds_load_2addr_b64 v[31:34], v27 offset1:8
	ds_store_2addr_b64 v25, v[2:3], v[0:1] offset1:8
	s_wait_dscnt 0x1
	ds_store_2addr_b64 v27, v[33:34], v[31:32] offset1:8
	ds_store_b8 v26, v30
	ds_store_b8 v26, v29 offset:8
.LBB42_23:
	s_or_b32 exec_lo, exec_lo, s4
	s_wait_loadcnt_dscnt 0x0
	s_barrier_signal -1
	s_barrier_wait -1
	global_inv scope:SCOPE_SE
	ds_load_2addr_b64 v[0:3], v21 offset1:4
	ds_load_u8 v30, v22
	ds_load_u8 v31, v22 offset:4
	v_lshrrev_b32_e32 v28, 3, v28
	v_cndmask_b32_e64 v29, 0, 1, s2
	s_wait_dscnt 0x1
	v_and_b32_e32 v32, 1, v30
	v_cmp_u_f64_e64 s3, v[2:3], v[2:3]
	v_cmp_o_f64_e64 s4, v[0:1], v[0:1]
	v_cmp_lt_f64_e64 s5, v[0:1], v[2:3]
	s_wait_dscnt 0x0
	v_cmp_ne_u16_e64 s2, v31, v28
	s_wait_alu 0xf1ff
	s_delay_alu instid0(VALU_DEP_1)
	v_cndmask_b32_e64 v33, 0, 1, s2
	v_cmp_eq_u32_e64 s2, 1, v32
	s_and_b32 s3, s3, s4
	s_wait_alu 0xfffe
	s_or_b32 s3, s3, s5
	s_wait_alu 0xfffe
	s_and_b32 s2, s3, s2
	s_mov_b32 s3, exec_lo
	s_wait_alu 0xfffe
	v_cndmask_b32_e64 v32, v33, v29, s2
	s_delay_alu instid0(VALU_DEP_1) | instskip(NEXT) | instid1(VALU_DEP_1)
	v_and_b32_e32 v32, 1, v32
	v_cmpx_eq_u32_e32 1, v32
	s_cbranch_execz .LBB42_25
; %bb.24:
	ds_load_2addr_b64 v[32:35], v24 offset1:4
	ds_store_2addr_b64 v21, v[2:3], v[0:1] offset1:4
	s_wait_dscnt 0x1
	ds_store_2addr_b64 v24, v[34:35], v[32:33] offset1:4
	ds_store_b8 v22, v31
	ds_store_b8 v22, v30 offset:4
.LBB42_25:
	s_or_b32 exec_lo, exec_lo, s3
	s_wait_loadcnt_dscnt 0x0
	s_barrier_signal -1
	s_barrier_wait -1
	global_inv scope:SCOPE_SE
	ds_load_2addr_b64 v[0:3], v16 offset1:2
	ds_load_u8 v30, v18
	ds_load_u8 v31, v18 offset:2
	s_wait_dscnt 0x1
	v_and_b32_e32 v32, 1, v30
	v_cmp_u_f64_e64 s2, v[2:3], v[2:3]
	v_cmp_o_f64_e64 s3, v[0:1], v[0:1]
	v_cmp_lt_f64_e64 s4, v[0:1], v[2:3]
	s_wait_dscnt 0x0
	v_cmp_ne_u16_e64 s5, v31, v28
	s_wait_alu 0xf1ff
	s_delay_alu instid0(VALU_DEP_1)
	v_cndmask_b32_e64 v33, 0, 1, s5
	v_cmp_eq_u32_e64 s5, 1, v32
	s_and_b32 s2, s2, s3
	s_mov_b32 s3, exec_lo
	s_wait_alu 0xfffe
	s_or_b32 s2, s2, s4
	s_wait_alu 0xfffe
	s_and_b32 s2, s2, s5
	s_wait_alu 0xfffe
	v_cndmask_b32_e64 v32, v33, v29, s2
	s_delay_alu instid0(VALU_DEP_1) | instskip(NEXT) | instid1(VALU_DEP_1)
	v_and_b32_e32 v32, 1, v32
	v_cmpx_eq_u32_e32 1, v32
	s_cbranch_execz .LBB42_27
; %bb.26:
	ds_load_2addr_b64 v[32:35], v19 offset1:2
	ds_store_2addr_b64 v16, v[2:3], v[0:1] offset1:2
	s_wait_dscnt 0x1
	ds_store_2addr_b64 v19, v[34:35], v[32:33] offset1:2
	ds_store_b8 v18, v31
	ds_store_b8 v18, v30 offset:2
.LBB42_27:
	s_or_b32 exec_lo, exec_lo, s3
	s_wait_loadcnt_dscnt 0x0
	s_barrier_signal -1
	s_barrier_wait -1
	global_inv scope:SCOPE_SE
	ds_load_b128 v[0:3], v8
	ds_load_u16 v31, v9
	s_wait_dscnt 0x1
	v_cmp_u_f64_e64 s2, v[2:3], v[2:3]
	v_cmp_o_f64_e64 s3, v[0:1], v[0:1]
	v_cmp_lt_f64_e64 s4, v[0:1], v[2:3]
	s_wait_dscnt 0x0
	v_lshrrev_b16 v30, 8, v31
	v_and_b32_e32 v32, 1, v31
	s_delay_alu instid0(VALU_DEP_2) | instskip(NEXT) | instid1(VALU_DEP_2)
	v_cmp_ne_u16_e64 s6, v30, v28
	v_cmp_eq_u32_e64 s5, 1, v32
	s_wait_alu 0xf1ff
	s_delay_alu instid0(VALU_DEP_2)
	v_cndmask_b32_e64 v28, 0, 1, s6
	s_and_b32 s2, s2, s3
	s_mov_b32 s3, exec_lo
	s_wait_alu 0xfffe
	s_or_b32 s2, s2, s4
	s_wait_alu 0xfffe
	s_and_b32 s2, s2, s5
	s_wait_alu 0xfffe
	v_cndmask_b32_e64 v28, v28, v29, s2
	s_delay_alu instid0(VALU_DEP_1) | instskip(NEXT) | instid1(VALU_DEP_1)
	v_and_b32_e32 v28, 1, v28
	v_cmpx_eq_u32_e32 1, v28
	s_cbranch_execz .LBB42_29
; %bb.28:
	ds_load_b128 v[32:35], v23
	v_mov_b32_e32 v38, v0
	v_lshlrev_b16 v0, 8, v31
	v_dual_mov_b32 v36, v2 :: v_dual_mov_b32 v37, v3
	v_mov_b32_e32 v39, v1
	s_delay_alu instid0(VALU_DEP_3)
	v_or_b32_e32 v0, v30, v0
	s_wait_dscnt 0x0
	v_dual_mov_b32 v40, v34 :: v_dual_mov_b32 v43, v33
	v_dual_mov_b32 v41, v35 :: v_dual_mov_b32 v42, v32
	ds_store_b128 v23, v[40:43]
	ds_store_b128 v8, v[36:39]
	ds_store_b16 v9, v0
.LBB42_29:
	s_or_b32 exec_lo, exec_lo, s3
	v_and_b32_e32 v0, 15, v10
	s_wait_loadcnt_dscnt 0x0
	s_barrier_signal -1
	s_barrier_wait -1
	global_inv scope:SCOPE_SE
	v_sub_nc_u32_e32 v20, v20, v0
	s_delay_alu instid0(VALU_DEP_1)
	v_lshl_add_u32 v15, v20, 3, v15
	v_add_nc_u32_e32 v17, v17, v20
	ds_load_2addr_b64 v[0:3], v15 offset1:16
	ds_load_u8 v28, v17
	ds_load_u8 v29, v17 offset:16
	s_wait_dscnt 0x1
	v_and_b32_e32 v30, 1, v28
	v_cmp_u_f64_e64 s2, v[2:3], v[2:3]
	v_cmp_o_f64_e64 s3, v[0:1], v[0:1]
	v_cmp_lt_f64_e64 s4, v[0:1], v[2:3]
	s_wait_dscnt 0x0
	v_and_b32_e32 v29, 0xff, v29
	v_cmp_eq_u32_e64 s5, 1, v30
	s_and_b32 s2, s2, s3
	s_wait_alu 0xfffe
	s_or_b32 s3, s2, s4
	v_cmp_ne_u16_e64 s2, 0, v29
	s_wait_alu 0xfffe
	s_and_b32 s3, s3, s5
	s_wait_alu 0xfffe
	s_xor_b32 s3, s3, -1
	s_wait_alu 0xfffe
	s_and_b32 s3, s3, s2
	s_wait_alu 0xfffe
	s_and_saveexec_b32 s2, s3
	s_cbranch_execz .LBB42_31
; %bb.30:
	v_lshl_add_u32 v14, v20, 3, v14
	v_mov_b32_e32 v20, 1
	ds_load_2addr_b64 v[29:32], v14 offset1:16
	ds_store_2addr_b64 v15, v[2:3], v[0:1] offset1:16
	s_wait_dscnt 0x1
	ds_store_2addr_b64 v14, v[31:32], v[29:30] offset1:16
	ds_store_b8 v17, v20
	ds_store_b8 v17, v28 offset:16
.LBB42_31:
	s_wait_alu 0xfffe
	s_or_b32 exec_lo, exec_lo, s2
	s_wait_loadcnt_dscnt 0x0
	s_barrier_signal -1
	s_barrier_wait -1
	global_inv scope:SCOPE_SE
	ds_load_2addr_b64 v[0:3], v25 offset1:8
	ds_load_u8 v14, v26
	ds_load_u8 v15, v26 offset:8
	s_wait_dscnt 0x1
	v_and_b32_e32 v17, 1, v14
	v_cmp_u_f64_e64 s2, v[2:3], v[2:3]
	v_cmp_o_f64_e64 s3, v[0:1], v[0:1]
	v_cmp_lt_f64_e64 s4, v[0:1], v[2:3]
	s_wait_dscnt 0x0
	v_and_b32_e32 v15, 0xff, v15
	v_cmp_eq_u32_e64 s5, 1, v17
	s_and_b32 s2, s2, s3
	s_wait_alu 0xfffe
	s_or_b32 s3, s2, s4
	v_cmp_ne_u16_e64 s2, 0, v15
	s_wait_alu 0xfffe
	s_and_b32 s3, s3, s5
	s_wait_alu 0xfffe
	s_xor_b32 s3, s3, -1
	s_wait_alu 0xfffe
	s_and_b32 s3, s3, s2
	s_wait_alu 0xfffe
	s_and_saveexec_b32 s2, s3
	s_cbranch_execz .LBB42_33
; %bb.32:
	ds_load_2addr_b64 v[28:31], v27 offset1:8
	v_mov_b32_e32 v15, 1
	ds_store_2addr_b64 v25, v[2:3], v[0:1] offset1:8
	s_wait_dscnt 0x1
	ds_store_2addr_b64 v27, v[30:31], v[28:29] offset1:8
	ds_store_b8 v26, v15
	ds_store_b8 v26, v14 offset:8
.LBB42_33:
	s_wait_alu 0xfffe
	s_or_b32 exec_lo, exec_lo, s2
	s_wait_loadcnt_dscnt 0x0
	s_barrier_signal -1
	s_barrier_wait -1
	global_inv scope:SCOPE_SE
	ds_load_2addr_b64 v[0:3], v21 offset1:4
	ds_load_u8 v14, v22
	ds_load_u8 v15, v22 offset:4
	s_wait_dscnt 0x1
	v_and_b32_e32 v17, 1, v14
	v_cmp_u_f64_e64 s2, v[2:3], v[2:3]
	v_cmp_o_f64_e64 s3, v[0:1], v[0:1]
	v_cmp_lt_f64_e64 s4, v[0:1], v[2:3]
	s_wait_dscnt 0x0
	v_and_b32_e32 v15, 0xff, v15
	v_cmp_eq_u32_e64 s5, 1, v17
	s_and_b32 s2, s2, s3
	s_wait_alu 0xfffe
	s_or_b32 s3, s2, s4
	v_cmp_ne_u16_e64 s2, 0, v15
	s_wait_alu 0xfffe
	s_and_b32 s3, s3, s5
	s_wait_alu 0xfffe
	s_xor_b32 s3, s3, -1
	s_wait_alu 0xfffe
	s_and_b32 s3, s3, s2
	s_wait_alu 0xfffe
	s_and_saveexec_b32 s2, s3
	s_cbranch_execz .LBB42_35
; %bb.34:
	ds_load_2addr_b64 v[25:28], v24 offset1:4
	v_mov_b32_e32 v15, 1
	ds_store_2addr_b64 v21, v[2:3], v[0:1] offset1:4
	s_wait_dscnt 0x1
	ds_store_2addr_b64 v24, v[27:28], v[25:26] offset1:4
	ds_store_b8 v22, v15
	ds_store_b8 v22, v14 offset:4
.LBB42_35:
	;; [unrolled: 39-line block ×3, first 2 shown]
	s_wait_alu 0xfffe
	s_or_b32 exec_lo, exec_lo, s2
	s_wait_loadcnt_dscnt 0x0
	s_barrier_signal -1
	s_barrier_wait -1
	global_inv scope:SCOPE_SE
	ds_load_b128 v[0:3], v8
	ds_load_u16 v14, v9
	s_wait_dscnt 0x1
	v_cmp_u_f64_e64 s2, v[2:3], v[2:3]
	v_cmp_o_f64_e64 s3, v[0:1], v[0:1]
	v_cmp_lt_f64_e64 s4, v[0:1], v[2:3]
	s_wait_dscnt 0x0
	v_and_b32_e32 v15, 1, v14
	v_lshrrev_b16 v16, 8, v14
	s_delay_alu instid0(VALU_DEP_2)
	v_cmp_eq_u32_e64 s5, 1, v15
	s_and_b32 s2, s2, s3
	s_wait_alu 0xfffe
	s_or_b32 s3, s2, s4
	v_cmp_ne_u16_e64 s2, 0, v16
	s_wait_alu 0xfffe
	s_and_b32 s3, s3, s5
	s_wait_alu 0xfffe
	s_xor_b32 s3, s3, -1
	s_wait_alu 0xfffe
	s_and_b32 s3, s3, s2
	s_wait_alu 0xfffe
	s_and_saveexec_b32 s2, s3
	s_cbranch_execz .LBB42_39
; %bb.38:
	ds_load_b128 v[15:18], v23
	v_mov_b32_e32 v21, v0
	v_lshlrev_b16 v0, 8, v14
	v_dual_mov_b32 v19, v2 :: v_dual_mov_b32 v20, v3
	v_mov_b32_e32 v22, v1
	s_delay_alu instid0(VALU_DEP_3)
	v_or_b32_e32 v0, 1, v0
	s_wait_dscnt 0x0
	v_dual_mov_b32 v24, v17 :: v_dual_mov_b32 v25, v18
	v_dual_mov_b32 v26, v15 :: v_dual_mov_b32 v27, v16
	ds_store_b128 v23, v[24:27]
	ds_store_b128 v8, v[19:22]
	ds_store_b16 v9, v0
.LBB42_39:
	s_wait_alu 0xfffe
	s_or_b32 exec_lo, exec_lo, s2
	s_wait_loadcnt_dscnt 0x0
	s_barrier_signal -1
	s_barrier_wait -1
	global_inv scope:SCOPE_SE
	s_and_saveexec_b32 s2, s0
	s_cbranch_execz .LBB42_44
; %bb.40:
	s_and_saveexec_b32 s0, vcc_lo
	s_cbranch_execz .LBB42_42
; %bb.41:
	v_mad_co_u64_u32 v[0:1], null, v10, s10, v[5:6]
	v_mov_b32_e32 v1, 0
	v_mad_co_u64_u32 v[2:3], null, v10, s7, v[4:5]
	ds_load_b64 v[8:9], v12
	ds_load_b64 v[12:13], v13
	v_mov_b32_e32 v3, v1
	v_lshlrev_b64_e32 v[0:1], 3, v[0:1]
	s_delay_alu instid0(VALU_DEP_2) | instskip(NEXT) | instid1(VALU_DEP_2)
	v_lshlrev_b64_e32 v[2:3], 3, v[2:3]
	v_add_co_u32 v0, vcc_lo, s12, v0
	s_wait_alu 0xfffd
	s_delay_alu instid0(VALU_DEP_3) | instskip(NEXT) | instid1(VALU_DEP_3)
	v_add_co_ci_u32_e64 v1, null, s13, v1, vcc_lo
	v_add_co_u32 v2, vcc_lo, s14, v2
	s_wait_alu 0xfffd
	v_add_co_ci_u32_e64 v3, null, s15, v3, vcc_lo
	s_wait_dscnt 0x1
	global_store_b64 v[0:1], v[8:9], off
	s_wait_dscnt 0x0
	global_store_b64 v[2:3], v[12:13], off
.LBB42_42:
	s_wait_alu 0xfffe
	s_or_b32 exec_lo, exec_lo, s0
	s_delay_alu instid0(SALU_CYCLE_1)
	s_and_b32 exec_lo, exec_lo, s1
	s_cbranch_execz .LBB42_44
; %bb.43:
	v_mad_co_u64_u32 v[0:1], null, v11, s10, v[5:6]
	v_mov_b32_e32 v1, 0
	v_mad_co_u64_u32 v[2:3], null, v11, s7, v[4:5]
	ds_load_b64 v[4:5], v6
	ds_load_b64 v[6:7], v7
	v_mov_b32_e32 v3, v1
	v_lshlrev_b64_e32 v[0:1], 3, v[0:1]
	s_delay_alu instid0(VALU_DEP_2) | instskip(NEXT) | instid1(VALU_DEP_2)
	v_lshlrev_b64_e32 v[2:3], 3, v[2:3]
	v_add_co_u32 v0, vcc_lo, s12, v0
	s_wait_alu 0xfffd
	s_delay_alu instid0(VALU_DEP_3) | instskip(NEXT) | instid1(VALU_DEP_3)
	v_add_co_ci_u32_e64 v1, null, s13, v1, vcc_lo
	v_add_co_u32 v2, vcc_lo, s14, v2
	s_wait_alu 0xfffd
	v_add_co_ci_u32_e64 v3, null, s15, v3, vcc_lo
	s_wait_dscnt 0x1
	global_store_b64 v[0:1], v[4:5], off
	s_wait_dscnt 0x0
	global_store_b64 v[2:3], v[6:7], off
.LBB42_44:
	s_endpgm
	.section	.rodata,"a",@progbits
	.p2align	6, 0x0
	.amdhsa_kernel _ZN2at6native20bitonicSortKVInPlaceILi2ELin1ELi16ELi16EdlNS0_4LTOpIdLb1EEEjEEvNS_4cuda6detail10TensorInfoIT3_T6_EES8_S8_S8_NS6_IT4_S8_EES8_T5_
		.amdhsa_group_segment_fixed_size 8704
		.amdhsa_private_segment_fixed_size 0
		.amdhsa_kernarg_size 712
		.amdhsa_user_sgpr_count 2
		.amdhsa_user_sgpr_dispatch_ptr 0
		.amdhsa_user_sgpr_queue_ptr 0
		.amdhsa_user_sgpr_kernarg_segment_ptr 1
		.amdhsa_user_sgpr_dispatch_id 0
		.amdhsa_user_sgpr_private_segment_size 0
		.amdhsa_wavefront_size32 1
		.amdhsa_uses_dynamic_stack 0
		.amdhsa_enable_private_segment 0
		.amdhsa_system_sgpr_workgroup_id_x 1
		.amdhsa_system_sgpr_workgroup_id_y 1
		.amdhsa_system_sgpr_workgroup_id_z 1
		.amdhsa_system_sgpr_workgroup_info 0
		.amdhsa_system_vgpr_workitem_id 1
		.amdhsa_next_free_vgpr 44
		.amdhsa_next_free_sgpr 19
		.amdhsa_reserve_vcc 1
		.amdhsa_float_round_mode_32 0
		.amdhsa_float_round_mode_16_64 0
		.amdhsa_float_denorm_mode_32 3
		.amdhsa_float_denorm_mode_16_64 3
		.amdhsa_fp16_overflow 0
		.amdhsa_workgroup_processor_mode 1
		.amdhsa_memory_ordered 1
		.amdhsa_forward_progress 1
		.amdhsa_inst_pref_size 41
		.amdhsa_round_robin_scheduling 0
		.amdhsa_exception_fp_ieee_invalid_op 0
		.amdhsa_exception_fp_denorm_src 0
		.amdhsa_exception_fp_ieee_div_zero 0
		.amdhsa_exception_fp_ieee_overflow 0
		.amdhsa_exception_fp_ieee_underflow 0
		.amdhsa_exception_fp_ieee_inexact 0
		.amdhsa_exception_int_div_zero 0
	.end_amdhsa_kernel
	.section	.text._ZN2at6native20bitonicSortKVInPlaceILi2ELin1ELi16ELi16EdlNS0_4LTOpIdLb1EEEjEEvNS_4cuda6detail10TensorInfoIT3_T6_EES8_S8_S8_NS6_IT4_S8_EES8_T5_,"axG",@progbits,_ZN2at6native20bitonicSortKVInPlaceILi2ELin1ELi16ELi16EdlNS0_4LTOpIdLb1EEEjEEvNS_4cuda6detail10TensorInfoIT3_T6_EES8_S8_S8_NS6_IT4_S8_EES8_T5_,comdat
.Lfunc_end42:
	.size	_ZN2at6native20bitonicSortKVInPlaceILi2ELin1ELi16ELi16EdlNS0_4LTOpIdLb1EEEjEEvNS_4cuda6detail10TensorInfoIT3_T6_EES8_S8_S8_NS6_IT4_S8_EES8_T5_, .Lfunc_end42-_ZN2at6native20bitonicSortKVInPlaceILi2ELin1ELi16ELi16EdlNS0_4LTOpIdLb1EEEjEEvNS_4cuda6detail10TensorInfoIT3_T6_EES8_S8_S8_NS6_IT4_S8_EES8_T5_
                                        ; -- End function
	.set _ZN2at6native20bitonicSortKVInPlaceILi2ELin1ELi16ELi16EdlNS0_4LTOpIdLb1EEEjEEvNS_4cuda6detail10TensorInfoIT3_T6_EES8_S8_S8_NS6_IT4_S8_EES8_T5_.num_vgpr, 44
	.set _ZN2at6native20bitonicSortKVInPlaceILi2ELin1ELi16ELi16EdlNS0_4LTOpIdLb1EEEjEEvNS_4cuda6detail10TensorInfoIT3_T6_EES8_S8_S8_NS6_IT4_S8_EES8_T5_.num_agpr, 0
	.set _ZN2at6native20bitonicSortKVInPlaceILi2ELin1ELi16ELi16EdlNS0_4LTOpIdLb1EEEjEEvNS_4cuda6detail10TensorInfoIT3_T6_EES8_S8_S8_NS6_IT4_S8_EES8_T5_.numbered_sgpr, 19
	.set _ZN2at6native20bitonicSortKVInPlaceILi2ELin1ELi16ELi16EdlNS0_4LTOpIdLb1EEEjEEvNS_4cuda6detail10TensorInfoIT3_T6_EES8_S8_S8_NS6_IT4_S8_EES8_T5_.num_named_barrier, 0
	.set _ZN2at6native20bitonicSortKVInPlaceILi2ELin1ELi16ELi16EdlNS0_4LTOpIdLb1EEEjEEvNS_4cuda6detail10TensorInfoIT3_T6_EES8_S8_S8_NS6_IT4_S8_EES8_T5_.private_seg_size, 0
	.set _ZN2at6native20bitonicSortKVInPlaceILi2ELin1ELi16ELi16EdlNS0_4LTOpIdLb1EEEjEEvNS_4cuda6detail10TensorInfoIT3_T6_EES8_S8_S8_NS6_IT4_S8_EES8_T5_.uses_vcc, 1
	.set _ZN2at6native20bitonicSortKVInPlaceILi2ELin1ELi16ELi16EdlNS0_4LTOpIdLb1EEEjEEvNS_4cuda6detail10TensorInfoIT3_T6_EES8_S8_S8_NS6_IT4_S8_EES8_T5_.uses_flat_scratch, 0
	.set _ZN2at6native20bitonicSortKVInPlaceILi2ELin1ELi16ELi16EdlNS0_4LTOpIdLb1EEEjEEvNS_4cuda6detail10TensorInfoIT3_T6_EES8_S8_S8_NS6_IT4_S8_EES8_T5_.has_dyn_sized_stack, 0
	.set _ZN2at6native20bitonicSortKVInPlaceILi2ELin1ELi16ELi16EdlNS0_4LTOpIdLb1EEEjEEvNS_4cuda6detail10TensorInfoIT3_T6_EES8_S8_S8_NS6_IT4_S8_EES8_T5_.has_recursion, 0
	.set _ZN2at6native20bitonicSortKVInPlaceILi2ELin1ELi16ELi16EdlNS0_4LTOpIdLb1EEEjEEvNS_4cuda6detail10TensorInfoIT3_T6_EES8_S8_S8_NS6_IT4_S8_EES8_T5_.has_indirect_call, 0
	.section	.AMDGPU.csdata,"",@progbits
; Kernel info:
; codeLenInByte = 5176
; TotalNumSgprs: 21
; NumVgprs: 44
; ScratchSize: 0
; MemoryBound: 0
; FloatMode: 240
; IeeeMode: 1
; LDSByteSize: 8704 bytes/workgroup (compile time only)
; SGPRBlocks: 0
; VGPRBlocks: 5
; NumSGPRsForWavesPerEU: 21
; NumVGPRsForWavesPerEU: 44
; Occupancy: 16
; WaveLimiterHint : 1
; COMPUTE_PGM_RSRC2:SCRATCH_EN: 0
; COMPUTE_PGM_RSRC2:USER_SGPR: 2
; COMPUTE_PGM_RSRC2:TRAP_HANDLER: 0
; COMPUTE_PGM_RSRC2:TGID_X_EN: 1
; COMPUTE_PGM_RSRC2:TGID_Y_EN: 1
; COMPUTE_PGM_RSRC2:TGID_Z_EN: 1
; COMPUTE_PGM_RSRC2:TIDIG_COMP_CNT: 1
	.section	.text._ZN2at6native20bitonicSortKVInPlaceILi2ELin1ELi16ELi16EdlNS0_4GTOpIdLb1EEEjEEvNS_4cuda6detail10TensorInfoIT3_T6_EES8_S8_S8_NS6_IT4_S8_EES8_T5_,"axG",@progbits,_ZN2at6native20bitonicSortKVInPlaceILi2ELin1ELi16ELi16EdlNS0_4GTOpIdLb1EEEjEEvNS_4cuda6detail10TensorInfoIT3_T6_EES8_S8_S8_NS6_IT4_S8_EES8_T5_,comdat
	.protected	_ZN2at6native20bitonicSortKVInPlaceILi2ELin1ELi16ELi16EdlNS0_4GTOpIdLb1EEEjEEvNS_4cuda6detail10TensorInfoIT3_T6_EES8_S8_S8_NS6_IT4_S8_EES8_T5_ ; -- Begin function _ZN2at6native20bitonicSortKVInPlaceILi2ELin1ELi16ELi16EdlNS0_4GTOpIdLb1EEEjEEvNS_4cuda6detail10TensorInfoIT3_T6_EES8_S8_S8_NS6_IT4_S8_EES8_T5_
	.globl	_ZN2at6native20bitonicSortKVInPlaceILi2ELin1ELi16ELi16EdlNS0_4GTOpIdLb1EEEjEEvNS_4cuda6detail10TensorInfoIT3_T6_EES8_S8_S8_NS6_IT4_S8_EES8_T5_
	.p2align	8
	.type	_ZN2at6native20bitonicSortKVInPlaceILi2ELin1ELi16ELi16EdlNS0_4GTOpIdLb1EEEjEEvNS_4cuda6detail10TensorInfoIT3_T6_EES8_S8_S8_NS6_IT4_S8_EES8_T5_,@function
_ZN2at6native20bitonicSortKVInPlaceILi2ELin1ELi16ELi16EdlNS0_4GTOpIdLb1EEEjEEvNS_4cuda6detail10TensorInfoIT3_T6_EES8_S8_S8_NS6_IT4_S8_EES8_T5_: ; @_ZN2at6native20bitonicSortKVInPlaceILi2ELin1ELi16ELi16EdlNS0_4GTOpIdLb1EEEjEEvNS_4cuda6detail10TensorInfoIT3_T6_EES8_S8_S8_NS6_IT4_S8_EES8_T5_
; %bb.0:
	s_clause 0x2
	s_load_b64 s[2:3], s[0:1], 0x1c8
	s_load_u16 s4, s[0:1], 0x1d6
	s_load_b96 s[8:10], s[0:1], 0xd8
	s_lshr_b32 s5, ttmp7, 16
	s_wait_kmcnt 0x0
	s_mul_i32 s3, s3, s5
	s_and_b32 s5, ttmp7, 0xffff
	s_delay_alu instid0(SALU_CYCLE_1) | instskip(NEXT) | instid1(SALU_CYCLE_1)
	s_add_co_i32 s3, s3, s5
	s_mul_i32 s2, s3, s2
	s_delay_alu instid0(SALU_CYCLE_1) | instskip(NEXT) | instid1(SALU_CYCLE_1)
	s_add_co_i32 s2, s2, ttmp9
	s_mul_i32 s4, s2, s4
	s_delay_alu instid0(SALU_CYCLE_1)
	s_cmp_ge_u32 s4, s8
	s_cbranch_scc1 .LBB43_44
; %bb.1:
	s_clause 0x3
	s_load_b32 s11, s[0:1], 0xc
	s_load_b64 s[2:3], s[0:1], 0x6c
	s_load_b32 s14, s[0:1], 0x1b8
	s_load_b64 s[12:13], s[0:1], 0x0
	v_bfe_u32 v8, v0, 10, 10
	s_mov_b32 s7, 0
	s_delay_alu instid0(VALU_DEP_1) | instskip(SKIP_4) | instid1(SALU_CYCLE_1)
	v_add_nc_u32_e32 v4, s4, v8
	s_wait_kmcnt 0x0
	s_cvt_f32_u32 s5, s11
	s_sub_co_i32 s6, 0, s11
	s_wait_alu 0xfffe
	v_rcp_iflag_f32_e32 v1, s5
	s_delay_alu instid0(TRANS32_DEP_1) | instskip(SKIP_3) | instid1(SALU_CYCLE_2)
	v_readfirstlane_b32 s5, v1
	v_mov_b32_e32 v1, 0
	s_mul_f32 s5, s5, 0x4f7ffffe
	s_wait_alu 0xfffe
	s_cvt_u32_f32 s5, s5
	s_wait_alu 0xfffe
	s_delay_alu instid0(SALU_CYCLE_2) | instskip(NEXT) | instid1(SALU_CYCLE_1)
	s_mul_i32 s6, s6, s5
	s_mul_hi_u32 s4, s5, s6
	s_wait_alu 0xfffe
	s_add_co_i32 s5, s5, s4
	s_cmp_lt_i32 s14, 2
	s_wait_alu 0xfffe
	v_mad_co_u64_u32 v[2:3], null, v4, s5, 0
	s_add_nc_u64 s[4:5], s[0:1], 0xe8
	s_cbranch_scc1 .LBB43_4
; %bb.2:
	s_add_co_i32 s6, s14, -1
	v_mov_b32_e32 v1, 0
	s_lshl_b64 s[6:7], s[6:7], 2
	v_mov_b32_e32 v5, v4
	s_wait_alu 0xfffe
	s_add_nc_u64 s[6:7], s[4:5], s[6:7]
	s_add_co_i32 s14, s14, 1
	s_add_nc_u64 s[6:7], s[6:7], 8
.LBB43_3:                               ; =>This Inner Loop Header: Depth=1
	s_clause 0x1
	s_load_b32 s15, s[6:7], 0x0
	s_load_b32 s16, s[6:7], 0x64
	s_add_co_i32 s14, s14, -1
	s_add_nc_u64 s[6:7], s[6:7], -4
	s_wait_kmcnt 0x0
	s_cvt_f32_u32 s17, s15
	s_sub_co_i32 s18, 0, s15
	s_wait_alu 0xfffe
	s_delay_alu instid0(SALU_CYCLE_1) | instskip(NEXT) | instid1(TRANS32_DEP_1)
	v_rcp_iflag_f32_e32 v2, s17
	v_readfirstlane_b32 s17, v2
	v_mov_b32_e32 v2, v5
	s_mul_f32 s17, s17, 0x4f7ffffe
	s_wait_alu 0xfffe
	s_delay_alu instid0(SALU_CYCLE_2) | instskip(SKIP_1) | instid1(SALU_CYCLE_2)
	s_cvt_u32_f32 s17, s17
	s_wait_alu 0xfffe
	s_mul_i32 s18, s18, s17
	s_delay_alu instid0(SALU_CYCLE_1) | instskip(NEXT) | instid1(SALU_CYCLE_1)
	s_mul_hi_u32 s18, s17, s18
	s_add_co_i32 s17, s17, s18
	s_cmp_gt_u32 s14, 2
	s_wait_alu 0xfffe
	v_mul_hi_u32 v5, v2, s17
	s_delay_alu instid0(VALU_DEP_1) | instskip(SKIP_1) | instid1(VALU_DEP_2)
	v_mul_lo_u32 v6, v5, s15
	v_add_nc_u32_e32 v7, 1, v5
	v_sub_nc_u32_e32 v6, v2, v6
	s_delay_alu instid0(VALU_DEP_1) | instskip(SKIP_2) | instid1(VALU_DEP_2)
	v_subrev_nc_u32_e32 v9, s15, v6
	v_cmp_le_u32_e32 vcc_lo, s15, v6
	s_wait_alu 0xfffd
	v_dual_cndmask_b32 v5, v5, v7 :: v_dual_cndmask_b32 v6, v6, v9
	s_delay_alu instid0(VALU_DEP_1) | instskip(NEXT) | instid1(VALU_DEP_2)
	v_add_nc_u32_e32 v7, 1, v5
	v_cmp_le_u32_e32 vcc_lo, s15, v6
	s_wait_alu 0xfffd
	s_delay_alu instid0(VALU_DEP_2) | instskip(NEXT) | instid1(VALU_DEP_1)
	v_cndmask_b32_e32 v5, v5, v7, vcc_lo
	v_mul_lo_u32 v6, v5, s15
	s_delay_alu instid0(VALU_DEP_1) | instskip(NEXT) | instid1(VALU_DEP_1)
	v_sub_nc_u32_e32 v2, v2, v6
	v_mad_co_u64_u32 v[1:2], null, s16, v2, v[1:2]
	s_cbranch_scc1 .LBB43_3
	s_branch .LBB43_5
.LBB43_4:
	v_mov_b32_e32 v5, v4
.LBB43_5:
	v_mul_lo_u32 v2, v3, s11
	v_add_nc_u32_e32 v6, 1, v3
	s_load_b32 s16, s[4:5], 0x6c
	s_add_nc_u64 s[6:7], s[0:1], 0x1c8
	v_and_b32_e32 v10, 0x3ff, v0
	s_load_b32 s6, s[6:7], 0xc
	s_clause 0x1
	s_load_b32 s7, s[0:1], 0x1c0
	s_load_b64 s[14:15], s[4:5], 0x0
	v_cmp_gt_u32_e64 s0, s8, v4
	v_sub_nc_u32_e32 v2, v4, v2
	s_delay_alu instid0(VALU_DEP_1) | instskip(SKIP_2) | instid1(VALU_DEP_2)
	v_subrev_nc_u32_e32 v7, s11, v2
	v_cmp_le_u32_e32 vcc_lo, s11, v2
	s_wait_alu 0xfffd
	v_dual_cndmask_b32 v3, v3, v6 :: v_dual_cndmask_b32 v2, v2, v7
	s_delay_alu instid0(VALU_DEP_1) | instskip(NEXT) | instid1(VALU_DEP_2)
	v_add_nc_u32_e32 v6, 1, v3
	v_cmp_le_u32_e32 vcc_lo, s11, v2
	s_wait_alu 0xfffd
	s_delay_alu instid0(VALU_DEP_2) | instskip(SKIP_1) | instid1(VALU_DEP_2)
	v_cndmask_b32_e32 v2, v3, v6, vcc_lo
	v_cmp_gt_u32_e32 vcc_lo, s9, v10
	v_mul_lo_u32 v3, v2, s11
	s_delay_alu instid0(VALU_DEP_1) | instskip(SKIP_2) | instid1(VALU_DEP_2)
	v_sub_nc_u32_e32 v3, v4, v3
	s_wait_kmcnt 0x0
	v_mad_co_u64_u32 v[4:5], null, s16, v5, v[1:2]
	v_mul_lo_u32 v0, v3, s3
	s_delay_alu instid0(VALU_DEP_1)
	v_mad_co_u64_u32 v[5:6], null, v2, s2, v[0:1]
	v_mov_b32_e32 v6, 0
	v_mov_b32_e32 v0, 0
	v_dual_mov_b32 v2, 0 :: v_dual_mov_b32 v7, 0
	v_mov_b32_e32 v1, 0
	v_mov_b32_e32 v3, 0
	s_and_b32 s2, s0, vcc_lo
	s_wait_alu 0xfffe
	s_and_saveexec_b32 s3, s2
	s_cbranch_execz .LBB43_7
; %bb.6:
	v_mad_co_u64_u32 v[2:3], null, v10, s10, v[5:6]
	v_mov_b32_e32 v3, 0
	v_mad_co_u64_u32 v[6:7], null, v10, s7, v[4:5]
	s_delay_alu instid0(VALU_DEP_2) | instskip(NEXT) | instid1(VALU_DEP_4)
	v_mov_b32_e32 v7, v3
	v_lshlrev_b64_e32 v[2:3], 3, v[2:3]
	s_delay_alu instid0(VALU_DEP_2) | instskip(NEXT) | instid1(VALU_DEP_2)
	v_lshlrev_b64_e32 v[6:7], 3, v[6:7]
	v_add_co_u32 v2, s1, s12, v2
	s_delay_alu instid0(VALU_DEP_1) | instskip(NEXT) | instid1(VALU_DEP_3)
	v_add_co_ci_u32_e64 v3, null, s13, v3, s1
	v_add_co_u32 v6, s1, s14, v6
	s_wait_alu 0xf1ff
	s_delay_alu instid0(VALU_DEP_4)
	v_add_co_ci_u32_e64 v7, null, s15, v7, s1
	global_load_b64 v[2:3], v[2:3], off
	global_load_b64 v[6:7], v[6:7], off
.LBB43_7:
	s_wait_alu 0xfffe
	s_or_b32 exec_lo, exec_lo, s3
	v_lshlrev_b32_e32 v15, 8, v8
	s_and_b32 s3, 0xffff, s6
	v_lshlrev_b32_e32 v16, 3, v10
	s_wait_alu 0xfffe
	v_add_nc_u32_e32 v11, s3, v10
	v_lshl_add_u32 v17, v8, 5, 0x2000
	v_mov_b32_e32 v8, 0
	v_dual_mov_b32 v9, 0 :: v_dual_add_nc_u32 v14, 0x1000, v15
	s_delay_alu instid0(VALU_DEP_4) | instskip(SKIP_2) | instid1(VALU_DEP_4)
	v_cmp_gt_u32_e64 s1, s9, v11
	v_add_nc_u32_e32 v12, v15, v16
	v_cndmask_b32_e64 v18, 0, 1, s2
	v_add_nc_u32_e32 v13, v14, v16
	v_add_nc_u32_e32 v19, v17, v10
	s_and_b32 s4, s0, s1
	s_wait_loadcnt 0x1
	ds_store_b64 v12, v[2:3]
	s_wait_loadcnt 0x0
	ds_store_b64 v13, v[6:7]
	ds_store_b8 v19, v18
	s_wait_alu 0xfffe
	s_and_saveexec_b32 s5, s4
	s_cbranch_execz .LBB43_9
; %bb.8:
	v_mad_co_u64_u32 v[0:1], null, v11, s10, v[5:6]
	v_mov_b32_e32 v1, 0
	v_mad_co_u64_u32 v[2:3], null, v11, s7, v[4:5]
	s_delay_alu instid0(VALU_DEP_2) | instskip(NEXT) | instid1(VALU_DEP_4)
	v_mov_b32_e32 v3, v1
	v_lshlrev_b64_e32 v[0:1], 3, v[0:1]
	s_delay_alu instid0(VALU_DEP_2) | instskip(NEXT) | instid1(VALU_DEP_2)
	v_lshlrev_b64_e32 v[2:3], 3, v[2:3]
	v_add_co_u32 v0, s2, s12, v0
	s_wait_alu 0xf1ff
	s_delay_alu instid0(VALU_DEP_3) | instskip(NEXT) | instid1(VALU_DEP_3)
	v_add_co_ci_u32_e64 v1, null, s13, v1, s2
	v_add_co_u32 v2, s2, s14, v2
	s_wait_alu 0xf1ff
	v_add_co_ci_u32_e64 v3, null, s15, v3, s2
	global_load_b64 v[0:1], v[0:1], off
	global_load_b64 v[8:9], v[2:3], off
.LBB43_9:
	s_wait_alu 0xfffe
	s_or_b32 exec_lo, exec_lo, s5
	s_lshl_b32 s2, s3, 3
	v_cndmask_b32_e64 v2, 0, 1, s4
	s_wait_alu 0xfffe
	v_add_nc_u32_e32 v6, s2, v12
	v_add_nc_u32_e32 v7, s2, v13
	;; [unrolled: 1-line block ×3, first 2 shown]
	v_lshlrev_b32_e32 v20, 1, v10
	v_and_b32_e32 v18, 1, v10
	s_wait_loadcnt 0x1
	ds_store_b64 v6, v[0:1]
	s_wait_loadcnt 0x0
	ds_store_b64 v7, v[8:9]
	ds_store_b8 v3, v2
	v_add_nc_u32_e32 v8, v12, v16
	s_wait_dscnt 0x0
	s_barrier_signal -1
	s_barrier_wait -1
	global_inv scope:SCOPE_SE
	ds_load_b128 v[0:3], v8
	v_add_nc_u32_e32 v9, v17, v20
	ds_load_u16 v19, v9
	s_wait_dscnt 0x1
	v_cmp_u_f64_e64 s2, v[0:1], v[0:1]
	v_cmp_o_f64_e64 s3, v[2:3], v[2:3]
	v_cmp_gt_f64_e64 s4, v[0:1], v[2:3]
	s_wait_dscnt 0x0
	v_lshrrev_b16 v22, 8, v19
	v_and_b32_e32 v21, 1, v19
	s_delay_alu instid0(VALU_DEP_2) | instskip(NEXT) | instid1(VALU_DEP_2)
	v_cmp_ne_u16_e64 s6, v22, v18
	v_cmp_eq_u32_e64 s5, 1, v21
	s_wait_alu 0xf1ff
	s_delay_alu instid0(VALU_DEP_2)
	v_cndmask_b32_e64 v21, 0, 1, s6
	s_and_b32 s2, s2, s3
	s_wait_alu 0xfffe
	s_or_b32 s2, s2, s4
	s_wait_alu 0xfffe
	s_and_b32 s2, s2, s5
	s_wait_alu 0xfffe
	v_cndmask_b32_e64 v21, v21, v10, s2
	s_delay_alu instid0(VALU_DEP_1) | instskip(NEXT) | instid1(VALU_DEP_1)
	v_and_b32_e32 v21, 1, v21
	v_cmp_eq_u32_e64 s2, 1, v21
	v_add_nc_u32_e32 v21, v13, v16
	s_and_saveexec_b32 s3, s2
	s_wait_alu 0xfffe
	s_xor_b32 s2, exec_lo, s3
	s_cbranch_execz .LBB43_11
; %bb.10:
	ds_load_b128 v[23:26], v21
	v_mov_b32_e32 v29, v0
	v_lshlrev_b16 v0, 8, v19
	v_dual_mov_b32 v27, v2 :: v_dual_mov_b32 v28, v3
	v_mov_b32_e32 v30, v1
	s_delay_alu instid0(VALU_DEP_3)
	v_or_b32_e32 v0, v22, v0
	s_wait_dscnt 0x0
	v_dual_mov_b32 v31, v25 :: v_dual_mov_b32 v34, v24
	v_dual_mov_b32 v32, v26 :: v_dual_mov_b32 v33, v23
	ds_store_b128 v21, v[31:34]
	ds_store_b128 v8, v[27:30]
	ds_store_b16 v9, v0
.LBB43_11:
	s_wait_alu 0xfffe
	s_or_b32 exec_lo, exec_lo, s2
	v_sub_nc_u32_e32 v19, v20, v18
	s_wait_loadcnt_dscnt 0x0
	s_barrier_signal -1
	s_barrier_wait -1
	global_inv scope:SCOPE_SE
	v_lshl_add_u32 v16, v19, 3, v15
	v_add_nc_u32_e32 v18, v17, v19
	v_bfe_u32 v23, v10, 1, 1
	v_lshl_add_u32 v19, v19, 3, v14
	ds_load_2addr_b64 v[0:3], v16 offset1:2
	ds_load_u8 v22, v18
	ds_load_u8 v24, v18 offset:2
	s_wait_dscnt 0x1
	v_and_b32_e32 v25, 1, v22
	v_cmp_u_f64_e64 s2, v[0:1], v[0:1]
	v_cmp_o_f64_e64 s3, v[2:3], v[2:3]
	v_cmp_gt_f64_e64 s4, v[0:1], v[2:3]
	s_wait_dscnt 0x0
	v_cmp_ne_u16_e64 s5, v24, v23
	s_wait_alu 0xf1ff
	s_delay_alu instid0(VALU_DEP_1)
	v_cndmask_b32_e64 v26, 0, 1, s5
	v_cmp_eq_u32_e64 s5, 1, v25
	s_and_b32 s2, s2, s3
	s_wait_alu 0xfffe
	s_or_b32 s2, s2, s4
	s_wait_alu 0xfffe
	s_and_b32 s2, s2, s5
	s_wait_alu 0xfffe
	v_cndmask_b32_e64 v25, v26, v23, s2
	v_and_b32_e32 v23, 2, v10
	s_delay_alu instid0(VALU_DEP_2) | instskip(NEXT) | instid1(VALU_DEP_2)
	v_and_b32_e32 v25, 1, v25
	v_cmp_ne_u32_e64 s2, 0, v23
	s_delay_alu instid0(VALU_DEP_2)
	v_cmp_eq_u32_e64 s3, 1, v25
	s_and_saveexec_b32 s4, s3
	s_wait_alu 0xfffe
	s_xor_b32 s3, exec_lo, s4
	s_cbranch_execz .LBB43_13
; %bb.12:
	ds_load_2addr_b64 v[25:28], v19 offset1:2
	ds_store_2addr_b64 v16, v[2:3], v[0:1] offset1:2
	s_wait_dscnt 0x1
	ds_store_2addr_b64 v19, v[27:28], v[25:26] offset1:2
	ds_store_b8 v18, v24
	ds_store_b8 v18, v22 offset:2
.LBB43_13:
	s_wait_alu 0xfffe
	s_or_b32 exec_lo, exec_lo, s3
	s_wait_loadcnt_dscnt 0x0
	s_barrier_signal -1
	s_barrier_wait -1
	global_inv scope:SCOPE_SE
	ds_load_b128 v[0:3], v8
	ds_load_u16 v22, v9
	v_lshrrev_b32_e32 v24, 1, v23
	v_cndmask_b32_e64 v26, 0, 1, s2
	s_wait_dscnt 0x1
	v_cmp_u_f64_e64 s3, v[0:1], v[0:1]
	v_cmp_o_f64_e64 s4, v[2:3], v[2:3]
	v_cmp_gt_f64_e64 s5, v[0:1], v[2:3]
	s_wait_dscnt 0x0
	v_lshrrev_b16 v23, 8, v22
	v_and_b32_e32 v25, 1, v22
	s_delay_alu instid0(VALU_DEP_2) | instskip(NEXT) | instid1(VALU_DEP_2)
	v_cmp_ne_u16_e64 s6, v23, v24
	v_cmp_eq_u32_e64 s2, 1, v25
	s_wait_alu 0xf1ff
	s_delay_alu instid0(VALU_DEP_2)
	v_cndmask_b32_e64 v24, 0, 1, s6
	s_and_b32 s3, s3, s4
	s_wait_alu 0xfffe
	s_or_b32 s3, s3, s5
	s_wait_alu 0xfffe
	s_and_b32 s2, s3, s2
	s_mov_b32 s3, exec_lo
	s_wait_alu 0xfffe
	v_cndmask_b32_e64 v24, v24, v26, s2
	s_delay_alu instid0(VALU_DEP_1) | instskip(NEXT) | instid1(VALU_DEP_1)
	v_and_b32_e32 v24, 1, v24
	v_cmpx_eq_u32_e32 1, v24
	s_cbranch_execz .LBB43_15
; %bb.14:
	ds_load_b128 v[24:27], v21
	v_mov_b32_e32 v30, v0
	v_lshlrev_b16 v0, 8, v22
	v_dual_mov_b32 v28, v2 :: v_dual_mov_b32 v29, v3
	v_mov_b32_e32 v31, v1
	s_delay_alu instid0(VALU_DEP_3)
	v_or_b32_e32 v0, v23, v0
	s_wait_dscnt 0x0
	v_dual_mov_b32 v32, v26 :: v_dual_mov_b32 v35, v25
	v_dual_mov_b32 v33, v27 :: v_dual_mov_b32 v34, v24
	ds_store_b128 v21, v[32:35]
	ds_store_b128 v8, v[28:31]
	ds_store_b16 v9, v0
.LBB43_15:
	s_or_b32 exec_lo, exec_lo, s3
	v_and_b32_e32 v0, 3, v10
	s_wait_loadcnt_dscnt 0x0
	s_barrier_signal -1
	s_barrier_wait -1
	global_inv scope:SCOPE_SE
	v_sub_nc_u32_e32 v24, v20, v0
	v_bfe_u32 v23, v10, 2, 1
	s_delay_alu instid0(VALU_DEP_2)
	v_lshl_add_u32 v21, v24, 3, v15
	v_add_nc_u32_e32 v22, v17, v24
	v_lshl_add_u32 v24, v24, 3, v14
	ds_load_2addr_b64 v[0:3], v21 offset1:4
	ds_load_u8 v25, v22
	ds_load_u8 v26, v22 offset:4
	s_wait_dscnt 0x1
	v_and_b32_e32 v27, 1, v25
	v_cmp_u_f64_e64 s2, v[0:1], v[0:1]
	v_cmp_o_f64_e64 s3, v[2:3], v[2:3]
	v_cmp_gt_f64_e64 s4, v[0:1], v[2:3]
	s_wait_dscnt 0x0
	v_cmp_ne_u16_e64 s5, v26, v23
	s_wait_alu 0xf1ff
	s_delay_alu instid0(VALU_DEP_1)
	v_cndmask_b32_e64 v28, 0, 1, s5
	v_cmp_eq_u32_e64 s5, 1, v27
	s_and_b32 s2, s2, s3
	s_wait_alu 0xfffe
	s_or_b32 s2, s2, s4
	s_mov_b32 s4, exec_lo
	s_wait_alu 0xfffe
	s_and_b32 s2, s2, s5
	s_wait_alu 0xfffe
	v_cndmask_b32_e64 v27, v28, v23, s2
	v_and_b32_e32 v23, 4, v10
	s_delay_alu instid0(VALU_DEP_2) | instskip(NEXT) | instid1(VALU_DEP_2)
	v_and_b32_e32 v27, 1, v27
	v_cmp_ne_u32_e64 s2, 0, v23
	s_delay_alu instid0(VALU_DEP_2)
	v_cmpx_eq_u32_e32 1, v27
	s_cbranch_execz .LBB43_17
; %bb.16:
	ds_load_2addr_b64 v[27:30], v24 offset1:4
	ds_store_2addr_b64 v21, v[2:3], v[0:1] offset1:4
	s_wait_dscnt 0x1
	ds_store_2addr_b64 v24, v[29:30], v[27:28] offset1:4
	ds_store_b8 v22, v26
	ds_store_b8 v22, v25 offset:4
.LBB43_17:
	s_or_b32 exec_lo, exec_lo, s4
	s_wait_loadcnt_dscnt 0x0
	s_barrier_signal -1
	s_barrier_wait -1
	global_inv scope:SCOPE_SE
	ds_load_2addr_b64 v[0:3], v16 offset1:2
	ds_load_u8 v26, v18
	ds_load_u8 v27, v18 offset:2
	v_lshrrev_b32_e32 v23, 2, v23
	v_cndmask_b32_e64 v25, 0, 1, s2
	s_wait_dscnt 0x1
	v_and_b32_e32 v28, 1, v26
	v_cmp_u_f64_e64 s3, v[0:1], v[0:1]
	v_cmp_o_f64_e64 s4, v[2:3], v[2:3]
	v_cmp_gt_f64_e64 s5, v[0:1], v[2:3]
	s_wait_dscnt 0x0
	v_cmp_ne_u16_e64 s2, v27, v23
	s_wait_alu 0xf1ff
	s_delay_alu instid0(VALU_DEP_1)
	v_cndmask_b32_e64 v29, 0, 1, s2
	v_cmp_eq_u32_e64 s2, 1, v28
	s_and_b32 s3, s3, s4
	s_wait_alu 0xfffe
	s_or_b32 s3, s3, s5
	s_wait_alu 0xfffe
	s_and_b32 s2, s3, s2
	s_mov_b32 s3, exec_lo
	s_wait_alu 0xfffe
	v_cndmask_b32_e64 v28, v29, v25, s2
	s_delay_alu instid0(VALU_DEP_1) | instskip(NEXT) | instid1(VALU_DEP_1)
	v_and_b32_e32 v28, 1, v28
	v_cmpx_eq_u32_e32 1, v28
	s_cbranch_execz .LBB43_19
; %bb.18:
	ds_load_2addr_b64 v[28:31], v19 offset1:2
	ds_store_2addr_b64 v16, v[2:3], v[0:1] offset1:2
	s_wait_dscnt 0x1
	ds_store_2addr_b64 v19, v[30:31], v[28:29] offset1:2
	ds_store_b8 v18, v27
	ds_store_b8 v18, v26 offset:2
.LBB43_19:
	s_or_b32 exec_lo, exec_lo, s3
	s_wait_loadcnt_dscnt 0x0
	s_barrier_signal -1
	s_barrier_wait -1
	global_inv scope:SCOPE_SE
	ds_load_b128 v[0:3], v8
	ds_load_u16 v27, v9
	s_wait_dscnt 0x1
	v_cmp_u_f64_e64 s2, v[0:1], v[0:1]
	v_cmp_o_f64_e64 s3, v[2:3], v[2:3]
	v_cmp_gt_f64_e64 s4, v[0:1], v[2:3]
	s_wait_dscnt 0x0
	v_lshrrev_b16 v26, 8, v27
	v_and_b32_e32 v28, 1, v27
	s_delay_alu instid0(VALU_DEP_2) | instskip(NEXT) | instid1(VALU_DEP_2)
	v_cmp_ne_u16_e64 s6, v26, v23
	v_cmp_eq_u32_e64 s5, 1, v28
	s_wait_alu 0xf1ff
	s_delay_alu instid0(VALU_DEP_2)
	v_cndmask_b32_e64 v23, 0, 1, s6
	s_and_b32 s2, s2, s3
	s_wait_alu 0xfffe
	s_or_b32 s2, s2, s4
	s_wait_alu 0xfffe
	s_and_b32 s2, s2, s5
	s_wait_alu 0xfffe
	v_cndmask_b32_e64 v23, v23, v25, s2
	s_delay_alu instid0(VALU_DEP_1) | instskip(NEXT) | instid1(VALU_DEP_1)
	v_and_b32_e32 v23, 1, v23
	v_cmp_eq_u32_e64 s2, 1, v23
	v_lshl_add_u32 v23, v20, 3, v14
	s_and_saveexec_b32 s3, s2
	s_cbranch_execz .LBB43_21
; %bb.20:
	ds_load_b128 v[28:31], v23
	v_mov_b32_e32 v34, v0
	v_lshlrev_b16 v0, 8, v27
	v_dual_mov_b32 v32, v2 :: v_dual_mov_b32 v33, v3
	v_mov_b32_e32 v35, v1
	s_delay_alu instid0(VALU_DEP_3)
	v_or_b32_e32 v0, v26, v0
	s_wait_dscnt 0x0
	v_dual_mov_b32 v36, v30 :: v_dual_mov_b32 v39, v29
	v_dual_mov_b32 v37, v31 :: v_dual_mov_b32 v38, v28
	ds_store_b128 v23, v[36:39]
	ds_store_b128 v8, v[32:35]
	ds_store_b16 v9, v0
.LBB43_21:
	s_wait_alu 0xfffe
	s_or_b32 exec_lo, exec_lo, s3
	v_and_b32_e32 v0, 7, v10
	s_wait_loadcnt_dscnt 0x0
	s_barrier_signal -1
	s_barrier_wait -1
	global_inv scope:SCOPE_SE
	v_sub_nc_u32_e32 v27, v20, v0
	v_bfe_u32 v28, v10, 3, 1
	s_delay_alu instid0(VALU_DEP_2)
	v_lshl_add_u32 v25, v27, 3, v15
	v_add_nc_u32_e32 v26, v17, v27
	v_lshl_add_u32 v27, v27, 3, v14
	ds_load_2addr_b64 v[0:3], v25 offset1:8
	ds_load_u8 v29, v26
	ds_load_u8 v30, v26 offset:8
	s_wait_dscnt 0x1
	v_and_b32_e32 v31, 1, v29
	v_cmp_u_f64_e64 s2, v[0:1], v[0:1]
	v_cmp_o_f64_e64 s3, v[2:3], v[2:3]
	v_cmp_gt_f64_e64 s4, v[0:1], v[2:3]
	s_wait_dscnt 0x0
	v_cmp_ne_u16_e64 s5, v30, v28
	s_wait_alu 0xf1ff
	s_delay_alu instid0(VALU_DEP_1)
	v_cndmask_b32_e64 v32, 0, 1, s5
	v_cmp_eq_u32_e64 s5, 1, v31
	s_and_b32 s2, s2, s3
	s_wait_alu 0xfffe
	s_or_b32 s2, s2, s4
	s_mov_b32 s4, exec_lo
	s_wait_alu 0xfffe
	s_and_b32 s2, s2, s5
	s_wait_alu 0xfffe
	v_cndmask_b32_e64 v31, v32, v28, s2
	v_and_b32_e32 v28, 8, v10
	s_delay_alu instid0(VALU_DEP_2) | instskip(NEXT) | instid1(VALU_DEP_2)
	v_and_b32_e32 v31, 1, v31
	v_cmp_ne_u32_e64 s2, 0, v28
	s_delay_alu instid0(VALU_DEP_2)
	v_cmpx_eq_u32_e32 1, v31
	s_cbranch_execz .LBB43_23
; %bb.22:
	ds_load_2addr_b64 v[31:34], v27 offset1:8
	ds_store_2addr_b64 v25, v[2:3], v[0:1] offset1:8
	s_wait_dscnt 0x1
	ds_store_2addr_b64 v27, v[33:34], v[31:32] offset1:8
	ds_store_b8 v26, v30
	ds_store_b8 v26, v29 offset:8
.LBB43_23:
	s_or_b32 exec_lo, exec_lo, s4
	s_wait_loadcnt_dscnt 0x0
	s_barrier_signal -1
	s_barrier_wait -1
	global_inv scope:SCOPE_SE
	ds_load_2addr_b64 v[0:3], v21 offset1:4
	ds_load_u8 v30, v22
	ds_load_u8 v31, v22 offset:4
	v_lshrrev_b32_e32 v28, 3, v28
	v_cndmask_b32_e64 v29, 0, 1, s2
	s_wait_dscnt 0x1
	v_and_b32_e32 v32, 1, v30
	v_cmp_u_f64_e64 s3, v[0:1], v[0:1]
	v_cmp_o_f64_e64 s4, v[2:3], v[2:3]
	v_cmp_gt_f64_e64 s5, v[0:1], v[2:3]
	s_wait_dscnt 0x0
	v_cmp_ne_u16_e64 s2, v31, v28
	s_wait_alu 0xf1ff
	s_delay_alu instid0(VALU_DEP_1)
	v_cndmask_b32_e64 v33, 0, 1, s2
	v_cmp_eq_u32_e64 s2, 1, v32
	s_and_b32 s3, s3, s4
	s_wait_alu 0xfffe
	s_or_b32 s3, s3, s5
	s_wait_alu 0xfffe
	s_and_b32 s2, s3, s2
	s_mov_b32 s3, exec_lo
	s_wait_alu 0xfffe
	v_cndmask_b32_e64 v32, v33, v29, s2
	s_delay_alu instid0(VALU_DEP_1) | instskip(NEXT) | instid1(VALU_DEP_1)
	v_and_b32_e32 v32, 1, v32
	v_cmpx_eq_u32_e32 1, v32
	s_cbranch_execz .LBB43_25
; %bb.24:
	ds_load_2addr_b64 v[32:35], v24 offset1:4
	ds_store_2addr_b64 v21, v[2:3], v[0:1] offset1:4
	s_wait_dscnt 0x1
	ds_store_2addr_b64 v24, v[34:35], v[32:33] offset1:4
	ds_store_b8 v22, v31
	ds_store_b8 v22, v30 offset:4
.LBB43_25:
	s_or_b32 exec_lo, exec_lo, s3
	s_wait_loadcnt_dscnt 0x0
	s_barrier_signal -1
	s_barrier_wait -1
	global_inv scope:SCOPE_SE
	ds_load_2addr_b64 v[0:3], v16 offset1:2
	ds_load_u8 v30, v18
	ds_load_u8 v31, v18 offset:2
	s_wait_dscnt 0x1
	v_and_b32_e32 v32, 1, v30
	v_cmp_u_f64_e64 s2, v[0:1], v[0:1]
	v_cmp_o_f64_e64 s3, v[2:3], v[2:3]
	v_cmp_gt_f64_e64 s4, v[0:1], v[2:3]
	s_wait_dscnt 0x0
	v_cmp_ne_u16_e64 s5, v31, v28
	s_wait_alu 0xf1ff
	s_delay_alu instid0(VALU_DEP_1)
	v_cndmask_b32_e64 v33, 0, 1, s5
	v_cmp_eq_u32_e64 s5, 1, v32
	s_and_b32 s2, s2, s3
	s_mov_b32 s3, exec_lo
	s_wait_alu 0xfffe
	s_or_b32 s2, s2, s4
	s_wait_alu 0xfffe
	s_and_b32 s2, s2, s5
	s_wait_alu 0xfffe
	v_cndmask_b32_e64 v32, v33, v29, s2
	s_delay_alu instid0(VALU_DEP_1) | instskip(NEXT) | instid1(VALU_DEP_1)
	v_and_b32_e32 v32, 1, v32
	v_cmpx_eq_u32_e32 1, v32
	s_cbranch_execz .LBB43_27
; %bb.26:
	ds_load_2addr_b64 v[32:35], v19 offset1:2
	ds_store_2addr_b64 v16, v[2:3], v[0:1] offset1:2
	s_wait_dscnt 0x1
	ds_store_2addr_b64 v19, v[34:35], v[32:33] offset1:2
	ds_store_b8 v18, v31
	ds_store_b8 v18, v30 offset:2
.LBB43_27:
	s_or_b32 exec_lo, exec_lo, s3
	s_wait_loadcnt_dscnt 0x0
	s_barrier_signal -1
	s_barrier_wait -1
	global_inv scope:SCOPE_SE
	ds_load_b128 v[0:3], v8
	ds_load_u16 v31, v9
	s_wait_dscnt 0x1
	v_cmp_u_f64_e64 s2, v[0:1], v[0:1]
	v_cmp_o_f64_e64 s3, v[2:3], v[2:3]
	v_cmp_gt_f64_e64 s4, v[0:1], v[2:3]
	s_wait_dscnt 0x0
	v_lshrrev_b16 v30, 8, v31
	v_and_b32_e32 v32, 1, v31
	s_delay_alu instid0(VALU_DEP_2) | instskip(NEXT) | instid1(VALU_DEP_2)
	v_cmp_ne_u16_e64 s6, v30, v28
	v_cmp_eq_u32_e64 s5, 1, v32
	s_wait_alu 0xf1ff
	s_delay_alu instid0(VALU_DEP_2)
	v_cndmask_b32_e64 v28, 0, 1, s6
	s_and_b32 s2, s2, s3
	s_mov_b32 s3, exec_lo
	s_wait_alu 0xfffe
	s_or_b32 s2, s2, s4
	s_wait_alu 0xfffe
	s_and_b32 s2, s2, s5
	s_wait_alu 0xfffe
	v_cndmask_b32_e64 v28, v28, v29, s2
	s_delay_alu instid0(VALU_DEP_1) | instskip(NEXT) | instid1(VALU_DEP_1)
	v_and_b32_e32 v28, 1, v28
	v_cmpx_eq_u32_e32 1, v28
	s_cbranch_execz .LBB43_29
; %bb.28:
	ds_load_b128 v[32:35], v23
	v_mov_b32_e32 v38, v0
	v_lshlrev_b16 v0, 8, v31
	v_dual_mov_b32 v36, v2 :: v_dual_mov_b32 v37, v3
	v_mov_b32_e32 v39, v1
	s_delay_alu instid0(VALU_DEP_3)
	v_or_b32_e32 v0, v30, v0
	s_wait_dscnt 0x0
	v_dual_mov_b32 v40, v34 :: v_dual_mov_b32 v43, v33
	v_dual_mov_b32 v41, v35 :: v_dual_mov_b32 v42, v32
	ds_store_b128 v23, v[40:43]
	ds_store_b128 v8, v[36:39]
	ds_store_b16 v9, v0
.LBB43_29:
	s_or_b32 exec_lo, exec_lo, s3
	v_and_b32_e32 v0, 15, v10
	s_wait_loadcnt_dscnt 0x0
	s_barrier_signal -1
	s_barrier_wait -1
	global_inv scope:SCOPE_SE
	v_sub_nc_u32_e32 v20, v20, v0
	s_delay_alu instid0(VALU_DEP_1)
	v_lshl_add_u32 v15, v20, 3, v15
	v_add_nc_u32_e32 v17, v17, v20
	ds_load_2addr_b64 v[0:3], v15 offset1:16
	ds_load_u8 v28, v17
	ds_load_u8 v29, v17 offset:16
	s_wait_dscnt 0x1
	v_and_b32_e32 v30, 1, v28
	v_cmp_u_f64_e64 s2, v[0:1], v[0:1]
	v_cmp_o_f64_e64 s3, v[2:3], v[2:3]
	v_cmp_gt_f64_e64 s4, v[0:1], v[2:3]
	s_wait_dscnt 0x0
	v_and_b32_e32 v29, 0xff, v29
	v_cmp_eq_u32_e64 s5, 1, v30
	s_and_b32 s2, s2, s3
	s_wait_alu 0xfffe
	s_or_b32 s3, s2, s4
	v_cmp_ne_u16_e64 s2, 0, v29
	s_wait_alu 0xfffe
	s_and_b32 s3, s3, s5
	s_wait_alu 0xfffe
	s_xor_b32 s3, s3, -1
	s_wait_alu 0xfffe
	s_and_b32 s3, s3, s2
	s_wait_alu 0xfffe
	s_and_saveexec_b32 s2, s3
	s_cbranch_execz .LBB43_31
; %bb.30:
	v_lshl_add_u32 v14, v20, 3, v14
	v_mov_b32_e32 v20, 1
	ds_load_2addr_b64 v[29:32], v14 offset1:16
	ds_store_2addr_b64 v15, v[2:3], v[0:1] offset1:16
	s_wait_dscnt 0x1
	ds_store_2addr_b64 v14, v[31:32], v[29:30] offset1:16
	ds_store_b8 v17, v20
	ds_store_b8 v17, v28 offset:16
.LBB43_31:
	s_wait_alu 0xfffe
	s_or_b32 exec_lo, exec_lo, s2
	s_wait_loadcnt_dscnt 0x0
	s_barrier_signal -1
	s_barrier_wait -1
	global_inv scope:SCOPE_SE
	ds_load_2addr_b64 v[0:3], v25 offset1:8
	ds_load_u8 v14, v26
	ds_load_u8 v15, v26 offset:8
	s_wait_dscnt 0x1
	v_and_b32_e32 v17, 1, v14
	v_cmp_u_f64_e64 s2, v[0:1], v[0:1]
	v_cmp_o_f64_e64 s3, v[2:3], v[2:3]
	v_cmp_gt_f64_e64 s4, v[0:1], v[2:3]
	s_wait_dscnt 0x0
	v_and_b32_e32 v15, 0xff, v15
	v_cmp_eq_u32_e64 s5, 1, v17
	s_and_b32 s2, s2, s3
	s_wait_alu 0xfffe
	s_or_b32 s3, s2, s4
	v_cmp_ne_u16_e64 s2, 0, v15
	s_wait_alu 0xfffe
	s_and_b32 s3, s3, s5
	s_wait_alu 0xfffe
	s_xor_b32 s3, s3, -1
	s_wait_alu 0xfffe
	s_and_b32 s3, s3, s2
	s_wait_alu 0xfffe
	s_and_saveexec_b32 s2, s3
	s_cbranch_execz .LBB43_33
; %bb.32:
	ds_load_2addr_b64 v[28:31], v27 offset1:8
	v_mov_b32_e32 v15, 1
	ds_store_2addr_b64 v25, v[2:3], v[0:1] offset1:8
	s_wait_dscnt 0x1
	ds_store_2addr_b64 v27, v[30:31], v[28:29] offset1:8
	ds_store_b8 v26, v15
	ds_store_b8 v26, v14 offset:8
.LBB43_33:
	s_wait_alu 0xfffe
	s_or_b32 exec_lo, exec_lo, s2
	s_wait_loadcnt_dscnt 0x0
	s_barrier_signal -1
	s_barrier_wait -1
	global_inv scope:SCOPE_SE
	ds_load_2addr_b64 v[0:3], v21 offset1:4
	ds_load_u8 v14, v22
	ds_load_u8 v15, v22 offset:4
	s_wait_dscnt 0x1
	v_and_b32_e32 v17, 1, v14
	v_cmp_u_f64_e64 s2, v[0:1], v[0:1]
	v_cmp_o_f64_e64 s3, v[2:3], v[2:3]
	v_cmp_gt_f64_e64 s4, v[0:1], v[2:3]
	s_wait_dscnt 0x0
	v_and_b32_e32 v15, 0xff, v15
	v_cmp_eq_u32_e64 s5, 1, v17
	s_and_b32 s2, s2, s3
	s_wait_alu 0xfffe
	s_or_b32 s3, s2, s4
	v_cmp_ne_u16_e64 s2, 0, v15
	s_wait_alu 0xfffe
	s_and_b32 s3, s3, s5
	s_wait_alu 0xfffe
	s_xor_b32 s3, s3, -1
	s_wait_alu 0xfffe
	s_and_b32 s3, s3, s2
	s_wait_alu 0xfffe
	s_and_saveexec_b32 s2, s3
	s_cbranch_execz .LBB43_35
; %bb.34:
	ds_load_2addr_b64 v[25:28], v24 offset1:4
	v_mov_b32_e32 v15, 1
	ds_store_2addr_b64 v21, v[2:3], v[0:1] offset1:4
	s_wait_dscnt 0x1
	ds_store_2addr_b64 v24, v[27:28], v[25:26] offset1:4
	ds_store_b8 v22, v15
	ds_store_b8 v22, v14 offset:4
.LBB43_35:
	;; [unrolled: 39-line block ×3, first 2 shown]
	s_wait_alu 0xfffe
	s_or_b32 exec_lo, exec_lo, s2
	s_wait_loadcnt_dscnt 0x0
	s_barrier_signal -1
	s_barrier_wait -1
	global_inv scope:SCOPE_SE
	ds_load_b128 v[0:3], v8
	ds_load_u16 v14, v9
	s_wait_dscnt 0x1
	v_cmp_u_f64_e64 s2, v[0:1], v[0:1]
	v_cmp_o_f64_e64 s3, v[2:3], v[2:3]
	v_cmp_gt_f64_e64 s4, v[0:1], v[2:3]
	s_wait_dscnt 0x0
	v_and_b32_e32 v15, 1, v14
	v_lshrrev_b16 v16, 8, v14
	s_delay_alu instid0(VALU_DEP_2)
	v_cmp_eq_u32_e64 s5, 1, v15
	s_and_b32 s2, s2, s3
	s_wait_alu 0xfffe
	s_or_b32 s3, s2, s4
	v_cmp_ne_u16_e64 s2, 0, v16
	s_wait_alu 0xfffe
	s_and_b32 s3, s3, s5
	s_wait_alu 0xfffe
	s_xor_b32 s3, s3, -1
	s_wait_alu 0xfffe
	s_and_b32 s3, s3, s2
	s_wait_alu 0xfffe
	s_and_saveexec_b32 s2, s3
	s_cbranch_execz .LBB43_39
; %bb.38:
	ds_load_b128 v[15:18], v23
	v_mov_b32_e32 v21, v0
	v_lshlrev_b16 v0, 8, v14
	v_dual_mov_b32 v19, v2 :: v_dual_mov_b32 v20, v3
	v_mov_b32_e32 v22, v1
	s_delay_alu instid0(VALU_DEP_3)
	v_or_b32_e32 v0, 1, v0
	s_wait_dscnt 0x0
	v_dual_mov_b32 v24, v17 :: v_dual_mov_b32 v25, v18
	v_dual_mov_b32 v26, v15 :: v_dual_mov_b32 v27, v16
	ds_store_b128 v23, v[24:27]
	ds_store_b128 v8, v[19:22]
	ds_store_b16 v9, v0
.LBB43_39:
	s_wait_alu 0xfffe
	s_or_b32 exec_lo, exec_lo, s2
	s_wait_loadcnt_dscnt 0x0
	s_barrier_signal -1
	s_barrier_wait -1
	global_inv scope:SCOPE_SE
	s_and_saveexec_b32 s2, s0
	s_cbranch_execz .LBB43_44
; %bb.40:
	s_and_saveexec_b32 s0, vcc_lo
	s_cbranch_execz .LBB43_42
; %bb.41:
	v_mad_co_u64_u32 v[0:1], null, v10, s10, v[5:6]
	v_mov_b32_e32 v1, 0
	v_mad_co_u64_u32 v[2:3], null, v10, s7, v[4:5]
	ds_load_b64 v[8:9], v12
	ds_load_b64 v[12:13], v13
	v_mov_b32_e32 v3, v1
	v_lshlrev_b64_e32 v[0:1], 3, v[0:1]
	s_delay_alu instid0(VALU_DEP_2) | instskip(NEXT) | instid1(VALU_DEP_2)
	v_lshlrev_b64_e32 v[2:3], 3, v[2:3]
	v_add_co_u32 v0, vcc_lo, s12, v0
	s_wait_alu 0xfffd
	s_delay_alu instid0(VALU_DEP_3) | instskip(NEXT) | instid1(VALU_DEP_3)
	v_add_co_ci_u32_e64 v1, null, s13, v1, vcc_lo
	v_add_co_u32 v2, vcc_lo, s14, v2
	s_wait_alu 0xfffd
	v_add_co_ci_u32_e64 v3, null, s15, v3, vcc_lo
	s_wait_dscnt 0x1
	global_store_b64 v[0:1], v[8:9], off
	s_wait_dscnt 0x0
	global_store_b64 v[2:3], v[12:13], off
.LBB43_42:
	s_wait_alu 0xfffe
	s_or_b32 exec_lo, exec_lo, s0
	s_delay_alu instid0(SALU_CYCLE_1)
	s_and_b32 exec_lo, exec_lo, s1
	s_cbranch_execz .LBB43_44
; %bb.43:
	v_mad_co_u64_u32 v[0:1], null, v11, s10, v[5:6]
	v_mov_b32_e32 v1, 0
	v_mad_co_u64_u32 v[2:3], null, v11, s7, v[4:5]
	ds_load_b64 v[4:5], v6
	ds_load_b64 v[6:7], v7
	v_mov_b32_e32 v3, v1
	v_lshlrev_b64_e32 v[0:1], 3, v[0:1]
	s_delay_alu instid0(VALU_DEP_2) | instskip(NEXT) | instid1(VALU_DEP_2)
	v_lshlrev_b64_e32 v[2:3], 3, v[2:3]
	v_add_co_u32 v0, vcc_lo, s12, v0
	s_wait_alu 0xfffd
	s_delay_alu instid0(VALU_DEP_3) | instskip(NEXT) | instid1(VALU_DEP_3)
	v_add_co_ci_u32_e64 v1, null, s13, v1, vcc_lo
	v_add_co_u32 v2, vcc_lo, s14, v2
	s_wait_alu 0xfffd
	v_add_co_ci_u32_e64 v3, null, s15, v3, vcc_lo
	s_wait_dscnt 0x1
	global_store_b64 v[0:1], v[4:5], off
	s_wait_dscnt 0x0
	global_store_b64 v[2:3], v[6:7], off
.LBB43_44:
	s_endpgm
	.section	.rodata,"a",@progbits
	.p2align	6, 0x0
	.amdhsa_kernel _ZN2at6native20bitonicSortKVInPlaceILi2ELin1ELi16ELi16EdlNS0_4GTOpIdLb1EEEjEEvNS_4cuda6detail10TensorInfoIT3_T6_EES8_S8_S8_NS6_IT4_S8_EES8_T5_
		.amdhsa_group_segment_fixed_size 8704
		.amdhsa_private_segment_fixed_size 0
		.amdhsa_kernarg_size 712
		.amdhsa_user_sgpr_count 2
		.amdhsa_user_sgpr_dispatch_ptr 0
		.amdhsa_user_sgpr_queue_ptr 0
		.amdhsa_user_sgpr_kernarg_segment_ptr 1
		.amdhsa_user_sgpr_dispatch_id 0
		.amdhsa_user_sgpr_private_segment_size 0
		.amdhsa_wavefront_size32 1
		.amdhsa_uses_dynamic_stack 0
		.amdhsa_enable_private_segment 0
		.amdhsa_system_sgpr_workgroup_id_x 1
		.amdhsa_system_sgpr_workgroup_id_y 1
		.amdhsa_system_sgpr_workgroup_id_z 1
		.amdhsa_system_sgpr_workgroup_info 0
		.amdhsa_system_vgpr_workitem_id 1
		.amdhsa_next_free_vgpr 44
		.amdhsa_next_free_sgpr 19
		.amdhsa_reserve_vcc 1
		.amdhsa_float_round_mode_32 0
		.amdhsa_float_round_mode_16_64 0
		.amdhsa_float_denorm_mode_32 3
		.amdhsa_float_denorm_mode_16_64 3
		.amdhsa_fp16_overflow 0
		.amdhsa_workgroup_processor_mode 1
		.amdhsa_memory_ordered 1
		.amdhsa_forward_progress 1
		.amdhsa_inst_pref_size 41
		.amdhsa_round_robin_scheduling 0
		.amdhsa_exception_fp_ieee_invalid_op 0
		.amdhsa_exception_fp_denorm_src 0
		.amdhsa_exception_fp_ieee_div_zero 0
		.amdhsa_exception_fp_ieee_overflow 0
		.amdhsa_exception_fp_ieee_underflow 0
		.amdhsa_exception_fp_ieee_inexact 0
		.amdhsa_exception_int_div_zero 0
	.end_amdhsa_kernel
	.section	.text._ZN2at6native20bitonicSortKVInPlaceILi2ELin1ELi16ELi16EdlNS0_4GTOpIdLb1EEEjEEvNS_4cuda6detail10TensorInfoIT3_T6_EES8_S8_S8_NS6_IT4_S8_EES8_T5_,"axG",@progbits,_ZN2at6native20bitonicSortKVInPlaceILi2ELin1ELi16ELi16EdlNS0_4GTOpIdLb1EEEjEEvNS_4cuda6detail10TensorInfoIT3_T6_EES8_S8_S8_NS6_IT4_S8_EES8_T5_,comdat
.Lfunc_end43:
	.size	_ZN2at6native20bitonicSortKVInPlaceILi2ELin1ELi16ELi16EdlNS0_4GTOpIdLb1EEEjEEvNS_4cuda6detail10TensorInfoIT3_T6_EES8_S8_S8_NS6_IT4_S8_EES8_T5_, .Lfunc_end43-_ZN2at6native20bitonicSortKVInPlaceILi2ELin1ELi16ELi16EdlNS0_4GTOpIdLb1EEEjEEvNS_4cuda6detail10TensorInfoIT3_T6_EES8_S8_S8_NS6_IT4_S8_EES8_T5_
                                        ; -- End function
	.set _ZN2at6native20bitonicSortKVInPlaceILi2ELin1ELi16ELi16EdlNS0_4GTOpIdLb1EEEjEEvNS_4cuda6detail10TensorInfoIT3_T6_EES8_S8_S8_NS6_IT4_S8_EES8_T5_.num_vgpr, 44
	.set _ZN2at6native20bitonicSortKVInPlaceILi2ELin1ELi16ELi16EdlNS0_4GTOpIdLb1EEEjEEvNS_4cuda6detail10TensorInfoIT3_T6_EES8_S8_S8_NS6_IT4_S8_EES8_T5_.num_agpr, 0
	.set _ZN2at6native20bitonicSortKVInPlaceILi2ELin1ELi16ELi16EdlNS0_4GTOpIdLb1EEEjEEvNS_4cuda6detail10TensorInfoIT3_T6_EES8_S8_S8_NS6_IT4_S8_EES8_T5_.numbered_sgpr, 19
	.set _ZN2at6native20bitonicSortKVInPlaceILi2ELin1ELi16ELi16EdlNS0_4GTOpIdLb1EEEjEEvNS_4cuda6detail10TensorInfoIT3_T6_EES8_S8_S8_NS6_IT4_S8_EES8_T5_.num_named_barrier, 0
	.set _ZN2at6native20bitonicSortKVInPlaceILi2ELin1ELi16ELi16EdlNS0_4GTOpIdLb1EEEjEEvNS_4cuda6detail10TensorInfoIT3_T6_EES8_S8_S8_NS6_IT4_S8_EES8_T5_.private_seg_size, 0
	.set _ZN2at6native20bitonicSortKVInPlaceILi2ELin1ELi16ELi16EdlNS0_4GTOpIdLb1EEEjEEvNS_4cuda6detail10TensorInfoIT3_T6_EES8_S8_S8_NS6_IT4_S8_EES8_T5_.uses_vcc, 1
	.set _ZN2at6native20bitonicSortKVInPlaceILi2ELin1ELi16ELi16EdlNS0_4GTOpIdLb1EEEjEEvNS_4cuda6detail10TensorInfoIT3_T6_EES8_S8_S8_NS6_IT4_S8_EES8_T5_.uses_flat_scratch, 0
	.set _ZN2at6native20bitonicSortKVInPlaceILi2ELin1ELi16ELi16EdlNS0_4GTOpIdLb1EEEjEEvNS_4cuda6detail10TensorInfoIT3_T6_EES8_S8_S8_NS6_IT4_S8_EES8_T5_.has_dyn_sized_stack, 0
	.set _ZN2at6native20bitonicSortKVInPlaceILi2ELin1ELi16ELi16EdlNS0_4GTOpIdLb1EEEjEEvNS_4cuda6detail10TensorInfoIT3_T6_EES8_S8_S8_NS6_IT4_S8_EES8_T5_.has_recursion, 0
	.set _ZN2at6native20bitonicSortKVInPlaceILi2ELin1ELi16ELi16EdlNS0_4GTOpIdLb1EEEjEEvNS_4cuda6detail10TensorInfoIT3_T6_EES8_S8_S8_NS6_IT4_S8_EES8_T5_.has_indirect_call, 0
	.section	.AMDGPU.csdata,"",@progbits
; Kernel info:
; codeLenInByte = 5176
; TotalNumSgprs: 21
; NumVgprs: 44
; ScratchSize: 0
; MemoryBound: 0
; FloatMode: 240
; IeeeMode: 1
; LDSByteSize: 8704 bytes/workgroup (compile time only)
; SGPRBlocks: 0
; VGPRBlocks: 5
; NumSGPRsForWavesPerEU: 21
; NumVGPRsForWavesPerEU: 44
; Occupancy: 16
; WaveLimiterHint : 1
; COMPUTE_PGM_RSRC2:SCRATCH_EN: 0
; COMPUTE_PGM_RSRC2:USER_SGPR: 2
; COMPUTE_PGM_RSRC2:TRAP_HANDLER: 0
; COMPUTE_PGM_RSRC2:TGID_X_EN: 1
; COMPUTE_PGM_RSRC2:TGID_Y_EN: 1
; COMPUTE_PGM_RSRC2:TGID_Z_EN: 1
; COMPUTE_PGM_RSRC2:TIDIG_COMP_CNT: 1
	.section	.text._ZN2at6native20bitonicSortKVInPlaceILin1ELin1ELi16ELi16EdlNS0_4LTOpIdLb1EEEjEEvNS_4cuda6detail10TensorInfoIT3_T6_EES8_S8_S8_NS6_IT4_S8_EES8_T5_,"axG",@progbits,_ZN2at6native20bitonicSortKVInPlaceILin1ELin1ELi16ELi16EdlNS0_4LTOpIdLb1EEEjEEvNS_4cuda6detail10TensorInfoIT3_T6_EES8_S8_S8_NS6_IT4_S8_EES8_T5_,comdat
	.protected	_ZN2at6native20bitonicSortKVInPlaceILin1ELin1ELi16ELi16EdlNS0_4LTOpIdLb1EEEjEEvNS_4cuda6detail10TensorInfoIT3_T6_EES8_S8_S8_NS6_IT4_S8_EES8_T5_ ; -- Begin function _ZN2at6native20bitonicSortKVInPlaceILin1ELin1ELi16ELi16EdlNS0_4LTOpIdLb1EEEjEEvNS_4cuda6detail10TensorInfoIT3_T6_EES8_S8_S8_NS6_IT4_S8_EES8_T5_
	.globl	_ZN2at6native20bitonicSortKVInPlaceILin1ELin1ELi16ELi16EdlNS0_4LTOpIdLb1EEEjEEvNS_4cuda6detail10TensorInfoIT3_T6_EES8_S8_S8_NS6_IT4_S8_EES8_T5_
	.p2align	8
	.type	_ZN2at6native20bitonicSortKVInPlaceILin1ELin1ELi16ELi16EdlNS0_4LTOpIdLb1EEEjEEvNS_4cuda6detail10TensorInfoIT3_T6_EES8_S8_S8_NS6_IT4_S8_EES8_T5_,@function
_ZN2at6native20bitonicSortKVInPlaceILin1ELin1ELi16ELi16EdlNS0_4LTOpIdLb1EEEjEEvNS_4cuda6detail10TensorInfoIT3_T6_EES8_S8_S8_NS6_IT4_S8_EES8_T5_: ; @_ZN2at6native20bitonicSortKVInPlaceILin1ELin1ELi16ELi16EdlNS0_4LTOpIdLb1EEEjEEvNS_4cuda6detail10TensorInfoIT3_T6_EES8_S8_S8_NS6_IT4_S8_EES8_T5_
; %bb.0:
	s_clause 0x2
	s_load_b64 s[2:3], s[0:1], 0x1c8
	s_load_u16 s4, s[0:1], 0x1d6
	s_load_b96 s[8:10], s[0:1], 0xd8
	s_lshr_b32 s5, ttmp7, 16
	s_wait_kmcnt 0x0
	s_mul_i32 s3, s3, s5
	s_and_b32 s5, ttmp7, 0xffff
	s_delay_alu instid0(SALU_CYCLE_1) | instskip(NEXT) | instid1(SALU_CYCLE_1)
	s_add_co_i32 s3, s3, s5
	s_mul_i32 s2, s3, s2
	s_delay_alu instid0(SALU_CYCLE_1) | instskip(NEXT) | instid1(SALU_CYCLE_1)
	s_add_co_i32 s3, s2, ttmp9
	s_mul_i32 s3, s3, s4
	s_delay_alu instid0(SALU_CYCLE_1)
	s_cmp_ge_u32 s3, s8
	s_cbranch_scc1 .LBB44_46
; %bb.1:
	s_load_b32 s2, s[0:1], 0xd0
	v_bfe_u32 v9, v0, 10, 10
	s_delay_alu instid0(VALU_DEP_1) | instskip(NEXT) | instid1(VALU_DEP_1)
	v_dual_mov_b32 v1, 0 :: v_dual_add_nc_u32 v4, s3, v9
	v_mov_b32_e32 v5, v4
	s_wait_kmcnt 0x0
	s_cmp_lt_i32 s2, 2
	s_cbranch_scc1 .LBB44_4
; %bb.2:
	s_add_co_i32 s4, s2, -1
	s_mov_b32 s5, 0
	v_mov_b32_e32 v1, 0
	s_lshl_b64 s[4:5], s[4:5], 2
	v_mov_b32_e32 v5, v4
	s_add_nc_u64 s[6:7], s[0:1], s[4:5]
	s_add_co_i32 s4, s2, 1
	s_add_nc_u64 s[2:3], s[6:7], 8
.LBB44_3:                               ; =>This Inner Loop Header: Depth=1
	s_clause 0x1
	s_load_b32 s5, s[2:3], 0x0
	s_load_b32 s6, s[2:3], 0x64
	s_add_co_i32 s4, s4, -1
	s_add_nc_u64 s[2:3], s[2:3], -4
	s_wait_kmcnt 0x0
	s_cvt_f32_u32 s7, s5
	s_sub_co_i32 s11, 0, s5
	s_wait_alu 0xfffe
	s_delay_alu instid0(SALU_CYCLE_1) | instskip(NEXT) | instid1(TRANS32_DEP_1)
	v_rcp_iflag_f32_e32 v2, s7
	v_readfirstlane_b32 s7, v2
	v_mov_b32_e32 v2, v5
	s_mul_f32 s7, s7, 0x4f7ffffe
	s_wait_alu 0xfffe
	s_delay_alu instid0(SALU_CYCLE_2) | instskip(SKIP_1) | instid1(SALU_CYCLE_2)
	s_cvt_u32_f32 s7, s7
	s_wait_alu 0xfffe
	s_mul_i32 s11, s11, s7
	s_delay_alu instid0(SALU_CYCLE_1) | instskip(NEXT) | instid1(SALU_CYCLE_1)
	s_mul_hi_u32 s11, s7, s11
	s_add_co_i32 s7, s7, s11
	s_cmp_gt_u32 s4, 2
	s_wait_alu 0xfffe
	v_mul_hi_u32 v3, v2, s7
	s_delay_alu instid0(VALU_DEP_1) | instskip(SKIP_1) | instid1(VALU_DEP_2)
	v_mul_lo_u32 v5, v3, s5
	v_add_nc_u32_e32 v6, 1, v3
	v_sub_nc_u32_e32 v5, v2, v5
	s_delay_alu instid0(VALU_DEP_1) | instskip(SKIP_3) | instid1(VALU_DEP_3)
	v_subrev_nc_u32_e32 v7, s5, v5
	v_cmp_le_u32_e32 vcc_lo, s5, v5
	s_wait_alu 0xfffd
	v_cndmask_b32_e32 v3, v3, v6, vcc_lo
	v_cndmask_b32_e32 v5, v5, v7, vcc_lo
	s_delay_alu instid0(VALU_DEP_2) | instskip(NEXT) | instid1(VALU_DEP_2)
	v_add_nc_u32_e32 v6, 1, v3
	v_cmp_le_u32_e32 vcc_lo, s5, v5
	s_wait_alu 0xfffd
	s_delay_alu instid0(VALU_DEP_2) | instskip(NEXT) | instid1(VALU_DEP_1)
	v_cndmask_b32_e32 v5, v3, v6, vcc_lo
	v_mul_lo_u32 v3, v5, s5
	s_delay_alu instid0(VALU_DEP_1) | instskip(NEXT) | instid1(VALU_DEP_1)
	v_sub_nc_u32_e32 v2, v2, v3
	v_mad_co_u64_u32 v[1:2], null, s6, v2, v[1:2]
	s_cbranch_scc1 .LBB44_3
.LBB44_4:
	s_load_b32 s4, s[0:1], 0x1b8
	v_mov_b32_e32 v2, 0
	v_mov_b32_e32 v8, v4
	s_add_nc_u64 s[2:3], s[0:1], 0x1c8
	s_wait_kmcnt 0x0
	s_cmp_lt_i32 s4, 2
	s_cbranch_scc1 .LBB44_7
; %bb.5:
	s_add_co_i32 s6, s4, -1
	s_mov_b32 s7, 0
	v_mov_b32_e32 v2, 0
	s_wait_alu 0xfffe
	s_lshl_b64 s[6:7], s[6:7], 2
	v_mov_b32_e32 v8, v4
	s_wait_alu 0xfffe
	s_add_nc_u64 s[12:13], s[0:1], s[6:7]
	s_add_co_i32 s6, s4, 1
	s_add_nc_u64 s[4:5], s[12:13], 0xf0
.LBB44_6:                               ; =>This Inner Loop Header: Depth=1
	s_clause 0x1
	s_load_b32 s7, s[4:5], 0x0
	s_load_b32 s11, s[4:5], 0x64
	s_add_co_i32 s6, s6, -1
	s_add_nc_u64 s[4:5], s[4:5], -4
	s_wait_kmcnt 0x0
	s_cvt_f32_u32 s12, s7
	s_sub_co_i32 s13, 0, s7
	s_wait_alu 0xfffe
	s_delay_alu instid0(SALU_CYCLE_1) | instskip(NEXT) | instid1(TRANS32_DEP_1)
	v_rcp_iflag_f32_e32 v3, s12
	v_readfirstlane_b32 s12, v3
	v_mov_b32_e32 v3, v8
	s_mul_f32 s12, s12, 0x4f7ffffe
	s_wait_alu 0xfffe
	s_delay_alu instid0(SALU_CYCLE_2) | instskip(SKIP_1) | instid1(SALU_CYCLE_2)
	s_cvt_u32_f32 s12, s12
	s_wait_alu 0xfffe
	s_mul_i32 s13, s13, s12
	s_wait_alu 0xfffe
	s_mul_hi_u32 s13, s12, s13
	s_wait_alu 0xfffe
	s_add_co_i32 s12, s12, s13
	s_cmp_gt_u32 s6, 2
	s_wait_alu 0xfffe
	v_mul_hi_u32 v6, v3, s12
	s_delay_alu instid0(VALU_DEP_1) | instskip(SKIP_1) | instid1(VALU_DEP_2)
	v_mul_lo_u32 v7, v6, s7
	v_add_nc_u32_e32 v8, 1, v6
	v_sub_nc_u32_e32 v7, v3, v7
	s_delay_alu instid0(VALU_DEP_1) | instskip(SKIP_2) | instid1(VALU_DEP_2)
	v_subrev_nc_u32_e32 v10, s7, v7
	v_cmp_le_u32_e32 vcc_lo, s7, v7
	s_wait_alu 0xfffd
	v_dual_cndmask_b32 v6, v6, v8 :: v_dual_cndmask_b32 v7, v7, v10
	s_delay_alu instid0(VALU_DEP_1) | instskip(NEXT) | instid1(VALU_DEP_2)
	v_add_nc_u32_e32 v8, 1, v6
	v_cmp_le_u32_e32 vcc_lo, s7, v7
	s_wait_alu 0xfffd
	s_delay_alu instid0(VALU_DEP_2) | instskip(NEXT) | instid1(VALU_DEP_1)
	v_cndmask_b32_e32 v8, v6, v8, vcc_lo
	v_mul_lo_u32 v6, v8, s7
	s_delay_alu instid0(VALU_DEP_1) | instskip(NEXT) | instid1(VALU_DEP_1)
	v_sub_nc_u32_e32 v3, v3, v6
	v_mad_co_u64_u32 v[2:3], null, s11, v3, v[2:3]
	s_cbranch_scc1 .LBB44_6
.LBB44_7:
	s_clause 0x1
	s_load_b32 s4, s[0:1], 0x6c
	s_load_b32 s5, s[0:1], 0x154
	;; [unrolled: 1-line block ×3, first 2 shown]
	s_clause 0x2
	s_load_b32 s7, s[0:1], 0x1c0
	s_load_b64 s[14:15], s[0:1], 0x0
	s_load_b64 s[12:13], s[0:1], 0xe8
	v_and_b32_e32 v11, 0x3ff, v0
	v_cmp_gt_u32_e64 s0, s8, v4
	s_wait_kmcnt 0x0
	v_mad_co_u64_u32 v[6:7], null, s4, v5, v[1:2]
	v_mad_co_u64_u32 v[4:5], null, s5, v8, v[2:3]
	v_dual_mov_b32 v7, 0 :: v_dual_mov_b32 v0, 0
	v_mov_b32_e32 v8, 0
	v_cmp_gt_u32_e32 vcc_lo, s9, v11
	v_dual_mov_b32 v1, 0 :: v_dual_mov_b32 v2, 0
	v_mov_b32_e32 v3, 0
	s_and_b32 s4, s0, vcc_lo
	s_wait_alu 0xfffe
	s_and_saveexec_b32 s3, s4
	s_cbranch_execz .LBB44_9
; %bb.8:
	v_mad_co_u64_u32 v[2:3], null, v11, s10, v[6:7]
	v_mov_b32_e32 v3, 0
	v_mad_co_u64_u32 v[7:8], null, v11, s7, v[4:5]
	s_delay_alu instid0(VALU_DEP_2) | instskip(NEXT) | instid1(VALU_DEP_4)
	v_mov_b32_e32 v8, v3
	v_lshlrev_b64_e32 v[2:3], 3, v[2:3]
	s_delay_alu instid0(VALU_DEP_2) | instskip(NEXT) | instid1(VALU_DEP_2)
	v_lshlrev_b64_e32 v[7:8], 3, v[7:8]
	v_add_co_u32 v2, s1, s14, v2
	s_delay_alu instid0(VALU_DEP_1) | instskip(NEXT) | instid1(VALU_DEP_3)
	v_add_co_ci_u32_e64 v3, null, s15, v3, s1
	v_add_co_u32 v7, s1, s12, v7
	s_wait_alu 0xf1ff
	s_delay_alu instid0(VALU_DEP_4)
	v_add_co_ci_u32_e64 v8, null, s13, v8, s1
	global_load_b64 v[2:3], v[2:3], off
	global_load_b64 v[7:8], v[7:8], off
.LBB44_9:
	s_wait_alu 0xfffe
	s_or_b32 exec_lo, exec_lo, s3
	v_lshlrev_b32_e32 v15, 8, v9
	s_and_b32 s3, 0xffff, s2
	v_lshlrev_b32_e32 v16, 3, v11
	s_wait_alu 0xfffe
	v_add_nc_u32_e32 v5, s3, v11
	v_lshl_add_u32 v17, v9, 5, 0x2000
	v_mov_b32_e32 v9, 0
	v_mov_b32_e32 v10, 0
	v_add_nc_u32_e32 v14, 0x1000, v15
	v_cmp_gt_u32_e64 s1, s9, v5
	v_add_nc_u32_e32 v12, v15, v16
	v_cndmask_b32_e64 v18, 0, 1, s4
	v_add_nc_u32_e32 v19, v17, v11
	v_add_nc_u32_e32 v13, v14, v16
	s_and_b32 s4, s0, s1
	s_wait_loadcnt 0x1
	ds_store_b64 v12, v[2:3]
	s_wait_loadcnt 0x0
	ds_store_b64 v13, v[7:8]
	ds_store_b8 v19, v18
	s_wait_alu 0xfffe
	s_and_saveexec_b32 s5, s4
	s_cbranch_execz .LBB44_11
; %bb.10:
	v_mad_co_u64_u32 v[0:1], null, v5, s10, v[6:7]
	v_mov_b32_e32 v1, 0
	v_mad_co_u64_u32 v[2:3], null, v5, s7, v[4:5]
	s_delay_alu instid0(VALU_DEP_2) | instskip(NEXT) | instid1(VALU_DEP_4)
	v_mov_b32_e32 v3, v1
	v_lshlrev_b64_e32 v[0:1], 3, v[0:1]
	s_delay_alu instid0(VALU_DEP_2) | instskip(NEXT) | instid1(VALU_DEP_2)
	v_lshlrev_b64_e32 v[2:3], 3, v[2:3]
	v_add_co_u32 v0, s2, s14, v0
	s_wait_alu 0xf1ff
	s_delay_alu instid0(VALU_DEP_3) | instskip(NEXT) | instid1(VALU_DEP_3)
	v_add_co_ci_u32_e64 v1, null, s15, v1, s2
	v_add_co_u32 v2, s2, s12, v2
	s_wait_alu 0xf1ff
	v_add_co_ci_u32_e64 v3, null, s13, v3, s2
	global_load_b64 v[0:1], v[0:1], off
	global_load_b64 v[9:10], v[2:3], off
.LBB44_11:
	s_wait_alu 0xfffe
	s_or_b32 exec_lo, exec_lo, s5
	s_lshl_b32 s2, s3, 3
	v_cndmask_b32_e64 v2, 0, 1, s4
	s_wait_alu 0xfffe
	v_add_nc_u32_e32 v7, s2, v12
	v_add_nc_u32_e32 v8, s2, v13
	;; [unrolled: 1-line block ×3, first 2 shown]
	v_lshlrev_b32_e32 v20, 1, v11
	v_and_b32_e32 v18, 1, v11
	s_wait_loadcnt 0x1
	ds_store_b64 v7, v[0:1]
	s_wait_loadcnt 0x0
	ds_store_b64 v8, v[9:10]
	ds_store_b8 v3, v2
	v_add_nc_u32_e32 v9, v12, v16
	s_wait_dscnt 0x0
	s_barrier_signal -1
	s_barrier_wait -1
	global_inv scope:SCOPE_SE
	ds_load_b128 v[0:3], v9
	v_add_nc_u32_e32 v10, v17, v20
	ds_load_u16 v19, v10
	s_wait_dscnt 0x1
	v_cmp_u_f64_e64 s2, v[2:3], v[2:3]
	v_cmp_o_f64_e64 s3, v[0:1], v[0:1]
	v_cmp_lt_f64_e64 s4, v[0:1], v[2:3]
	s_wait_dscnt 0x0
	v_lshrrev_b16 v22, 8, v19
	v_and_b32_e32 v21, 1, v19
	s_delay_alu instid0(VALU_DEP_2) | instskip(NEXT) | instid1(VALU_DEP_2)
	v_cmp_ne_u16_e64 s6, v22, v18
	v_cmp_eq_u32_e64 s5, 1, v21
	s_wait_alu 0xf1ff
	s_delay_alu instid0(VALU_DEP_2)
	v_cndmask_b32_e64 v21, 0, 1, s6
	s_and_b32 s2, s2, s3
	s_wait_alu 0xfffe
	s_or_b32 s2, s2, s4
	s_wait_alu 0xfffe
	s_and_b32 s2, s2, s5
	s_wait_alu 0xfffe
	v_cndmask_b32_e64 v21, v21, v11, s2
	s_delay_alu instid0(VALU_DEP_1) | instskip(NEXT) | instid1(VALU_DEP_1)
	v_and_b32_e32 v21, 1, v21
	v_cmp_eq_u32_e64 s2, 1, v21
	v_add_nc_u32_e32 v21, v13, v16
	s_and_saveexec_b32 s3, s2
	s_wait_alu 0xfffe
	s_xor_b32 s2, exec_lo, s3
	s_cbranch_execz .LBB44_13
; %bb.12:
	ds_load_b128 v[23:26], v21
	v_mov_b32_e32 v29, v0
	v_lshlrev_b16 v0, 8, v19
	v_dual_mov_b32 v27, v2 :: v_dual_mov_b32 v28, v3
	v_mov_b32_e32 v30, v1
	s_delay_alu instid0(VALU_DEP_3)
	v_or_b32_e32 v0, v22, v0
	s_wait_dscnt 0x0
	v_dual_mov_b32 v31, v25 :: v_dual_mov_b32 v34, v24
	v_dual_mov_b32 v32, v26 :: v_dual_mov_b32 v33, v23
	ds_store_b128 v21, v[31:34]
	ds_store_b128 v9, v[27:30]
	ds_store_b16 v10, v0
.LBB44_13:
	s_wait_alu 0xfffe
	s_or_b32 exec_lo, exec_lo, s2
	v_sub_nc_u32_e32 v19, v20, v18
	s_wait_loadcnt_dscnt 0x0
	s_barrier_signal -1
	s_barrier_wait -1
	global_inv scope:SCOPE_SE
	v_lshl_add_u32 v16, v19, 3, v15
	v_add_nc_u32_e32 v18, v17, v19
	v_bfe_u32 v23, v11, 1, 1
	v_lshl_add_u32 v19, v19, 3, v14
	ds_load_2addr_b64 v[0:3], v16 offset1:2
	ds_load_u8 v22, v18
	ds_load_u8 v24, v18 offset:2
	s_wait_dscnt 0x1
	v_and_b32_e32 v25, 1, v22
	v_cmp_u_f64_e64 s2, v[2:3], v[2:3]
	v_cmp_o_f64_e64 s3, v[0:1], v[0:1]
	v_cmp_lt_f64_e64 s4, v[0:1], v[2:3]
	s_wait_dscnt 0x0
	v_cmp_ne_u16_e64 s5, v24, v23
	s_wait_alu 0xf1ff
	s_delay_alu instid0(VALU_DEP_1)
	v_cndmask_b32_e64 v26, 0, 1, s5
	v_cmp_eq_u32_e64 s5, 1, v25
	s_and_b32 s2, s2, s3
	s_wait_alu 0xfffe
	s_or_b32 s2, s2, s4
	s_wait_alu 0xfffe
	s_and_b32 s2, s2, s5
	s_wait_alu 0xfffe
	v_cndmask_b32_e64 v25, v26, v23, s2
	v_and_b32_e32 v23, 2, v11
	s_delay_alu instid0(VALU_DEP_2) | instskip(NEXT) | instid1(VALU_DEP_2)
	v_and_b32_e32 v25, 1, v25
	v_cmp_ne_u32_e64 s2, 0, v23
	s_delay_alu instid0(VALU_DEP_2)
	v_cmp_eq_u32_e64 s3, 1, v25
	s_and_saveexec_b32 s4, s3
	s_wait_alu 0xfffe
	s_xor_b32 s3, exec_lo, s4
	s_cbranch_execz .LBB44_15
; %bb.14:
	ds_load_2addr_b64 v[25:28], v19 offset1:2
	ds_store_2addr_b64 v16, v[2:3], v[0:1] offset1:2
	s_wait_dscnt 0x1
	ds_store_2addr_b64 v19, v[27:28], v[25:26] offset1:2
	ds_store_b8 v18, v24
	ds_store_b8 v18, v22 offset:2
.LBB44_15:
	s_wait_alu 0xfffe
	s_or_b32 exec_lo, exec_lo, s3
	s_wait_loadcnt_dscnt 0x0
	s_barrier_signal -1
	s_barrier_wait -1
	global_inv scope:SCOPE_SE
	ds_load_b128 v[0:3], v9
	ds_load_u16 v22, v10
	v_lshrrev_b32_e32 v24, 1, v23
	v_cndmask_b32_e64 v26, 0, 1, s2
	s_wait_dscnt 0x1
	v_cmp_u_f64_e64 s3, v[2:3], v[2:3]
	v_cmp_o_f64_e64 s4, v[0:1], v[0:1]
	v_cmp_lt_f64_e64 s5, v[0:1], v[2:3]
	s_wait_dscnt 0x0
	v_lshrrev_b16 v23, 8, v22
	v_and_b32_e32 v25, 1, v22
	s_delay_alu instid0(VALU_DEP_2) | instskip(NEXT) | instid1(VALU_DEP_2)
	v_cmp_ne_u16_e64 s6, v23, v24
	v_cmp_eq_u32_e64 s2, 1, v25
	s_wait_alu 0xf1ff
	s_delay_alu instid0(VALU_DEP_2)
	v_cndmask_b32_e64 v24, 0, 1, s6
	s_and_b32 s3, s3, s4
	s_wait_alu 0xfffe
	s_or_b32 s3, s3, s5
	s_wait_alu 0xfffe
	s_and_b32 s2, s3, s2
	s_mov_b32 s3, exec_lo
	s_wait_alu 0xfffe
	v_cndmask_b32_e64 v24, v24, v26, s2
	s_delay_alu instid0(VALU_DEP_1) | instskip(NEXT) | instid1(VALU_DEP_1)
	v_and_b32_e32 v24, 1, v24
	v_cmpx_eq_u32_e32 1, v24
	s_cbranch_execz .LBB44_17
; %bb.16:
	ds_load_b128 v[24:27], v21
	v_mov_b32_e32 v30, v0
	v_lshlrev_b16 v0, 8, v22
	v_dual_mov_b32 v28, v2 :: v_dual_mov_b32 v29, v3
	v_mov_b32_e32 v31, v1
	s_delay_alu instid0(VALU_DEP_3)
	v_or_b32_e32 v0, v23, v0
	s_wait_dscnt 0x0
	v_dual_mov_b32 v32, v26 :: v_dual_mov_b32 v35, v25
	v_dual_mov_b32 v33, v27 :: v_dual_mov_b32 v34, v24
	ds_store_b128 v21, v[32:35]
	ds_store_b128 v9, v[28:31]
	ds_store_b16 v10, v0
.LBB44_17:
	s_or_b32 exec_lo, exec_lo, s3
	v_and_b32_e32 v0, 3, v11
	s_wait_loadcnt_dscnt 0x0
	s_barrier_signal -1
	s_barrier_wait -1
	global_inv scope:SCOPE_SE
	v_sub_nc_u32_e32 v24, v20, v0
	v_bfe_u32 v23, v11, 2, 1
	s_delay_alu instid0(VALU_DEP_2)
	v_lshl_add_u32 v21, v24, 3, v15
	v_add_nc_u32_e32 v22, v17, v24
	v_lshl_add_u32 v24, v24, 3, v14
	ds_load_2addr_b64 v[0:3], v21 offset1:4
	ds_load_u8 v25, v22
	ds_load_u8 v26, v22 offset:4
	s_wait_dscnt 0x1
	v_and_b32_e32 v27, 1, v25
	v_cmp_u_f64_e64 s2, v[2:3], v[2:3]
	v_cmp_o_f64_e64 s3, v[0:1], v[0:1]
	v_cmp_lt_f64_e64 s4, v[0:1], v[2:3]
	s_wait_dscnt 0x0
	v_cmp_ne_u16_e64 s5, v26, v23
	s_wait_alu 0xf1ff
	s_delay_alu instid0(VALU_DEP_1)
	v_cndmask_b32_e64 v28, 0, 1, s5
	v_cmp_eq_u32_e64 s5, 1, v27
	s_and_b32 s2, s2, s3
	s_wait_alu 0xfffe
	s_or_b32 s2, s2, s4
	s_mov_b32 s4, exec_lo
	s_wait_alu 0xfffe
	s_and_b32 s2, s2, s5
	s_wait_alu 0xfffe
	v_cndmask_b32_e64 v27, v28, v23, s2
	v_and_b32_e32 v23, 4, v11
	s_delay_alu instid0(VALU_DEP_2) | instskip(NEXT) | instid1(VALU_DEP_2)
	v_and_b32_e32 v27, 1, v27
	v_cmp_ne_u32_e64 s2, 0, v23
	s_delay_alu instid0(VALU_DEP_2)
	v_cmpx_eq_u32_e32 1, v27
	s_cbranch_execz .LBB44_19
; %bb.18:
	ds_load_2addr_b64 v[27:30], v24 offset1:4
	ds_store_2addr_b64 v21, v[2:3], v[0:1] offset1:4
	s_wait_dscnt 0x1
	ds_store_2addr_b64 v24, v[29:30], v[27:28] offset1:4
	ds_store_b8 v22, v26
	ds_store_b8 v22, v25 offset:4
.LBB44_19:
	s_or_b32 exec_lo, exec_lo, s4
	s_wait_loadcnt_dscnt 0x0
	s_barrier_signal -1
	s_barrier_wait -1
	global_inv scope:SCOPE_SE
	ds_load_2addr_b64 v[0:3], v16 offset1:2
	ds_load_u8 v26, v18
	ds_load_u8 v27, v18 offset:2
	v_lshrrev_b32_e32 v23, 2, v23
	v_cndmask_b32_e64 v25, 0, 1, s2
	s_wait_dscnt 0x1
	v_and_b32_e32 v28, 1, v26
	v_cmp_u_f64_e64 s3, v[2:3], v[2:3]
	v_cmp_o_f64_e64 s4, v[0:1], v[0:1]
	v_cmp_lt_f64_e64 s5, v[0:1], v[2:3]
	s_wait_dscnt 0x0
	v_cmp_ne_u16_e64 s2, v27, v23
	s_wait_alu 0xf1ff
	s_delay_alu instid0(VALU_DEP_1)
	v_cndmask_b32_e64 v29, 0, 1, s2
	v_cmp_eq_u32_e64 s2, 1, v28
	s_and_b32 s3, s3, s4
	s_wait_alu 0xfffe
	s_or_b32 s3, s3, s5
	s_wait_alu 0xfffe
	s_and_b32 s2, s3, s2
	s_mov_b32 s3, exec_lo
	s_wait_alu 0xfffe
	v_cndmask_b32_e64 v28, v29, v25, s2
	s_delay_alu instid0(VALU_DEP_1) | instskip(NEXT) | instid1(VALU_DEP_1)
	v_and_b32_e32 v28, 1, v28
	v_cmpx_eq_u32_e32 1, v28
	s_cbranch_execz .LBB44_21
; %bb.20:
	ds_load_2addr_b64 v[28:31], v19 offset1:2
	ds_store_2addr_b64 v16, v[2:3], v[0:1] offset1:2
	s_wait_dscnt 0x1
	ds_store_2addr_b64 v19, v[30:31], v[28:29] offset1:2
	ds_store_b8 v18, v27
	ds_store_b8 v18, v26 offset:2
.LBB44_21:
	s_or_b32 exec_lo, exec_lo, s3
	s_wait_loadcnt_dscnt 0x0
	s_barrier_signal -1
	s_barrier_wait -1
	global_inv scope:SCOPE_SE
	ds_load_b128 v[0:3], v9
	ds_load_u16 v27, v10
	s_wait_dscnt 0x1
	v_cmp_u_f64_e64 s2, v[2:3], v[2:3]
	v_cmp_o_f64_e64 s3, v[0:1], v[0:1]
	v_cmp_lt_f64_e64 s4, v[0:1], v[2:3]
	s_wait_dscnt 0x0
	v_lshrrev_b16 v26, 8, v27
	v_and_b32_e32 v28, 1, v27
	s_delay_alu instid0(VALU_DEP_2) | instskip(NEXT) | instid1(VALU_DEP_2)
	v_cmp_ne_u16_e64 s6, v26, v23
	v_cmp_eq_u32_e64 s5, 1, v28
	s_wait_alu 0xf1ff
	s_delay_alu instid0(VALU_DEP_2)
	v_cndmask_b32_e64 v23, 0, 1, s6
	s_and_b32 s2, s2, s3
	s_wait_alu 0xfffe
	s_or_b32 s2, s2, s4
	s_wait_alu 0xfffe
	s_and_b32 s2, s2, s5
	s_wait_alu 0xfffe
	v_cndmask_b32_e64 v23, v23, v25, s2
	s_delay_alu instid0(VALU_DEP_1) | instskip(NEXT) | instid1(VALU_DEP_1)
	v_and_b32_e32 v23, 1, v23
	v_cmp_eq_u32_e64 s2, 1, v23
	v_lshl_add_u32 v23, v20, 3, v14
	s_and_saveexec_b32 s3, s2
	s_cbranch_execz .LBB44_23
; %bb.22:
	ds_load_b128 v[28:31], v23
	v_mov_b32_e32 v34, v0
	v_lshlrev_b16 v0, 8, v27
	v_dual_mov_b32 v32, v2 :: v_dual_mov_b32 v33, v3
	v_mov_b32_e32 v35, v1
	s_delay_alu instid0(VALU_DEP_3)
	v_or_b32_e32 v0, v26, v0
	s_wait_dscnt 0x0
	v_dual_mov_b32 v36, v30 :: v_dual_mov_b32 v39, v29
	v_dual_mov_b32 v37, v31 :: v_dual_mov_b32 v38, v28
	ds_store_b128 v23, v[36:39]
	ds_store_b128 v9, v[32:35]
	ds_store_b16 v10, v0
.LBB44_23:
	s_wait_alu 0xfffe
	s_or_b32 exec_lo, exec_lo, s3
	v_and_b32_e32 v0, 7, v11
	s_wait_loadcnt_dscnt 0x0
	s_barrier_signal -1
	s_barrier_wait -1
	global_inv scope:SCOPE_SE
	v_sub_nc_u32_e32 v27, v20, v0
	v_bfe_u32 v28, v11, 3, 1
	s_delay_alu instid0(VALU_DEP_2)
	v_lshl_add_u32 v25, v27, 3, v15
	v_add_nc_u32_e32 v26, v17, v27
	v_lshl_add_u32 v27, v27, 3, v14
	ds_load_2addr_b64 v[0:3], v25 offset1:8
	ds_load_u8 v29, v26
	ds_load_u8 v30, v26 offset:8
	s_wait_dscnt 0x1
	v_and_b32_e32 v31, 1, v29
	v_cmp_u_f64_e64 s2, v[2:3], v[2:3]
	v_cmp_o_f64_e64 s3, v[0:1], v[0:1]
	v_cmp_lt_f64_e64 s4, v[0:1], v[2:3]
	s_wait_dscnt 0x0
	v_cmp_ne_u16_e64 s5, v30, v28
	s_wait_alu 0xf1ff
	s_delay_alu instid0(VALU_DEP_1)
	v_cndmask_b32_e64 v32, 0, 1, s5
	v_cmp_eq_u32_e64 s5, 1, v31
	s_and_b32 s2, s2, s3
	s_wait_alu 0xfffe
	s_or_b32 s2, s2, s4
	s_mov_b32 s4, exec_lo
	s_wait_alu 0xfffe
	s_and_b32 s2, s2, s5
	s_wait_alu 0xfffe
	v_cndmask_b32_e64 v31, v32, v28, s2
	v_and_b32_e32 v28, 8, v11
	s_delay_alu instid0(VALU_DEP_2) | instskip(NEXT) | instid1(VALU_DEP_2)
	v_and_b32_e32 v31, 1, v31
	v_cmp_ne_u32_e64 s2, 0, v28
	s_delay_alu instid0(VALU_DEP_2)
	v_cmpx_eq_u32_e32 1, v31
	s_cbranch_execz .LBB44_25
; %bb.24:
	ds_load_2addr_b64 v[31:34], v27 offset1:8
	ds_store_2addr_b64 v25, v[2:3], v[0:1] offset1:8
	s_wait_dscnt 0x1
	ds_store_2addr_b64 v27, v[33:34], v[31:32] offset1:8
	ds_store_b8 v26, v30
	ds_store_b8 v26, v29 offset:8
.LBB44_25:
	s_or_b32 exec_lo, exec_lo, s4
	s_wait_loadcnt_dscnt 0x0
	s_barrier_signal -1
	s_barrier_wait -1
	global_inv scope:SCOPE_SE
	ds_load_2addr_b64 v[0:3], v21 offset1:4
	ds_load_u8 v30, v22
	ds_load_u8 v31, v22 offset:4
	v_lshrrev_b32_e32 v28, 3, v28
	v_cndmask_b32_e64 v29, 0, 1, s2
	s_wait_dscnt 0x1
	v_and_b32_e32 v32, 1, v30
	v_cmp_u_f64_e64 s3, v[2:3], v[2:3]
	v_cmp_o_f64_e64 s4, v[0:1], v[0:1]
	v_cmp_lt_f64_e64 s5, v[0:1], v[2:3]
	s_wait_dscnt 0x0
	v_cmp_ne_u16_e64 s2, v31, v28
	s_wait_alu 0xf1ff
	s_delay_alu instid0(VALU_DEP_1)
	v_cndmask_b32_e64 v33, 0, 1, s2
	v_cmp_eq_u32_e64 s2, 1, v32
	s_and_b32 s3, s3, s4
	s_wait_alu 0xfffe
	s_or_b32 s3, s3, s5
	s_wait_alu 0xfffe
	s_and_b32 s2, s3, s2
	s_mov_b32 s3, exec_lo
	s_wait_alu 0xfffe
	v_cndmask_b32_e64 v32, v33, v29, s2
	s_delay_alu instid0(VALU_DEP_1) | instskip(NEXT) | instid1(VALU_DEP_1)
	v_and_b32_e32 v32, 1, v32
	v_cmpx_eq_u32_e32 1, v32
	s_cbranch_execz .LBB44_27
; %bb.26:
	ds_load_2addr_b64 v[32:35], v24 offset1:4
	ds_store_2addr_b64 v21, v[2:3], v[0:1] offset1:4
	s_wait_dscnt 0x1
	ds_store_2addr_b64 v24, v[34:35], v[32:33] offset1:4
	ds_store_b8 v22, v31
	ds_store_b8 v22, v30 offset:4
.LBB44_27:
	s_or_b32 exec_lo, exec_lo, s3
	s_wait_loadcnt_dscnt 0x0
	s_barrier_signal -1
	s_barrier_wait -1
	global_inv scope:SCOPE_SE
	ds_load_2addr_b64 v[0:3], v16 offset1:2
	ds_load_u8 v30, v18
	ds_load_u8 v31, v18 offset:2
	s_wait_dscnt 0x1
	v_and_b32_e32 v32, 1, v30
	v_cmp_u_f64_e64 s2, v[2:3], v[2:3]
	v_cmp_o_f64_e64 s3, v[0:1], v[0:1]
	v_cmp_lt_f64_e64 s4, v[0:1], v[2:3]
	s_wait_dscnt 0x0
	v_cmp_ne_u16_e64 s5, v31, v28
	s_wait_alu 0xf1ff
	s_delay_alu instid0(VALU_DEP_1)
	v_cndmask_b32_e64 v33, 0, 1, s5
	v_cmp_eq_u32_e64 s5, 1, v32
	s_and_b32 s2, s2, s3
	s_mov_b32 s3, exec_lo
	s_wait_alu 0xfffe
	s_or_b32 s2, s2, s4
	s_wait_alu 0xfffe
	s_and_b32 s2, s2, s5
	s_wait_alu 0xfffe
	v_cndmask_b32_e64 v32, v33, v29, s2
	s_delay_alu instid0(VALU_DEP_1) | instskip(NEXT) | instid1(VALU_DEP_1)
	v_and_b32_e32 v32, 1, v32
	v_cmpx_eq_u32_e32 1, v32
	s_cbranch_execz .LBB44_29
; %bb.28:
	ds_load_2addr_b64 v[32:35], v19 offset1:2
	ds_store_2addr_b64 v16, v[2:3], v[0:1] offset1:2
	s_wait_dscnt 0x1
	ds_store_2addr_b64 v19, v[34:35], v[32:33] offset1:2
	ds_store_b8 v18, v31
	ds_store_b8 v18, v30 offset:2
.LBB44_29:
	s_or_b32 exec_lo, exec_lo, s3
	s_wait_loadcnt_dscnt 0x0
	s_barrier_signal -1
	s_barrier_wait -1
	global_inv scope:SCOPE_SE
	ds_load_b128 v[0:3], v9
	ds_load_u16 v31, v10
	s_wait_dscnt 0x1
	v_cmp_u_f64_e64 s2, v[2:3], v[2:3]
	v_cmp_o_f64_e64 s3, v[0:1], v[0:1]
	v_cmp_lt_f64_e64 s4, v[0:1], v[2:3]
	s_wait_dscnt 0x0
	v_lshrrev_b16 v30, 8, v31
	v_and_b32_e32 v32, 1, v31
	s_delay_alu instid0(VALU_DEP_2) | instskip(NEXT) | instid1(VALU_DEP_2)
	v_cmp_ne_u16_e64 s6, v30, v28
	v_cmp_eq_u32_e64 s5, 1, v32
	s_wait_alu 0xf1ff
	s_delay_alu instid0(VALU_DEP_2)
	v_cndmask_b32_e64 v28, 0, 1, s6
	s_and_b32 s2, s2, s3
	s_mov_b32 s3, exec_lo
	s_wait_alu 0xfffe
	s_or_b32 s2, s2, s4
	s_wait_alu 0xfffe
	s_and_b32 s2, s2, s5
	s_wait_alu 0xfffe
	v_cndmask_b32_e64 v28, v28, v29, s2
	s_delay_alu instid0(VALU_DEP_1) | instskip(NEXT) | instid1(VALU_DEP_1)
	v_and_b32_e32 v28, 1, v28
	v_cmpx_eq_u32_e32 1, v28
	s_cbranch_execz .LBB44_31
; %bb.30:
	ds_load_b128 v[32:35], v23
	v_mov_b32_e32 v38, v0
	v_lshlrev_b16 v0, 8, v31
	v_dual_mov_b32 v36, v2 :: v_dual_mov_b32 v37, v3
	v_mov_b32_e32 v39, v1
	s_delay_alu instid0(VALU_DEP_3)
	v_or_b32_e32 v0, v30, v0
	s_wait_dscnt 0x0
	v_dual_mov_b32 v40, v34 :: v_dual_mov_b32 v43, v33
	v_dual_mov_b32 v41, v35 :: v_dual_mov_b32 v42, v32
	ds_store_b128 v23, v[40:43]
	ds_store_b128 v9, v[36:39]
	ds_store_b16 v10, v0
.LBB44_31:
	s_or_b32 exec_lo, exec_lo, s3
	v_and_b32_e32 v0, 15, v11
	s_wait_loadcnt_dscnt 0x0
	s_barrier_signal -1
	s_barrier_wait -1
	global_inv scope:SCOPE_SE
	v_sub_nc_u32_e32 v20, v20, v0
	s_delay_alu instid0(VALU_DEP_1)
	v_lshl_add_u32 v15, v20, 3, v15
	v_add_nc_u32_e32 v17, v17, v20
	ds_load_2addr_b64 v[0:3], v15 offset1:16
	ds_load_u8 v28, v17
	ds_load_u8 v29, v17 offset:16
	s_wait_dscnt 0x1
	v_and_b32_e32 v30, 1, v28
	v_cmp_u_f64_e64 s2, v[2:3], v[2:3]
	v_cmp_o_f64_e64 s3, v[0:1], v[0:1]
	v_cmp_lt_f64_e64 s4, v[0:1], v[2:3]
	s_wait_dscnt 0x0
	v_and_b32_e32 v29, 0xff, v29
	v_cmp_eq_u32_e64 s5, 1, v30
	s_and_b32 s2, s2, s3
	s_wait_alu 0xfffe
	s_or_b32 s3, s2, s4
	v_cmp_ne_u16_e64 s2, 0, v29
	s_wait_alu 0xfffe
	s_and_b32 s3, s3, s5
	s_wait_alu 0xfffe
	s_xor_b32 s3, s3, -1
	s_wait_alu 0xfffe
	s_and_b32 s3, s3, s2
	s_wait_alu 0xfffe
	s_and_saveexec_b32 s2, s3
	s_cbranch_execz .LBB44_33
; %bb.32:
	v_lshl_add_u32 v14, v20, 3, v14
	v_mov_b32_e32 v20, 1
	ds_load_2addr_b64 v[29:32], v14 offset1:16
	ds_store_2addr_b64 v15, v[2:3], v[0:1] offset1:16
	s_wait_dscnt 0x1
	ds_store_2addr_b64 v14, v[31:32], v[29:30] offset1:16
	ds_store_b8 v17, v20
	ds_store_b8 v17, v28 offset:16
.LBB44_33:
	s_wait_alu 0xfffe
	s_or_b32 exec_lo, exec_lo, s2
	s_wait_loadcnt_dscnt 0x0
	s_barrier_signal -1
	s_barrier_wait -1
	global_inv scope:SCOPE_SE
	ds_load_2addr_b64 v[0:3], v25 offset1:8
	ds_load_u8 v14, v26
	ds_load_u8 v15, v26 offset:8
	s_wait_dscnt 0x1
	v_and_b32_e32 v17, 1, v14
	v_cmp_u_f64_e64 s2, v[2:3], v[2:3]
	v_cmp_o_f64_e64 s3, v[0:1], v[0:1]
	v_cmp_lt_f64_e64 s4, v[0:1], v[2:3]
	s_wait_dscnt 0x0
	v_and_b32_e32 v15, 0xff, v15
	v_cmp_eq_u32_e64 s5, 1, v17
	s_and_b32 s2, s2, s3
	s_wait_alu 0xfffe
	s_or_b32 s3, s2, s4
	v_cmp_ne_u16_e64 s2, 0, v15
	s_wait_alu 0xfffe
	s_and_b32 s3, s3, s5
	s_wait_alu 0xfffe
	s_xor_b32 s3, s3, -1
	s_wait_alu 0xfffe
	s_and_b32 s3, s3, s2
	s_wait_alu 0xfffe
	s_and_saveexec_b32 s2, s3
	s_cbranch_execz .LBB44_35
; %bb.34:
	ds_load_2addr_b64 v[28:31], v27 offset1:8
	v_mov_b32_e32 v15, 1
	ds_store_2addr_b64 v25, v[2:3], v[0:1] offset1:8
	s_wait_dscnt 0x1
	ds_store_2addr_b64 v27, v[30:31], v[28:29] offset1:8
	ds_store_b8 v26, v15
	ds_store_b8 v26, v14 offset:8
.LBB44_35:
	s_wait_alu 0xfffe
	s_or_b32 exec_lo, exec_lo, s2
	s_wait_loadcnt_dscnt 0x0
	s_barrier_signal -1
	s_barrier_wait -1
	global_inv scope:SCOPE_SE
	ds_load_2addr_b64 v[0:3], v21 offset1:4
	ds_load_u8 v14, v22
	ds_load_u8 v15, v22 offset:4
	s_wait_dscnt 0x1
	v_and_b32_e32 v17, 1, v14
	v_cmp_u_f64_e64 s2, v[2:3], v[2:3]
	v_cmp_o_f64_e64 s3, v[0:1], v[0:1]
	v_cmp_lt_f64_e64 s4, v[0:1], v[2:3]
	s_wait_dscnt 0x0
	v_and_b32_e32 v15, 0xff, v15
	v_cmp_eq_u32_e64 s5, 1, v17
	s_and_b32 s2, s2, s3
	s_wait_alu 0xfffe
	s_or_b32 s3, s2, s4
	v_cmp_ne_u16_e64 s2, 0, v15
	s_wait_alu 0xfffe
	s_and_b32 s3, s3, s5
	s_wait_alu 0xfffe
	s_xor_b32 s3, s3, -1
	s_wait_alu 0xfffe
	s_and_b32 s3, s3, s2
	s_wait_alu 0xfffe
	s_and_saveexec_b32 s2, s3
	s_cbranch_execz .LBB44_37
; %bb.36:
	ds_load_2addr_b64 v[25:28], v24 offset1:4
	v_mov_b32_e32 v15, 1
	ds_store_2addr_b64 v21, v[2:3], v[0:1] offset1:4
	s_wait_dscnt 0x1
	ds_store_2addr_b64 v24, v[27:28], v[25:26] offset1:4
	ds_store_b8 v22, v15
	ds_store_b8 v22, v14 offset:4
.LBB44_37:
	;; [unrolled: 39-line block ×3, first 2 shown]
	s_wait_alu 0xfffe
	s_or_b32 exec_lo, exec_lo, s2
	s_wait_loadcnt_dscnt 0x0
	s_barrier_signal -1
	s_barrier_wait -1
	global_inv scope:SCOPE_SE
	ds_load_b128 v[0:3], v9
	ds_load_u16 v14, v10
	s_wait_dscnt 0x1
	v_cmp_u_f64_e64 s2, v[2:3], v[2:3]
	v_cmp_o_f64_e64 s3, v[0:1], v[0:1]
	v_cmp_lt_f64_e64 s4, v[0:1], v[2:3]
	s_wait_dscnt 0x0
	v_and_b32_e32 v15, 1, v14
	v_lshrrev_b16 v16, 8, v14
	s_delay_alu instid0(VALU_DEP_2)
	v_cmp_eq_u32_e64 s5, 1, v15
	s_and_b32 s2, s2, s3
	s_wait_alu 0xfffe
	s_or_b32 s3, s2, s4
	v_cmp_ne_u16_e64 s2, 0, v16
	s_wait_alu 0xfffe
	s_and_b32 s3, s3, s5
	s_wait_alu 0xfffe
	s_xor_b32 s3, s3, -1
	s_wait_alu 0xfffe
	s_and_b32 s3, s3, s2
	s_wait_alu 0xfffe
	s_and_saveexec_b32 s2, s3
	s_cbranch_execz .LBB44_41
; %bb.40:
	ds_load_b128 v[15:18], v23
	v_mov_b32_e32 v21, v0
	v_lshlrev_b16 v0, 8, v14
	v_dual_mov_b32 v19, v2 :: v_dual_mov_b32 v20, v3
	v_mov_b32_e32 v22, v1
	s_delay_alu instid0(VALU_DEP_3)
	v_or_b32_e32 v0, 1, v0
	s_wait_dscnt 0x0
	v_dual_mov_b32 v24, v17 :: v_dual_mov_b32 v25, v18
	v_dual_mov_b32 v26, v15 :: v_dual_mov_b32 v27, v16
	ds_store_b128 v23, v[24:27]
	ds_store_b128 v9, v[19:22]
	ds_store_b16 v10, v0
.LBB44_41:
	s_wait_alu 0xfffe
	s_or_b32 exec_lo, exec_lo, s2
	s_wait_loadcnt_dscnt 0x0
	s_barrier_signal -1
	s_barrier_wait -1
	global_inv scope:SCOPE_SE
	s_and_saveexec_b32 s2, s0
	s_cbranch_execz .LBB44_46
; %bb.42:
	s_and_saveexec_b32 s0, vcc_lo
	s_cbranch_execz .LBB44_44
; %bb.43:
	v_mad_co_u64_u32 v[0:1], null, v11, s10, v[6:7]
	v_mov_b32_e32 v1, 0
	v_mad_co_u64_u32 v[2:3], null, v11, s7, v[4:5]
	ds_load_b64 v[9:10], v12
	ds_load_b64 v[11:12], v13
	v_mov_b32_e32 v3, v1
	v_lshlrev_b64_e32 v[0:1], 3, v[0:1]
	s_delay_alu instid0(VALU_DEP_2) | instskip(NEXT) | instid1(VALU_DEP_2)
	v_lshlrev_b64_e32 v[2:3], 3, v[2:3]
	v_add_co_u32 v0, vcc_lo, s14, v0
	s_wait_alu 0xfffd
	s_delay_alu instid0(VALU_DEP_3) | instskip(NEXT) | instid1(VALU_DEP_3)
	v_add_co_ci_u32_e64 v1, null, s15, v1, vcc_lo
	v_add_co_u32 v2, vcc_lo, s12, v2
	s_wait_alu 0xfffd
	v_add_co_ci_u32_e64 v3, null, s13, v3, vcc_lo
	s_wait_dscnt 0x1
	global_store_b64 v[0:1], v[9:10], off
	s_wait_dscnt 0x0
	global_store_b64 v[2:3], v[11:12], off
.LBB44_44:
	s_wait_alu 0xfffe
	s_or_b32 exec_lo, exec_lo, s0
	s_delay_alu instid0(SALU_CYCLE_1)
	s_and_b32 exec_lo, exec_lo, s1
	s_cbranch_execz .LBB44_46
; %bb.45:
	v_mad_co_u64_u32 v[0:1], null, v5, s10, v[6:7]
	v_mov_b32_e32 v1, 0
	v_mad_co_u64_u32 v[2:3], null, v5, s7, v[4:5]
	ds_load_b64 v[4:5], v7
	ds_load_b64 v[6:7], v8
	v_mov_b32_e32 v3, v1
	v_lshlrev_b64_e32 v[0:1], 3, v[0:1]
	s_delay_alu instid0(VALU_DEP_2) | instskip(NEXT) | instid1(VALU_DEP_2)
	v_lshlrev_b64_e32 v[2:3], 3, v[2:3]
	v_add_co_u32 v0, vcc_lo, s14, v0
	s_wait_alu 0xfffd
	s_delay_alu instid0(VALU_DEP_3) | instskip(NEXT) | instid1(VALU_DEP_3)
	v_add_co_ci_u32_e64 v1, null, s15, v1, vcc_lo
	v_add_co_u32 v2, vcc_lo, s12, v2
	s_wait_alu 0xfffd
	v_add_co_ci_u32_e64 v3, null, s13, v3, vcc_lo
	s_wait_dscnt 0x1
	global_store_b64 v[0:1], v[4:5], off
	s_wait_dscnt 0x0
	global_store_b64 v[2:3], v[6:7], off
.LBB44_46:
	s_endpgm
	.section	.rodata,"a",@progbits
	.p2align	6, 0x0
	.amdhsa_kernel _ZN2at6native20bitonicSortKVInPlaceILin1ELin1ELi16ELi16EdlNS0_4LTOpIdLb1EEEjEEvNS_4cuda6detail10TensorInfoIT3_T6_EES8_S8_S8_NS6_IT4_S8_EES8_T5_
		.amdhsa_group_segment_fixed_size 8704
		.amdhsa_private_segment_fixed_size 0
		.amdhsa_kernarg_size 712
		.amdhsa_user_sgpr_count 2
		.amdhsa_user_sgpr_dispatch_ptr 0
		.amdhsa_user_sgpr_queue_ptr 0
		.amdhsa_user_sgpr_kernarg_segment_ptr 1
		.amdhsa_user_sgpr_dispatch_id 0
		.amdhsa_user_sgpr_private_segment_size 0
		.amdhsa_wavefront_size32 1
		.amdhsa_uses_dynamic_stack 0
		.amdhsa_enable_private_segment 0
		.amdhsa_system_sgpr_workgroup_id_x 1
		.amdhsa_system_sgpr_workgroup_id_y 1
		.amdhsa_system_sgpr_workgroup_id_z 1
		.amdhsa_system_sgpr_workgroup_info 0
		.amdhsa_system_vgpr_workitem_id 1
		.amdhsa_next_free_vgpr 44
		.amdhsa_next_free_sgpr 16
		.amdhsa_reserve_vcc 1
		.amdhsa_float_round_mode_32 0
		.amdhsa_float_round_mode_16_64 0
		.amdhsa_float_denorm_mode_32 3
		.amdhsa_float_denorm_mode_16_64 3
		.amdhsa_fp16_overflow 0
		.amdhsa_workgroup_processor_mode 1
		.amdhsa_memory_ordered 1
		.amdhsa_forward_progress 1
		.amdhsa_inst_pref_size 42
		.amdhsa_round_robin_scheduling 0
		.amdhsa_exception_fp_ieee_invalid_op 0
		.amdhsa_exception_fp_denorm_src 0
		.amdhsa_exception_fp_ieee_div_zero 0
		.amdhsa_exception_fp_ieee_overflow 0
		.amdhsa_exception_fp_ieee_underflow 0
		.amdhsa_exception_fp_ieee_inexact 0
		.amdhsa_exception_int_div_zero 0
	.end_amdhsa_kernel
	.section	.text._ZN2at6native20bitonicSortKVInPlaceILin1ELin1ELi16ELi16EdlNS0_4LTOpIdLb1EEEjEEvNS_4cuda6detail10TensorInfoIT3_T6_EES8_S8_S8_NS6_IT4_S8_EES8_T5_,"axG",@progbits,_ZN2at6native20bitonicSortKVInPlaceILin1ELin1ELi16ELi16EdlNS0_4LTOpIdLb1EEEjEEvNS_4cuda6detail10TensorInfoIT3_T6_EES8_S8_S8_NS6_IT4_S8_EES8_T5_,comdat
.Lfunc_end44:
	.size	_ZN2at6native20bitonicSortKVInPlaceILin1ELin1ELi16ELi16EdlNS0_4LTOpIdLb1EEEjEEvNS_4cuda6detail10TensorInfoIT3_T6_EES8_S8_S8_NS6_IT4_S8_EES8_T5_, .Lfunc_end44-_ZN2at6native20bitonicSortKVInPlaceILin1ELin1ELi16ELi16EdlNS0_4LTOpIdLb1EEEjEEvNS_4cuda6detail10TensorInfoIT3_T6_EES8_S8_S8_NS6_IT4_S8_EES8_T5_
                                        ; -- End function
	.set _ZN2at6native20bitonicSortKVInPlaceILin1ELin1ELi16ELi16EdlNS0_4LTOpIdLb1EEEjEEvNS_4cuda6detail10TensorInfoIT3_T6_EES8_S8_S8_NS6_IT4_S8_EES8_T5_.num_vgpr, 44
	.set _ZN2at6native20bitonicSortKVInPlaceILin1ELin1ELi16ELi16EdlNS0_4LTOpIdLb1EEEjEEvNS_4cuda6detail10TensorInfoIT3_T6_EES8_S8_S8_NS6_IT4_S8_EES8_T5_.num_agpr, 0
	.set _ZN2at6native20bitonicSortKVInPlaceILin1ELin1ELi16ELi16EdlNS0_4LTOpIdLb1EEEjEEvNS_4cuda6detail10TensorInfoIT3_T6_EES8_S8_S8_NS6_IT4_S8_EES8_T5_.numbered_sgpr, 16
	.set _ZN2at6native20bitonicSortKVInPlaceILin1ELin1ELi16ELi16EdlNS0_4LTOpIdLb1EEEjEEvNS_4cuda6detail10TensorInfoIT3_T6_EES8_S8_S8_NS6_IT4_S8_EES8_T5_.num_named_barrier, 0
	.set _ZN2at6native20bitonicSortKVInPlaceILin1ELin1ELi16ELi16EdlNS0_4LTOpIdLb1EEEjEEvNS_4cuda6detail10TensorInfoIT3_T6_EES8_S8_S8_NS6_IT4_S8_EES8_T5_.private_seg_size, 0
	.set _ZN2at6native20bitonicSortKVInPlaceILin1ELin1ELi16ELi16EdlNS0_4LTOpIdLb1EEEjEEvNS_4cuda6detail10TensorInfoIT3_T6_EES8_S8_S8_NS6_IT4_S8_EES8_T5_.uses_vcc, 1
	.set _ZN2at6native20bitonicSortKVInPlaceILin1ELin1ELi16ELi16EdlNS0_4LTOpIdLb1EEEjEEvNS_4cuda6detail10TensorInfoIT3_T6_EES8_S8_S8_NS6_IT4_S8_EES8_T5_.uses_flat_scratch, 0
	.set _ZN2at6native20bitonicSortKVInPlaceILin1ELin1ELi16ELi16EdlNS0_4LTOpIdLb1EEEjEEvNS_4cuda6detail10TensorInfoIT3_T6_EES8_S8_S8_NS6_IT4_S8_EES8_T5_.has_dyn_sized_stack, 0
	.set _ZN2at6native20bitonicSortKVInPlaceILin1ELin1ELi16ELi16EdlNS0_4LTOpIdLb1EEEjEEvNS_4cuda6detail10TensorInfoIT3_T6_EES8_S8_S8_NS6_IT4_S8_EES8_T5_.has_recursion, 0
	.set _ZN2at6native20bitonicSortKVInPlaceILin1ELin1ELi16ELi16EdlNS0_4LTOpIdLb1EEEjEEvNS_4cuda6detail10TensorInfoIT3_T6_EES8_S8_S8_NS6_IT4_S8_EES8_T5_.has_indirect_call, 0
	.section	.AMDGPU.csdata,"",@progbits
; Kernel info:
; codeLenInByte = 5268
; TotalNumSgprs: 18
; NumVgprs: 44
; ScratchSize: 0
; MemoryBound: 0
; FloatMode: 240
; IeeeMode: 1
; LDSByteSize: 8704 bytes/workgroup (compile time only)
; SGPRBlocks: 0
; VGPRBlocks: 5
; NumSGPRsForWavesPerEU: 18
; NumVGPRsForWavesPerEU: 44
; Occupancy: 16
; WaveLimiterHint : 1
; COMPUTE_PGM_RSRC2:SCRATCH_EN: 0
; COMPUTE_PGM_RSRC2:USER_SGPR: 2
; COMPUTE_PGM_RSRC2:TRAP_HANDLER: 0
; COMPUTE_PGM_RSRC2:TGID_X_EN: 1
; COMPUTE_PGM_RSRC2:TGID_Y_EN: 1
; COMPUTE_PGM_RSRC2:TGID_Z_EN: 1
; COMPUTE_PGM_RSRC2:TIDIG_COMP_CNT: 1
	.section	.text._ZN2at6native20bitonicSortKVInPlaceILin1ELin1ELi16ELi16EdlNS0_4GTOpIdLb1EEEjEEvNS_4cuda6detail10TensorInfoIT3_T6_EES8_S8_S8_NS6_IT4_S8_EES8_T5_,"axG",@progbits,_ZN2at6native20bitonicSortKVInPlaceILin1ELin1ELi16ELi16EdlNS0_4GTOpIdLb1EEEjEEvNS_4cuda6detail10TensorInfoIT3_T6_EES8_S8_S8_NS6_IT4_S8_EES8_T5_,comdat
	.protected	_ZN2at6native20bitonicSortKVInPlaceILin1ELin1ELi16ELi16EdlNS0_4GTOpIdLb1EEEjEEvNS_4cuda6detail10TensorInfoIT3_T6_EES8_S8_S8_NS6_IT4_S8_EES8_T5_ ; -- Begin function _ZN2at6native20bitonicSortKVInPlaceILin1ELin1ELi16ELi16EdlNS0_4GTOpIdLb1EEEjEEvNS_4cuda6detail10TensorInfoIT3_T6_EES8_S8_S8_NS6_IT4_S8_EES8_T5_
	.globl	_ZN2at6native20bitonicSortKVInPlaceILin1ELin1ELi16ELi16EdlNS0_4GTOpIdLb1EEEjEEvNS_4cuda6detail10TensorInfoIT3_T6_EES8_S8_S8_NS6_IT4_S8_EES8_T5_
	.p2align	8
	.type	_ZN2at6native20bitonicSortKVInPlaceILin1ELin1ELi16ELi16EdlNS0_4GTOpIdLb1EEEjEEvNS_4cuda6detail10TensorInfoIT3_T6_EES8_S8_S8_NS6_IT4_S8_EES8_T5_,@function
_ZN2at6native20bitonicSortKVInPlaceILin1ELin1ELi16ELi16EdlNS0_4GTOpIdLb1EEEjEEvNS_4cuda6detail10TensorInfoIT3_T6_EES8_S8_S8_NS6_IT4_S8_EES8_T5_: ; @_ZN2at6native20bitonicSortKVInPlaceILin1ELin1ELi16ELi16EdlNS0_4GTOpIdLb1EEEjEEvNS_4cuda6detail10TensorInfoIT3_T6_EES8_S8_S8_NS6_IT4_S8_EES8_T5_
; %bb.0:
	s_clause 0x2
	s_load_b64 s[2:3], s[0:1], 0x1c8
	s_load_u16 s4, s[0:1], 0x1d6
	s_load_b96 s[8:10], s[0:1], 0xd8
	s_lshr_b32 s5, ttmp7, 16
	s_wait_kmcnt 0x0
	s_mul_i32 s3, s3, s5
	s_and_b32 s5, ttmp7, 0xffff
	s_delay_alu instid0(SALU_CYCLE_1) | instskip(NEXT) | instid1(SALU_CYCLE_1)
	s_add_co_i32 s3, s3, s5
	s_mul_i32 s2, s3, s2
	s_delay_alu instid0(SALU_CYCLE_1) | instskip(NEXT) | instid1(SALU_CYCLE_1)
	s_add_co_i32 s3, s2, ttmp9
	s_mul_i32 s3, s3, s4
	s_delay_alu instid0(SALU_CYCLE_1)
	s_cmp_ge_u32 s3, s8
	s_cbranch_scc1 .LBB45_46
; %bb.1:
	s_load_b32 s2, s[0:1], 0xd0
	v_bfe_u32 v9, v0, 10, 10
	s_delay_alu instid0(VALU_DEP_1) | instskip(NEXT) | instid1(VALU_DEP_1)
	v_dual_mov_b32 v1, 0 :: v_dual_add_nc_u32 v4, s3, v9
	v_mov_b32_e32 v5, v4
	s_wait_kmcnt 0x0
	s_cmp_lt_i32 s2, 2
	s_cbranch_scc1 .LBB45_4
; %bb.2:
	s_add_co_i32 s4, s2, -1
	s_mov_b32 s5, 0
	v_mov_b32_e32 v1, 0
	s_lshl_b64 s[4:5], s[4:5], 2
	v_mov_b32_e32 v5, v4
	s_add_nc_u64 s[6:7], s[0:1], s[4:5]
	s_add_co_i32 s4, s2, 1
	s_add_nc_u64 s[2:3], s[6:7], 8
.LBB45_3:                               ; =>This Inner Loop Header: Depth=1
	s_clause 0x1
	s_load_b32 s5, s[2:3], 0x0
	s_load_b32 s6, s[2:3], 0x64
	s_add_co_i32 s4, s4, -1
	s_add_nc_u64 s[2:3], s[2:3], -4
	s_wait_kmcnt 0x0
	s_cvt_f32_u32 s7, s5
	s_sub_co_i32 s11, 0, s5
	s_wait_alu 0xfffe
	s_delay_alu instid0(SALU_CYCLE_1) | instskip(NEXT) | instid1(TRANS32_DEP_1)
	v_rcp_iflag_f32_e32 v2, s7
	v_readfirstlane_b32 s7, v2
	v_mov_b32_e32 v2, v5
	s_mul_f32 s7, s7, 0x4f7ffffe
	s_wait_alu 0xfffe
	s_delay_alu instid0(SALU_CYCLE_2) | instskip(SKIP_1) | instid1(SALU_CYCLE_2)
	s_cvt_u32_f32 s7, s7
	s_wait_alu 0xfffe
	s_mul_i32 s11, s11, s7
	s_delay_alu instid0(SALU_CYCLE_1) | instskip(NEXT) | instid1(SALU_CYCLE_1)
	s_mul_hi_u32 s11, s7, s11
	s_add_co_i32 s7, s7, s11
	s_cmp_gt_u32 s4, 2
	s_wait_alu 0xfffe
	v_mul_hi_u32 v3, v2, s7
	s_delay_alu instid0(VALU_DEP_1) | instskip(SKIP_1) | instid1(VALU_DEP_2)
	v_mul_lo_u32 v5, v3, s5
	v_add_nc_u32_e32 v6, 1, v3
	v_sub_nc_u32_e32 v5, v2, v5
	s_delay_alu instid0(VALU_DEP_1) | instskip(SKIP_3) | instid1(VALU_DEP_3)
	v_subrev_nc_u32_e32 v7, s5, v5
	v_cmp_le_u32_e32 vcc_lo, s5, v5
	s_wait_alu 0xfffd
	v_cndmask_b32_e32 v3, v3, v6, vcc_lo
	v_cndmask_b32_e32 v5, v5, v7, vcc_lo
	s_delay_alu instid0(VALU_DEP_2) | instskip(NEXT) | instid1(VALU_DEP_2)
	v_add_nc_u32_e32 v6, 1, v3
	v_cmp_le_u32_e32 vcc_lo, s5, v5
	s_wait_alu 0xfffd
	s_delay_alu instid0(VALU_DEP_2) | instskip(NEXT) | instid1(VALU_DEP_1)
	v_cndmask_b32_e32 v5, v3, v6, vcc_lo
	v_mul_lo_u32 v3, v5, s5
	s_delay_alu instid0(VALU_DEP_1) | instskip(NEXT) | instid1(VALU_DEP_1)
	v_sub_nc_u32_e32 v2, v2, v3
	v_mad_co_u64_u32 v[1:2], null, s6, v2, v[1:2]
	s_cbranch_scc1 .LBB45_3
.LBB45_4:
	s_load_b32 s4, s[0:1], 0x1b8
	v_mov_b32_e32 v2, 0
	v_mov_b32_e32 v8, v4
	s_add_nc_u64 s[2:3], s[0:1], 0x1c8
	s_wait_kmcnt 0x0
	s_cmp_lt_i32 s4, 2
	s_cbranch_scc1 .LBB45_7
; %bb.5:
	s_add_co_i32 s6, s4, -1
	s_mov_b32 s7, 0
	v_mov_b32_e32 v2, 0
	s_wait_alu 0xfffe
	s_lshl_b64 s[6:7], s[6:7], 2
	v_mov_b32_e32 v8, v4
	s_wait_alu 0xfffe
	s_add_nc_u64 s[12:13], s[0:1], s[6:7]
	s_add_co_i32 s6, s4, 1
	s_add_nc_u64 s[4:5], s[12:13], 0xf0
.LBB45_6:                               ; =>This Inner Loop Header: Depth=1
	s_clause 0x1
	s_load_b32 s7, s[4:5], 0x0
	s_load_b32 s11, s[4:5], 0x64
	s_add_co_i32 s6, s6, -1
	s_add_nc_u64 s[4:5], s[4:5], -4
	s_wait_kmcnt 0x0
	s_cvt_f32_u32 s12, s7
	s_sub_co_i32 s13, 0, s7
	s_wait_alu 0xfffe
	s_delay_alu instid0(SALU_CYCLE_1) | instskip(NEXT) | instid1(TRANS32_DEP_1)
	v_rcp_iflag_f32_e32 v3, s12
	v_readfirstlane_b32 s12, v3
	v_mov_b32_e32 v3, v8
	s_mul_f32 s12, s12, 0x4f7ffffe
	s_wait_alu 0xfffe
	s_delay_alu instid0(SALU_CYCLE_2) | instskip(SKIP_1) | instid1(SALU_CYCLE_2)
	s_cvt_u32_f32 s12, s12
	s_wait_alu 0xfffe
	s_mul_i32 s13, s13, s12
	s_wait_alu 0xfffe
	s_mul_hi_u32 s13, s12, s13
	s_wait_alu 0xfffe
	s_add_co_i32 s12, s12, s13
	s_cmp_gt_u32 s6, 2
	s_wait_alu 0xfffe
	v_mul_hi_u32 v6, v3, s12
	s_delay_alu instid0(VALU_DEP_1) | instskip(SKIP_1) | instid1(VALU_DEP_2)
	v_mul_lo_u32 v7, v6, s7
	v_add_nc_u32_e32 v8, 1, v6
	v_sub_nc_u32_e32 v7, v3, v7
	s_delay_alu instid0(VALU_DEP_1) | instskip(SKIP_2) | instid1(VALU_DEP_2)
	v_subrev_nc_u32_e32 v10, s7, v7
	v_cmp_le_u32_e32 vcc_lo, s7, v7
	s_wait_alu 0xfffd
	v_dual_cndmask_b32 v6, v6, v8 :: v_dual_cndmask_b32 v7, v7, v10
	s_delay_alu instid0(VALU_DEP_1) | instskip(NEXT) | instid1(VALU_DEP_2)
	v_add_nc_u32_e32 v8, 1, v6
	v_cmp_le_u32_e32 vcc_lo, s7, v7
	s_wait_alu 0xfffd
	s_delay_alu instid0(VALU_DEP_2) | instskip(NEXT) | instid1(VALU_DEP_1)
	v_cndmask_b32_e32 v8, v6, v8, vcc_lo
	v_mul_lo_u32 v6, v8, s7
	s_delay_alu instid0(VALU_DEP_1) | instskip(NEXT) | instid1(VALU_DEP_1)
	v_sub_nc_u32_e32 v3, v3, v6
	v_mad_co_u64_u32 v[2:3], null, s11, v3, v[2:3]
	s_cbranch_scc1 .LBB45_6
.LBB45_7:
	s_clause 0x1
	s_load_b32 s4, s[0:1], 0x6c
	s_load_b32 s5, s[0:1], 0x154
	;; [unrolled: 1-line block ×3, first 2 shown]
	s_clause 0x2
	s_load_b32 s7, s[0:1], 0x1c0
	s_load_b64 s[14:15], s[0:1], 0x0
	s_load_b64 s[12:13], s[0:1], 0xe8
	v_and_b32_e32 v11, 0x3ff, v0
	v_cmp_gt_u32_e64 s0, s8, v4
	s_wait_kmcnt 0x0
	v_mad_co_u64_u32 v[6:7], null, s4, v5, v[1:2]
	v_mad_co_u64_u32 v[4:5], null, s5, v8, v[2:3]
	v_dual_mov_b32 v7, 0 :: v_dual_mov_b32 v0, 0
	v_mov_b32_e32 v8, 0
	v_cmp_gt_u32_e32 vcc_lo, s9, v11
	v_dual_mov_b32 v1, 0 :: v_dual_mov_b32 v2, 0
	v_mov_b32_e32 v3, 0
	s_and_b32 s4, s0, vcc_lo
	s_wait_alu 0xfffe
	s_and_saveexec_b32 s3, s4
	s_cbranch_execz .LBB45_9
; %bb.8:
	v_mad_co_u64_u32 v[2:3], null, v11, s10, v[6:7]
	v_mov_b32_e32 v3, 0
	v_mad_co_u64_u32 v[7:8], null, v11, s7, v[4:5]
	s_delay_alu instid0(VALU_DEP_2) | instskip(NEXT) | instid1(VALU_DEP_4)
	v_mov_b32_e32 v8, v3
	v_lshlrev_b64_e32 v[2:3], 3, v[2:3]
	s_delay_alu instid0(VALU_DEP_2) | instskip(NEXT) | instid1(VALU_DEP_2)
	v_lshlrev_b64_e32 v[7:8], 3, v[7:8]
	v_add_co_u32 v2, s1, s14, v2
	s_delay_alu instid0(VALU_DEP_1) | instskip(NEXT) | instid1(VALU_DEP_3)
	v_add_co_ci_u32_e64 v3, null, s15, v3, s1
	v_add_co_u32 v7, s1, s12, v7
	s_wait_alu 0xf1ff
	s_delay_alu instid0(VALU_DEP_4)
	v_add_co_ci_u32_e64 v8, null, s13, v8, s1
	global_load_b64 v[2:3], v[2:3], off
	global_load_b64 v[7:8], v[7:8], off
.LBB45_9:
	s_wait_alu 0xfffe
	s_or_b32 exec_lo, exec_lo, s3
	v_lshlrev_b32_e32 v15, 8, v9
	s_and_b32 s3, 0xffff, s2
	v_lshlrev_b32_e32 v16, 3, v11
	s_wait_alu 0xfffe
	v_add_nc_u32_e32 v5, s3, v11
	v_lshl_add_u32 v17, v9, 5, 0x2000
	v_mov_b32_e32 v9, 0
	v_mov_b32_e32 v10, 0
	v_add_nc_u32_e32 v14, 0x1000, v15
	v_cmp_gt_u32_e64 s1, s9, v5
	v_add_nc_u32_e32 v12, v15, v16
	v_cndmask_b32_e64 v18, 0, 1, s4
	v_add_nc_u32_e32 v19, v17, v11
	v_add_nc_u32_e32 v13, v14, v16
	s_and_b32 s4, s0, s1
	s_wait_loadcnt 0x1
	ds_store_b64 v12, v[2:3]
	s_wait_loadcnt 0x0
	ds_store_b64 v13, v[7:8]
	ds_store_b8 v19, v18
	s_wait_alu 0xfffe
	s_and_saveexec_b32 s5, s4
	s_cbranch_execz .LBB45_11
; %bb.10:
	v_mad_co_u64_u32 v[0:1], null, v5, s10, v[6:7]
	v_mov_b32_e32 v1, 0
	v_mad_co_u64_u32 v[2:3], null, v5, s7, v[4:5]
	s_delay_alu instid0(VALU_DEP_2) | instskip(NEXT) | instid1(VALU_DEP_4)
	v_mov_b32_e32 v3, v1
	v_lshlrev_b64_e32 v[0:1], 3, v[0:1]
	s_delay_alu instid0(VALU_DEP_2) | instskip(NEXT) | instid1(VALU_DEP_2)
	v_lshlrev_b64_e32 v[2:3], 3, v[2:3]
	v_add_co_u32 v0, s2, s14, v0
	s_wait_alu 0xf1ff
	s_delay_alu instid0(VALU_DEP_3) | instskip(NEXT) | instid1(VALU_DEP_3)
	v_add_co_ci_u32_e64 v1, null, s15, v1, s2
	v_add_co_u32 v2, s2, s12, v2
	s_wait_alu 0xf1ff
	v_add_co_ci_u32_e64 v3, null, s13, v3, s2
	global_load_b64 v[0:1], v[0:1], off
	global_load_b64 v[9:10], v[2:3], off
.LBB45_11:
	s_wait_alu 0xfffe
	s_or_b32 exec_lo, exec_lo, s5
	s_lshl_b32 s2, s3, 3
	v_cndmask_b32_e64 v2, 0, 1, s4
	s_wait_alu 0xfffe
	v_add_nc_u32_e32 v7, s2, v12
	v_add_nc_u32_e32 v8, s2, v13
	;; [unrolled: 1-line block ×3, first 2 shown]
	v_lshlrev_b32_e32 v20, 1, v11
	v_and_b32_e32 v18, 1, v11
	s_wait_loadcnt 0x1
	ds_store_b64 v7, v[0:1]
	s_wait_loadcnt 0x0
	ds_store_b64 v8, v[9:10]
	ds_store_b8 v3, v2
	v_add_nc_u32_e32 v9, v12, v16
	s_wait_dscnt 0x0
	s_barrier_signal -1
	s_barrier_wait -1
	global_inv scope:SCOPE_SE
	ds_load_b128 v[0:3], v9
	v_add_nc_u32_e32 v10, v17, v20
	ds_load_u16 v19, v10
	s_wait_dscnt 0x1
	v_cmp_u_f64_e64 s2, v[0:1], v[0:1]
	v_cmp_o_f64_e64 s3, v[2:3], v[2:3]
	v_cmp_gt_f64_e64 s4, v[0:1], v[2:3]
	s_wait_dscnt 0x0
	v_lshrrev_b16 v22, 8, v19
	v_and_b32_e32 v21, 1, v19
	s_delay_alu instid0(VALU_DEP_2) | instskip(NEXT) | instid1(VALU_DEP_2)
	v_cmp_ne_u16_e64 s6, v22, v18
	v_cmp_eq_u32_e64 s5, 1, v21
	s_wait_alu 0xf1ff
	s_delay_alu instid0(VALU_DEP_2)
	v_cndmask_b32_e64 v21, 0, 1, s6
	s_and_b32 s2, s2, s3
	s_wait_alu 0xfffe
	s_or_b32 s2, s2, s4
	s_wait_alu 0xfffe
	s_and_b32 s2, s2, s5
	s_wait_alu 0xfffe
	v_cndmask_b32_e64 v21, v21, v11, s2
	s_delay_alu instid0(VALU_DEP_1) | instskip(NEXT) | instid1(VALU_DEP_1)
	v_and_b32_e32 v21, 1, v21
	v_cmp_eq_u32_e64 s2, 1, v21
	v_add_nc_u32_e32 v21, v13, v16
	s_and_saveexec_b32 s3, s2
	s_wait_alu 0xfffe
	s_xor_b32 s2, exec_lo, s3
	s_cbranch_execz .LBB45_13
; %bb.12:
	ds_load_b128 v[23:26], v21
	v_mov_b32_e32 v29, v0
	v_lshlrev_b16 v0, 8, v19
	v_dual_mov_b32 v27, v2 :: v_dual_mov_b32 v28, v3
	v_mov_b32_e32 v30, v1
	s_delay_alu instid0(VALU_DEP_3)
	v_or_b32_e32 v0, v22, v0
	s_wait_dscnt 0x0
	v_dual_mov_b32 v31, v25 :: v_dual_mov_b32 v34, v24
	v_dual_mov_b32 v32, v26 :: v_dual_mov_b32 v33, v23
	ds_store_b128 v21, v[31:34]
	ds_store_b128 v9, v[27:30]
	ds_store_b16 v10, v0
.LBB45_13:
	s_wait_alu 0xfffe
	s_or_b32 exec_lo, exec_lo, s2
	v_sub_nc_u32_e32 v19, v20, v18
	s_wait_loadcnt_dscnt 0x0
	s_barrier_signal -1
	s_barrier_wait -1
	global_inv scope:SCOPE_SE
	v_lshl_add_u32 v16, v19, 3, v15
	v_add_nc_u32_e32 v18, v17, v19
	v_bfe_u32 v23, v11, 1, 1
	v_lshl_add_u32 v19, v19, 3, v14
	ds_load_2addr_b64 v[0:3], v16 offset1:2
	ds_load_u8 v22, v18
	ds_load_u8 v24, v18 offset:2
	s_wait_dscnt 0x1
	v_and_b32_e32 v25, 1, v22
	v_cmp_u_f64_e64 s2, v[0:1], v[0:1]
	v_cmp_o_f64_e64 s3, v[2:3], v[2:3]
	v_cmp_gt_f64_e64 s4, v[0:1], v[2:3]
	s_wait_dscnt 0x0
	v_cmp_ne_u16_e64 s5, v24, v23
	s_wait_alu 0xf1ff
	s_delay_alu instid0(VALU_DEP_1)
	v_cndmask_b32_e64 v26, 0, 1, s5
	v_cmp_eq_u32_e64 s5, 1, v25
	s_and_b32 s2, s2, s3
	s_wait_alu 0xfffe
	s_or_b32 s2, s2, s4
	s_wait_alu 0xfffe
	s_and_b32 s2, s2, s5
	s_wait_alu 0xfffe
	v_cndmask_b32_e64 v25, v26, v23, s2
	v_and_b32_e32 v23, 2, v11
	s_delay_alu instid0(VALU_DEP_2) | instskip(NEXT) | instid1(VALU_DEP_2)
	v_and_b32_e32 v25, 1, v25
	v_cmp_ne_u32_e64 s2, 0, v23
	s_delay_alu instid0(VALU_DEP_2)
	v_cmp_eq_u32_e64 s3, 1, v25
	s_and_saveexec_b32 s4, s3
	s_wait_alu 0xfffe
	s_xor_b32 s3, exec_lo, s4
	s_cbranch_execz .LBB45_15
; %bb.14:
	ds_load_2addr_b64 v[25:28], v19 offset1:2
	ds_store_2addr_b64 v16, v[2:3], v[0:1] offset1:2
	s_wait_dscnt 0x1
	ds_store_2addr_b64 v19, v[27:28], v[25:26] offset1:2
	ds_store_b8 v18, v24
	ds_store_b8 v18, v22 offset:2
.LBB45_15:
	s_wait_alu 0xfffe
	s_or_b32 exec_lo, exec_lo, s3
	s_wait_loadcnt_dscnt 0x0
	s_barrier_signal -1
	s_barrier_wait -1
	global_inv scope:SCOPE_SE
	ds_load_b128 v[0:3], v9
	ds_load_u16 v22, v10
	v_lshrrev_b32_e32 v24, 1, v23
	v_cndmask_b32_e64 v26, 0, 1, s2
	s_wait_dscnt 0x1
	v_cmp_u_f64_e64 s3, v[0:1], v[0:1]
	v_cmp_o_f64_e64 s4, v[2:3], v[2:3]
	v_cmp_gt_f64_e64 s5, v[0:1], v[2:3]
	s_wait_dscnt 0x0
	v_lshrrev_b16 v23, 8, v22
	v_and_b32_e32 v25, 1, v22
	s_delay_alu instid0(VALU_DEP_2) | instskip(NEXT) | instid1(VALU_DEP_2)
	v_cmp_ne_u16_e64 s6, v23, v24
	v_cmp_eq_u32_e64 s2, 1, v25
	s_wait_alu 0xf1ff
	s_delay_alu instid0(VALU_DEP_2)
	v_cndmask_b32_e64 v24, 0, 1, s6
	s_and_b32 s3, s3, s4
	s_wait_alu 0xfffe
	s_or_b32 s3, s3, s5
	s_wait_alu 0xfffe
	s_and_b32 s2, s3, s2
	s_mov_b32 s3, exec_lo
	s_wait_alu 0xfffe
	v_cndmask_b32_e64 v24, v24, v26, s2
	s_delay_alu instid0(VALU_DEP_1) | instskip(NEXT) | instid1(VALU_DEP_1)
	v_and_b32_e32 v24, 1, v24
	v_cmpx_eq_u32_e32 1, v24
	s_cbranch_execz .LBB45_17
; %bb.16:
	ds_load_b128 v[24:27], v21
	v_mov_b32_e32 v30, v0
	v_lshlrev_b16 v0, 8, v22
	v_dual_mov_b32 v28, v2 :: v_dual_mov_b32 v29, v3
	v_mov_b32_e32 v31, v1
	s_delay_alu instid0(VALU_DEP_3)
	v_or_b32_e32 v0, v23, v0
	s_wait_dscnt 0x0
	v_dual_mov_b32 v32, v26 :: v_dual_mov_b32 v35, v25
	v_dual_mov_b32 v33, v27 :: v_dual_mov_b32 v34, v24
	ds_store_b128 v21, v[32:35]
	ds_store_b128 v9, v[28:31]
	ds_store_b16 v10, v0
.LBB45_17:
	s_or_b32 exec_lo, exec_lo, s3
	v_and_b32_e32 v0, 3, v11
	s_wait_loadcnt_dscnt 0x0
	s_barrier_signal -1
	s_barrier_wait -1
	global_inv scope:SCOPE_SE
	v_sub_nc_u32_e32 v24, v20, v0
	v_bfe_u32 v23, v11, 2, 1
	s_delay_alu instid0(VALU_DEP_2)
	v_lshl_add_u32 v21, v24, 3, v15
	v_add_nc_u32_e32 v22, v17, v24
	v_lshl_add_u32 v24, v24, 3, v14
	ds_load_2addr_b64 v[0:3], v21 offset1:4
	ds_load_u8 v25, v22
	ds_load_u8 v26, v22 offset:4
	s_wait_dscnt 0x1
	v_and_b32_e32 v27, 1, v25
	v_cmp_u_f64_e64 s2, v[0:1], v[0:1]
	v_cmp_o_f64_e64 s3, v[2:3], v[2:3]
	v_cmp_gt_f64_e64 s4, v[0:1], v[2:3]
	s_wait_dscnt 0x0
	v_cmp_ne_u16_e64 s5, v26, v23
	s_wait_alu 0xf1ff
	s_delay_alu instid0(VALU_DEP_1)
	v_cndmask_b32_e64 v28, 0, 1, s5
	v_cmp_eq_u32_e64 s5, 1, v27
	s_and_b32 s2, s2, s3
	s_wait_alu 0xfffe
	s_or_b32 s2, s2, s4
	s_mov_b32 s4, exec_lo
	s_wait_alu 0xfffe
	s_and_b32 s2, s2, s5
	s_wait_alu 0xfffe
	v_cndmask_b32_e64 v27, v28, v23, s2
	v_and_b32_e32 v23, 4, v11
	s_delay_alu instid0(VALU_DEP_2) | instskip(NEXT) | instid1(VALU_DEP_2)
	v_and_b32_e32 v27, 1, v27
	v_cmp_ne_u32_e64 s2, 0, v23
	s_delay_alu instid0(VALU_DEP_2)
	v_cmpx_eq_u32_e32 1, v27
	s_cbranch_execz .LBB45_19
; %bb.18:
	ds_load_2addr_b64 v[27:30], v24 offset1:4
	ds_store_2addr_b64 v21, v[2:3], v[0:1] offset1:4
	s_wait_dscnt 0x1
	ds_store_2addr_b64 v24, v[29:30], v[27:28] offset1:4
	ds_store_b8 v22, v26
	ds_store_b8 v22, v25 offset:4
.LBB45_19:
	s_or_b32 exec_lo, exec_lo, s4
	s_wait_loadcnt_dscnt 0x0
	s_barrier_signal -1
	s_barrier_wait -1
	global_inv scope:SCOPE_SE
	ds_load_2addr_b64 v[0:3], v16 offset1:2
	ds_load_u8 v26, v18
	ds_load_u8 v27, v18 offset:2
	v_lshrrev_b32_e32 v23, 2, v23
	v_cndmask_b32_e64 v25, 0, 1, s2
	s_wait_dscnt 0x1
	v_and_b32_e32 v28, 1, v26
	v_cmp_u_f64_e64 s3, v[0:1], v[0:1]
	v_cmp_o_f64_e64 s4, v[2:3], v[2:3]
	v_cmp_gt_f64_e64 s5, v[0:1], v[2:3]
	s_wait_dscnt 0x0
	v_cmp_ne_u16_e64 s2, v27, v23
	s_wait_alu 0xf1ff
	s_delay_alu instid0(VALU_DEP_1)
	v_cndmask_b32_e64 v29, 0, 1, s2
	v_cmp_eq_u32_e64 s2, 1, v28
	s_and_b32 s3, s3, s4
	s_wait_alu 0xfffe
	s_or_b32 s3, s3, s5
	s_wait_alu 0xfffe
	s_and_b32 s2, s3, s2
	s_mov_b32 s3, exec_lo
	s_wait_alu 0xfffe
	v_cndmask_b32_e64 v28, v29, v25, s2
	s_delay_alu instid0(VALU_DEP_1) | instskip(NEXT) | instid1(VALU_DEP_1)
	v_and_b32_e32 v28, 1, v28
	v_cmpx_eq_u32_e32 1, v28
	s_cbranch_execz .LBB45_21
; %bb.20:
	ds_load_2addr_b64 v[28:31], v19 offset1:2
	ds_store_2addr_b64 v16, v[2:3], v[0:1] offset1:2
	s_wait_dscnt 0x1
	ds_store_2addr_b64 v19, v[30:31], v[28:29] offset1:2
	ds_store_b8 v18, v27
	ds_store_b8 v18, v26 offset:2
.LBB45_21:
	s_or_b32 exec_lo, exec_lo, s3
	s_wait_loadcnt_dscnt 0x0
	s_barrier_signal -1
	s_barrier_wait -1
	global_inv scope:SCOPE_SE
	ds_load_b128 v[0:3], v9
	ds_load_u16 v27, v10
	s_wait_dscnt 0x1
	v_cmp_u_f64_e64 s2, v[0:1], v[0:1]
	v_cmp_o_f64_e64 s3, v[2:3], v[2:3]
	v_cmp_gt_f64_e64 s4, v[0:1], v[2:3]
	s_wait_dscnt 0x0
	v_lshrrev_b16 v26, 8, v27
	v_and_b32_e32 v28, 1, v27
	s_delay_alu instid0(VALU_DEP_2) | instskip(NEXT) | instid1(VALU_DEP_2)
	v_cmp_ne_u16_e64 s6, v26, v23
	v_cmp_eq_u32_e64 s5, 1, v28
	s_wait_alu 0xf1ff
	s_delay_alu instid0(VALU_DEP_2)
	v_cndmask_b32_e64 v23, 0, 1, s6
	s_and_b32 s2, s2, s3
	s_wait_alu 0xfffe
	s_or_b32 s2, s2, s4
	s_wait_alu 0xfffe
	s_and_b32 s2, s2, s5
	s_wait_alu 0xfffe
	v_cndmask_b32_e64 v23, v23, v25, s2
	s_delay_alu instid0(VALU_DEP_1) | instskip(NEXT) | instid1(VALU_DEP_1)
	v_and_b32_e32 v23, 1, v23
	v_cmp_eq_u32_e64 s2, 1, v23
	v_lshl_add_u32 v23, v20, 3, v14
	s_and_saveexec_b32 s3, s2
	s_cbranch_execz .LBB45_23
; %bb.22:
	ds_load_b128 v[28:31], v23
	v_mov_b32_e32 v34, v0
	v_lshlrev_b16 v0, 8, v27
	v_dual_mov_b32 v32, v2 :: v_dual_mov_b32 v33, v3
	v_mov_b32_e32 v35, v1
	s_delay_alu instid0(VALU_DEP_3)
	v_or_b32_e32 v0, v26, v0
	s_wait_dscnt 0x0
	v_dual_mov_b32 v36, v30 :: v_dual_mov_b32 v39, v29
	v_dual_mov_b32 v37, v31 :: v_dual_mov_b32 v38, v28
	ds_store_b128 v23, v[36:39]
	ds_store_b128 v9, v[32:35]
	ds_store_b16 v10, v0
.LBB45_23:
	s_wait_alu 0xfffe
	s_or_b32 exec_lo, exec_lo, s3
	v_and_b32_e32 v0, 7, v11
	s_wait_loadcnt_dscnt 0x0
	s_barrier_signal -1
	s_barrier_wait -1
	global_inv scope:SCOPE_SE
	v_sub_nc_u32_e32 v27, v20, v0
	v_bfe_u32 v28, v11, 3, 1
	s_delay_alu instid0(VALU_DEP_2)
	v_lshl_add_u32 v25, v27, 3, v15
	v_add_nc_u32_e32 v26, v17, v27
	v_lshl_add_u32 v27, v27, 3, v14
	ds_load_2addr_b64 v[0:3], v25 offset1:8
	ds_load_u8 v29, v26
	ds_load_u8 v30, v26 offset:8
	s_wait_dscnt 0x1
	v_and_b32_e32 v31, 1, v29
	v_cmp_u_f64_e64 s2, v[0:1], v[0:1]
	v_cmp_o_f64_e64 s3, v[2:3], v[2:3]
	v_cmp_gt_f64_e64 s4, v[0:1], v[2:3]
	s_wait_dscnt 0x0
	v_cmp_ne_u16_e64 s5, v30, v28
	s_wait_alu 0xf1ff
	s_delay_alu instid0(VALU_DEP_1)
	v_cndmask_b32_e64 v32, 0, 1, s5
	v_cmp_eq_u32_e64 s5, 1, v31
	s_and_b32 s2, s2, s3
	s_wait_alu 0xfffe
	s_or_b32 s2, s2, s4
	s_mov_b32 s4, exec_lo
	s_wait_alu 0xfffe
	s_and_b32 s2, s2, s5
	s_wait_alu 0xfffe
	v_cndmask_b32_e64 v31, v32, v28, s2
	v_and_b32_e32 v28, 8, v11
	s_delay_alu instid0(VALU_DEP_2) | instskip(NEXT) | instid1(VALU_DEP_2)
	v_and_b32_e32 v31, 1, v31
	v_cmp_ne_u32_e64 s2, 0, v28
	s_delay_alu instid0(VALU_DEP_2)
	v_cmpx_eq_u32_e32 1, v31
	s_cbranch_execz .LBB45_25
; %bb.24:
	ds_load_2addr_b64 v[31:34], v27 offset1:8
	ds_store_2addr_b64 v25, v[2:3], v[0:1] offset1:8
	s_wait_dscnt 0x1
	ds_store_2addr_b64 v27, v[33:34], v[31:32] offset1:8
	ds_store_b8 v26, v30
	ds_store_b8 v26, v29 offset:8
.LBB45_25:
	s_or_b32 exec_lo, exec_lo, s4
	s_wait_loadcnt_dscnt 0x0
	s_barrier_signal -1
	s_barrier_wait -1
	global_inv scope:SCOPE_SE
	ds_load_2addr_b64 v[0:3], v21 offset1:4
	ds_load_u8 v30, v22
	ds_load_u8 v31, v22 offset:4
	v_lshrrev_b32_e32 v28, 3, v28
	v_cndmask_b32_e64 v29, 0, 1, s2
	s_wait_dscnt 0x1
	v_and_b32_e32 v32, 1, v30
	v_cmp_u_f64_e64 s3, v[0:1], v[0:1]
	v_cmp_o_f64_e64 s4, v[2:3], v[2:3]
	v_cmp_gt_f64_e64 s5, v[0:1], v[2:3]
	s_wait_dscnt 0x0
	v_cmp_ne_u16_e64 s2, v31, v28
	s_wait_alu 0xf1ff
	s_delay_alu instid0(VALU_DEP_1)
	v_cndmask_b32_e64 v33, 0, 1, s2
	v_cmp_eq_u32_e64 s2, 1, v32
	s_and_b32 s3, s3, s4
	s_wait_alu 0xfffe
	s_or_b32 s3, s3, s5
	s_wait_alu 0xfffe
	s_and_b32 s2, s3, s2
	s_mov_b32 s3, exec_lo
	s_wait_alu 0xfffe
	v_cndmask_b32_e64 v32, v33, v29, s2
	s_delay_alu instid0(VALU_DEP_1) | instskip(NEXT) | instid1(VALU_DEP_1)
	v_and_b32_e32 v32, 1, v32
	v_cmpx_eq_u32_e32 1, v32
	s_cbranch_execz .LBB45_27
; %bb.26:
	ds_load_2addr_b64 v[32:35], v24 offset1:4
	ds_store_2addr_b64 v21, v[2:3], v[0:1] offset1:4
	s_wait_dscnt 0x1
	ds_store_2addr_b64 v24, v[34:35], v[32:33] offset1:4
	ds_store_b8 v22, v31
	ds_store_b8 v22, v30 offset:4
.LBB45_27:
	s_or_b32 exec_lo, exec_lo, s3
	s_wait_loadcnt_dscnt 0x0
	s_barrier_signal -1
	s_barrier_wait -1
	global_inv scope:SCOPE_SE
	ds_load_2addr_b64 v[0:3], v16 offset1:2
	ds_load_u8 v30, v18
	ds_load_u8 v31, v18 offset:2
	s_wait_dscnt 0x1
	v_and_b32_e32 v32, 1, v30
	v_cmp_u_f64_e64 s2, v[0:1], v[0:1]
	v_cmp_o_f64_e64 s3, v[2:3], v[2:3]
	v_cmp_gt_f64_e64 s4, v[0:1], v[2:3]
	s_wait_dscnt 0x0
	v_cmp_ne_u16_e64 s5, v31, v28
	s_wait_alu 0xf1ff
	s_delay_alu instid0(VALU_DEP_1)
	v_cndmask_b32_e64 v33, 0, 1, s5
	v_cmp_eq_u32_e64 s5, 1, v32
	s_and_b32 s2, s2, s3
	s_mov_b32 s3, exec_lo
	s_wait_alu 0xfffe
	s_or_b32 s2, s2, s4
	s_wait_alu 0xfffe
	s_and_b32 s2, s2, s5
	s_wait_alu 0xfffe
	v_cndmask_b32_e64 v32, v33, v29, s2
	s_delay_alu instid0(VALU_DEP_1) | instskip(NEXT) | instid1(VALU_DEP_1)
	v_and_b32_e32 v32, 1, v32
	v_cmpx_eq_u32_e32 1, v32
	s_cbranch_execz .LBB45_29
; %bb.28:
	ds_load_2addr_b64 v[32:35], v19 offset1:2
	ds_store_2addr_b64 v16, v[2:3], v[0:1] offset1:2
	s_wait_dscnt 0x1
	ds_store_2addr_b64 v19, v[34:35], v[32:33] offset1:2
	ds_store_b8 v18, v31
	ds_store_b8 v18, v30 offset:2
.LBB45_29:
	s_or_b32 exec_lo, exec_lo, s3
	s_wait_loadcnt_dscnt 0x0
	s_barrier_signal -1
	s_barrier_wait -1
	global_inv scope:SCOPE_SE
	ds_load_b128 v[0:3], v9
	ds_load_u16 v31, v10
	s_wait_dscnt 0x1
	v_cmp_u_f64_e64 s2, v[0:1], v[0:1]
	v_cmp_o_f64_e64 s3, v[2:3], v[2:3]
	v_cmp_gt_f64_e64 s4, v[0:1], v[2:3]
	s_wait_dscnt 0x0
	v_lshrrev_b16 v30, 8, v31
	v_and_b32_e32 v32, 1, v31
	s_delay_alu instid0(VALU_DEP_2) | instskip(NEXT) | instid1(VALU_DEP_2)
	v_cmp_ne_u16_e64 s6, v30, v28
	v_cmp_eq_u32_e64 s5, 1, v32
	s_wait_alu 0xf1ff
	s_delay_alu instid0(VALU_DEP_2)
	v_cndmask_b32_e64 v28, 0, 1, s6
	s_and_b32 s2, s2, s3
	s_mov_b32 s3, exec_lo
	s_wait_alu 0xfffe
	s_or_b32 s2, s2, s4
	s_wait_alu 0xfffe
	s_and_b32 s2, s2, s5
	s_wait_alu 0xfffe
	v_cndmask_b32_e64 v28, v28, v29, s2
	s_delay_alu instid0(VALU_DEP_1) | instskip(NEXT) | instid1(VALU_DEP_1)
	v_and_b32_e32 v28, 1, v28
	v_cmpx_eq_u32_e32 1, v28
	s_cbranch_execz .LBB45_31
; %bb.30:
	ds_load_b128 v[32:35], v23
	v_mov_b32_e32 v38, v0
	v_lshlrev_b16 v0, 8, v31
	v_dual_mov_b32 v36, v2 :: v_dual_mov_b32 v37, v3
	v_mov_b32_e32 v39, v1
	s_delay_alu instid0(VALU_DEP_3)
	v_or_b32_e32 v0, v30, v0
	s_wait_dscnt 0x0
	v_dual_mov_b32 v40, v34 :: v_dual_mov_b32 v43, v33
	v_dual_mov_b32 v41, v35 :: v_dual_mov_b32 v42, v32
	ds_store_b128 v23, v[40:43]
	ds_store_b128 v9, v[36:39]
	ds_store_b16 v10, v0
.LBB45_31:
	s_or_b32 exec_lo, exec_lo, s3
	v_and_b32_e32 v0, 15, v11
	s_wait_loadcnt_dscnt 0x0
	s_barrier_signal -1
	s_barrier_wait -1
	global_inv scope:SCOPE_SE
	v_sub_nc_u32_e32 v20, v20, v0
	s_delay_alu instid0(VALU_DEP_1)
	v_lshl_add_u32 v15, v20, 3, v15
	v_add_nc_u32_e32 v17, v17, v20
	ds_load_2addr_b64 v[0:3], v15 offset1:16
	ds_load_u8 v28, v17
	ds_load_u8 v29, v17 offset:16
	s_wait_dscnt 0x1
	v_and_b32_e32 v30, 1, v28
	v_cmp_u_f64_e64 s2, v[0:1], v[0:1]
	v_cmp_o_f64_e64 s3, v[2:3], v[2:3]
	v_cmp_gt_f64_e64 s4, v[0:1], v[2:3]
	s_wait_dscnt 0x0
	v_and_b32_e32 v29, 0xff, v29
	v_cmp_eq_u32_e64 s5, 1, v30
	s_and_b32 s2, s2, s3
	s_wait_alu 0xfffe
	s_or_b32 s3, s2, s4
	v_cmp_ne_u16_e64 s2, 0, v29
	s_wait_alu 0xfffe
	s_and_b32 s3, s3, s5
	s_wait_alu 0xfffe
	s_xor_b32 s3, s3, -1
	s_wait_alu 0xfffe
	s_and_b32 s3, s3, s2
	s_wait_alu 0xfffe
	s_and_saveexec_b32 s2, s3
	s_cbranch_execz .LBB45_33
; %bb.32:
	v_lshl_add_u32 v14, v20, 3, v14
	v_mov_b32_e32 v20, 1
	ds_load_2addr_b64 v[29:32], v14 offset1:16
	ds_store_2addr_b64 v15, v[2:3], v[0:1] offset1:16
	s_wait_dscnt 0x1
	ds_store_2addr_b64 v14, v[31:32], v[29:30] offset1:16
	ds_store_b8 v17, v20
	ds_store_b8 v17, v28 offset:16
.LBB45_33:
	s_wait_alu 0xfffe
	s_or_b32 exec_lo, exec_lo, s2
	s_wait_loadcnt_dscnt 0x0
	s_barrier_signal -1
	s_barrier_wait -1
	global_inv scope:SCOPE_SE
	ds_load_2addr_b64 v[0:3], v25 offset1:8
	ds_load_u8 v14, v26
	ds_load_u8 v15, v26 offset:8
	s_wait_dscnt 0x1
	v_and_b32_e32 v17, 1, v14
	v_cmp_u_f64_e64 s2, v[0:1], v[0:1]
	v_cmp_o_f64_e64 s3, v[2:3], v[2:3]
	v_cmp_gt_f64_e64 s4, v[0:1], v[2:3]
	s_wait_dscnt 0x0
	v_and_b32_e32 v15, 0xff, v15
	v_cmp_eq_u32_e64 s5, 1, v17
	s_and_b32 s2, s2, s3
	s_wait_alu 0xfffe
	s_or_b32 s3, s2, s4
	v_cmp_ne_u16_e64 s2, 0, v15
	s_wait_alu 0xfffe
	s_and_b32 s3, s3, s5
	s_wait_alu 0xfffe
	s_xor_b32 s3, s3, -1
	s_wait_alu 0xfffe
	s_and_b32 s3, s3, s2
	s_wait_alu 0xfffe
	s_and_saveexec_b32 s2, s3
	s_cbranch_execz .LBB45_35
; %bb.34:
	ds_load_2addr_b64 v[28:31], v27 offset1:8
	v_mov_b32_e32 v15, 1
	ds_store_2addr_b64 v25, v[2:3], v[0:1] offset1:8
	s_wait_dscnt 0x1
	ds_store_2addr_b64 v27, v[30:31], v[28:29] offset1:8
	ds_store_b8 v26, v15
	ds_store_b8 v26, v14 offset:8
.LBB45_35:
	s_wait_alu 0xfffe
	s_or_b32 exec_lo, exec_lo, s2
	s_wait_loadcnt_dscnt 0x0
	s_barrier_signal -1
	s_barrier_wait -1
	global_inv scope:SCOPE_SE
	ds_load_2addr_b64 v[0:3], v21 offset1:4
	ds_load_u8 v14, v22
	ds_load_u8 v15, v22 offset:4
	s_wait_dscnt 0x1
	v_and_b32_e32 v17, 1, v14
	v_cmp_u_f64_e64 s2, v[0:1], v[0:1]
	v_cmp_o_f64_e64 s3, v[2:3], v[2:3]
	v_cmp_gt_f64_e64 s4, v[0:1], v[2:3]
	s_wait_dscnt 0x0
	v_and_b32_e32 v15, 0xff, v15
	v_cmp_eq_u32_e64 s5, 1, v17
	s_and_b32 s2, s2, s3
	s_wait_alu 0xfffe
	s_or_b32 s3, s2, s4
	v_cmp_ne_u16_e64 s2, 0, v15
	s_wait_alu 0xfffe
	s_and_b32 s3, s3, s5
	s_wait_alu 0xfffe
	s_xor_b32 s3, s3, -1
	s_wait_alu 0xfffe
	s_and_b32 s3, s3, s2
	s_wait_alu 0xfffe
	s_and_saveexec_b32 s2, s3
	s_cbranch_execz .LBB45_37
; %bb.36:
	ds_load_2addr_b64 v[25:28], v24 offset1:4
	v_mov_b32_e32 v15, 1
	ds_store_2addr_b64 v21, v[2:3], v[0:1] offset1:4
	s_wait_dscnt 0x1
	ds_store_2addr_b64 v24, v[27:28], v[25:26] offset1:4
	ds_store_b8 v22, v15
	ds_store_b8 v22, v14 offset:4
.LBB45_37:
	s_wait_alu 0xfffe
	s_or_b32 exec_lo, exec_lo, s2
	s_wait_loadcnt_dscnt 0x0
	s_barrier_signal -1
	s_barrier_wait -1
	global_inv scope:SCOPE_SE
	ds_load_2addr_b64 v[0:3], v16 offset1:2
	ds_load_u8 v14, v18
	ds_load_u8 v15, v18 offset:2
	s_wait_dscnt 0x1
	v_and_b32_e32 v17, 1, v14
	v_cmp_u_f64_e64 s2, v[0:1], v[0:1]
	v_cmp_o_f64_e64 s3, v[2:3], v[2:3]
	v_cmp_gt_f64_e64 s4, v[0:1], v[2:3]
	s_wait_dscnt 0x0
	v_and_b32_e32 v15, 0xff, v15
	v_cmp_eq_u32_e64 s5, 1, v17
	s_and_b32 s2, s2, s3
	s_wait_alu 0xfffe
	s_or_b32 s3, s2, s4
	v_cmp_ne_u16_e64 s2, 0, v15
	s_wait_alu 0xfffe
	s_and_b32 s3, s3, s5
	s_wait_alu 0xfffe
	s_xor_b32 s3, s3, -1
	s_wait_alu 0xfffe
	s_and_b32 s3, s3, s2
	s_wait_alu 0xfffe
	s_and_saveexec_b32 s2, s3
	s_cbranch_execz .LBB45_39
; %bb.38:
	ds_load_2addr_b64 v[24:27], v19 offset1:2
	v_mov_b32_e32 v15, 1
	ds_store_2addr_b64 v16, v[2:3], v[0:1] offset1:2
	s_wait_dscnt 0x1
	ds_store_2addr_b64 v19, v[26:27], v[24:25] offset1:2
	ds_store_b8 v18, v15
	ds_store_b8 v18, v14 offset:2
.LBB45_39:
	s_wait_alu 0xfffe
	s_or_b32 exec_lo, exec_lo, s2
	s_wait_loadcnt_dscnt 0x0
	s_barrier_signal -1
	s_barrier_wait -1
	global_inv scope:SCOPE_SE
	ds_load_b128 v[0:3], v9
	ds_load_u16 v14, v10
	s_wait_dscnt 0x1
	v_cmp_u_f64_e64 s2, v[0:1], v[0:1]
	v_cmp_o_f64_e64 s3, v[2:3], v[2:3]
	v_cmp_gt_f64_e64 s4, v[0:1], v[2:3]
	s_wait_dscnt 0x0
	v_and_b32_e32 v15, 1, v14
	v_lshrrev_b16 v16, 8, v14
	s_delay_alu instid0(VALU_DEP_2)
	v_cmp_eq_u32_e64 s5, 1, v15
	s_and_b32 s2, s2, s3
	s_wait_alu 0xfffe
	s_or_b32 s3, s2, s4
	v_cmp_ne_u16_e64 s2, 0, v16
	s_wait_alu 0xfffe
	s_and_b32 s3, s3, s5
	s_wait_alu 0xfffe
	s_xor_b32 s3, s3, -1
	s_wait_alu 0xfffe
	s_and_b32 s3, s3, s2
	s_wait_alu 0xfffe
	s_and_saveexec_b32 s2, s3
	s_cbranch_execz .LBB45_41
; %bb.40:
	ds_load_b128 v[15:18], v23
	v_mov_b32_e32 v21, v0
	v_lshlrev_b16 v0, 8, v14
	v_dual_mov_b32 v19, v2 :: v_dual_mov_b32 v20, v3
	v_mov_b32_e32 v22, v1
	s_delay_alu instid0(VALU_DEP_3)
	v_or_b32_e32 v0, 1, v0
	s_wait_dscnt 0x0
	v_dual_mov_b32 v24, v17 :: v_dual_mov_b32 v25, v18
	v_dual_mov_b32 v26, v15 :: v_dual_mov_b32 v27, v16
	ds_store_b128 v23, v[24:27]
	ds_store_b128 v9, v[19:22]
	ds_store_b16 v10, v0
.LBB45_41:
	s_wait_alu 0xfffe
	s_or_b32 exec_lo, exec_lo, s2
	s_wait_loadcnt_dscnt 0x0
	s_barrier_signal -1
	s_barrier_wait -1
	global_inv scope:SCOPE_SE
	s_and_saveexec_b32 s2, s0
	s_cbranch_execz .LBB45_46
; %bb.42:
	s_and_saveexec_b32 s0, vcc_lo
	s_cbranch_execz .LBB45_44
; %bb.43:
	v_mad_co_u64_u32 v[0:1], null, v11, s10, v[6:7]
	v_mov_b32_e32 v1, 0
	v_mad_co_u64_u32 v[2:3], null, v11, s7, v[4:5]
	ds_load_b64 v[9:10], v12
	ds_load_b64 v[11:12], v13
	v_mov_b32_e32 v3, v1
	v_lshlrev_b64_e32 v[0:1], 3, v[0:1]
	s_delay_alu instid0(VALU_DEP_2) | instskip(NEXT) | instid1(VALU_DEP_2)
	v_lshlrev_b64_e32 v[2:3], 3, v[2:3]
	v_add_co_u32 v0, vcc_lo, s14, v0
	s_wait_alu 0xfffd
	s_delay_alu instid0(VALU_DEP_3) | instskip(NEXT) | instid1(VALU_DEP_3)
	v_add_co_ci_u32_e64 v1, null, s15, v1, vcc_lo
	v_add_co_u32 v2, vcc_lo, s12, v2
	s_wait_alu 0xfffd
	v_add_co_ci_u32_e64 v3, null, s13, v3, vcc_lo
	s_wait_dscnt 0x1
	global_store_b64 v[0:1], v[9:10], off
	s_wait_dscnt 0x0
	global_store_b64 v[2:3], v[11:12], off
.LBB45_44:
	s_wait_alu 0xfffe
	s_or_b32 exec_lo, exec_lo, s0
	s_delay_alu instid0(SALU_CYCLE_1)
	s_and_b32 exec_lo, exec_lo, s1
	s_cbranch_execz .LBB45_46
; %bb.45:
	v_mad_co_u64_u32 v[0:1], null, v5, s10, v[6:7]
	v_mov_b32_e32 v1, 0
	v_mad_co_u64_u32 v[2:3], null, v5, s7, v[4:5]
	ds_load_b64 v[4:5], v7
	ds_load_b64 v[6:7], v8
	v_mov_b32_e32 v3, v1
	v_lshlrev_b64_e32 v[0:1], 3, v[0:1]
	s_delay_alu instid0(VALU_DEP_2) | instskip(NEXT) | instid1(VALU_DEP_2)
	v_lshlrev_b64_e32 v[2:3], 3, v[2:3]
	v_add_co_u32 v0, vcc_lo, s14, v0
	s_wait_alu 0xfffd
	s_delay_alu instid0(VALU_DEP_3) | instskip(NEXT) | instid1(VALU_DEP_3)
	v_add_co_ci_u32_e64 v1, null, s15, v1, vcc_lo
	v_add_co_u32 v2, vcc_lo, s12, v2
	s_wait_alu 0xfffd
	v_add_co_ci_u32_e64 v3, null, s13, v3, vcc_lo
	s_wait_dscnt 0x1
	global_store_b64 v[0:1], v[4:5], off
	s_wait_dscnt 0x0
	global_store_b64 v[2:3], v[6:7], off
.LBB45_46:
	s_endpgm
	.section	.rodata,"a",@progbits
	.p2align	6, 0x0
	.amdhsa_kernel _ZN2at6native20bitonicSortKVInPlaceILin1ELin1ELi16ELi16EdlNS0_4GTOpIdLb1EEEjEEvNS_4cuda6detail10TensorInfoIT3_T6_EES8_S8_S8_NS6_IT4_S8_EES8_T5_
		.amdhsa_group_segment_fixed_size 8704
		.amdhsa_private_segment_fixed_size 0
		.amdhsa_kernarg_size 712
		.amdhsa_user_sgpr_count 2
		.amdhsa_user_sgpr_dispatch_ptr 0
		.amdhsa_user_sgpr_queue_ptr 0
		.amdhsa_user_sgpr_kernarg_segment_ptr 1
		.amdhsa_user_sgpr_dispatch_id 0
		.amdhsa_user_sgpr_private_segment_size 0
		.amdhsa_wavefront_size32 1
		.amdhsa_uses_dynamic_stack 0
		.amdhsa_enable_private_segment 0
		.amdhsa_system_sgpr_workgroup_id_x 1
		.amdhsa_system_sgpr_workgroup_id_y 1
		.amdhsa_system_sgpr_workgroup_id_z 1
		.amdhsa_system_sgpr_workgroup_info 0
		.amdhsa_system_vgpr_workitem_id 1
		.amdhsa_next_free_vgpr 44
		.amdhsa_next_free_sgpr 16
		.amdhsa_reserve_vcc 1
		.amdhsa_float_round_mode_32 0
		.amdhsa_float_round_mode_16_64 0
		.amdhsa_float_denorm_mode_32 3
		.amdhsa_float_denorm_mode_16_64 3
		.amdhsa_fp16_overflow 0
		.amdhsa_workgroup_processor_mode 1
		.amdhsa_memory_ordered 1
		.amdhsa_forward_progress 1
		.amdhsa_inst_pref_size 42
		.amdhsa_round_robin_scheduling 0
		.amdhsa_exception_fp_ieee_invalid_op 0
		.amdhsa_exception_fp_denorm_src 0
		.amdhsa_exception_fp_ieee_div_zero 0
		.amdhsa_exception_fp_ieee_overflow 0
		.amdhsa_exception_fp_ieee_underflow 0
		.amdhsa_exception_fp_ieee_inexact 0
		.amdhsa_exception_int_div_zero 0
	.end_amdhsa_kernel
	.section	.text._ZN2at6native20bitonicSortKVInPlaceILin1ELin1ELi16ELi16EdlNS0_4GTOpIdLb1EEEjEEvNS_4cuda6detail10TensorInfoIT3_T6_EES8_S8_S8_NS6_IT4_S8_EES8_T5_,"axG",@progbits,_ZN2at6native20bitonicSortKVInPlaceILin1ELin1ELi16ELi16EdlNS0_4GTOpIdLb1EEEjEEvNS_4cuda6detail10TensorInfoIT3_T6_EES8_S8_S8_NS6_IT4_S8_EES8_T5_,comdat
.Lfunc_end45:
	.size	_ZN2at6native20bitonicSortKVInPlaceILin1ELin1ELi16ELi16EdlNS0_4GTOpIdLb1EEEjEEvNS_4cuda6detail10TensorInfoIT3_T6_EES8_S8_S8_NS6_IT4_S8_EES8_T5_, .Lfunc_end45-_ZN2at6native20bitonicSortKVInPlaceILin1ELin1ELi16ELi16EdlNS0_4GTOpIdLb1EEEjEEvNS_4cuda6detail10TensorInfoIT3_T6_EES8_S8_S8_NS6_IT4_S8_EES8_T5_
                                        ; -- End function
	.set _ZN2at6native20bitonicSortKVInPlaceILin1ELin1ELi16ELi16EdlNS0_4GTOpIdLb1EEEjEEvNS_4cuda6detail10TensorInfoIT3_T6_EES8_S8_S8_NS6_IT4_S8_EES8_T5_.num_vgpr, 44
	.set _ZN2at6native20bitonicSortKVInPlaceILin1ELin1ELi16ELi16EdlNS0_4GTOpIdLb1EEEjEEvNS_4cuda6detail10TensorInfoIT3_T6_EES8_S8_S8_NS6_IT4_S8_EES8_T5_.num_agpr, 0
	.set _ZN2at6native20bitonicSortKVInPlaceILin1ELin1ELi16ELi16EdlNS0_4GTOpIdLb1EEEjEEvNS_4cuda6detail10TensorInfoIT3_T6_EES8_S8_S8_NS6_IT4_S8_EES8_T5_.numbered_sgpr, 16
	.set _ZN2at6native20bitonicSortKVInPlaceILin1ELin1ELi16ELi16EdlNS0_4GTOpIdLb1EEEjEEvNS_4cuda6detail10TensorInfoIT3_T6_EES8_S8_S8_NS6_IT4_S8_EES8_T5_.num_named_barrier, 0
	.set _ZN2at6native20bitonicSortKVInPlaceILin1ELin1ELi16ELi16EdlNS0_4GTOpIdLb1EEEjEEvNS_4cuda6detail10TensorInfoIT3_T6_EES8_S8_S8_NS6_IT4_S8_EES8_T5_.private_seg_size, 0
	.set _ZN2at6native20bitonicSortKVInPlaceILin1ELin1ELi16ELi16EdlNS0_4GTOpIdLb1EEEjEEvNS_4cuda6detail10TensorInfoIT3_T6_EES8_S8_S8_NS6_IT4_S8_EES8_T5_.uses_vcc, 1
	.set _ZN2at6native20bitonicSortKVInPlaceILin1ELin1ELi16ELi16EdlNS0_4GTOpIdLb1EEEjEEvNS_4cuda6detail10TensorInfoIT3_T6_EES8_S8_S8_NS6_IT4_S8_EES8_T5_.uses_flat_scratch, 0
	.set _ZN2at6native20bitonicSortKVInPlaceILin1ELin1ELi16ELi16EdlNS0_4GTOpIdLb1EEEjEEvNS_4cuda6detail10TensorInfoIT3_T6_EES8_S8_S8_NS6_IT4_S8_EES8_T5_.has_dyn_sized_stack, 0
	.set _ZN2at6native20bitonicSortKVInPlaceILin1ELin1ELi16ELi16EdlNS0_4GTOpIdLb1EEEjEEvNS_4cuda6detail10TensorInfoIT3_T6_EES8_S8_S8_NS6_IT4_S8_EES8_T5_.has_recursion, 0
	.set _ZN2at6native20bitonicSortKVInPlaceILin1ELin1ELi16ELi16EdlNS0_4GTOpIdLb1EEEjEEvNS_4cuda6detail10TensorInfoIT3_T6_EES8_S8_S8_NS6_IT4_S8_EES8_T5_.has_indirect_call, 0
	.section	.AMDGPU.csdata,"",@progbits
; Kernel info:
; codeLenInByte = 5268
; TotalNumSgprs: 18
; NumVgprs: 44
; ScratchSize: 0
; MemoryBound: 0
; FloatMode: 240
; IeeeMode: 1
; LDSByteSize: 8704 bytes/workgroup (compile time only)
; SGPRBlocks: 0
; VGPRBlocks: 5
; NumSGPRsForWavesPerEU: 18
; NumVGPRsForWavesPerEU: 44
; Occupancy: 16
; WaveLimiterHint : 1
; COMPUTE_PGM_RSRC2:SCRATCH_EN: 0
; COMPUTE_PGM_RSRC2:USER_SGPR: 2
; COMPUTE_PGM_RSRC2:TRAP_HANDLER: 0
; COMPUTE_PGM_RSRC2:TGID_X_EN: 1
; COMPUTE_PGM_RSRC2:TGID_Y_EN: 1
; COMPUTE_PGM_RSRC2:TGID_Z_EN: 1
; COMPUTE_PGM_RSRC2:TIDIG_COMP_CNT: 1
	.section	.text._ZN2at6native20bitonicSortKVInPlaceILin1ELin1ELi16ELi16EdlNS0_4LTOpIdLb1EEEmEEvNS_4cuda6detail10TensorInfoIT3_T6_EES8_S8_S8_NS6_IT4_S8_EES8_T5_,"axG",@progbits,_ZN2at6native20bitonicSortKVInPlaceILin1ELin1ELi16ELi16EdlNS0_4LTOpIdLb1EEEmEEvNS_4cuda6detail10TensorInfoIT3_T6_EES8_S8_S8_NS6_IT4_S8_EES8_T5_,comdat
	.protected	_ZN2at6native20bitonicSortKVInPlaceILin1ELin1ELi16ELi16EdlNS0_4LTOpIdLb1EEEmEEvNS_4cuda6detail10TensorInfoIT3_T6_EES8_S8_S8_NS6_IT4_S8_EES8_T5_ ; -- Begin function _ZN2at6native20bitonicSortKVInPlaceILin1ELin1ELi16ELi16EdlNS0_4LTOpIdLb1EEEmEEvNS_4cuda6detail10TensorInfoIT3_T6_EES8_S8_S8_NS6_IT4_S8_EES8_T5_
	.globl	_ZN2at6native20bitonicSortKVInPlaceILin1ELin1ELi16ELi16EdlNS0_4LTOpIdLb1EEEmEEvNS_4cuda6detail10TensorInfoIT3_T6_EES8_S8_S8_NS6_IT4_S8_EES8_T5_
	.p2align	8
	.type	_ZN2at6native20bitonicSortKVInPlaceILin1ELin1ELi16ELi16EdlNS0_4LTOpIdLb1EEEmEEvNS_4cuda6detail10TensorInfoIT3_T6_EES8_S8_S8_NS6_IT4_S8_EES8_T5_,@function
_ZN2at6native20bitonicSortKVInPlaceILin1ELin1ELi16ELi16EdlNS0_4LTOpIdLb1EEEmEEvNS_4cuda6detail10TensorInfoIT3_T6_EES8_S8_S8_NS6_IT4_S8_EES8_T5_: ; @_ZN2at6native20bitonicSortKVInPlaceILin1ELin1ELi16ELi16EdlNS0_4LTOpIdLb1EEEmEEvNS_4cuda6detail10TensorInfoIT3_T6_EES8_S8_S8_NS6_IT4_S8_EES8_T5_
; %bb.0:
	v_mov_b32_e32 v1, 0
	s_lshr_b32 s8, ttmp7, 16
	s_and_b32 s9, ttmp7, 0xffff
	global_load_u16 v1, v1, s[0:1] offset:886
	s_clause 0x1
	s_load_b64 s[2:3], s[0:1], 0x368
	s_load_b128 s[4:7], s[0:1], 0x1a0
	s_wait_kmcnt 0x0
	s_mul_i32 s3, s3, s8
	s_delay_alu instid0(SALU_CYCLE_1) | instskip(NEXT) | instid1(SALU_CYCLE_1)
	s_add_co_i32 s3, s3, s9
	s_mul_i32 s2, s3, s2
	s_delay_alu instid0(SALU_CYCLE_1) | instskip(SKIP_2) | instid1(VALU_DEP_1)
	s_add_co_i32 s2, s2, ttmp9
	s_wait_loadcnt 0x0
	v_and_b32_e32 v1, 0xffff, v1
	v_mul_hi_u32 v2, v1, s2
	v_mul_lo_u32 v1, v1, s2
	s_delay_alu instid0(VALU_DEP_1)
	v_cmp_le_u64_e32 vcc_lo, s[4:5], v[1:2]
	s_cbranch_vccnz .LBB46_56
; %bb.1:
	s_clause 0x1
	s_load_b32 s10, s[0:1], 0x198
	s_load_b64 s[8:9], s[0:1], 0x1b0
	v_bfe_u32 v15, v0, 10, 10
	s_delay_alu instid0(VALU_DEP_1) | instskip(NEXT) | instid1(VALU_DEP_1)
	v_add_co_u32 v3, vcc_lo, v1, v15
	v_add_co_ci_u32_e64 v4, null, 0, v2, vcc_lo
	v_mov_b32_e32 v1, 0
	v_mov_b32_e32 v2, 0
	s_delay_alu instid0(VALU_DEP_3)
	v_dual_mov_b32 v6, v4 :: v_dual_mov_b32 v5, v3
	s_wait_kmcnt 0x0
	s_cmp_lt_i32 s10, 2
	s_cbranch_scc1 .LBB46_9
; %bb.2:
	s_add_co_i32 s2, s10, -1
	s_mov_b32 s3, 0
	v_dual_mov_b32 v1, 0 :: v_dual_mov_b32 v10, v4
	s_wait_alu 0xfffe
	s_lshl_b64 s[12:13], s[2:3], 3
	v_dual_mov_b32 v2, 0 :: v_dual_mov_b32 v7, 0
	v_mov_b32_e32 v9, v3
	s_add_nc_u64 s[12:13], s[0:1], s[12:13]
	s_add_co_i32 s14, s10, 1
	s_add_nc_u64 s[10:11], s[12:13], 8
.LBB46_3:                               ; =>This Inner Loop Header: Depth=1
	s_load_b64 s[12:13], s[10:11], 0x0
                                        ; implicit-def: $vgpr5_vgpr6
	s_mov_b32 s2, exec_lo
	s_wait_kmcnt 0x0
	v_or_b32_e32 v8, s13, v10
	s_delay_alu instid0(VALU_DEP_1)
	v_cmpx_ne_u64_e32 0, v[7:8]
	s_wait_alu 0xfffe
	s_xor_b32 s15, exec_lo, s2
	s_cbranch_execz .LBB46_5
; %bb.4:                                ;   in Loop: Header=BB46_3 Depth=1
	s_cvt_f32_u32 s2, s12
	s_cvt_f32_u32 s16, s13
	s_sub_nc_u64 s[18:19], 0, s[12:13]
	s_wait_alu 0xfffe
	s_delay_alu instid0(SALU_CYCLE_1) | instskip(SKIP_1) | instid1(SALU_CYCLE_2)
	s_fmamk_f32 s2, s16, 0x4f800000, s2
	s_wait_alu 0xfffe
	v_s_rcp_f32 s2, s2
	s_delay_alu instid0(TRANS32_DEP_1) | instskip(SKIP_1) | instid1(SALU_CYCLE_2)
	s_mul_f32 s2, s2, 0x5f7ffffc
	s_wait_alu 0xfffe
	s_mul_f32 s16, s2, 0x2f800000
	s_wait_alu 0xfffe
	s_delay_alu instid0(SALU_CYCLE_2) | instskip(SKIP_1) | instid1(SALU_CYCLE_2)
	s_trunc_f32 s16, s16
	s_wait_alu 0xfffe
	s_fmamk_f32 s2, s16, 0xcf800000, s2
	s_cvt_u32_f32 s17, s16
	s_wait_alu 0xfffe
	s_delay_alu instid0(SALU_CYCLE_1) | instskip(SKIP_1) | instid1(SALU_CYCLE_2)
	s_cvt_u32_f32 s16, s2
	s_wait_alu 0xfffe
	s_mul_u64 s[20:21], s[18:19], s[16:17]
	s_delay_alu instid0(SALU_CYCLE_1)
	s_mul_hi_u32 s23, s16, s21
	s_mul_i32 s22, s16, s21
	s_mul_hi_u32 s2, s16, s20
	s_mul_i32 s25, s17, s20
	s_wait_alu 0xfffe
	s_add_nc_u64 s[22:23], s[2:3], s[22:23]
	s_mul_hi_u32 s24, s17, s20
	s_mul_hi_u32 s26, s17, s21
	s_add_co_u32 s2, s22, s25
	s_add_co_ci_u32 s2, s23, s24
	s_mul_i32 s20, s17, s21
	s_add_co_ci_u32 s21, s26, 0
	s_wait_alu 0xfffe
	s_add_nc_u64 s[20:21], s[2:3], s[20:21]
	s_delay_alu instid0(SALU_CYCLE_1)
	s_add_co_u32 s16, s16, s20
	s_cselect_b32 s2, -1, 0
	s_wait_alu 0xfffe
	s_cmp_lg_u32 s2, 0
	s_add_co_ci_u32 s17, s17, s21
	s_wait_alu 0xfffe
	s_mul_u64 s[18:19], s[18:19], s[16:17]
	s_delay_alu instid0(SALU_CYCLE_1)
	s_mul_hi_u32 s21, s16, s19
	s_mul_i32 s20, s16, s19
	s_mul_hi_u32 s2, s16, s18
	s_mul_i32 s23, s17, s18
	s_wait_alu 0xfffe
	s_add_nc_u64 s[20:21], s[2:3], s[20:21]
	s_mul_hi_u32 s22, s17, s18
	s_mul_hi_u32 s24, s17, s19
	s_add_co_u32 s2, s20, s23
	s_add_co_ci_u32 s2, s21, s22
	s_mul_i32 s18, s17, s19
	s_add_co_ci_u32 s19, s24, 0
	s_wait_alu 0xfffe
	s_add_nc_u64 s[18:19], s[2:3], s[18:19]
	s_delay_alu instid0(SALU_CYCLE_1)
	s_add_co_u32 s2, s16, s18
	s_cselect_b32 s16, -1, 0
	s_wait_alu 0xfffe
	v_mul_hi_u32 v8, v9, s2
	s_cmp_lg_u32 s16, 0
	v_mad_co_u64_u32 v[11:12], null, v10, s2, 0
	s_add_co_ci_u32 s16, s17, s19
	s_wait_alu 0xfffe
	v_mad_co_u64_u32 v[5:6], null, v9, s16, 0
	v_mad_co_u64_u32 v[13:14], null, v10, s16, 0
	s_delay_alu instid0(VALU_DEP_2) | instskip(SKIP_1) | instid1(VALU_DEP_3)
	v_add_co_u32 v5, vcc_lo, v8, v5
	s_wait_alu 0xfffd
	v_add_co_ci_u32_e64 v6, null, 0, v6, vcc_lo
	s_delay_alu instid0(VALU_DEP_2) | instskip(SKIP_1) | instid1(VALU_DEP_2)
	v_add_co_u32 v5, vcc_lo, v5, v11
	s_wait_alu 0xfffd
	v_add_co_ci_u32_e32 v5, vcc_lo, v6, v12, vcc_lo
	s_wait_alu 0xfffd
	v_add_co_ci_u32_e32 v6, vcc_lo, 0, v14, vcc_lo
	s_delay_alu instid0(VALU_DEP_2) | instskip(SKIP_1) | instid1(VALU_DEP_2)
	v_add_co_u32 v8, vcc_lo, v5, v13
	s_wait_alu 0xfffd
	v_add_co_ci_u32_e64 v11, null, 0, v6, vcc_lo
	s_delay_alu instid0(VALU_DEP_2) | instskip(SKIP_1) | instid1(VALU_DEP_3)
	v_mul_lo_u32 v12, s13, v8
	v_mad_co_u64_u32 v[5:6], null, s12, v8, 0
	v_mul_lo_u32 v13, s12, v11
	s_delay_alu instid0(VALU_DEP_2) | instskip(NEXT) | instid1(VALU_DEP_2)
	v_sub_co_u32 v5, vcc_lo, v9, v5
	v_add3_u32 v6, v6, v13, v12
	v_add_co_u32 v13, s2, v8, 2
	s_wait_alu 0xf1ff
	v_add_co_ci_u32_e64 v14, null, 0, v11, s2
	s_delay_alu instid0(VALU_DEP_3) | instskip(SKIP_3) | instid1(VALU_DEP_3)
	v_sub_nc_u32_e32 v12, v10, v6
	v_sub_co_u32 v16, s2, v5, s12
	s_wait_alu 0xfffd
	v_sub_co_ci_u32_e64 v6, null, v10, v6, vcc_lo
	v_subrev_co_ci_u32_e64 v12, null, s13, v12, vcc_lo
	s_delay_alu instid0(VALU_DEP_3) | instskip(SKIP_1) | instid1(VALU_DEP_2)
	v_cmp_le_u32_e32 vcc_lo, s12, v16
	s_wait_alu 0xf1ff
	v_subrev_co_ci_u32_e64 v12, null, 0, v12, s2
	s_wait_alu 0xfffd
	v_cndmask_b32_e64 v16, 0, -1, vcc_lo
	v_cmp_eq_u32_e64 s2, s13, v6
	s_delay_alu instid0(VALU_DEP_3)
	v_cmp_le_u32_e32 vcc_lo, s13, v12
	s_wait_alu 0xfffd
	v_cndmask_b32_e64 v17, 0, -1, vcc_lo
	v_cmp_le_u32_e32 vcc_lo, s12, v5
	s_wait_alu 0xfffd
	v_cndmask_b32_e64 v5, 0, -1, vcc_lo
	;; [unrolled: 3-line block ×3, first 2 shown]
	v_cmp_eq_u32_e32 vcc_lo, s13, v12
	s_wait_alu 0xf1ff
	s_delay_alu instid0(VALU_DEP_2)
	v_cndmask_b32_e64 v5, v18, v5, s2
	s_wait_alu 0xfffd
	v_cndmask_b32_e32 v12, v17, v16, vcc_lo
	v_add_co_u32 v16, vcc_lo, v8, 1
	s_wait_alu 0xfffd
	v_add_co_ci_u32_e64 v17, null, 0, v11, vcc_lo
	s_delay_alu instid0(VALU_DEP_3) | instskip(SKIP_2) | instid1(VALU_DEP_3)
	v_cmp_ne_u32_e32 vcc_lo, 0, v12
	s_wait_alu 0xfffd
	v_cndmask_b32_e32 v12, v16, v13, vcc_lo
	v_cndmask_b32_e32 v6, v17, v14, vcc_lo
	v_cmp_ne_u32_e32 vcc_lo, 0, v5
	s_wait_alu 0xfffd
	s_delay_alu instid0(VALU_DEP_2)
	v_dual_cndmask_b32 v5, v8, v12 :: v_dual_cndmask_b32 v6, v11, v6
.LBB46_5:                               ;   in Loop: Header=BB46_3 Depth=1
	s_wait_alu 0xfffe
	s_and_not1_saveexec_b32 s2, s15
	s_cbranch_execz .LBB46_7
; %bb.6:                                ;   in Loop: Header=BB46_3 Depth=1
	v_cvt_f32_u32_e32 v5, s12
	s_sub_co_i32 s15, 0, s12
	s_delay_alu instid0(VALU_DEP_1) | instskip(NEXT) | instid1(TRANS32_DEP_1)
	v_rcp_iflag_f32_e32 v5, v5
	v_mul_f32_e32 v5, 0x4f7ffffe, v5
	s_delay_alu instid0(VALU_DEP_1) | instskip(SKIP_1) | instid1(VALU_DEP_1)
	v_cvt_u32_f32_e32 v5, v5
	s_wait_alu 0xfffe
	v_mul_lo_u32 v6, s15, v5
	s_delay_alu instid0(VALU_DEP_1) | instskip(NEXT) | instid1(VALU_DEP_1)
	v_mul_hi_u32 v6, v5, v6
	v_add_nc_u32_e32 v5, v5, v6
	s_delay_alu instid0(VALU_DEP_1) | instskip(NEXT) | instid1(VALU_DEP_1)
	v_mul_hi_u32 v5, v9, v5
	v_mul_lo_u32 v6, v5, s12
	v_add_nc_u32_e32 v8, 1, v5
	s_delay_alu instid0(VALU_DEP_2) | instskip(NEXT) | instid1(VALU_DEP_1)
	v_sub_nc_u32_e32 v6, v9, v6
	v_subrev_nc_u32_e32 v11, s12, v6
	v_cmp_le_u32_e32 vcc_lo, s12, v6
	s_wait_alu 0xfffd
	s_delay_alu instid0(VALU_DEP_2) | instskip(NEXT) | instid1(VALU_DEP_1)
	v_dual_cndmask_b32 v6, v6, v11 :: v_dual_cndmask_b32 v5, v5, v8
	v_cmp_le_u32_e32 vcc_lo, s12, v6
	s_delay_alu instid0(VALU_DEP_2) | instskip(SKIP_1) | instid1(VALU_DEP_1)
	v_add_nc_u32_e32 v8, 1, v5
	s_wait_alu 0xfffd
	v_dual_mov_b32 v6, v7 :: v_dual_cndmask_b32 v5, v5, v8
.LBB46_7:                               ;   in Loop: Header=BB46_3 Depth=1
	s_wait_alu 0xfffe
	s_or_b32 exec_lo, exec_lo, s2
	s_load_b64 s[16:17], s[10:11], 0xc8
	s_delay_alu instid0(VALU_DEP_1)
	v_mul_lo_u32 v8, v6, s12
	v_mul_lo_u32 v13, v5, s13
	v_mad_co_u64_u32 v[11:12], null, v5, s12, 0
	s_add_co_i32 s14, s14, -1
	s_add_nc_u64 s[10:11], s[10:11], -8
	s_wait_alu 0xfffe
	s_cmp_gt_u32 s14, 2
	v_add3_u32 v8, v12, v13, v8
	v_sub_co_u32 v9, vcc_lo, v9, v11
	s_wait_alu 0xfffd
	s_delay_alu instid0(VALU_DEP_2) | instskip(SKIP_1) | instid1(VALU_DEP_2)
	v_sub_co_ci_u32_e64 v8, null, v10, v8, vcc_lo
	s_wait_kmcnt 0x0
	v_mul_lo_u32 v10, s17, v9
	s_delay_alu instid0(VALU_DEP_2) | instskip(SKIP_1) | instid1(VALU_DEP_1)
	v_mul_lo_u32 v8, s16, v8
	v_mad_co_u64_u32 v[1:2], null, s16, v9, v[1:2]
	v_add3_u32 v2, v10, v2, v8
	s_cbranch_scc0 .LBB46_9
; %bb.8:                                ;   in Loop: Header=BB46_3 Depth=1
	v_dual_mov_b32 v10, v6 :: v_dual_mov_b32 v9, v5
	s_branch .LBB46_3
.LBB46_9:
	s_clause 0x1
	s_load_b32 s14, s[0:1], 0x350
	s_load_b64 s[12:13], s[0:1], 0xd0
	v_dual_mov_b32 v7, 0 :: v_dual_mov_b32 v14, v4
	v_dual_mov_b32 v8, 0 :: v_dual_mov_b32 v13, v3
	s_add_nc_u64 s[10:11], s[0:1], 0x368
	s_wait_kmcnt 0x0
	s_cmp_lt_i32 s14, 2
	s_cbranch_scc1 .LBB46_17
; %bb.10:
	s_add_co_i32 s2, s14, -1
	s_mov_b32 s3, 0
	v_dual_mov_b32 v7, 0 :: v_dual_mov_b32 v12, v4
	s_wait_alu 0xfffe
	s_lshl_b64 s[16:17], s[2:3], 3
	v_dual_mov_b32 v8, 0 :: v_dual_mov_b32 v9, 0
	v_mov_b32_e32 v11, v3
	s_wait_alu 0xfffe
	s_add_nc_u64 s[16:17], s[0:1], s[16:17]
	s_add_co_i32 s18, s14, 1
	s_wait_alu 0xfffe
	s_add_nc_u64 s[14:15], s[16:17], 0x1c0
.LBB46_11:                              ; =>This Inner Loop Header: Depth=1
	s_load_b64 s[16:17], s[14:15], 0x0
                                        ; implicit-def: $vgpr13_vgpr14
	s_mov_b32 s2, exec_lo
	s_wait_kmcnt 0x0
	v_or_b32_e32 v10, s17, v12
	s_delay_alu instid0(VALU_DEP_1)
	v_cmpx_ne_u64_e32 0, v[9:10]
	s_wait_alu 0xfffe
	s_xor_b32 s19, exec_lo, s2
	s_cbranch_execz .LBB46_13
; %bb.12:                               ;   in Loop: Header=BB46_11 Depth=1
	s_cvt_f32_u32 s2, s16
	s_cvt_f32_u32 s20, s17
	s_sub_nc_u64 s[22:23], 0, s[16:17]
	s_wait_alu 0xfffe
	s_delay_alu instid0(SALU_CYCLE_1) | instskip(SKIP_1) | instid1(SALU_CYCLE_2)
	s_fmamk_f32 s2, s20, 0x4f800000, s2
	s_wait_alu 0xfffe
	v_s_rcp_f32 s2, s2
	s_delay_alu instid0(TRANS32_DEP_1) | instskip(SKIP_1) | instid1(SALU_CYCLE_2)
	s_mul_f32 s2, s2, 0x5f7ffffc
	s_wait_alu 0xfffe
	s_mul_f32 s20, s2, 0x2f800000
	s_wait_alu 0xfffe
	s_delay_alu instid0(SALU_CYCLE_2) | instskip(SKIP_1) | instid1(SALU_CYCLE_2)
	s_trunc_f32 s20, s20
	s_wait_alu 0xfffe
	s_fmamk_f32 s2, s20, 0xcf800000, s2
	s_cvt_u32_f32 s21, s20
	s_wait_alu 0xfffe
	s_delay_alu instid0(SALU_CYCLE_1) | instskip(SKIP_1) | instid1(SALU_CYCLE_2)
	s_cvt_u32_f32 s20, s2
	s_wait_alu 0xfffe
	s_mul_u64 s[24:25], s[22:23], s[20:21]
	s_delay_alu instid0(SALU_CYCLE_1)
	s_mul_hi_u32 s27, s20, s25
	s_mul_i32 s26, s20, s25
	s_mul_hi_u32 s2, s20, s24
	s_mul_i32 s29, s21, s24
	s_wait_alu 0xfffe
	s_add_nc_u64 s[26:27], s[2:3], s[26:27]
	s_mul_hi_u32 s28, s21, s24
	s_mul_hi_u32 s30, s21, s25
	s_add_co_u32 s2, s26, s29
	s_add_co_ci_u32 s2, s27, s28
	s_mul_i32 s24, s21, s25
	s_add_co_ci_u32 s25, s30, 0
	s_wait_alu 0xfffe
	s_add_nc_u64 s[24:25], s[2:3], s[24:25]
	s_delay_alu instid0(SALU_CYCLE_1)
	s_add_co_u32 s20, s20, s24
	s_cselect_b32 s2, -1, 0
	s_wait_alu 0xfffe
	s_cmp_lg_u32 s2, 0
	s_add_co_ci_u32 s21, s21, s25
	s_wait_alu 0xfffe
	s_mul_u64 s[22:23], s[22:23], s[20:21]
	s_delay_alu instid0(SALU_CYCLE_1)
	s_mul_hi_u32 s25, s20, s23
	s_mul_i32 s24, s20, s23
	s_mul_hi_u32 s2, s20, s22
	s_mul_i32 s27, s21, s22
	s_wait_alu 0xfffe
	s_add_nc_u64 s[24:25], s[2:3], s[24:25]
	s_mul_hi_u32 s26, s21, s22
	s_mul_hi_u32 s28, s21, s23
	s_add_co_u32 s2, s24, s27
	s_add_co_ci_u32 s2, s25, s26
	s_mul_i32 s22, s21, s23
	s_add_co_ci_u32 s23, s28, 0
	s_wait_alu 0xfffe
	s_add_nc_u64 s[22:23], s[2:3], s[22:23]
	s_delay_alu instid0(SALU_CYCLE_1)
	s_add_co_u32 s2, s20, s22
	s_cselect_b32 s20, -1, 0
	s_wait_alu 0xfffe
	v_mul_hi_u32 v10, v11, s2
	s_cmp_lg_u32 s20, 0
	v_mad_co_u64_u32 v[16:17], null, v12, s2, 0
	s_add_co_ci_u32 s20, s21, s23
	s_wait_alu 0xfffe
	v_mad_co_u64_u32 v[13:14], null, v11, s20, 0
	v_mad_co_u64_u32 v[18:19], null, v12, s20, 0
	s_delay_alu instid0(VALU_DEP_2) | instskip(SKIP_1) | instid1(VALU_DEP_3)
	v_add_co_u32 v10, vcc_lo, v10, v13
	s_wait_alu 0xfffd
	v_add_co_ci_u32_e64 v13, null, 0, v14, vcc_lo
	s_delay_alu instid0(VALU_DEP_2) | instskip(SKIP_1) | instid1(VALU_DEP_2)
	v_add_co_u32 v10, vcc_lo, v10, v16
	s_wait_alu 0xfffd
	v_add_co_ci_u32_e32 v10, vcc_lo, v13, v17, vcc_lo
	s_wait_alu 0xfffd
	v_add_co_ci_u32_e32 v13, vcc_lo, 0, v19, vcc_lo
	s_delay_alu instid0(VALU_DEP_2) | instskip(SKIP_1) | instid1(VALU_DEP_2)
	v_add_co_u32 v10, vcc_lo, v10, v18
	s_wait_alu 0xfffd
	v_add_co_ci_u32_e64 v16, null, 0, v13, vcc_lo
	s_delay_alu instid0(VALU_DEP_2) | instskip(SKIP_1) | instid1(VALU_DEP_3)
	v_mul_lo_u32 v17, s17, v10
	v_mad_co_u64_u32 v[13:14], null, s16, v10, 0
	v_mul_lo_u32 v18, s16, v16
	s_delay_alu instid0(VALU_DEP_2) | instskip(NEXT) | instid1(VALU_DEP_2)
	v_sub_co_u32 v13, vcc_lo, v11, v13
	v_add3_u32 v14, v14, v18, v17
	v_add_co_u32 v18, s2, v10, 2
	s_wait_alu 0xf1ff
	v_add_co_ci_u32_e64 v19, null, 0, v16, s2
	s_delay_alu instid0(VALU_DEP_3) | instskip(SKIP_3) | instid1(VALU_DEP_3)
	v_sub_nc_u32_e32 v17, v12, v14
	v_sub_co_u32 v20, s2, v13, s16
	s_wait_alu 0xfffd
	v_sub_co_ci_u32_e64 v14, null, v12, v14, vcc_lo
	v_subrev_co_ci_u32_e64 v17, null, s17, v17, vcc_lo
	s_delay_alu instid0(VALU_DEP_3) | instskip(SKIP_1) | instid1(VALU_DEP_2)
	v_cmp_le_u32_e32 vcc_lo, s16, v20
	s_wait_alu 0xf1ff
	v_subrev_co_ci_u32_e64 v17, null, 0, v17, s2
	s_wait_alu 0xfffd
	v_cndmask_b32_e64 v20, 0, -1, vcc_lo
	v_cmp_eq_u32_e64 s2, s17, v14
	s_delay_alu instid0(VALU_DEP_3)
	v_cmp_le_u32_e32 vcc_lo, s17, v17
	s_wait_alu 0xfffd
	v_cndmask_b32_e64 v21, 0, -1, vcc_lo
	v_cmp_le_u32_e32 vcc_lo, s16, v13
	s_wait_alu 0xfffd
	v_cndmask_b32_e64 v13, 0, -1, vcc_lo
	;; [unrolled: 3-line block ×3, first 2 shown]
	v_cmp_eq_u32_e32 vcc_lo, s17, v17
	s_wait_alu 0xf1ff
	s_delay_alu instid0(VALU_DEP_2)
	v_cndmask_b32_e64 v13, v22, v13, s2
	s_wait_alu 0xfffd
	v_cndmask_b32_e32 v17, v21, v20, vcc_lo
	v_add_co_u32 v20, vcc_lo, v10, 1
	s_wait_alu 0xfffd
	v_add_co_ci_u32_e64 v21, null, 0, v16, vcc_lo
	s_delay_alu instid0(VALU_DEP_3) | instskip(SKIP_1) | instid1(VALU_DEP_2)
	v_cmp_ne_u32_e32 vcc_lo, 0, v17
	s_wait_alu 0xfffd
	v_dual_cndmask_b32 v14, v21, v19 :: v_dual_cndmask_b32 v17, v20, v18
	v_cmp_ne_u32_e32 vcc_lo, 0, v13
	s_wait_alu 0xfffd
	s_delay_alu instid0(VALU_DEP_2)
	v_dual_cndmask_b32 v14, v16, v14 :: v_dual_cndmask_b32 v13, v10, v17
.LBB46_13:                              ;   in Loop: Header=BB46_11 Depth=1
	s_wait_alu 0xfffe
	s_and_not1_saveexec_b32 s2, s19
	s_cbranch_execz .LBB46_15
; %bb.14:                               ;   in Loop: Header=BB46_11 Depth=1
	v_cvt_f32_u32_e32 v10, s16
	s_sub_co_i32 s19, 0, s16
	s_delay_alu instid0(VALU_DEP_1) | instskip(NEXT) | instid1(TRANS32_DEP_1)
	v_rcp_iflag_f32_e32 v10, v10
	v_mul_f32_e32 v10, 0x4f7ffffe, v10
	s_delay_alu instid0(VALU_DEP_1) | instskip(SKIP_1) | instid1(VALU_DEP_1)
	v_cvt_u32_f32_e32 v10, v10
	s_wait_alu 0xfffe
	v_mul_lo_u32 v13, s19, v10
	s_delay_alu instid0(VALU_DEP_1) | instskip(NEXT) | instid1(VALU_DEP_1)
	v_mul_hi_u32 v13, v10, v13
	v_add_nc_u32_e32 v10, v10, v13
	s_delay_alu instid0(VALU_DEP_1) | instskip(NEXT) | instid1(VALU_DEP_1)
	v_mul_hi_u32 v10, v11, v10
	v_mul_lo_u32 v13, v10, s16
	v_add_nc_u32_e32 v14, 1, v10
	s_delay_alu instid0(VALU_DEP_2) | instskip(NEXT) | instid1(VALU_DEP_1)
	v_sub_nc_u32_e32 v13, v11, v13
	v_subrev_nc_u32_e32 v16, s16, v13
	v_cmp_le_u32_e32 vcc_lo, s16, v13
	s_wait_alu 0xfffd
	s_delay_alu instid0(VALU_DEP_2) | instskip(NEXT) | instid1(VALU_DEP_1)
	v_dual_cndmask_b32 v13, v13, v16 :: v_dual_cndmask_b32 v10, v10, v14
	v_cmp_le_u32_e32 vcc_lo, s16, v13
	s_delay_alu instid0(VALU_DEP_2) | instskip(SKIP_1) | instid1(VALU_DEP_1)
	v_add_nc_u32_e32 v14, 1, v10
	s_wait_alu 0xfffd
	v_dual_cndmask_b32 v13, v10, v14 :: v_dual_mov_b32 v14, v9
.LBB46_15:                              ;   in Loop: Header=BB46_11 Depth=1
	s_wait_alu 0xfffe
	s_or_b32 exec_lo, exec_lo, s2
	s_load_b64 s[20:21], s[14:15], 0xc8
	s_delay_alu instid0(VALU_DEP_1)
	v_mul_lo_u32 v10, v14, s16
	v_mul_lo_u32 v18, v13, s17
	v_mad_co_u64_u32 v[16:17], null, v13, s16, 0
	s_add_co_i32 s18, s18, -1
	s_add_nc_u64 s[14:15], s[14:15], -8
	s_wait_alu 0xfffe
	s_cmp_gt_u32 s18, 2
	v_add3_u32 v10, v17, v18, v10
	v_sub_co_u32 v11, vcc_lo, v11, v16
	s_wait_alu 0xfffd
	s_delay_alu instid0(VALU_DEP_2) | instskip(SKIP_1) | instid1(VALU_DEP_2)
	v_sub_co_ci_u32_e64 v10, null, v12, v10, vcc_lo
	s_wait_kmcnt 0x0
	v_mul_lo_u32 v12, s21, v11
	s_delay_alu instid0(VALU_DEP_2) | instskip(SKIP_1) | instid1(VALU_DEP_1)
	v_mul_lo_u32 v10, s20, v10
	v_mad_co_u64_u32 v[7:8], null, s20, v11, v[7:8]
	v_add3_u32 v8, v12, v8, v10
	s_cbranch_scc0 .LBB46_17
; %bb.16:                               ;   in Loop: Header=BB46_11 Depth=1
	v_dual_mov_b32 v11, v13 :: v_dual_mov_b32 v12, v14
	s_branch .LBB46_11
.LBB46_17:
	s_load_b64 s[14:15], s[0:1], 0x288
	v_mul_lo_u32 v18, s13, v5
	v_mul_lo_u32 v6, s12, v6
	v_mad_co_u64_u32 v[9:10], null, s12, v5, 0
	v_cmp_gt_u64_e32 vcc_lo, s[4:5], v[3:4]
	s_load_b32 s2, s[10:11], 0xc
	s_clause 0x2
	s_load_b64 s[10:11], s[0:1], 0x358
	s_load_b64 s[4:5], s[0:1], 0x0
	;; [unrolled: 1-line block ×3, first 2 shown]
	v_mov_b32_e32 v5, 0
	v_lshlrev_b64_e32 v[16:17], 3, v[7:8]
	v_add3_u32 v10, v10, v6, v18
	s_delay_alu instid0(VALU_DEP_3) | instskip(NEXT) | instid1(VALU_DEP_1)
	v_dual_mov_b32 v7, v5 :: v_dual_and_b32 v6, 0x3ff, v0
	v_cmp_gt_u64_e64 s0, s[6:7], v[6:7]
	s_wait_kmcnt 0x0
	v_mul_lo_u32 v4, s15, v13
	v_mul_lo_u32 v19, s14, v14
	v_mad_co_u64_u32 v[11:12], null, s14, v13, 0
	v_lshlrev_b64_e32 v[13:14], 3, v[1:2]
	v_mov_b32_e32 v2, 0
	v_dual_mov_b32 v3, 0 :: v_dual_mov_b32 v0, 0
	v_mov_b32_e32 v1, 0
	v_add3_u32 v12, v12, v19, v4
	v_lshlrev_b64_e32 v[18:19], 3, v[9:10]
	v_mov_b32_e32 v8, 0
	v_mov_b32_e32 v9, 0
	s_delay_alu instid0(VALU_DEP_4) | instskip(NEXT) | instid1(VALU_DEP_4)
	v_lshlrev_b64_e32 v[10:11], 3, v[11:12]
	v_add_co_u32 v4, s1, s4, v18
	s_delay_alu instid0(VALU_DEP_1) | instskip(NEXT) | instid1(VALU_DEP_3)
	v_add_co_ci_u32_e64 v12, null, s5, v19, s1
	v_add_co_u32 v10, s1, s12, v10
	s_wait_alu 0xf1ff
	s_delay_alu instid0(VALU_DEP_4)
	v_add_co_ci_u32_e64 v11, null, s13, v11, s1
	v_add_co_u32 v7, s1, v4, v13
	s_wait_alu 0xf1ff
	v_add_co_ci_u32_e64 v12, null, v12, v14, s1
	v_add_co_u32 v13, s1, v10, v16
	s_wait_alu 0xf1ff
	v_add_co_ci_u32_e64 v14, null, v11, v17, s1
	s_and_b32 s4, vcc_lo, s0
	s_wait_alu 0xfffe
	s_and_saveexec_b32 s3, s4
	s_cbranch_execz .LBB46_19
; %bb.18:
	v_mad_co_u64_u32 v[8:9], null, s10, v6, 0
	v_mad_co_u64_u32 v[2:3], null, s8, v6, 0
	s_delay_alu instid0(VALU_DEP_2) | instskip(NEXT) | instid1(VALU_DEP_1)
	v_mov_b32_e32 v4, v9
	v_mad_co_u64_u32 v[9:10], null, s9, v6, v[3:4]
	s_delay_alu instid0(VALU_DEP_1) | instskip(SKIP_1) | instid1(VALU_DEP_2)
	v_mov_b32_e32 v3, v9
	v_mad_co_u64_u32 v[10:11], null, s11, v6, v[4:5]
	v_lshlrev_b64_e32 v[2:3], 3, v[2:3]
	s_delay_alu instid0(VALU_DEP_2) | instskip(NEXT) | instid1(VALU_DEP_2)
	v_mov_b32_e32 v9, v10
	v_add_co_u32 v2, s1, v7, v2
	s_wait_alu 0xf1ff
	s_delay_alu instid0(VALU_DEP_3) | instskip(NEXT) | instid1(VALU_DEP_3)
	v_add_co_ci_u32_e64 v3, null, v12, v3, s1
	v_lshlrev_b64_e32 v[8:9], 3, v[8:9]
	s_delay_alu instid0(VALU_DEP_1) | instskip(SKIP_1) | instid1(VALU_DEP_2)
	v_add_co_u32 v10, s1, v13, v8
	s_wait_alu 0xf1ff
	v_add_co_ci_u32_e64 v11, null, v14, v9, s1
	global_load_b64 v[8:9], v[2:3], off
	global_load_b64 v[2:3], v[10:11], off
.LBB46_19:
	s_wait_alu 0xfffe
	s_or_b32 exec_lo, exec_lo, s3
	s_and_b32 s3, 0xffff, s2
	v_dual_mov_b32 v10, 0 :: v_dual_lshlrev_b32 v17, 8, v15
	s_wait_alu 0xfffe
	v_dual_mov_b32 v11, 0 :: v_dual_add_nc_u32 v4, s3, v6
	v_lshlrev_b32_e32 v19, 3, v6
	s_delay_alu instid0(VALU_DEP_3) | instskip(SKIP_1) | instid1(VALU_DEP_4)
	v_add_nc_u32_e32 v16, 0x1000, v17
	v_lshl_add_u32 v18, v15, 5, 0x2000
	v_cmp_gt_u64_e64 s1, s[6:7], v[4:5]
	v_cndmask_b32_e64 v20, 0, 1, s4
	v_add_nc_u32_e32 v5, v17, v19
	v_add_nc_u32_e32 v15, v16, v19
	;; [unrolled: 1-line block ×3, first 2 shown]
	s_wait_loadcnt 0x1
	ds_store_b64 v5, v[8:9]
	s_wait_loadcnt 0x0
	ds_store_b64 v15, v[2:3]
	ds_store_b8 v21, v20
	s_and_b32 s4, vcc_lo, s1
	s_wait_alu 0xfffe
	s_and_saveexec_b32 s5, s4
	s_cbranch_execz .LBB46_21
; %bb.20:
	v_mad_co_u64_u32 v[0:1], null, s8, v4, 0
	v_mad_co_u64_u32 v[2:3], null, s10, v4, 0
	s_delay_alu instid0(VALU_DEP_1) | instskip(NEXT) | instid1(VALU_DEP_2)
	v_mad_co_u64_u32 v[8:9], null, s9, v4, v[1:2]
	v_mad_co_u64_u32 v[9:10], null, s11, v4, v[3:4]
	s_delay_alu instid0(VALU_DEP_2) | instskip(NEXT) | instid1(VALU_DEP_2)
	v_mov_b32_e32 v1, v8
	v_mov_b32_e32 v3, v9
	s_delay_alu instid0(VALU_DEP_2) | instskip(NEXT) | instid1(VALU_DEP_2)
	v_lshlrev_b64_e32 v[0:1], 3, v[0:1]
	v_lshlrev_b64_e32 v[2:3], 3, v[2:3]
	s_delay_alu instid0(VALU_DEP_2) | instskip(SKIP_1) | instid1(VALU_DEP_3)
	v_add_co_u32 v0, s2, v7, v0
	s_wait_alu 0xf1ff
	v_add_co_ci_u32_e64 v1, null, v12, v1, s2
	s_delay_alu instid0(VALU_DEP_3)
	v_add_co_u32 v2, s2, v13, v2
	s_wait_alu 0xf1ff
	v_add_co_ci_u32_e64 v3, null, v14, v3, s2
	global_load_b64 v[0:1], v[0:1], off
	global_load_b64 v[10:11], v[2:3], off
.LBB46_21:
	s_wait_alu 0xfffe
	s_or_b32 exec_lo, exec_lo, s5
	s_lshl_b32 s2, s3, 3
	v_cndmask_b32_e64 v2, 0, 1, s4
	s_wait_alu 0xfffe
	v_add_nc_u32_e32 v8, s2, v5
	v_add_nc_u32_e32 v9, s2, v15
	;; [unrolled: 1-line block ×3, first 2 shown]
	v_lshlrev_b32_e32 v22, 1, v6
	v_and_b32_e32 v20, 1, v6
	s_wait_loadcnt 0x1
	ds_store_b64 v8, v[0:1]
	s_wait_loadcnt 0x0
	ds_store_b64 v9, v[10:11]
	ds_store_b8 v3, v2
	v_add_nc_u32_e32 v10, v5, v19
	s_wait_dscnt 0x0
	s_barrier_signal -1
	s_barrier_wait -1
	global_inv scope:SCOPE_SE
	ds_load_b128 v[0:3], v10
	v_add_nc_u32_e32 v11, v18, v22
	ds_load_u16 v21, v11
	s_wait_dscnt 0x1
	v_cmp_u_f64_e64 s2, v[2:3], v[2:3]
	v_cmp_o_f64_e64 s3, v[0:1], v[0:1]
	v_cmp_lt_f64_e64 s4, v[0:1], v[2:3]
	s_wait_dscnt 0x0
	v_lshrrev_b16 v24, 8, v21
	v_and_b32_e32 v23, 1, v21
	s_delay_alu instid0(VALU_DEP_2) | instskip(NEXT) | instid1(VALU_DEP_2)
	v_cmp_ne_u16_e64 s6, v24, v20
	v_cmp_eq_u32_e64 s5, 1, v23
	s_wait_alu 0xf1ff
	s_delay_alu instid0(VALU_DEP_2)
	v_cndmask_b32_e64 v23, 0, 1, s6
	s_and_b32 s2, s2, s3
	s_wait_alu 0xfffe
	s_or_b32 s2, s2, s4
	s_wait_alu 0xfffe
	s_and_b32 s2, s2, s5
	s_wait_alu 0xfffe
	v_cndmask_b32_e64 v23, v23, v6, s2
	s_delay_alu instid0(VALU_DEP_1) | instskip(NEXT) | instid1(VALU_DEP_1)
	v_and_b32_e32 v23, 1, v23
	v_cmp_eq_u32_e64 s2, 1, v23
	v_add_nc_u32_e32 v23, v15, v19
	s_and_saveexec_b32 s3, s2
	s_wait_alu 0xfffe
	s_xor_b32 s2, exec_lo, s3
	s_cbranch_execz .LBB46_23
; %bb.22:
	ds_load_b128 v[25:28], v23
	v_mov_b32_e32 v31, v0
	v_lshlrev_b16 v0, 8, v21
	v_dual_mov_b32 v29, v2 :: v_dual_mov_b32 v30, v3
	v_mov_b32_e32 v32, v1
	s_delay_alu instid0(VALU_DEP_3)
	v_or_b32_e32 v0, v24, v0
	s_wait_dscnt 0x0
	v_dual_mov_b32 v33, v27 :: v_dual_mov_b32 v36, v26
	v_dual_mov_b32 v34, v28 :: v_dual_mov_b32 v35, v25
	ds_store_b128 v23, v[33:36]
	ds_store_b128 v10, v[29:32]
	ds_store_b16 v11, v0
.LBB46_23:
	s_wait_alu 0xfffe
	s_or_b32 exec_lo, exec_lo, s2
	v_sub_nc_u32_e32 v21, v22, v20
	s_wait_loadcnt_dscnt 0x0
	s_barrier_signal -1
	s_barrier_wait -1
	global_inv scope:SCOPE_SE
	v_lshl_add_u32 v19, v21, 3, v17
	v_add_nc_u32_e32 v20, v18, v21
	v_bfe_u32 v25, v6, 1, 1
	v_lshl_add_u32 v21, v21, 3, v16
	ds_load_2addr_b64 v[0:3], v19 offset1:2
	ds_load_u8 v24, v20
	ds_load_u8 v26, v20 offset:2
	s_wait_dscnt 0x1
	v_and_b32_e32 v27, 1, v24
	v_cmp_u_f64_e64 s2, v[2:3], v[2:3]
	v_cmp_o_f64_e64 s3, v[0:1], v[0:1]
	v_cmp_lt_f64_e64 s4, v[0:1], v[2:3]
	s_wait_dscnt 0x0
	v_cmp_ne_u16_e64 s5, v26, v25
	s_wait_alu 0xf1ff
	s_delay_alu instid0(VALU_DEP_1)
	v_cndmask_b32_e64 v28, 0, 1, s5
	v_cmp_eq_u32_e64 s5, 1, v27
	s_and_b32 s2, s2, s3
	s_wait_alu 0xfffe
	s_or_b32 s2, s2, s4
	s_wait_alu 0xfffe
	s_and_b32 s2, s2, s5
	s_wait_alu 0xfffe
	v_cndmask_b32_e64 v27, v28, v25, s2
	v_and_b32_e32 v25, 2, v6
	s_delay_alu instid0(VALU_DEP_2) | instskip(NEXT) | instid1(VALU_DEP_2)
	v_and_b32_e32 v27, 1, v27
	v_cmp_ne_u32_e64 s2, 0, v25
	s_delay_alu instid0(VALU_DEP_2)
	v_cmp_eq_u32_e64 s3, 1, v27
	s_and_saveexec_b32 s4, s3
	s_wait_alu 0xfffe
	s_xor_b32 s3, exec_lo, s4
	s_cbranch_execz .LBB46_25
; %bb.24:
	ds_load_2addr_b64 v[27:30], v21 offset1:2
	ds_store_2addr_b64 v19, v[2:3], v[0:1] offset1:2
	s_wait_dscnt 0x1
	ds_store_2addr_b64 v21, v[29:30], v[27:28] offset1:2
	ds_store_b8 v20, v26
	ds_store_b8 v20, v24 offset:2
.LBB46_25:
	s_wait_alu 0xfffe
	s_or_b32 exec_lo, exec_lo, s3
	s_wait_loadcnt_dscnt 0x0
	s_barrier_signal -1
	s_barrier_wait -1
	global_inv scope:SCOPE_SE
	ds_load_b128 v[0:3], v10
	ds_load_u16 v24, v11
	v_lshrrev_b32_e32 v26, 1, v25
	v_cndmask_b32_e64 v28, 0, 1, s2
	s_wait_dscnt 0x1
	v_cmp_u_f64_e64 s3, v[2:3], v[2:3]
	v_cmp_o_f64_e64 s4, v[0:1], v[0:1]
	v_cmp_lt_f64_e64 s5, v[0:1], v[2:3]
	s_wait_dscnt 0x0
	v_lshrrev_b16 v25, 8, v24
	v_and_b32_e32 v27, 1, v24
	s_delay_alu instid0(VALU_DEP_2) | instskip(NEXT) | instid1(VALU_DEP_2)
	v_cmp_ne_u16_e64 s6, v25, v26
	v_cmp_eq_u32_e64 s2, 1, v27
	s_wait_alu 0xf1ff
	s_delay_alu instid0(VALU_DEP_2)
	v_cndmask_b32_e64 v26, 0, 1, s6
	s_and_b32 s3, s3, s4
	s_wait_alu 0xfffe
	s_or_b32 s3, s3, s5
	s_wait_alu 0xfffe
	s_and_b32 s2, s3, s2
	s_mov_b32 s3, exec_lo
	s_wait_alu 0xfffe
	v_cndmask_b32_e64 v26, v26, v28, s2
	s_delay_alu instid0(VALU_DEP_1) | instskip(NEXT) | instid1(VALU_DEP_1)
	v_and_b32_e32 v26, 1, v26
	v_cmpx_eq_u32_e32 1, v26
	s_cbranch_execz .LBB46_27
; %bb.26:
	ds_load_b128 v[26:29], v23
	v_mov_b32_e32 v32, v0
	v_lshlrev_b16 v0, 8, v24
	v_dual_mov_b32 v30, v2 :: v_dual_mov_b32 v31, v3
	v_mov_b32_e32 v33, v1
	s_delay_alu instid0(VALU_DEP_3)
	v_or_b32_e32 v0, v25, v0
	s_wait_dscnt 0x0
	v_dual_mov_b32 v34, v28 :: v_dual_mov_b32 v37, v27
	v_dual_mov_b32 v35, v29 :: v_dual_mov_b32 v36, v26
	ds_store_b128 v23, v[34:37]
	ds_store_b128 v10, v[30:33]
	ds_store_b16 v11, v0
.LBB46_27:
	s_or_b32 exec_lo, exec_lo, s3
	v_and_b32_e32 v0, 3, v6
	s_wait_loadcnt_dscnt 0x0
	s_barrier_signal -1
	s_barrier_wait -1
	global_inv scope:SCOPE_SE
	v_sub_nc_u32_e32 v26, v22, v0
	v_bfe_u32 v25, v6, 2, 1
	s_delay_alu instid0(VALU_DEP_2)
	v_lshl_add_u32 v23, v26, 3, v17
	v_add_nc_u32_e32 v24, v18, v26
	v_lshl_add_u32 v26, v26, 3, v16
	ds_load_2addr_b64 v[0:3], v23 offset1:4
	ds_load_u8 v27, v24
	ds_load_u8 v28, v24 offset:4
	s_wait_dscnt 0x1
	v_and_b32_e32 v29, 1, v27
	v_cmp_u_f64_e64 s2, v[2:3], v[2:3]
	v_cmp_o_f64_e64 s3, v[0:1], v[0:1]
	v_cmp_lt_f64_e64 s4, v[0:1], v[2:3]
	s_wait_dscnt 0x0
	v_cmp_ne_u16_e64 s5, v28, v25
	s_wait_alu 0xf1ff
	s_delay_alu instid0(VALU_DEP_1)
	v_cndmask_b32_e64 v30, 0, 1, s5
	v_cmp_eq_u32_e64 s5, 1, v29
	s_and_b32 s2, s2, s3
	s_wait_alu 0xfffe
	s_or_b32 s2, s2, s4
	s_mov_b32 s4, exec_lo
	s_wait_alu 0xfffe
	s_and_b32 s2, s2, s5
	s_wait_alu 0xfffe
	v_cndmask_b32_e64 v29, v30, v25, s2
	v_and_b32_e32 v25, 4, v6
	s_delay_alu instid0(VALU_DEP_2) | instskip(NEXT) | instid1(VALU_DEP_2)
	v_and_b32_e32 v29, 1, v29
	v_cmp_ne_u32_e64 s2, 0, v25
	s_delay_alu instid0(VALU_DEP_2)
	v_cmpx_eq_u32_e32 1, v29
	s_cbranch_execz .LBB46_29
; %bb.28:
	ds_load_2addr_b64 v[29:32], v26 offset1:4
	ds_store_2addr_b64 v23, v[2:3], v[0:1] offset1:4
	s_wait_dscnt 0x1
	ds_store_2addr_b64 v26, v[31:32], v[29:30] offset1:4
	ds_store_b8 v24, v28
	ds_store_b8 v24, v27 offset:4
.LBB46_29:
	s_or_b32 exec_lo, exec_lo, s4
	s_wait_loadcnt_dscnt 0x0
	s_barrier_signal -1
	s_barrier_wait -1
	global_inv scope:SCOPE_SE
	ds_load_2addr_b64 v[0:3], v19 offset1:2
	ds_load_u8 v28, v20
	ds_load_u8 v29, v20 offset:2
	v_lshrrev_b32_e32 v25, 2, v25
	v_cndmask_b32_e64 v27, 0, 1, s2
	s_wait_dscnt 0x1
	v_and_b32_e32 v30, 1, v28
	v_cmp_u_f64_e64 s3, v[2:3], v[2:3]
	v_cmp_o_f64_e64 s4, v[0:1], v[0:1]
	v_cmp_lt_f64_e64 s5, v[0:1], v[2:3]
	s_wait_dscnt 0x0
	v_cmp_ne_u16_e64 s2, v29, v25
	s_wait_alu 0xf1ff
	s_delay_alu instid0(VALU_DEP_1)
	v_cndmask_b32_e64 v31, 0, 1, s2
	v_cmp_eq_u32_e64 s2, 1, v30
	s_and_b32 s3, s3, s4
	s_wait_alu 0xfffe
	s_or_b32 s3, s3, s5
	s_wait_alu 0xfffe
	s_and_b32 s2, s3, s2
	s_mov_b32 s3, exec_lo
	s_wait_alu 0xfffe
	v_cndmask_b32_e64 v30, v31, v27, s2
	s_delay_alu instid0(VALU_DEP_1) | instskip(NEXT) | instid1(VALU_DEP_1)
	v_and_b32_e32 v30, 1, v30
	v_cmpx_eq_u32_e32 1, v30
	s_cbranch_execz .LBB46_31
; %bb.30:
	ds_load_2addr_b64 v[30:33], v21 offset1:2
	ds_store_2addr_b64 v19, v[2:3], v[0:1] offset1:2
	s_wait_dscnt 0x1
	ds_store_2addr_b64 v21, v[32:33], v[30:31] offset1:2
	ds_store_b8 v20, v29
	ds_store_b8 v20, v28 offset:2
.LBB46_31:
	s_or_b32 exec_lo, exec_lo, s3
	s_wait_loadcnt_dscnt 0x0
	s_barrier_signal -1
	s_barrier_wait -1
	global_inv scope:SCOPE_SE
	ds_load_b128 v[0:3], v10
	ds_load_u16 v29, v11
	s_wait_dscnt 0x1
	v_cmp_u_f64_e64 s2, v[2:3], v[2:3]
	v_cmp_o_f64_e64 s3, v[0:1], v[0:1]
	v_cmp_lt_f64_e64 s4, v[0:1], v[2:3]
	s_wait_dscnt 0x0
	v_lshrrev_b16 v28, 8, v29
	v_and_b32_e32 v30, 1, v29
	s_delay_alu instid0(VALU_DEP_2) | instskip(NEXT) | instid1(VALU_DEP_2)
	v_cmp_ne_u16_e64 s6, v28, v25
	v_cmp_eq_u32_e64 s5, 1, v30
	s_wait_alu 0xf1ff
	s_delay_alu instid0(VALU_DEP_2)
	v_cndmask_b32_e64 v25, 0, 1, s6
	s_and_b32 s2, s2, s3
	s_wait_alu 0xfffe
	s_or_b32 s2, s2, s4
	s_wait_alu 0xfffe
	s_and_b32 s2, s2, s5
	s_wait_alu 0xfffe
	v_cndmask_b32_e64 v25, v25, v27, s2
	s_delay_alu instid0(VALU_DEP_1) | instskip(NEXT) | instid1(VALU_DEP_1)
	v_and_b32_e32 v25, 1, v25
	v_cmp_eq_u32_e64 s2, 1, v25
	v_lshl_add_u32 v25, v22, 3, v16
	s_and_saveexec_b32 s3, s2
	s_cbranch_execz .LBB46_33
; %bb.32:
	ds_load_b128 v[30:33], v25
	v_mov_b32_e32 v36, v0
	v_lshlrev_b16 v0, 8, v29
	v_dual_mov_b32 v34, v2 :: v_dual_mov_b32 v35, v3
	v_mov_b32_e32 v37, v1
	s_delay_alu instid0(VALU_DEP_3)
	v_or_b32_e32 v0, v28, v0
	s_wait_dscnt 0x0
	v_dual_mov_b32 v38, v32 :: v_dual_mov_b32 v41, v31
	v_dual_mov_b32 v39, v33 :: v_dual_mov_b32 v40, v30
	ds_store_b128 v25, v[38:41]
	ds_store_b128 v10, v[34:37]
	ds_store_b16 v11, v0
.LBB46_33:
	s_wait_alu 0xfffe
	s_or_b32 exec_lo, exec_lo, s3
	v_and_b32_e32 v0, 7, v6
	s_wait_loadcnt_dscnt 0x0
	s_barrier_signal -1
	s_barrier_wait -1
	global_inv scope:SCOPE_SE
	v_sub_nc_u32_e32 v29, v22, v0
	v_bfe_u32 v30, v6, 3, 1
	s_delay_alu instid0(VALU_DEP_2)
	v_lshl_add_u32 v27, v29, 3, v17
	v_add_nc_u32_e32 v28, v18, v29
	v_lshl_add_u32 v29, v29, 3, v16
	ds_load_2addr_b64 v[0:3], v27 offset1:8
	ds_load_u8 v31, v28
	ds_load_u8 v32, v28 offset:8
	s_wait_dscnt 0x1
	v_and_b32_e32 v33, 1, v31
	v_cmp_u_f64_e64 s2, v[2:3], v[2:3]
	v_cmp_o_f64_e64 s3, v[0:1], v[0:1]
	v_cmp_lt_f64_e64 s4, v[0:1], v[2:3]
	s_wait_dscnt 0x0
	v_cmp_ne_u16_e64 s5, v32, v30
	s_wait_alu 0xf1ff
	s_delay_alu instid0(VALU_DEP_1)
	v_cndmask_b32_e64 v34, 0, 1, s5
	v_cmp_eq_u32_e64 s5, 1, v33
	s_and_b32 s2, s2, s3
	s_wait_alu 0xfffe
	s_or_b32 s2, s2, s4
	s_mov_b32 s4, exec_lo
	s_wait_alu 0xfffe
	s_and_b32 s2, s2, s5
	s_wait_alu 0xfffe
	v_cndmask_b32_e64 v33, v34, v30, s2
	v_and_b32_e32 v30, 8, v6
	s_delay_alu instid0(VALU_DEP_2) | instskip(NEXT) | instid1(VALU_DEP_2)
	v_and_b32_e32 v33, 1, v33
	v_cmp_ne_u32_e64 s2, 0, v30
	s_delay_alu instid0(VALU_DEP_2)
	v_cmpx_eq_u32_e32 1, v33
	s_cbranch_execz .LBB46_35
; %bb.34:
	ds_load_2addr_b64 v[33:36], v29 offset1:8
	ds_store_2addr_b64 v27, v[2:3], v[0:1] offset1:8
	s_wait_dscnt 0x1
	ds_store_2addr_b64 v29, v[35:36], v[33:34] offset1:8
	ds_store_b8 v28, v32
	ds_store_b8 v28, v31 offset:8
.LBB46_35:
	s_or_b32 exec_lo, exec_lo, s4
	s_wait_loadcnt_dscnt 0x0
	s_barrier_signal -1
	s_barrier_wait -1
	global_inv scope:SCOPE_SE
	ds_load_2addr_b64 v[0:3], v23 offset1:4
	ds_load_u8 v32, v24
	ds_load_u8 v33, v24 offset:4
	v_lshrrev_b32_e32 v30, 3, v30
	v_cndmask_b32_e64 v31, 0, 1, s2
	s_wait_dscnt 0x1
	v_and_b32_e32 v34, 1, v32
	v_cmp_u_f64_e64 s3, v[2:3], v[2:3]
	v_cmp_o_f64_e64 s4, v[0:1], v[0:1]
	v_cmp_lt_f64_e64 s5, v[0:1], v[2:3]
	s_wait_dscnt 0x0
	v_cmp_ne_u16_e64 s2, v33, v30
	s_wait_alu 0xf1ff
	s_delay_alu instid0(VALU_DEP_1)
	v_cndmask_b32_e64 v35, 0, 1, s2
	v_cmp_eq_u32_e64 s2, 1, v34
	s_and_b32 s3, s3, s4
	s_wait_alu 0xfffe
	s_or_b32 s3, s3, s5
	s_wait_alu 0xfffe
	s_and_b32 s2, s3, s2
	s_mov_b32 s3, exec_lo
	s_wait_alu 0xfffe
	v_cndmask_b32_e64 v34, v35, v31, s2
	s_delay_alu instid0(VALU_DEP_1) | instskip(NEXT) | instid1(VALU_DEP_1)
	v_and_b32_e32 v34, 1, v34
	v_cmpx_eq_u32_e32 1, v34
	s_cbranch_execz .LBB46_37
; %bb.36:
	ds_load_2addr_b64 v[34:37], v26 offset1:4
	ds_store_2addr_b64 v23, v[2:3], v[0:1] offset1:4
	s_wait_dscnt 0x1
	ds_store_2addr_b64 v26, v[36:37], v[34:35] offset1:4
	ds_store_b8 v24, v33
	ds_store_b8 v24, v32 offset:4
.LBB46_37:
	s_or_b32 exec_lo, exec_lo, s3
	s_wait_loadcnt_dscnt 0x0
	s_barrier_signal -1
	s_barrier_wait -1
	global_inv scope:SCOPE_SE
	ds_load_2addr_b64 v[0:3], v19 offset1:2
	ds_load_u8 v32, v20
	ds_load_u8 v33, v20 offset:2
	s_wait_dscnt 0x1
	v_and_b32_e32 v34, 1, v32
	v_cmp_u_f64_e64 s2, v[2:3], v[2:3]
	v_cmp_o_f64_e64 s3, v[0:1], v[0:1]
	v_cmp_lt_f64_e64 s4, v[0:1], v[2:3]
	s_wait_dscnt 0x0
	v_cmp_ne_u16_e64 s5, v33, v30
	s_wait_alu 0xf1ff
	s_delay_alu instid0(VALU_DEP_1)
	v_cndmask_b32_e64 v35, 0, 1, s5
	v_cmp_eq_u32_e64 s5, 1, v34
	s_and_b32 s2, s2, s3
	s_mov_b32 s3, exec_lo
	s_wait_alu 0xfffe
	s_or_b32 s2, s2, s4
	s_wait_alu 0xfffe
	s_and_b32 s2, s2, s5
	s_wait_alu 0xfffe
	v_cndmask_b32_e64 v34, v35, v31, s2
	s_delay_alu instid0(VALU_DEP_1) | instskip(NEXT) | instid1(VALU_DEP_1)
	v_and_b32_e32 v34, 1, v34
	v_cmpx_eq_u32_e32 1, v34
	s_cbranch_execz .LBB46_39
; %bb.38:
	ds_load_2addr_b64 v[34:37], v21 offset1:2
	ds_store_2addr_b64 v19, v[2:3], v[0:1] offset1:2
	s_wait_dscnt 0x1
	ds_store_2addr_b64 v21, v[36:37], v[34:35] offset1:2
	ds_store_b8 v20, v33
	ds_store_b8 v20, v32 offset:2
.LBB46_39:
	s_or_b32 exec_lo, exec_lo, s3
	s_wait_loadcnt_dscnt 0x0
	s_barrier_signal -1
	s_barrier_wait -1
	global_inv scope:SCOPE_SE
	ds_load_b128 v[0:3], v10
	ds_load_u16 v33, v11
	s_wait_dscnt 0x1
	v_cmp_u_f64_e64 s2, v[2:3], v[2:3]
	v_cmp_o_f64_e64 s3, v[0:1], v[0:1]
	v_cmp_lt_f64_e64 s4, v[0:1], v[2:3]
	s_wait_dscnt 0x0
	v_lshrrev_b16 v32, 8, v33
	v_and_b32_e32 v34, 1, v33
	s_delay_alu instid0(VALU_DEP_2) | instskip(NEXT) | instid1(VALU_DEP_2)
	v_cmp_ne_u16_e64 s6, v32, v30
	v_cmp_eq_u32_e64 s5, 1, v34
	s_wait_alu 0xf1ff
	s_delay_alu instid0(VALU_DEP_2)
	v_cndmask_b32_e64 v30, 0, 1, s6
	s_and_b32 s2, s2, s3
	s_mov_b32 s3, exec_lo
	s_wait_alu 0xfffe
	s_or_b32 s2, s2, s4
	s_wait_alu 0xfffe
	s_and_b32 s2, s2, s5
	s_wait_alu 0xfffe
	v_cndmask_b32_e64 v30, v30, v31, s2
	s_delay_alu instid0(VALU_DEP_1) | instskip(NEXT) | instid1(VALU_DEP_1)
	v_and_b32_e32 v30, 1, v30
	v_cmpx_eq_u32_e32 1, v30
	s_cbranch_execz .LBB46_41
; %bb.40:
	ds_load_b128 v[34:37], v25
	v_mov_b32_e32 v40, v0
	v_lshlrev_b16 v0, 8, v33
	v_dual_mov_b32 v38, v2 :: v_dual_mov_b32 v39, v3
	v_mov_b32_e32 v41, v1
	s_delay_alu instid0(VALU_DEP_3)
	v_or_b32_e32 v0, v32, v0
	s_wait_dscnt 0x0
	v_dual_mov_b32 v42, v36 :: v_dual_mov_b32 v45, v35
	v_dual_mov_b32 v43, v37 :: v_dual_mov_b32 v44, v34
	ds_store_b128 v25, v[42:45]
	ds_store_b128 v10, v[38:41]
	ds_store_b16 v11, v0
.LBB46_41:
	s_or_b32 exec_lo, exec_lo, s3
	v_and_b32_e32 v0, 15, v6
	s_wait_loadcnt_dscnt 0x0
	s_barrier_signal -1
	s_barrier_wait -1
	global_inv scope:SCOPE_SE
	v_sub_nc_u32_e32 v22, v22, v0
	s_delay_alu instid0(VALU_DEP_1)
	v_lshl_add_u32 v17, v22, 3, v17
	v_add_nc_u32_e32 v18, v18, v22
	ds_load_2addr_b64 v[0:3], v17 offset1:16
	ds_load_u8 v30, v18
	ds_load_u8 v31, v18 offset:16
	s_wait_dscnt 0x1
	v_and_b32_e32 v32, 1, v30
	v_cmp_u_f64_e64 s2, v[2:3], v[2:3]
	v_cmp_o_f64_e64 s3, v[0:1], v[0:1]
	v_cmp_lt_f64_e64 s4, v[0:1], v[2:3]
	s_wait_dscnt 0x0
	v_and_b32_e32 v31, 0xff, v31
	v_cmp_eq_u32_e64 s5, 1, v32
	s_and_b32 s2, s2, s3
	s_wait_alu 0xfffe
	s_or_b32 s3, s2, s4
	v_cmp_ne_u16_e64 s2, 0, v31
	s_wait_alu 0xfffe
	s_and_b32 s3, s3, s5
	s_wait_alu 0xfffe
	s_xor_b32 s3, s3, -1
	s_wait_alu 0xfffe
	s_and_b32 s3, s3, s2
	s_wait_alu 0xfffe
	s_and_saveexec_b32 s2, s3
	s_cbranch_execz .LBB46_43
; %bb.42:
	v_lshl_add_u32 v16, v22, 3, v16
	v_mov_b32_e32 v22, 1
	ds_load_2addr_b64 v[31:34], v16 offset1:16
	ds_store_2addr_b64 v17, v[2:3], v[0:1] offset1:16
	s_wait_dscnt 0x1
	ds_store_2addr_b64 v16, v[33:34], v[31:32] offset1:16
	ds_store_b8 v18, v22
	ds_store_b8 v18, v30 offset:16
.LBB46_43:
	s_wait_alu 0xfffe
	s_or_b32 exec_lo, exec_lo, s2
	s_wait_loadcnt_dscnt 0x0
	s_barrier_signal -1
	s_barrier_wait -1
	global_inv scope:SCOPE_SE
	ds_load_2addr_b64 v[0:3], v27 offset1:8
	ds_load_u8 v16, v28
	ds_load_u8 v17, v28 offset:8
	s_wait_dscnt 0x1
	v_and_b32_e32 v18, 1, v16
	v_cmp_u_f64_e64 s2, v[2:3], v[2:3]
	v_cmp_o_f64_e64 s3, v[0:1], v[0:1]
	v_cmp_lt_f64_e64 s4, v[0:1], v[2:3]
	s_wait_dscnt 0x0
	v_and_b32_e32 v17, 0xff, v17
	v_cmp_eq_u32_e64 s5, 1, v18
	s_and_b32 s2, s2, s3
	s_wait_alu 0xfffe
	s_or_b32 s3, s2, s4
	v_cmp_ne_u16_e64 s2, 0, v17
	s_wait_alu 0xfffe
	s_and_b32 s3, s3, s5
	s_wait_alu 0xfffe
	s_xor_b32 s3, s3, -1
	s_wait_alu 0xfffe
	s_and_b32 s3, s3, s2
	s_wait_alu 0xfffe
	s_and_saveexec_b32 s2, s3
	s_cbranch_execz .LBB46_45
; %bb.44:
	ds_load_2addr_b64 v[30:33], v29 offset1:8
	v_mov_b32_e32 v17, 1
	ds_store_2addr_b64 v27, v[2:3], v[0:1] offset1:8
	s_wait_dscnt 0x1
	ds_store_2addr_b64 v29, v[32:33], v[30:31] offset1:8
	ds_store_b8 v28, v17
	ds_store_b8 v28, v16 offset:8
.LBB46_45:
	s_wait_alu 0xfffe
	s_or_b32 exec_lo, exec_lo, s2
	s_wait_loadcnt_dscnt 0x0
	s_barrier_signal -1
	s_barrier_wait -1
	global_inv scope:SCOPE_SE
	ds_load_2addr_b64 v[0:3], v23 offset1:4
	ds_load_u8 v16, v24
	ds_load_u8 v17, v24 offset:4
	s_wait_dscnt 0x1
	v_and_b32_e32 v18, 1, v16
	v_cmp_u_f64_e64 s2, v[2:3], v[2:3]
	v_cmp_o_f64_e64 s3, v[0:1], v[0:1]
	v_cmp_lt_f64_e64 s4, v[0:1], v[2:3]
	s_wait_dscnt 0x0
	v_and_b32_e32 v17, 0xff, v17
	v_cmp_eq_u32_e64 s5, 1, v18
	s_and_b32 s2, s2, s3
	s_wait_alu 0xfffe
	s_or_b32 s3, s2, s4
	v_cmp_ne_u16_e64 s2, 0, v17
	s_wait_alu 0xfffe
	s_and_b32 s3, s3, s5
	s_wait_alu 0xfffe
	s_xor_b32 s3, s3, -1
	s_wait_alu 0xfffe
	s_and_b32 s3, s3, s2
	s_wait_alu 0xfffe
	s_and_saveexec_b32 s2, s3
	s_cbranch_execz .LBB46_47
; %bb.46:
	ds_load_2addr_b64 v[27:30], v26 offset1:4
	v_mov_b32_e32 v17, 1
	ds_store_2addr_b64 v23, v[2:3], v[0:1] offset1:4
	s_wait_dscnt 0x1
	ds_store_2addr_b64 v26, v[29:30], v[27:28] offset1:4
	ds_store_b8 v24, v17
	ds_store_b8 v24, v16 offset:4
.LBB46_47:
	;; [unrolled: 39-line block ×3, first 2 shown]
	s_wait_alu 0xfffe
	s_or_b32 exec_lo, exec_lo, s2
	s_wait_loadcnt_dscnt 0x0
	s_barrier_signal -1
	s_barrier_wait -1
	global_inv scope:SCOPE_SE
	ds_load_b128 v[0:3], v10
	ds_load_u16 v16, v11
	s_wait_dscnt 0x1
	v_cmp_u_f64_e64 s2, v[2:3], v[2:3]
	v_cmp_o_f64_e64 s3, v[0:1], v[0:1]
	v_cmp_lt_f64_e64 s4, v[0:1], v[2:3]
	s_wait_dscnt 0x0
	v_and_b32_e32 v17, 1, v16
	v_lshrrev_b16 v18, 8, v16
	s_delay_alu instid0(VALU_DEP_2)
	v_cmp_eq_u32_e64 s5, 1, v17
	s_and_b32 s2, s2, s3
	s_wait_alu 0xfffe
	s_or_b32 s3, s2, s4
	v_cmp_ne_u16_e64 s2, 0, v18
	s_wait_alu 0xfffe
	s_and_b32 s3, s3, s5
	s_wait_alu 0xfffe
	s_xor_b32 s3, s3, -1
	s_wait_alu 0xfffe
	s_and_b32 s3, s3, s2
	s_wait_alu 0xfffe
	s_and_saveexec_b32 s2, s3
	s_cbranch_execz .LBB46_51
; %bb.50:
	ds_load_b128 v[17:20], v25
	v_mov_b32_e32 v23, v0
	v_lshlrev_b16 v0, 8, v16
	v_dual_mov_b32 v21, v2 :: v_dual_mov_b32 v22, v3
	v_mov_b32_e32 v24, v1
	s_delay_alu instid0(VALU_DEP_3)
	v_or_b32_e32 v0, 1, v0
	s_wait_dscnt 0x0
	v_dual_mov_b32 v26, v19 :: v_dual_mov_b32 v27, v20
	v_dual_mov_b32 v28, v17 :: v_dual_mov_b32 v29, v18
	ds_store_b128 v25, v[26:29]
	ds_store_b128 v10, v[21:24]
	ds_store_b16 v11, v0
.LBB46_51:
	s_wait_alu 0xfffe
	s_or_b32 exec_lo, exec_lo, s2
	s_wait_loadcnt_dscnt 0x0
	s_barrier_signal -1
	s_barrier_wait -1
	global_inv scope:SCOPE_SE
	s_and_saveexec_b32 s2, vcc_lo
	s_cbranch_execz .LBB46_56
; %bb.52:
	s_and_saveexec_b32 s2, s0
	s_cbranch_execz .LBB46_54
; %bb.53:
	v_mad_co_u64_u32 v[0:1], null, s8, v6, 0
	v_mad_co_u64_u32 v[2:3], null, s10, v6, 0
	s_delay_alu instid0(VALU_DEP_1) | instskip(NEXT) | instid1(VALU_DEP_2)
	v_mad_co_u64_u32 v[10:11], null, s9, v6, v[1:2]
	v_mad_co_u64_u32 v[16:17], null, s11, v6, v[3:4]
	s_delay_alu instid0(VALU_DEP_2) | instskip(SKIP_4) | instid1(VALU_DEP_2)
	v_mov_b32_e32 v1, v10
	ds_load_b64 v[5:6], v5
	ds_load_b64 v[10:11], v15
	v_mov_b32_e32 v3, v16
	v_lshlrev_b64_e32 v[0:1], 3, v[0:1]
	v_lshlrev_b64_e32 v[2:3], 3, v[2:3]
	s_delay_alu instid0(VALU_DEP_2) | instskip(SKIP_1) | instid1(VALU_DEP_3)
	v_add_co_u32 v0, vcc_lo, v7, v0
	s_wait_alu 0xfffd
	v_add_co_ci_u32_e64 v1, null, v12, v1, vcc_lo
	s_delay_alu instid0(VALU_DEP_3)
	v_add_co_u32 v2, vcc_lo, v13, v2
	s_wait_alu 0xfffd
	v_add_co_ci_u32_e64 v3, null, v14, v3, vcc_lo
	s_wait_dscnt 0x1
	global_store_b64 v[0:1], v[5:6], off
	s_wait_dscnt 0x0
	global_store_b64 v[2:3], v[10:11], off
.LBB46_54:
	s_wait_alu 0xfffe
	s_or_b32 exec_lo, exec_lo, s2
	s_delay_alu instid0(SALU_CYCLE_1)
	s_and_b32 exec_lo, exec_lo, s1
	s_cbranch_execz .LBB46_56
; %bb.55:
	v_mad_co_u64_u32 v[0:1], null, s8, v4, 0
	v_mad_co_u64_u32 v[2:3], null, s10, v4, 0
	s_delay_alu instid0(VALU_DEP_1) | instskip(NEXT) | instid1(VALU_DEP_2)
	v_mad_co_u64_u32 v[5:6], null, s9, v4, v[1:2]
	v_mad_co_u64_u32 v[3:4], null, s11, v4, v[3:4]
	s_delay_alu instid0(VALU_DEP_2) | instskip(SKIP_4) | instid1(VALU_DEP_1)
	v_mov_b32_e32 v1, v5
	ds_load_b64 v[4:5], v8
	ds_load_b64 v[8:9], v9
	v_lshlrev_b64_e32 v[2:3], 3, v[2:3]
	v_lshlrev_b64_e32 v[0:1], 3, v[0:1]
	v_add_co_u32 v0, vcc_lo, v7, v0
	s_wait_alu 0xfffd
	s_delay_alu instid0(VALU_DEP_2) | instskip(NEXT) | instid1(VALU_DEP_4)
	v_add_co_ci_u32_e64 v1, null, v12, v1, vcc_lo
	v_add_co_u32 v2, vcc_lo, v13, v2
	s_wait_alu 0xfffd
	v_add_co_ci_u32_e64 v3, null, v14, v3, vcc_lo
	s_wait_dscnt 0x1
	global_store_b64 v[0:1], v[4:5], off
	s_wait_dscnt 0x0
	global_store_b64 v[2:3], v[8:9], off
.LBB46_56:
	s_endpgm
	.section	.rodata,"a",@progbits
	.p2align	6, 0x0
	.amdhsa_kernel _ZN2at6native20bitonicSortKVInPlaceILin1ELin1ELi16ELi16EdlNS0_4LTOpIdLb1EEEmEEvNS_4cuda6detail10TensorInfoIT3_T6_EES8_S8_S8_NS6_IT4_S8_EES8_T5_
		.amdhsa_group_segment_fixed_size 8704
		.amdhsa_private_segment_fixed_size 0
		.amdhsa_kernarg_size 1128
		.amdhsa_user_sgpr_count 2
		.amdhsa_user_sgpr_dispatch_ptr 0
		.amdhsa_user_sgpr_queue_ptr 0
		.amdhsa_user_sgpr_kernarg_segment_ptr 1
		.amdhsa_user_sgpr_dispatch_id 0
		.amdhsa_user_sgpr_private_segment_size 0
		.amdhsa_wavefront_size32 1
		.amdhsa_uses_dynamic_stack 0
		.amdhsa_enable_private_segment 0
		.amdhsa_system_sgpr_workgroup_id_x 1
		.amdhsa_system_sgpr_workgroup_id_y 1
		.amdhsa_system_sgpr_workgroup_id_z 1
		.amdhsa_system_sgpr_workgroup_info 0
		.amdhsa_system_vgpr_workitem_id 1
		.amdhsa_next_free_vgpr 46
		.amdhsa_next_free_sgpr 31
		.amdhsa_reserve_vcc 1
		.amdhsa_float_round_mode_32 0
		.amdhsa_float_round_mode_16_64 0
		.amdhsa_float_denorm_mode_32 3
		.amdhsa_float_denorm_mode_16_64 3
		.amdhsa_fp16_overflow 0
		.amdhsa_workgroup_processor_mode 1
		.amdhsa_memory_ordered 1
		.amdhsa_forward_progress 1
		.amdhsa_inst_pref_size 57
		.amdhsa_round_robin_scheduling 0
		.amdhsa_exception_fp_ieee_invalid_op 0
		.amdhsa_exception_fp_denorm_src 0
		.amdhsa_exception_fp_ieee_div_zero 0
		.amdhsa_exception_fp_ieee_overflow 0
		.amdhsa_exception_fp_ieee_underflow 0
		.amdhsa_exception_fp_ieee_inexact 0
		.amdhsa_exception_int_div_zero 0
	.end_amdhsa_kernel
	.section	.text._ZN2at6native20bitonicSortKVInPlaceILin1ELin1ELi16ELi16EdlNS0_4LTOpIdLb1EEEmEEvNS_4cuda6detail10TensorInfoIT3_T6_EES8_S8_S8_NS6_IT4_S8_EES8_T5_,"axG",@progbits,_ZN2at6native20bitonicSortKVInPlaceILin1ELin1ELi16ELi16EdlNS0_4LTOpIdLb1EEEmEEvNS_4cuda6detail10TensorInfoIT3_T6_EES8_S8_S8_NS6_IT4_S8_EES8_T5_,comdat
.Lfunc_end46:
	.size	_ZN2at6native20bitonicSortKVInPlaceILin1ELin1ELi16ELi16EdlNS0_4LTOpIdLb1EEEmEEvNS_4cuda6detail10TensorInfoIT3_T6_EES8_S8_S8_NS6_IT4_S8_EES8_T5_, .Lfunc_end46-_ZN2at6native20bitonicSortKVInPlaceILin1ELin1ELi16ELi16EdlNS0_4LTOpIdLb1EEEmEEvNS_4cuda6detail10TensorInfoIT3_T6_EES8_S8_S8_NS6_IT4_S8_EES8_T5_
                                        ; -- End function
	.set _ZN2at6native20bitonicSortKVInPlaceILin1ELin1ELi16ELi16EdlNS0_4LTOpIdLb1EEEmEEvNS_4cuda6detail10TensorInfoIT3_T6_EES8_S8_S8_NS6_IT4_S8_EES8_T5_.num_vgpr, 46
	.set _ZN2at6native20bitonicSortKVInPlaceILin1ELin1ELi16ELi16EdlNS0_4LTOpIdLb1EEEmEEvNS_4cuda6detail10TensorInfoIT3_T6_EES8_S8_S8_NS6_IT4_S8_EES8_T5_.num_agpr, 0
	.set _ZN2at6native20bitonicSortKVInPlaceILin1ELin1ELi16ELi16EdlNS0_4LTOpIdLb1EEEmEEvNS_4cuda6detail10TensorInfoIT3_T6_EES8_S8_S8_NS6_IT4_S8_EES8_T5_.numbered_sgpr, 31
	.set _ZN2at6native20bitonicSortKVInPlaceILin1ELin1ELi16ELi16EdlNS0_4LTOpIdLb1EEEmEEvNS_4cuda6detail10TensorInfoIT3_T6_EES8_S8_S8_NS6_IT4_S8_EES8_T5_.num_named_barrier, 0
	.set _ZN2at6native20bitonicSortKVInPlaceILin1ELin1ELi16ELi16EdlNS0_4LTOpIdLb1EEEmEEvNS_4cuda6detail10TensorInfoIT3_T6_EES8_S8_S8_NS6_IT4_S8_EES8_T5_.private_seg_size, 0
	.set _ZN2at6native20bitonicSortKVInPlaceILin1ELin1ELi16ELi16EdlNS0_4LTOpIdLb1EEEmEEvNS_4cuda6detail10TensorInfoIT3_T6_EES8_S8_S8_NS6_IT4_S8_EES8_T5_.uses_vcc, 1
	.set _ZN2at6native20bitonicSortKVInPlaceILin1ELin1ELi16ELi16EdlNS0_4LTOpIdLb1EEEmEEvNS_4cuda6detail10TensorInfoIT3_T6_EES8_S8_S8_NS6_IT4_S8_EES8_T5_.uses_flat_scratch, 0
	.set _ZN2at6native20bitonicSortKVInPlaceILin1ELin1ELi16ELi16EdlNS0_4LTOpIdLb1EEEmEEvNS_4cuda6detail10TensorInfoIT3_T6_EES8_S8_S8_NS6_IT4_S8_EES8_T5_.has_dyn_sized_stack, 0
	.set _ZN2at6native20bitonicSortKVInPlaceILin1ELin1ELi16ELi16EdlNS0_4LTOpIdLb1EEEmEEvNS_4cuda6detail10TensorInfoIT3_T6_EES8_S8_S8_NS6_IT4_S8_EES8_T5_.has_recursion, 0
	.set _ZN2at6native20bitonicSortKVInPlaceILin1ELin1ELi16ELi16EdlNS0_4LTOpIdLb1EEEmEEvNS_4cuda6detail10TensorInfoIT3_T6_EES8_S8_S8_NS6_IT4_S8_EES8_T5_.has_indirect_call, 0
	.section	.AMDGPU.csdata,"",@progbits
; Kernel info:
; codeLenInByte = 7256
; TotalNumSgprs: 33
; NumVgprs: 46
; ScratchSize: 0
; MemoryBound: 0
; FloatMode: 240
; IeeeMode: 1
; LDSByteSize: 8704 bytes/workgroup (compile time only)
; SGPRBlocks: 0
; VGPRBlocks: 5
; NumSGPRsForWavesPerEU: 33
; NumVGPRsForWavesPerEU: 46
; Occupancy: 16
; WaveLimiterHint : 1
; COMPUTE_PGM_RSRC2:SCRATCH_EN: 0
; COMPUTE_PGM_RSRC2:USER_SGPR: 2
; COMPUTE_PGM_RSRC2:TRAP_HANDLER: 0
; COMPUTE_PGM_RSRC2:TGID_X_EN: 1
; COMPUTE_PGM_RSRC2:TGID_Y_EN: 1
; COMPUTE_PGM_RSRC2:TGID_Z_EN: 1
; COMPUTE_PGM_RSRC2:TIDIG_COMP_CNT: 1
	.section	.text._ZN2at6native20bitonicSortKVInPlaceILin1ELin1ELi16ELi16EdlNS0_4GTOpIdLb1EEEmEEvNS_4cuda6detail10TensorInfoIT3_T6_EES8_S8_S8_NS6_IT4_S8_EES8_T5_,"axG",@progbits,_ZN2at6native20bitonicSortKVInPlaceILin1ELin1ELi16ELi16EdlNS0_4GTOpIdLb1EEEmEEvNS_4cuda6detail10TensorInfoIT3_T6_EES8_S8_S8_NS6_IT4_S8_EES8_T5_,comdat
	.protected	_ZN2at6native20bitonicSortKVInPlaceILin1ELin1ELi16ELi16EdlNS0_4GTOpIdLb1EEEmEEvNS_4cuda6detail10TensorInfoIT3_T6_EES8_S8_S8_NS6_IT4_S8_EES8_T5_ ; -- Begin function _ZN2at6native20bitonicSortKVInPlaceILin1ELin1ELi16ELi16EdlNS0_4GTOpIdLb1EEEmEEvNS_4cuda6detail10TensorInfoIT3_T6_EES8_S8_S8_NS6_IT4_S8_EES8_T5_
	.globl	_ZN2at6native20bitonicSortKVInPlaceILin1ELin1ELi16ELi16EdlNS0_4GTOpIdLb1EEEmEEvNS_4cuda6detail10TensorInfoIT3_T6_EES8_S8_S8_NS6_IT4_S8_EES8_T5_
	.p2align	8
	.type	_ZN2at6native20bitonicSortKVInPlaceILin1ELin1ELi16ELi16EdlNS0_4GTOpIdLb1EEEmEEvNS_4cuda6detail10TensorInfoIT3_T6_EES8_S8_S8_NS6_IT4_S8_EES8_T5_,@function
_ZN2at6native20bitonicSortKVInPlaceILin1ELin1ELi16ELi16EdlNS0_4GTOpIdLb1EEEmEEvNS_4cuda6detail10TensorInfoIT3_T6_EES8_S8_S8_NS6_IT4_S8_EES8_T5_: ; @_ZN2at6native20bitonicSortKVInPlaceILin1ELin1ELi16ELi16EdlNS0_4GTOpIdLb1EEEmEEvNS_4cuda6detail10TensorInfoIT3_T6_EES8_S8_S8_NS6_IT4_S8_EES8_T5_
; %bb.0:
	v_mov_b32_e32 v1, 0
	s_lshr_b32 s8, ttmp7, 16
	s_and_b32 s9, ttmp7, 0xffff
	global_load_u16 v1, v1, s[0:1] offset:886
	s_clause 0x1
	s_load_b64 s[2:3], s[0:1], 0x368
	s_load_b128 s[4:7], s[0:1], 0x1a0
	s_wait_kmcnt 0x0
	s_mul_i32 s3, s3, s8
	s_delay_alu instid0(SALU_CYCLE_1) | instskip(NEXT) | instid1(SALU_CYCLE_1)
	s_add_co_i32 s3, s3, s9
	s_mul_i32 s2, s3, s2
	s_delay_alu instid0(SALU_CYCLE_1) | instskip(SKIP_2) | instid1(VALU_DEP_1)
	s_add_co_i32 s2, s2, ttmp9
	s_wait_loadcnt 0x0
	v_and_b32_e32 v1, 0xffff, v1
	v_mul_hi_u32 v2, v1, s2
	v_mul_lo_u32 v1, v1, s2
	s_delay_alu instid0(VALU_DEP_1)
	v_cmp_le_u64_e32 vcc_lo, s[4:5], v[1:2]
	s_cbranch_vccnz .LBB47_56
; %bb.1:
	s_clause 0x1
	s_load_b32 s10, s[0:1], 0x198
	s_load_b64 s[8:9], s[0:1], 0x1b0
	v_bfe_u32 v15, v0, 10, 10
	s_delay_alu instid0(VALU_DEP_1) | instskip(NEXT) | instid1(VALU_DEP_1)
	v_add_co_u32 v3, vcc_lo, v1, v15
	v_add_co_ci_u32_e64 v4, null, 0, v2, vcc_lo
	v_mov_b32_e32 v1, 0
	v_mov_b32_e32 v2, 0
	s_delay_alu instid0(VALU_DEP_3)
	v_dual_mov_b32 v6, v4 :: v_dual_mov_b32 v5, v3
	s_wait_kmcnt 0x0
	s_cmp_lt_i32 s10, 2
	s_cbranch_scc1 .LBB47_9
; %bb.2:
	s_add_co_i32 s2, s10, -1
	s_mov_b32 s3, 0
	v_dual_mov_b32 v1, 0 :: v_dual_mov_b32 v10, v4
	s_wait_alu 0xfffe
	s_lshl_b64 s[12:13], s[2:3], 3
	v_dual_mov_b32 v2, 0 :: v_dual_mov_b32 v7, 0
	v_mov_b32_e32 v9, v3
	s_add_nc_u64 s[12:13], s[0:1], s[12:13]
	s_add_co_i32 s14, s10, 1
	s_add_nc_u64 s[10:11], s[12:13], 8
.LBB47_3:                               ; =>This Inner Loop Header: Depth=1
	s_load_b64 s[12:13], s[10:11], 0x0
                                        ; implicit-def: $vgpr5_vgpr6
	s_mov_b32 s2, exec_lo
	s_wait_kmcnt 0x0
	v_or_b32_e32 v8, s13, v10
	s_delay_alu instid0(VALU_DEP_1)
	v_cmpx_ne_u64_e32 0, v[7:8]
	s_wait_alu 0xfffe
	s_xor_b32 s15, exec_lo, s2
	s_cbranch_execz .LBB47_5
; %bb.4:                                ;   in Loop: Header=BB47_3 Depth=1
	s_cvt_f32_u32 s2, s12
	s_cvt_f32_u32 s16, s13
	s_sub_nc_u64 s[18:19], 0, s[12:13]
	s_wait_alu 0xfffe
	s_delay_alu instid0(SALU_CYCLE_1) | instskip(SKIP_1) | instid1(SALU_CYCLE_2)
	s_fmamk_f32 s2, s16, 0x4f800000, s2
	s_wait_alu 0xfffe
	v_s_rcp_f32 s2, s2
	s_delay_alu instid0(TRANS32_DEP_1) | instskip(SKIP_1) | instid1(SALU_CYCLE_2)
	s_mul_f32 s2, s2, 0x5f7ffffc
	s_wait_alu 0xfffe
	s_mul_f32 s16, s2, 0x2f800000
	s_wait_alu 0xfffe
	s_delay_alu instid0(SALU_CYCLE_2) | instskip(SKIP_1) | instid1(SALU_CYCLE_2)
	s_trunc_f32 s16, s16
	s_wait_alu 0xfffe
	s_fmamk_f32 s2, s16, 0xcf800000, s2
	s_cvt_u32_f32 s17, s16
	s_wait_alu 0xfffe
	s_delay_alu instid0(SALU_CYCLE_1) | instskip(SKIP_1) | instid1(SALU_CYCLE_2)
	s_cvt_u32_f32 s16, s2
	s_wait_alu 0xfffe
	s_mul_u64 s[20:21], s[18:19], s[16:17]
	s_delay_alu instid0(SALU_CYCLE_1)
	s_mul_hi_u32 s23, s16, s21
	s_mul_i32 s22, s16, s21
	s_mul_hi_u32 s2, s16, s20
	s_mul_i32 s25, s17, s20
	s_wait_alu 0xfffe
	s_add_nc_u64 s[22:23], s[2:3], s[22:23]
	s_mul_hi_u32 s24, s17, s20
	s_mul_hi_u32 s26, s17, s21
	s_add_co_u32 s2, s22, s25
	s_add_co_ci_u32 s2, s23, s24
	s_mul_i32 s20, s17, s21
	s_add_co_ci_u32 s21, s26, 0
	s_wait_alu 0xfffe
	s_add_nc_u64 s[20:21], s[2:3], s[20:21]
	s_delay_alu instid0(SALU_CYCLE_1)
	s_add_co_u32 s16, s16, s20
	s_cselect_b32 s2, -1, 0
	s_wait_alu 0xfffe
	s_cmp_lg_u32 s2, 0
	s_add_co_ci_u32 s17, s17, s21
	s_wait_alu 0xfffe
	s_mul_u64 s[18:19], s[18:19], s[16:17]
	s_delay_alu instid0(SALU_CYCLE_1)
	s_mul_hi_u32 s21, s16, s19
	s_mul_i32 s20, s16, s19
	s_mul_hi_u32 s2, s16, s18
	s_mul_i32 s23, s17, s18
	s_wait_alu 0xfffe
	s_add_nc_u64 s[20:21], s[2:3], s[20:21]
	s_mul_hi_u32 s22, s17, s18
	s_mul_hi_u32 s24, s17, s19
	s_add_co_u32 s2, s20, s23
	s_add_co_ci_u32 s2, s21, s22
	s_mul_i32 s18, s17, s19
	s_add_co_ci_u32 s19, s24, 0
	s_wait_alu 0xfffe
	s_add_nc_u64 s[18:19], s[2:3], s[18:19]
	s_delay_alu instid0(SALU_CYCLE_1)
	s_add_co_u32 s2, s16, s18
	s_cselect_b32 s16, -1, 0
	s_wait_alu 0xfffe
	v_mul_hi_u32 v8, v9, s2
	s_cmp_lg_u32 s16, 0
	v_mad_co_u64_u32 v[11:12], null, v10, s2, 0
	s_add_co_ci_u32 s16, s17, s19
	s_wait_alu 0xfffe
	v_mad_co_u64_u32 v[5:6], null, v9, s16, 0
	v_mad_co_u64_u32 v[13:14], null, v10, s16, 0
	s_delay_alu instid0(VALU_DEP_2) | instskip(SKIP_1) | instid1(VALU_DEP_3)
	v_add_co_u32 v5, vcc_lo, v8, v5
	s_wait_alu 0xfffd
	v_add_co_ci_u32_e64 v6, null, 0, v6, vcc_lo
	s_delay_alu instid0(VALU_DEP_2) | instskip(SKIP_1) | instid1(VALU_DEP_2)
	v_add_co_u32 v5, vcc_lo, v5, v11
	s_wait_alu 0xfffd
	v_add_co_ci_u32_e32 v5, vcc_lo, v6, v12, vcc_lo
	s_wait_alu 0xfffd
	v_add_co_ci_u32_e32 v6, vcc_lo, 0, v14, vcc_lo
	s_delay_alu instid0(VALU_DEP_2) | instskip(SKIP_1) | instid1(VALU_DEP_2)
	v_add_co_u32 v8, vcc_lo, v5, v13
	s_wait_alu 0xfffd
	v_add_co_ci_u32_e64 v11, null, 0, v6, vcc_lo
	s_delay_alu instid0(VALU_DEP_2) | instskip(SKIP_1) | instid1(VALU_DEP_3)
	v_mul_lo_u32 v12, s13, v8
	v_mad_co_u64_u32 v[5:6], null, s12, v8, 0
	v_mul_lo_u32 v13, s12, v11
	s_delay_alu instid0(VALU_DEP_2) | instskip(NEXT) | instid1(VALU_DEP_2)
	v_sub_co_u32 v5, vcc_lo, v9, v5
	v_add3_u32 v6, v6, v13, v12
	v_add_co_u32 v13, s2, v8, 2
	s_wait_alu 0xf1ff
	v_add_co_ci_u32_e64 v14, null, 0, v11, s2
	s_delay_alu instid0(VALU_DEP_3) | instskip(SKIP_3) | instid1(VALU_DEP_3)
	v_sub_nc_u32_e32 v12, v10, v6
	v_sub_co_u32 v16, s2, v5, s12
	s_wait_alu 0xfffd
	v_sub_co_ci_u32_e64 v6, null, v10, v6, vcc_lo
	v_subrev_co_ci_u32_e64 v12, null, s13, v12, vcc_lo
	s_delay_alu instid0(VALU_DEP_3) | instskip(SKIP_1) | instid1(VALU_DEP_2)
	v_cmp_le_u32_e32 vcc_lo, s12, v16
	s_wait_alu 0xf1ff
	v_subrev_co_ci_u32_e64 v12, null, 0, v12, s2
	s_wait_alu 0xfffd
	v_cndmask_b32_e64 v16, 0, -1, vcc_lo
	v_cmp_eq_u32_e64 s2, s13, v6
	s_delay_alu instid0(VALU_DEP_3)
	v_cmp_le_u32_e32 vcc_lo, s13, v12
	s_wait_alu 0xfffd
	v_cndmask_b32_e64 v17, 0, -1, vcc_lo
	v_cmp_le_u32_e32 vcc_lo, s12, v5
	s_wait_alu 0xfffd
	v_cndmask_b32_e64 v5, 0, -1, vcc_lo
	v_cmp_le_u32_e32 vcc_lo, s13, v6
	s_wait_alu 0xfffd
	v_cndmask_b32_e64 v18, 0, -1, vcc_lo
	v_cmp_eq_u32_e32 vcc_lo, s13, v12
	s_wait_alu 0xf1ff
	s_delay_alu instid0(VALU_DEP_2)
	v_cndmask_b32_e64 v5, v18, v5, s2
	s_wait_alu 0xfffd
	v_cndmask_b32_e32 v12, v17, v16, vcc_lo
	v_add_co_u32 v16, vcc_lo, v8, 1
	s_wait_alu 0xfffd
	v_add_co_ci_u32_e64 v17, null, 0, v11, vcc_lo
	s_delay_alu instid0(VALU_DEP_3) | instskip(SKIP_2) | instid1(VALU_DEP_3)
	v_cmp_ne_u32_e32 vcc_lo, 0, v12
	s_wait_alu 0xfffd
	v_cndmask_b32_e32 v12, v16, v13, vcc_lo
	v_cndmask_b32_e32 v6, v17, v14, vcc_lo
	v_cmp_ne_u32_e32 vcc_lo, 0, v5
	s_wait_alu 0xfffd
	s_delay_alu instid0(VALU_DEP_2)
	v_dual_cndmask_b32 v5, v8, v12 :: v_dual_cndmask_b32 v6, v11, v6
.LBB47_5:                               ;   in Loop: Header=BB47_3 Depth=1
	s_wait_alu 0xfffe
	s_and_not1_saveexec_b32 s2, s15
	s_cbranch_execz .LBB47_7
; %bb.6:                                ;   in Loop: Header=BB47_3 Depth=1
	v_cvt_f32_u32_e32 v5, s12
	s_sub_co_i32 s15, 0, s12
	s_delay_alu instid0(VALU_DEP_1) | instskip(NEXT) | instid1(TRANS32_DEP_1)
	v_rcp_iflag_f32_e32 v5, v5
	v_mul_f32_e32 v5, 0x4f7ffffe, v5
	s_delay_alu instid0(VALU_DEP_1) | instskip(SKIP_1) | instid1(VALU_DEP_1)
	v_cvt_u32_f32_e32 v5, v5
	s_wait_alu 0xfffe
	v_mul_lo_u32 v6, s15, v5
	s_delay_alu instid0(VALU_DEP_1) | instskip(NEXT) | instid1(VALU_DEP_1)
	v_mul_hi_u32 v6, v5, v6
	v_add_nc_u32_e32 v5, v5, v6
	s_delay_alu instid0(VALU_DEP_1) | instskip(NEXT) | instid1(VALU_DEP_1)
	v_mul_hi_u32 v5, v9, v5
	v_mul_lo_u32 v6, v5, s12
	v_add_nc_u32_e32 v8, 1, v5
	s_delay_alu instid0(VALU_DEP_2) | instskip(NEXT) | instid1(VALU_DEP_1)
	v_sub_nc_u32_e32 v6, v9, v6
	v_subrev_nc_u32_e32 v11, s12, v6
	v_cmp_le_u32_e32 vcc_lo, s12, v6
	s_wait_alu 0xfffd
	s_delay_alu instid0(VALU_DEP_2) | instskip(NEXT) | instid1(VALU_DEP_1)
	v_dual_cndmask_b32 v6, v6, v11 :: v_dual_cndmask_b32 v5, v5, v8
	v_cmp_le_u32_e32 vcc_lo, s12, v6
	s_delay_alu instid0(VALU_DEP_2) | instskip(SKIP_1) | instid1(VALU_DEP_1)
	v_add_nc_u32_e32 v8, 1, v5
	s_wait_alu 0xfffd
	v_dual_mov_b32 v6, v7 :: v_dual_cndmask_b32 v5, v5, v8
.LBB47_7:                               ;   in Loop: Header=BB47_3 Depth=1
	s_wait_alu 0xfffe
	s_or_b32 exec_lo, exec_lo, s2
	s_load_b64 s[16:17], s[10:11], 0xc8
	s_delay_alu instid0(VALU_DEP_1)
	v_mul_lo_u32 v8, v6, s12
	v_mul_lo_u32 v13, v5, s13
	v_mad_co_u64_u32 v[11:12], null, v5, s12, 0
	s_add_co_i32 s14, s14, -1
	s_add_nc_u64 s[10:11], s[10:11], -8
	s_wait_alu 0xfffe
	s_cmp_gt_u32 s14, 2
	v_add3_u32 v8, v12, v13, v8
	v_sub_co_u32 v9, vcc_lo, v9, v11
	s_wait_alu 0xfffd
	s_delay_alu instid0(VALU_DEP_2) | instskip(SKIP_1) | instid1(VALU_DEP_2)
	v_sub_co_ci_u32_e64 v8, null, v10, v8, vcc_lo
	s_wait_kmcnt 0x0
	v_mul_lo_u32 v10, s17, v9
	s_delay_alu instid0(VALU_DEP_2) | instskip(SKIP_1) | instid1(VALU_DEP_1)
	v_mul_lo_u32 v8, s16, v8
	v_mad_co_u64_u32 v[1:2], null, s16, v9, v[1:2]
	v_add3_u32 v2, v10, v2, v8
	s_cbranch_scc0 .LBB47_9
; %bb.8:                                ;   in Loop: Header=BB47_3 Depth=1
	v_dual_mov_b32 v10, v6 :: v_dual_mov_b32 v9, v5
	s_branch .LBB47_3
.LBB47_9:
	s_clause 0x1
	s_load_b32 s14, s[0:1], 0x350
	s_load_b64 s[12:13], s[0:1], 0xd0
	v_dual_mov_b32 v7, 0 :: v_dual_mov_b32 v14, v4
	v_dual_mov_b32 v8, 0 :: v_dual_mov_b32 v13, v3
	s_add_nc_u64 s[10:11], s[0:1], 0x368
	s_wait_kmcnt 0x0
	s_cmp_lt_i32 s14, 2
	s_cbranch_scc1 .LBB47_17
; %bb.10:
	s_add_co_i32 s2, s14, -1
	s_mov_b32 s3, 0
	v_dual_mov_b32 v7, 0 :: v_dual_mov_b32 v12, v4
	s_wait_alu 0xfffe
	s_lshl_b64 s[16:17], s[2:3], 3
	v_dual_mov_b32 v8, 0 :: v_dual_mov_b32 v9, 0
	v_mov_b32_e32 v11, v3
	s_wait_alu 0xfffe
	s_add_nc_u64 s[16:17], s[0:1], s[16:17]
	s_add_co_i32 s18, s14, 1
	s_wait_alu 0xfffe
	s_add_nc_u64 s[14:15], s[16:17], 0x1c0
.LBB47_11:                              ; =>This Inner Loop Header: Depth=1
	s_load_b64 s[16:17], s[14:15], 0x0
                                        ; implicit-def: $vgpr13_vgpr14
	s_mov_b32 s2, exec_lo
	s_wait_kmcnt 0x0
	v_or_b32_e32 v10, s17, v12
	s_delay_alu instid0(VALU_DEP_1)
	v_cmpx_ne_u64_e32 0, v[9:10]
	s_wait_alu 0xfffe
	s_xor_b32 s19, exec_lo, s2
	s_cbranch_execz .LBB47_13
; %bb.12:                               ;   in Loop: Header=BB47_11 Depth=1
	s_cvt_f32_u32 s2, s16
	s_cvt_f32_u32 s20, s17
	s_sub_nc_u64 s[22:23], 0, s[16:17]
	s_wait_alu 0xfffe
	s_delay_alu instid0(SALU_CYCLE_1) | instskip(SKIP_1) | instid1(SALU_CYCLE_2)
	s_fmamk_f32 s2, s20, 0x4f800000, s2
	s_wait_alu 0xfffe
	v_s_rcp_f32 s2, s2
	s_delay_alu instid0(TRANS32_DEP_1) | instskip(SKIP_1) | instid1(SALU_CYCLE_2)
	s_mul_f32 s2, s2, 0x5f7ffffc
	s_wait_alu 0xfffe
	s_mul_f32 s20, s2, 0x2f800000
	s_wait_alu 0xfffe
	s_delay_alu instid0(SALU_CYCLE_2) | instskip(SKIP_1) | instid1(SALU_CYCLE_2)
	s_trunc_f32 s20, s20
	s_wait_alu 0xfffe
	s_fmamk_f32 s2, s20, 0xcf800000, s2
	s_cvt_u32_f32 s21, s20
	s_wait_alu 0xfffe
	s_delay_alu instid0(SALU_CYCLE_1) | instskip(SKIP_1) | instid1(SALU_CYCLE_2)
	s_cvt_u32_f32 s20, s2
	s_wait_alu 0xfffe
	s_mul_u64 s[24:25], s[22:23], s[20:21]
	s_delay_alu instid0(SALU_CYCLE_1)
	s_mul_hi_u32 s27, s20, s25
	s_mul_i32 s26, s20, s25
	s_mul_hi_u32 s2, s20, s24
	s_mul_i32 s29, s21, s24
	s_wait_alu 0xfffe
	s_add_nc_u64 s[26:27], s[2:3], s[26:27]
	s_mul_hi_u32 s28, s21, s24
	s_mul_hi_u32 s30, s21, s25
	s_add_co_u32 s2, s26, s29
	s_add_co_ci_u32 s2, s27, s28
	s_mul_i32 s24, s21, s25
	s_add_co_ci_u32 s25, s30, 0
	s_wait_alu 0xfffe
	s_add_nc_u64 s[24:25], s[2:3], s[24:25]
	s_delay_alu instid0(SALU_CYCLE_1)
	s_add_co_u32 s20, s20, s24
	s_cselect_b32 s2, -1, 0
	s_wait_alu 0xfffe
	s_cmp_lg_u32 s2, 0
	s_add_co_ci_u32 s21, s21, s25
	s_wait_alu 0xfffe
	s_mul_u64 s[22:23], s[22:23], s[20:21]
	s_delay_alu instid0(SALU_CYCLE_1)
	s_mul_hi_u32 s25, s20, s23
	s_mul_i32 s24, s20, s23
	s_mul_hi_u32 s2, s20, s22
	s_mul_i32 s27, s21, s22
	s_wait_alu 0xfffe
	s_add_nc_u64 s[24:25], s[2:3], s[24:25]
	s_mul_hi_u32 s26, s21, s22
	s_mul_hi_u32 s28, s21, s23
	s_add_co_u32 s2, s24, s27
	s_add_co_ci_u32 s2, s25, s26
	s_mul_i32 s22, s21, s23
	s_add_co_ci_u32 s23, s28, 0
	s_wait_alu 0xfffe
	s_add_nc_u64 s[22:23], s[2:3], s[22:23]
	s_delay_alu instid0(SALU_CYCLE_1)
	s_add_co_u32 s2, s20, s22
	s_cselect_b32 s20, -1, 0
	s_wait_alu 0xfffe
	v_mul_hi_u32 v10, v11, s2
	s_cmp_lg_u32 s20, 0
	v_mad_co_u64_u32 v[16:17], null, v12, s2, 0
	s_add_co_ci_u32 s20, s21, s23
	s_wait_alu 0xfffe
	v_mad_co_u64_u32 v[13:14], null, v11, s20, 0
	v_mad_co_u64_u32 v[18:19], null, v12, s20, 0
	s_delay_alu instid0(VALU_DEP_2) | instskip(SKIP_1) | instid1(VALU_DEP_3)
	v_add_co_u32 v10, vcc_lo, v10, v13
	s_wait_alu 0xfffd
	v_add_co_ci_u32_e64 v13, null, 0, v14, vcc_lo
	s_delay_alu instid0(VALU_DEP_2) | instskip(SKIP_1) | instid1(VALU_DEP_2)
	v_add_co_u32 v10, vcc_lo, v10, v16
	s_wait_alu 0xfffd
	v_add_co_ci_u32_e32 v10, vcc_lo, v13, v17, vcc_lo
	s_wait_alu 0xfffd
	v_add_co_ci_u32_e32 v13, vcc_lo, 0, v19, vcc_lo
	s_delay_alu instid0(VALU_DEP_2) | instskip(SKIP_1) | instid1(VALU_DEP_2)
	v_add_co_u32 v10, vcc_lo, v10, v18
	s_wait_alu 0xfffd
	v_add_co_ci_u32_e64 v16, null, 0, v13, vcc_lo
	s_delay_alu instid0(VALU_DEP_2) | instskip(SKIP_1) | instid1(VALU_DEP_3)
	v_mul_lo_u32 v17, s17, v10
	v_mad_co_u64_u32 v[13:14], null, s16, v10, 0
	v_mul_lo_u32 v18, s16, v16
	s_delay_alu instid0(VALU_DEP_2) | instskip(NEXT) | instid1(VALU_DEP_2)
	v_sub_co_u32 v13, vcc_lo, v11, v13
	v_add3_u32 v14, v14, v18, v17
	v_add_co_u32 v18, s2, v10, 2
	s_wait_alu 0xf1ff
	v_add_co_ci_u32_e64 v19, null, 0, v16, s2
	s_delay_alu instid0(VALU_DEP_3) | instskip(SKIP_3) | instid1(VALU_DEP_3)
	v_sub_nc_u32_e32 v17, v12, v14
	v_sub_co_u32 v20, s2, v13, s16
	s_wait_alu 0xfffd
	v_sub_co_ci_u32_e64 v14, null, v12, v14, vcc_lo
	v_subrev_co_ci_u32_e64 v17, null, s17, v17, vcc_lo
	s_delay_alu instid0(VALU_DEP_3) | instskip(SKIP_1) | instid1(VALU_DEP_2)
	v_cmp_le_u32_e32 vcc_lo, s16, v20
	s_wait_alu 0xf1ff
	v_subrev_co_ci_u32_e64 v17, null, 0, v17, s2
	s_wait_alu 0xfffd
	v_cndmask_b32_e64 v20, 0, -1, vcc_lo
	v_cmp_eq_u32_e64 s2, s17, v14
	s_delay_alu instid0(VALU_DEP_3)
	v_cmp_le_u32_e32 vcc_lo, s17, v17
	s_wait_alu 0xfffd
	v_cndmask_b32_e64 v21, 0, -1, vcc_lo
	v_cmp_le_u32_e32 vcc_lo, s16, v13
	s_wait_alu 0xfffd
	v_cndmask_b32_e64 v13, 0, -1, vcc_lo
	;; [unrolled: 3-line block ×3, first 2 shown]
	v_cmp_eq_u32_e32 vcc_lo, s17, v17
	s_wait_alu 0xf1ff
	s_delay_alu instid0(VALU_DEP_2)
	v_cndmask_b32_e64 v13, v22, v13, s2
	s_wait_alu 0xfffd
	v_cndmask_b32_e32 v17, v21, v20, vcc_lo
	v_add_co_u32 v20, vcc_lo, v10, 1
	s_wait_alu 0xfffd
	v_add_co_ci_u32_e64 v21, null, 0, v16, vcc_lo
	s_delay_alu instid0(VALU_DEP_3) | instskip(SKIP_1) | instid1(VALU_DEP_2)
	v_cmp_ne_u32_e32 vcc_lo, 0, v17
	s_wait_alu 0xfffd
	v_dual_cndmask_b32 v14, v21, v19 :: v_dual_cndmask_b32 v17, v20, v18
	v_cmp_ne_u32_e32 vcc_lo, 0, v13
	s_wait_alu 0xfffd
	s_delay_alu instid0(VALU_DEP_2)
	v_dual_cndmask_b32 v14, v16, v14 :: v_dual_cndmask_b32 v13, v10, v17
.LBB47_13:                              ;   in Loop: Header=BB47_11 Depth=1
	s_wait_alu 0xfffe
	s_and_not1_saveexec_b32 s2, s19
	s_cbranch_execz .LBB47_15
; %bb.14:                               ;   in Loop: Header=BB47_11 Depth=1
	v_cvt_f32_u32_e32 v10, s16
	s_sub_co_i32 s19, 0, s16
	s_delay_alu instid0(VALU_DEP_1) | instskip(NEXT) | instid1(TRANS32_DEP_1)
	v_rcp_iflag_f32_e32 v10, v10
	v_mul_f32_e32 v10, 0x4f7ffffe, v10
	s_delay_alu instid0(VALU_DEP_1) | instskip(SKIP_1) | instid1(VALU_DEP_1)
	v_cvt_u32_f32_e32 v10, v10
	s_wait_alu 0xfffe
	v_mul_lo_u32 v13, s19, v10
	s_delay_alu instid0(VALU_DEP_1) | instskip(NEXT) | instid1(VALU_DEP_1)
	v_mul_hi_u32 v13, v10, v13
	v_add_nc_u32_e32 v10, v10, v13
	s_delay_alu instid0(VALU_DEP_1) | instskip(NEXT) | instid1(VALU_DEP_1)
	v_mul_hi_u32 v10, v11, v10
	v_mul_lo_u32 v13, v10, s16
	v_add_nc_u32_e32 v14, 1, v10
	s_delay_alu instid0(VALU_DEP_2) | instskip(NEXT) | instid1(VALU_DEP_1)
	v_sub_nc_u32_e32 v13, v11, v13
	v_subrev_nc_u32_e32 v16, s16, v13
	v_cmp_le_u32_e32 vcc_lo, s16, v13
	s_wait_alu 0xfffd
	s_delay_alu instid0(VALU_DEP_2) | instskip(NEXT) | instid1(VALU_DEP_1)
	v_dual_cndmask_b32 v13, v13, v16 :: v_dual_cndmask_b32 v10, v10, v14
	v_cmp_le_u32_e32 vcc_lo, s16, v13
	s_delay_alu instid0(VALU_DEP_2) | instskip(SKIP_1) | instid1(VALU_DEP_1)
	v_add_nc_u32_e32 v14, 1, v10
	s_wait_alu 0xfffd
	v_dual_cndmask_b32 v13, v10, v14 :: v_dual_mov_b32 v14, v9
.LBB47_15:                              ;   in Loop: Header=BB47_11 Depth=1
	s_wait_alu 0xfffe
	s_or_b32 exec_lo, exec_lo, s2
	s_load_b64 s[20:21], s[14:15], 0xc8
	s_delay_alu instid0(VALU_DEP_1)
	v_mul_lo_u32 v10, v14, s16
	v_mul_lo_u32 v18, v13, s17
	v_mad_co_u64_u32 v[16:17], null, v13, s16, 0
	s_add_co_i32 s18, s18, -1
	s_add_nc_u64 s[14:15], s[14:15], -8
	s_wait_alu 0xfffe
	s_cmp_gt_u32 s18, 2
	v_add3_u32 v10, v17, v18, v10
	v_sub_co_u32 v11, vcc_lo, v11, v16
	s_wait_alu 0xfffd
	s_delay_alu instid0(VALU_DEP_2) | instskip(SKIP_1) | instid1(VALU_DEP_2)
	v_sub_co_ci_u32_e64 v10, null, v12, v10, vcc_lo
	s_wait_kmcnt 0x0
	v_mul_lo_u32 v12, s21, v11
	s_delay_alu instid0(VALU_DEP_2) | instskip(SKIP_1) | instid1(VALU_DEP_1)
	v_mul_lo_u32 v10, s20, v10
	v_mad_co_u64_u32 v[7:8], null, s20, v11, v[7:8]
	v_add3_u32 v8, v12, v8, v10
	s_cbranch_scc0 .LBB47_17
; %bb.16:                               ;   in Loop: Header=BB47_11 Depth=1
	v_dual_mov_b32 v11, v13 :: v_dual_mov_b32 v12, v14
	s_branch .LBB47_11
.LBB47_17:
	s_load_b64 s[14:15], s[0:1], 0x288
	v_mul_lo_u32 v18, s13, v5
	v_mul_lo_u32 v6, s12, v6
	v_mad_co_u64_u32 v[9:10], null, s12, v5, 0
	v_cmp_gt_u64_e32 vcc_lo, s[4:5], v[3:4]
	s_load_b32 s2, s[10:11], 0xc
	s_clause 0x2
	s_load_b64 s[10:11], s[0:1], 0x358
	s_load_b64 s[4:5], s[0:1], 0x0
	s_load_b64 s[12:13], s[0:1], 0x1b8
	v_mov_b32_e32 v5, 0
	v_lshlrev_b64_e32 v[16:17], 3, v[7:8]
	v_add3_u32 v10, v10, v6, v18
	s_delay_alu instid0(VALU_DEP_3) | instskip(NEXT) | instid1(VALU_DEP_1)
	v_dual_mov_b32 v7, v5 :: v_dual_and_b32 v6, 0x3ff, v0
	v_cmp_gt_u64_e64 s0, s[6:7], v[6:7]
	s_wait_kmcnt 0x0
	v_mul_lo_u32 v4, s15, v13
	v_mul_lo_u32 v19, s14, v14
	v_mad_co_u64_u32 v[11:12], null, s14, v13, 0
	v_lshlrev_b64_e32 v[13:14], 3, v[1:2]
	v_mov_b32_e32 v2, 0
	v_dual_mov_b32 v3, 0 :: v_dual_mov_b32 v0, 0
	v_mov_b32_e32 v1, 0
	v_add3_u32 v12, v12, v19, v4
	v_lshlrev_b64_e32 v[18:19], 3, v[9:10]
	v_mov_b32_e32 v8, 0
	v_mov_b32_e32 v9, 0
	s_delay_alu instid0(VALU_DEP_4) | instskip(NEXT) | instid1(VALU_DEP_4)
	v_lshlrev_b64_e32 v[10:11], 3, v[11:12]
	v_add_co_u32 v4, s1, s4, v18
	s_delay_alu instid0(VALU_DEP_1) | instskip(NEXT) | instid1(VALU_DEP_3)
	v_add_co_ci_u32_e64 v12, null, s5, v19, s1
	v_add_co_u32 v10, s1, s12, v10
	s_wait_alu 0xf1ff
	s_delay_alu instid0(VALU_DEP_4)
	v_add_co_ci_u32_e64 v11, null, s13, v11, s1
	v_add_co_u32 v7, s1, v4, v13
	s_wait_alu 0xf1ff
	v_add_co_ci_u32_e64 v12, null, v12, v14, s1
	v_add_co_u32 v13, s1, v10, v16
	s_wait_alu 0xf1ff
	v_add_co_ci_u32_e64 v14, null, v11, v17, s1
	s_and_b32 s4, vcc_lo, s0
	s_wait_alu 0xfffe
	s_and_saveexec_b32 s3, s4
	s_cbranch_execz .LBB47_19
; %bb.18:
	v_mad_co_u64_u32 v[8:9], null, s10, v6, 0
	v_mad_co_u64_u32 v[2:3], null, s8, v6, 0
	s_delay_alu instid0(VALU_DEP_2) | instskip(NEXT) | instid1(VALU_DEP_1)
	v_mov_b32_e32 v4, v9
	v_mad_co_u64_u32 v[9:10], null, s9, v6, v[3:4]
	s_delay_alu instid0(VALU_DEP_1) | instskip(SKIP_1) | instid1(VALU_DEP_2)
	v_mov_b32_e32 v3, v9
	v_mad_co_u64_u32 v[10:11], null, s11, v6, v[4:5]
	v_lshlrev_b64_e32 v[2:3], 3, v[2:3]
	s_delay_alu instid0(VALU_DEP_2) | instskip(NEXT) | instid1(VALU_DEP_2)
	v_mov_b32_e32 v9, v10
	v_add_co_u32 v2, s1, v7, v2
	s_wait_alu 0xf1ff
	s_delay_alu instid0(VALU_DEP_3) | instskip(NEXT) | instid1(VALU_DEP_3)
	v_add_co_ci_u32_e64 v3, null, v12, v3, s1
	v_lshlrev_b64_e32 v[8:9], 3, v[8:9]
	s_delay_alu instid0(VALU_DEP_1) | instskip(SKIP_1) | instid1(VALU_DEP_2)
	v_add_co_u32 v10, s1, v13, v8
	s_wait_alu 0xf1ff
	v_add_co_ci_u32_e64 v11, null, v14, v9, s1
	global_load_b64 v[8:9], v[2:3], off
	global_load_b64 v[2:3], v[10:11], off
.LBB47_19:
	s_wait_alu 0xfffe
	s_or_b32 exec_lo, exec_lo, s3
	s_and_b32 s3, 0xffff, s2
	v_dual_mov_b32 v10, 0 :: v_dual_lshlrev_b32 v17, 8, v15
	s_wait_alu 0xfffe
	v_dual_mov_b32 v11, 0 :: v_dual_add_nc_u32 v4, s3, v6
	v_lshlrev_b32_e32 v19, 3, v6
	s_delay_alu instid0(VALU_DEP_3) | instskip(SKIP_1) | instid1(VALU_DEP_4)
	v_add_nc_u32_e32 v16, 0x1000, v17
	v_lshl_add_u32 v18, v15, 5, 0x2000
	v_cmp_gt_u64_e64 s1, s[6:7], v[4:5]
	v_cndmask_b32_e64 v20, 0, 1, s4
	v_add_nc_u32_e32 v5, v17, v19
	v_add_nc_u32_e32 v15, v16, v19
	;; [unrolled: 1-line block ×3, first 2 shown]
	s_wait_loadcnt 0x1
	ds_store_b64 v5, v[8:9]
	s_wait_loadcnt 0x0
	ds_store_b64 v15, v[2:3]
	ds_store_b8 v21, v20
	s_and_b32 s4, vcc_lo, s1
	s_wait_alu 0xfffe
	s_and_saveexec_b32 s5, s4
	s_cbranch_execz .LBB47_21
; %bb.20:
	v_mad_co_u64_u32 v[0:1], null, s8, v4, 0
	v_mad_co_u64_u32 v[2:3], null, s10, v4, 0
	s_delay_alu instid0(VALU_DEP_1) | instskip(NEXT) | instid1(VALU_DEP_2)
	v_mad_co_u64_u32 v[8:9], null, s9, v4, v[1:2]
	v_mad_co_u64_u32 v[9:10], null, s11, v4, v[3:4]
	s_delay_alu instid0(VALU_DEP_2) | instskip(NEXT) | instid1(VALU_DEP_2)
	v_mov_b32_e32 v1, v8
	v_mov_b32_e32 v3, v9
	s_delay_alu instid0(VALU_DEP_2) | instskip(NEXT) | instid1(VALU_DEP_2)
	v_lshlrev_b64_e32 v[0:1], 3, v[0:1]
	v_lshlrev_b64_e32 v[2:3], 3, v[2:3]
	s_delay_alu instid0(VALU_DEP_2) | instskip(SKIP_1) | instid1(VALU_DEP_3)
	v_add_co_u32 v0, s2, v7, v0
	s_wait_alu 0xf1ff
	v_add_co_ci_u32_e64 v1, null, v12, v1, s2
	s_delay_alu instid0(VALU_DEP_3)
	v_add_co_u32 v2, s2, v13, v2
	s_wait_alu 0xf1ff
	v_add_co_ci_u32_e64 v3, null, v14, v3, s2
	global_load_b64 v[0:1], v[0:1], off
	global_load_b64 v[10:11], v[2:3], off
.LBB47_21:
	s_wait_alu 0xfffe
	s_or_b32 exec_lo, exec_lo, s5
	s_lshl_b32 s2, s3, 3
	v_cndmask_b32_e64 v2, 0, 1, s4
	s_wait_alu 0xfffe
	v_add_nc_u32_e32 v8, s2, v5
	v_add_nc_u32_e32 v9, s2, v15
	;; [unrolled: 1-line block ×3, first 2 shown]
	v_lshlrev_b32_e32 v22, 1, v6
	v_and_b32_e32 v20, 1, v6
	s_wait_loadcnt 0x1
	ds_store_b64 v8, v[0:1]
	s_wait_loadcnt 0x0
	ds_store_b64 v9, v[10:11]
	ds_store_b8 v3, v2
	v_add_nc_u32_e32 v10, v5, v19
	s_wait_dscnt 0x0
	s_barrier_signal -1
	s_barrier_wait -1
	global_inv scope:SCOPE_SE
	ds_load_b128 v[0:3], v10
	v_add_nc_u32_e32 v11, v18, v22
	ds_load_u16 v21, v11
	s_wait_dscnt 0x1
	v_cmp_u_f64_e64 s2, v[0:1], v[0:1]
	v_cmp_o_f64_e64 s3, v[2:3], v[2:3]
	v_cmp_gt_f64_e64 s4, v[0:1], v[2:3]
	s_wait_dscnt 0x0
	v_lshrrev_b16 v24, 8, v21
	v_and_b32_e32 v23, 1, v21
	s_delay_alu instid0(VALU_DEP_2) | instskip(NEXT) | instid1(VALU_DEP_2)
	v_cmp_ne_u16_e64 s6, v24, v20
	v_cmp_eq_u32_e64 s5, 1, v23
	s_wait_alu 0xf1ff
	s_delay_alu instid0(VALU_DEP_2)
	v_cndmask_b32_e64 v23, 0, 1, s6
	s_and_b32 s2, s2, s3
	s_wait_alu 0xfffe
	s_or_b32 s2, s2, s4
	s_wait_alu 0xfffe
	s_and_b32 s2, s2, s5
	s_wait_alu 0xfffe
	v_cndmask_b32_e64 v23, v23, v6, s2
	s_delay_alu instid0(VALU_DEP_1) | instskip(NEXT) | instid1(VALU_DEP_1)
	v_and_b32_e32 v23, 1, v23
	v_cmp_eq_u32_e64 s2, 1, v23
	v_add_nc_u32_e32 v23, v15, v19
	s_and_saveexec_b32 s3, s2
	s_wait_alu 0xfffe
	s_xor_b32 s2, exec_lo, s3
	s_cbranch_execz .LBB47_23
; %bb.22:
	ds_load_b128 v[25:28], v23
	v_mov_b32_e32 v31, v0
	v_lshlrev_b16 v0, 8, v21
	v_dual_mov_b32 v29, v2 :: v_dual_mov_b32 v30, v3
	v_mov_b32_e32 v32, v1
	s_delay_alu instid0(VALU_DEP_3)
	v_or_b32_e32 v0, v24, v0
	s_wait_dscnt 0x0
	v_dual_mov_b32 v33, v27 :: v_dual_mov_b32 v36, v26
	v_dual_mov_b32 v34, v28 :: v_dual_mov_b32 v35, v25
	ds_store_b128 v23, v[33:36]
	ds_store_b128 v10, v[29:32]
	ds_store_b16 v11, v0
.LBB47_23:
	s_wait_alu 0xfffe
	s_or_b32 exec_lo, exec_lo, s2
	v_sub_nc_u32_e32 v21, v22, v20
	s_wait_loadcnt_dscnt 0x0
	s_barrier_signal -1
	s_barrier_wait -1
	global_inv scope:SCOPE_SE
	v_lshl_add_u32 v19, v21, 3, v17
	v_add_nc_u32_e32 v20, v18, v21
	v_bfe_u32 v25, v6, 1, 1
	v_lshl_add_u32 v21, v21, 3, v16
	ds_load_2addr_b64 v[0:3], v19 offset1:2
	ds_load_u8 v24, v20
	ds_load_u8 v26, v20 offset:2
	s_wait_dscnt 0x1
	v_and_b32_e32 v27, 1, v24
	v_cmp_u_f64_e64 s2, v[0:1], v[0:1]
	v_cmp_o_f64_e64 s3, v[2:3], v[2:3]
	v_cmp_gt_f64_e64 s4, v[0:1], v[2:3]
	s_wait_dscnt 0x0
	v_cmp_ne_u16_e64 s5, v26, v25
	s_wait_alu 0xf1ff
	s_delay_alu instid0(VALU_DEP_1)
	v_cndmask_b32_e64 v28, 0, 1, s5
	v_cmp_eq_u32_e64 s5, 1, v27
	s_and_b32 s2, s2, s3
	s_wait_alu 0xfffe
	s_or_b32 s2, s2, s4
	s_wait_alu 0xfffe
	s_and_b32 s2, s2, s5
	s_wait_alu 0xfffe
	v_cndmask_b32_e64 v27, v28, v25, s2
	v_and_b32_e32 v25, 2, v6
	s_delay_alu instid0(VALU_DEP_2) | instskip(NEXT) | instid1(VALU_DEP_2)
	v_and_b32_e32 v27, 1, v27
	v_cmp_ne_u32_e64 s2, 0, v25
	s_delay_alu instid0(VALU_DEP_2)
	v_cmp_eq_u32_e64 s3, 1, v27
	s_and_saveexec_b32 s4, s3
	s_wait_alu 0xfffe
	s_xor_b32 s3, exec_lo, s4
	s_cbranch_execz .LBB47_25
; %bb.24:
	ds_load_2addr_b64 v[27:30], v21 offset1:2
	ds_store_2addr_b64 v19, v[2:3], v[0:1] offset1:2
	s_wait_dscnt 0x1
	ds_store_2addr_b64 v21, v[29:30], v[27:28] offset1:2
	ds_store_b8 v20, v26
	ds_store_b8 v20, v24 offset:2
.LBB47_25:
	s_wait_alu 0xfffe
	s_or_b32 exec_lo, exec_lo, s3
	s_wait_loadcnt_dscnt 0x0
	s_barrier_signal -1
	s_barrier_wait -1
	global_inv scope:SCOPE_SE
	ds_load_b128 v[0:3], v10
	ds_load_u16 v24, v11
	v_lshrrev_b32_e32 v26, 1, v25
	v_cndmask_b32_e64 v28, 0, 1, s2
	s_wait_dscnt 0x1
	v_cmp_u_f64_e64 s3, v[0:1], v[0:1]
	v_cmp_o_f64_e64 s4, v[2:3], v[2:3]
	v_cmp_gt_f64_e64 s5, v[0:1], v[2:3]
	s_wait_dscnt 0x0
	v_lshrrev_b16 v25, 8, v24
	v_and_b32_e32 v27, 1, v24
	s_delay_alu instid0(VALU_DEP_2) | instskip(NEXT) | instid1(VALU_DEP_2)
	v_cmp_ne_u16_e64 s6, v25, v26
	v_cmp_eq_u32_e64 s2, 1, v27
	s_wait_alu 0xf1ff
	s_delay_alu instid0(VALU_DEP_2)
	v_cndmask_b32_e64 v26, 0, 1, s6
	s_and_b32 s3, s3, s4
	s_wait_alu 0xfffe
	s_or_b32 s3, s3, s5
	s_wait_alu 0xfffe
	s_and_b32 s2, s3, s2
	s_mov_b32 s3, exec_lo
	s_wait_alu 0xfffe
	v_cndmask_b32_e64 v26, v26, v28, s2
	s_delay_alu instid0(VALU_DEP_1) | instskip(NEXT) | instid1(VALU_DEP_1)
	v_and_b32_e32 v26, 1, v26
	v_cmpx_eq_u32_e32 1, v26
	s_cbranch_execz .LBB47_27
; %bb.26:
	ds_load_b128 v[26:29], v23
	v_mov_b32_e32 v32, v0
	v_lshlrev_b16 v0, 8, v24
	v_dual_mov_b32 v30, v2 :: v_dual_mov_b32 v31, v3
	v_mov_b32_e32 v33, v1
	s_delay_alu instid0(VALU_DEP_3)
	v_or_b32_e32 v0, v25, v0
	s_wait_dscnt 0x0
	v_dual_mov_b32 v34, v28 :: v_dual_mov_b32 v37, v27
	v_dual_mov_b32 v35, v29 :: v_dual_mov_b32 v36, v26
	ds_store_b128 v23, v[34:37]
	ds_store_b128 v10, v[30:33]
	ds_store_b16 v11, v0
.LBB47_27:
	s_or_b32 exec_lo, exec_lo, s3
	v_and_b32_e32 v0, 3, v6
	s_wait_loadcnt_dscnt 0x0
	s_barrier_signal -1
	s_barrier_wait -1
	global_inv scope:SCOPE_SE
	v_sub_nc_u32_e32 v26, v22, v0
	v_bfe_u32 v25, v6, 2, 1
	s_delay_alu instid0(VALU_DEP_2)
	v_lshl_add_u32 v23, v26, 3, v17
	v_add_nc_u32_e32 v24, v18, v26
	v_lshl_add_u32 v26, v26, 3, v16
	ds_load_2addr_b64 v[0:3], v23 offset1:4
	ds_load_u8 v27, v24
	ds_load_u8 v28, v24 offset:4
	s_wait_dscnt 0x1
	v_and_b32_e32 v29, 1, v27
	v_cmp_u_f64_e64 s2, v[0:1], v[0:1]
	v_cmp_o_f64_e64 s3, v[2:3], v[2:3]
	v_cmp_gt_f64_e64 s4, v[0:1], v[2:3]
	s_wait_dscnt 0x0
	v_cmp_ne_u16_e64 s5, v28, v25
	s_wait_alu 0xf1ff
	s_delay_alu instid0(VALU_DEP_1)
	v_cndmask_b32_e64 v30, 0, 1, s5
	v_cmp_eq_u32_e64 s5, 1, v29
	s_and_b32 s2, s2, s3
	s_wait_alu 0xfffe
	s_or_b32 s2, s2, s4
	s_mov_b32 s4, exec_lo
	s_wait_alu 0xfffe
	s_and_b32 s2, s2, s5
	s_wait_alu 0xfffe
	v_cndmask_b32_e64 v29, v30, v25, s2
	v_and_b32_e32 v25, 4, v6
	s_delay_alu instid0(VALU_DEP_2) | instskip(NEXT) | instid1(VALU_DEP_2)
	v_and_b32_e32 v29, 1, v29
	v_cmp_ne_u32_e64 s2, 0, v25
	s_delay_alu instid0(VALU_DEP_2)
	v_cmpx_eq_u32_e32 1, v29
	s_cbranch_execz .LBB47_29
; %bb.28:
	ds_load_2addr_b64 v[29:32], v26 offset1:4
	ds_store_2addr_b64 v23, v[2:3], v[0:1] offset1:4
	s_wait_dscnt 0x1
	ds_store_2addr_b64 v26, v[31:32], v[29:30] offset1:4
	ds_store_b8 v24, v28
	ds_store_b8 v24, v27 offset:4
.LBB47_29:
	s_or_b32 exec_lo, exec_lo, s4
	s_wait_loadcnt_dscnt 0x0
	s_barrier_signal -1
	s_barrier_wait -1
	global_inv scope:SCOPE_SE
	ds_load_2addr_b64 v[0:3], v19 offset1:2
	ds_load_u8 v28, v20
	ds_load_u8 v29, v20 offset:2
	v_lshrrev_b32_e32 v25, 2, v25
	v_cndmask_b32_e64 v27, 0, 1, s2
	s_wait_dscnt 0x1
	v_and_b32_e32 v30, 1, v28
	v_cmp_u_f64_e64 s3, v[0:1], v[0:1]
	v_cmp_o_f64_e64 s4, v[2:3], v[2:3]
	v_cmp_gt_f64_e64 s5, v[0:1], v[2:3]
	s_wait_dscnt 0x0
	v_cmp_ne_u16_e64 s2, v29, v25
	s_wait_alu 0xf1ff
	s_delay_alu instid0(VALU_DEP_1)
	v_cndmask_b32_e64 v31, 0, 1, s2
	v_cmp_eq_u32_e64 s2, 1, v30
	s_and_b32 s3, s3, s4
	s_wait_alu 0xfffe
	s_or_b32 s3, s3, s5
	s_wait_alu 0xfffe
	s_and_b32 s2, s3, s2
	s_mov_b32 s3, exec_lo
	s_wait_alu 0xfffe
	v_cndmask_b32_e64 v30, v31, v27, s2
	s_delay_alu instid0(VALU_DEP_1) | instskip(NEXT) | instid1(VALU_DEP_1)
	v_and_b32_e32 v30, 1, v30
	v_cmpx_eq_u32_e32 1, v30
	s_cbranch_execz .LBB47_31
; %bb.30:
	ds_load_2addr_b64 v[30:33], v21 offset1:2
	ds_store_2addr_b64 v19, v[2:3], v[0:1] offset1:2
	s_wait_dscnt 0x1
	ds_store_2addr_b64 v21, v[32:33], v[30:31] offset1:2
	ds_store_b8 v20, v29
	ds_store_b8 v20, v28 offset:2
.LBB47_31:
	s_or_b32 exec_lo, exec_lo, s3
	s_wait_loadcnt_dscnt 0x0
	s_barrier_signal -1
	s_barrier_wait -1
	global_inv scope:SCOPE_SE
	ds_load_b128 v[0:3], v10
	ds_load_u16 v29, v11
	s_wait_dscnt 0x1
	v_cmp_u_f64_e64 s2, v[0:1], v[0:1]
	v_cmp_o_f64_e64 s3, v[2:3], v[2:3]
	v_cmp_gt_f64_e64 s4, v[0:1], v[2:3]
	s_wait_dscnt 0x0
	v_lshrrev_b16 v28, 8, v29
	v_and_b32_e32 v30, 1, v29
	s_delay_alu instid0(VALU_DEP_2) | instskip(NEXT) | instid1(VALU_DEP_2)
	v_cmp_ne_u16_e64 s6, v28, v25
	v_cmp_eq_u32_e64 s5, 1, v30
	s_wait_alu 0xf1ff
	s_delay_alu instid0(VALU_DEP_2)
	v_cndmask_b32_e64 v25, 0, 1, s6
	s_and_b32 s2, s2, s3
	s_wait_alu 0xfffe
	s_or_b32 s2, s2, s4
	s_wait_alu 0xfffe
	s_and_b32 s2, s2, s5
	s_wait_alu 0xfffe
	v_cndmask_b32_e64 v25, v25, v27, s2
	s_delay_alu instid0(VALU_DEP_1) | instskip(NEXT) | instid1(VALU_DEP_1)
	v_and_b32_e32 v25, 1, v25
	v_cmp_eq_u32_e64 s2, 1, v25
	v_lshl_add_u32 v25, v22, 3, v16
	s_and_saveexec_b32 s3, s2
	s_cbranch_execz .LBB47_33
; %bb.32:
	ds_load_b128 v[30:33], v25
	v_mov_b32_e32 v36, v0
	v_lshlrev_b16 v0, 8, v29
	v_dual_mov_b32 v34, v2 :: v_dual_mov_b32 v35, v3
	v_mov_b32_e32 v37, v1
	s_delay_alu instid0(VALU_DEP_3)
	v_or_b32_e32 v0, v28, v0
	s_wait_dscnt 0x0
	v_dual_mov_b32 v38, v32 :: v_dual_mov_b32 v41, v31
	v_dual_mov_b32 v39, v33 :: v_dual_mov_b32 v40, v30
	ds_store_b128 v25, v[38:41]
	ds_store_b128 v10, v[34:37]
	ds_store_b16 v11, v0
.LBB47_33:
	s_wait_alu 0xfffe
	s_or_b32 exec_lo, exec_lo, s3
	v_and_b32_e32 v0, 7, v6
	s_wait_loadcnt_dscnt 0x0
	s_barrier_signal -1
	s_barrier_wait -1
	global_inv scope:SCOPE_SE
	v_sub_nc_u32_e32 v29, v22, v0
	v_bfe_u32 v30, v6, 3, 1
	s_delay_alu instid0(VALU_DEP_2)
	v_lshl_add_u32 v27, v29, 3, v17
	v_add_nc_u32_e32 v28, v18, v29
	v_lshl_add_u32 v29, v29, 3, v16
	ds_load_2addr_b64 v[0:3], v27 offset1:8
	ds_load_u8 v31, v28
	ds_load_u8 v32, v28 offset:8
	s_wait_dscnt 0x1
	v_and_b32_e32 v33, 1, v31
	v_cmp_u_f64_e64 s2, v[0:1], v[0:1]
	v_cmp_o_f64_e64 s3, v[2:3], v[2:3]
	v_cmp_gt_f64_e64 s4, v[0:1], v[2:3]
	s_wait_dscnt 0x0
	v_cmp_ne_u16_e64 s5, v32, v30
	s_wait_alu 0xf1ff
	s_delay_alu instid0(VALU_DEP_1)
	v_cndmask_b32_e64 v34, 0, 1, s5
	v_cmp_eq_u32_e64 s5, 1, v33
	s_and_b32 s2, s2, s3
	s_wait_alu 0xfffe
	s_or_b32 s2, s2, s4
	s_mov_b32 s4, exec_lo
	s_wait_alu 0xfffe
	s_and_b32 s2, s2, s5
	s_wait_alu 0xfffe
	v_cndmask_b32_e64 v33, v34, v30, s2
	v_and_b32_e32 v30, 8, v6
	s_delay_alu instid0(VALU_DEP_2) | instskip(NEXT) | instid1(VALU_DEP_2)
	v_and_b32_e32 v33, 1, v33
	v_cmp_ne_u32_e64 s2, 0, v30
	s_delay_alu instid0(VALU_DEP_2)
	v_cmpx_eq_u32_e32 1, v33
	s_cbranch_execz .LBB47_35
; %bb.34:
	ds_load_2addr_b64 v[33:36], v29 offset1:8
	ds_store_2addr_b64 v27, v[2:3], v[0:1] offset1:8
	s_wait_dscnt 0x1
	ds_store_2addr_b64 v29, v[35:36], v[33:34] offset1:8
	ds_store_b8 v28, v32
	ds_store_b8 v28, v31 offset:8
.LBB47_35:
	s_or_b32 exec_lo, exec_lo, s4
	s_wait_loadcnt_dscnt 0x0
	s_barrier_signal -1
	s_barrier_wait -1
	global_inv scope:SCOPE_SE
	ds_load_2addr_b64 v[0:3], v23 offset1:4
	ds_load_u8 v32, v24
	ds_load_u8 v33, v24 offset:4
	v_lshrrev_b32_e32 v30, 3, v30
	v_cndmask_b32_e64 v31, 0, 1, s2
	s_wait_dscnt 0x1
	v_and_b32_e32 v34, 1, v32
	v_cmp_u_f64_e64 s3, v[0:1], v[0:1]
	v_cmp_o_f64_e64 s4, v[2:3], v[2:3]
	v_cmp_gt_f64_e64 s5, v[0:1], v[2:3]
	s_wait_dscnt 0x0
	v_cmp_ne_u16_e64 s2, v33, v30
	s_wait_alu 0xf1ff
	s_delay_alu instid0(VALU_DEP_1)
	v_cndmask_b32_e64 v35, 0, 1, s2
	v_cmp_eq_u32_e64 s2, 1, v34
	s_and_b32 s3, s3, s4
	s_wait_alu 0xfffe
	s_or_b32 s3, s3, s5
	s_wait_alu 0xfffe
	s_and_b32 s2, s3, s2
	s_mov_b32 s3, exec_lo
	s_wait_alu 0xfffe
	v_cndmask_b32_e64 v34, v35, v31, s2
	s_delay_alu instid0(VALU_DEP_1) | instskip(NEXT) | instid1(VALU_DEP_1)
	v_and_b32_e32 v34, 1, v34
	v_cmpx_eq_u32_e32 1, v34
	s_cbranch_execz .LBB47_37
; %bb.36:
	ds_load_2addr_b64 v[34:37], v26 offset1:4
	ds_store_2addr_b64 v23, v[2:3], v[0:1] offset1:4
	s_wait_dscnt 0x1
	ds_store_2addr_b64 v26, v[36:37], v[34:35] offset1:4
	ds_store_b8 v24, v33
	ds_store_b8 v24, v32 offset:4
.LBB47_37:
	s_or_b32 exec_lo, exec_lo, s3
	s_wait_loadcnt_dscnt 0x0
	s_barrier_signal -1
	s_barrier_wait -1
	global_inv scope:SCOPE_SE
	ds_load_2addr_b64 v[0:3], v19 offset1:2
	ds_load_u8 v32, v20
	ds_load_u8 v33, v20 offset:2
	s_wait_dscnt 0x1
	v_and_b32_e32 v34, 1, v32
	v_cmp_u_f64_e64 s2, v[0:1], v[0:1]
	v_cmp_o_f64_e64 s3, v[2:3], v[2:3]
	v_cmp_gt_f64_e64 s4, v[0:1], v[2:3]
	s_wait_dscnt 0x0
	v_cmp_ne_u16_e64 s5, v33, v30
	s_wait_alu 0xf1ff
	s_delay_alu instid0(VALU_DEP_1)
	v_cndmask_b32_e64 v35, 0, 1, s5
	v_cmp_eq_u32_e64 s5, 1, v34
	s_and_b32 s2, s2, s3
	s_mov_b32 s3, exec_lo
	s_wait_alu 0xfffe
	s_or_b32 s2, s2, s4
	s_wait_alu 0xfffe
	s_and_b32 s2, s2, s5
	s_wait_alu 0xfffe
	v_cndmask_b32_e64 v34, v35, v31, s2
	s_delay_alu instid0(VALU_DEP_1) | instskip(NEXT) | instid1(VALU_DEP_1)
	v_and_b32_e32 v34, 1, v34
	v_cmpx_eq_u32_e32 1, v34
	s_cbranch_execz .LBB47_39
; %bb.38:
	ds_load_2addr_b64 v[34:37], v21 offset1:2
	ds_store_2addr_b64 v19, v[2:3], v[0:1] offset1:2
	s_wait_dscnt 0x1
	ds_store_2addr_b64 v21, v[36:37], v[34:35] offset1:2
	ds_store_b8 v20, v33
	ds_store_b8 v20, v32 offset:2
.LBB47_39:
	s_or_b32 exec_lo, exec_lo, s3
	s_wait_loadcnt_dscnt 0x0
	s_barrier_signal -1
	s_barrier_wait -1
	global_inv scope:SCOPE_SE
	ds_load_b128 v[0:3], v10
	ds_load_u16 v33, v11
	s_wait_dscnt 0x1
	v_cmp_u_f64_e64 s2, v[0:1], v[0:1]
	v_cmp_o_f64_e64 s3, v[2:3], v[2:3]
	v_cmp_gt_f64_e64 s4, v[0:1], v[2:3]
	s_wait_dscnt 0x0
	v_lshrrev_b16 v32, 8, v33
	v_and_b32_e32 v34, 1, v33
	s_delay_alu instid0(VALU_DEP_2) | instskip(NEXT) | instid1(VALU_DEP_2)
	v_cmp_ne_u16_e64 s6, v32, v30
	v_cmp_eq_u32_e64 s5, 1, v34
	s_wait_alu 0xf1ff
	s_delay_alu instid0(VALU_DEP_2)
	v_cndmask_b32_e64 v30, 0, 1, s6
	s_and_b32 s2, s2, s3
	s_mov_b32 s3, exec_lo
	s_wait_alu 0xfffe
	s_or_b32 s2, s2, s4
	s_wait_alu 0xfffe
	s_and_b32 s2, s2, s5
	s_wait_alu 0xfffe
	v_cndmask_b32_e64 v30, v30, v31, s2
	s_delay_alu instid0(VALU_DEP_1) | instskip(NEXT) | instid1(VALU_DEP_1)
	v_and_b32_e32 v30, 1, v30
	v_cmpx_eq_u32_e32 1, v30
	s_cbranch_execz .LBB47_41
; %bb.40:
	ds_load_b128 v[34:37], v25
	v_mov_b32_e32 v40, v0
	v_lshlrev_b16 v0, 8, v33
	v_dual_mov_b32 v38, v2 :: v_dual_mov_b32 v39, v3
	v_mov_b32_e32 v41, v1
	s_delay_alu instid0(VALU_DEP_3)
	v_or_b32_e32 v0, v32, v0
	s_wait_dscnt 0x0
	v_dual_mov_b32 v42, v36 :: v_dual_mov_b32 v45, v35
	v_dual_mov_b32 v43, v37 :: v_dual_mov_b32 v44, v34
	ds_store_b128 v25, v[42:45]
	ds_store_b128 v10, v[38:41]
	ds_store_b16 v11, v0
.LBB47_41:
	s_or_b32 exec_lo, exec_lo, s3
	v_and_b32_e32 v0, 15, v6
	s_wait_loadcnt_dscnt 0x0
	s_barrier_signal -1
	s_barrier_wait -1
	global_inv scope:SCOPE_SE
	v_sub_nc_u32_e32 v22, v22, v0
	s_delay_alu instid0(VALU_DEP_1)
	v_lshl_add_u32 v17, v22, 3, v17
	v_add_nc_u32_e32 v18, v18, v22
	ds_load_2addr_b64 v[0:3], v17 offset1:16
	ds_load_u8 v30, v18
	ds_load_u8 v31, v18 offset:16
	s_wait_dscnt 0x1
	v_and_b32_e32 v32, 1, v30
	v_cmp_u_f64_e64 s2, v[0:1], v[0:1]
	v_cmp_o_f64_e64 s3, v[2:3], v[2:3]
	v_cmp_gt_f64_e64 s4, v[0:1], v[2:3]
	s_wait_dscnt 0x0
	v_and_b32_e32 v31, 0xff, v31
	v_cmp_eq_u32_e64 s5, 1, v32
	s_and_b32 s2, s2, s3
	s_wait_alu 0xfffe
	s_or_b32 s3, s2, s4
	v_cmp_ne_u16_e64 s2, 0, v31
	s_wait_alu 0xfffe
	s_and_b32 s3, s3, s5
	s_wait_alu 0xfffe
	s_xor_b32 s3, s3, -1
	s_wait_alu 0xfffe
	s_and_b32 s3, s3, s2
	s_wait_alu 0xfffe
	s_and_saveexec_b32 s2, s3
	s_cbranch_execz .LBB47_43
; %bb.42:
	v_lshl_add_u32 v16, v22, 3, v16
	v_mov_b32_e32 v22, 1
	ds_load_2addr_b64 v[31:34], v16 offset1:16
	ds_store_2addr_b64 v17, v[2:3], v[0:1] offset1:16
	s_wait_dscnt 0x1
	ds_store_2addr_b64 v16, v[33:34], v[31:32] offset1:16
	ds_store_b8 v18, v22
	ds_store_b8 v18, v30 offset:16
.LBB47_43:
	s_wait_alu 0xfffe
	s_or_b32 exec_lo, exec_lo, s2
	s_wait_loadcnt_dscnt 0x0
	s_barrier_signal -1
	s_barrier_wait -1
	global_inv scope:SCOPE_SE
	ds_load_2addr_b64 v[0:3], v27 offset1:8
	ds_load_u8 v16, v28
	ds_load_u8 v17, v28 offset:8
	s_wait_dscnt 0x1
	v_and_b32_e32 v18, 1, v16
	v_cmp_u_f64_e64 s2, v[0:1], v[0:1]
	v_cmp_o_f64_e64 s3, v[2:3], v[2:3]
	v_cmp_gt_f64_e64 s4, v[0:1], v[2:3]
	s_wait_dscnt 0x0
	v_and_b32_e32 v17, 0xff, v17
	v_cmp_eq_u32_e64 s5, 1, v18
	s_and_b32 s2, s2, s3
	s_wait_alu 0xfffe
	s_or_b32 s3, s2, s4
	v_cmp_ne_u16_e64 s2, 0, v17
	s_wait_alu 0xfffe
	s_and_b32 s3, s3, s5
	s_wait_alu 0xfffe
	s_xor_b32 s3, s3, -1
	s_wait_alu 0xfffe
	s_and_b32 s3, s3, s2
	s_wait_alu 0xfffe
	s_and_saveexec_b32 s2, s3
	s_cbranch_execz .LBB47_45
; %bb.44:
	ds_load_2addr_b64 v[30:33], v29 offset1:8
	v_mov_b32_e32 v17, 1
	ds_store_2addr_b64 v27, v[2:3], v[0:1] offset1:8
	s_wait_dscnt 0x1
	ds_store_2addr_b64 v29, v[32:33], v[30:31] offset1:8
	ds_store_b8 v28, v17
	ds_store_b8 v28, v16 offset:8
.LBB47_45:
	s_wait_alu 0xfffe
	s_or_b32 exec_lo, exec_lo, s2
	s_wait_loadcnt_dscnt 0x0
	s_barrier_signal -1
	s_barrier_wait -1
	global_inv scope:SCOPE_SE
	ds_load_2addr_b64 v[0:3], v23 offset1:4
	ds_load_u8 v16, v24
	ds_load_u8 v17, v24 offset:4
	s_wait_dscnt 0x1
	v_and_b32_e32 v18, 1, v16
	v_cmp_u_f64_e64 s2, v[0:1], v[0:1]
	v_cmp_o_f64_e64 s3, v[2:3], v[2:3]
	v_cmp_gt_f64_e64 s4, v[0:1], v[2:3]
	s_wait_dscnt 0x0
	v_and_b32_e32 v17, 0xff, v17
	v_cmp_eq_u32_e64 s5, 1, v18
	s_and_b32 s2, s2, s3
	s_wait_alu 0xfffe
	s_or_b32 s3, s2, s4
	v_cmp_ne_u16_e64 s2, 0, v17
	s_wait_alu 0xfffe
	s_and_b32 s3, s3, s5
	s_wait_alu 0xfffe
	s_xor_b32 s3, s3, -1
	s_wait_alu 0xfffe
	s_and_b32 s3, s3, s2
	s_wait_alu 0xfffe
	s_and_saveexec_b32 s2, s3
	s_cbranch_execz .LBB47_47
; %bb.46:
	ds_load_2addr_b64 v[27:30], v26 offset1:4
	v_mov_b32_e32 v17, 1
	ds_store_2addr_b64 v23, v[2:3], v[0:1] offset1:4
	s_wait_dscnt 0x1
	ds_store_2addr_b64 v26, v[29:30], v[27:28] offset1:4
	ds_store_b8 v24, v17
	ds_store_b8 v24, v16 offset:4
.LBB47_47:
	;; [unrolled: 39-line block ×3, first 2 shown]
	s_wait_alu 0xfffe
	s_or_b32 exec_lo, exec_lo, s2
	s_wait_loadcnt_dscnt 0x0
	s_barrier_signal -1
	s_barrier_wait -1
	global_inv scope:SCOPE_SE
	ds_load_b128 v[0:3], v10
	ds_load_u16 v16, v11
	s_wait_dscnt 0x1
	v_cmp_u_f64_e64 s2, v[0:1], v[0:1]
	v_cmp_o_f64_e64 s3, v[2:3], v[2:3]
	v_cmp_gt_f64_e64 s4, v[0:1], v[2:3]
	s_wait_dscnt 0x0
	v_and_b32_e32 v17, 1, v16
	v_lshrrev_b16 v18, 8, v16
	s_delay_alu instid0(VALU_DEP_2)
	v_cmp_eq_u32_e64 s5, 1, v17
	s_and_b32 s2, s2, s3
	s_wait_alu 0xfffe
	s_or_b32 s3, s2, s4
	v_cmp_ne_u16_e64 s2, 0, v18
	s_wait_alu 0xfffe
	s_and_b32 s3, s3, s5
	s_wait_alu 0xfffe
	s_xor_b32 s3, s3, -1
	s_wait_alu 0xfffe
	s_and_b32 s3, s3, s2
	s_wait_alu 0xfffe
	s_and_saveexec_b32 s2, s3
	s_cbranch_execz .LBB47_51
; %bb.50:
	ds_load_b128 v[17:20], v25
	v_mov_b32_e32 v23, v0
	v_lshlrev_b16 v0, 8, v16
	v_dual_mov_b32 v21, v2 :: v_dual_mov_b32 v22, v3
	v_mov_b32_e32 v24, v1
	s_delay_alu instid0(VALU_DEP_3)
	v_or_b32_e32 v0, 1, v0
	s_wait_dscnt 0x0
	v_dual_mov_b32 v26, v19 :: v_dual_mov_b32 v27, v20
	v_dual_mov_b32 v28, v17 :: v_dual_mov_b32 v29, v18
	ds_store_b128 v25, v[26:29]
	ds_store_b128 v10, v[21:24]
	ds_store_b16 v11, v0
.LBB47_51:
	s_wait_alu 0xfffe
	s_or_b32 exec_lo, exec_lo, s2
	s_wait_loadcnt_dscnt 0x0
	s_barrier_signal -1
	s_barrier_wait -1
	global_inv scope:SCOPE_SE
	s_and_saveexec_b32 s2, vcc_lo
	s_cbranch_execz .LBB47_56
; %bb.52:
	s_and_saveexec_b32 s2, s0
	s_cbranch_execz .LBB47_54
; %bb.53:
	v_mad_co_u64_u32 v[0:1], null, s8, v6, 0
	v_mad_co_u64_u32 v[2:3], null, s10, v6, 0
	s_delay_alu instid0(VALU_DEP_1) | instskip(NEXT) | instid1(VALU_DEP_2)
	v_mad_co_u64_u32 v[10:11], null, s9, v6, v[1:2]
	v_mad_co_u64_u32 v[16:17], null, s11, v6, v[3:4]
	s_delay_alu instid0(VALU_DEP_2) | instskip(SKIP_4) | instid1(VALU_DEP_2)
	v_mov_b32_e32 v1, v10
	ds_load_b64 v[5:6], v5
	ds_load_b64 v[10:11], v15
	v_mov_b32_e32 v3, v16
	v_lshlrev_b64_e32 v[0:1], 3, v[0:1]
	v_lshlrev_b64_e32 v[2:3], 3, v[2:3]
	s_delay_alu instid0(VALU_DEP_2) | instskip(SKIP_1) | instid1(VALU_DEP_3)
	v_add_co_u32 v0, vcc_lo, v7, v0
	s_wait_alu 0xfffd
	v_add_co_ci_u32_e64 v1, null, v12, v1, vcc_lo
	s_delay_alu instid0(VALU_DEP_3)
	v_add_co_u32 v2, vcc_lo, v13, v2
	s_wait_alu 0xfffd
	v_add_co_ci_u32_e64 v3, null, v14, v3, vcc_lo
	s_wait_dscnt 0x1
	global_store_b64 v[0:1], v[5:6], off
	s_wait_dscnt 0x0
	global_store_b64 v[2:3], v[10:11], off
.LBB47_54:
	s_wait_alu 0xfffe
	s_or_b32 exec_lo, exec_lo, s2
	s_delay_alu instid0(SALU_CYCLE_1)
	s_and_b32 exec_lo, exec_lo, s1
	s_cbranch_execz .LBB47_56
; %bb.55:
	v_mad_co_u64_u32 v[0:1], null, s8, v4, 0
	v_mad_co_u64_u32 v[2:3], null, s10, v4, 0
	s_delay_alu instid0(VALU_DEP_1) | instskip(NEXT) | instid1(VALU_DEP_2)
	v_mad_co_u64_u32 v[5:6], null, s9, v4, v[1:2]
	v_mad_co_u64_u32 v[3:4], null, s11, v4, v[3:4]
	s_delay_alu instid0(VALU_DEP_2) | instskip(SKIP_4) | instid1(VALU_DEP_1)
	v_mov_b32_e32 v1, v5
	ds_load_b64 v[4:5], v8
	ds_load_b64 v[8:9], v9
	v_lshlrev_b64_e32 v[2:3], 3, v[2:3]
	v_lshlrev_b64_e32 v[0:1], 3, v[0:1]
	v_add_co_u32 v0, vcc_lo, v7, v0
	s_wait_alu 0xfffd
	s_delay_alu instid0(VALU_DEP_2) | instskip(NEXT) | instid1(VALU_DEP_4)
	v_add_co_ci_u32_e64 v1, null, v12, v1, vcc_lo
	v_add_co_u32 v2, vcc_lo, v13, v2
	s_wait_alu 0xfffd
	v_add_co_ci_u32_e64 v3, null, v14, v3, vcc_lo
	s_wait_dscnt 0x1
	global_store_b64 v[0:1], v[4:5], off
	s_wait_dscnt 0x0
	global_store_b64 v[2:3], v[8:9], off
.LBB47_56:
	s_endpgm
	.section	.rodata,"a",@progbits
	.p2align	6, 0x0
	.amdhsa_kernel _ZN2at6native20bitonicSortKVInPlaceILin1ELin1ELi16ELi16EdlNS0_4GTOpIdLb1EEEmEEvNS_4cuda6detail10TensorInfoIT3_T6_EES8_S8_S8_NS6_IT4_S8_EES8_T5_
		.amdhsa_group_segment_fixed_size 8704
		.amdhsa_private_segment_fixed_size 0
		.amdhsa_kernarg_size 1128
		.amdhsa_user_sgpr_count 2
		.amdhsa_user_sgpr_dispatch_ptr 0
		.amdhsa_user_sgpr_queue_ptr 0
		.amdhsa_user_sgpr_kernarg_segment_ptr 1
		.amdhsa_user_sgpr_dispatch_id 0
		.amdhsa_user_sgpr_private_segment_size 0
		.amdhsa_wavefront_size32 1
		.amdhsa_uses_dynamic_stack 0
		.amdhsa_enable_private_segment 0
		.amdhsa_system_sgpr_workgroup_id_x 1
		.amdhsa_system_sgpr_workgroup_id_y 1
		.amdhsa_system_sgpr_workgroup_id_z 1
		.amdhsa_system_sgpr_workgroup_info 0
		.amdhsa_system_vgpr_workitem_id 1
		.amdhsa_next_free_vgpr 46
		.amdhsa_next_free_sgpr 31
		.amdhsa_reserve_vcc 1
		.amdhsa_float_round_mode_32 0
		.amdhsa_float_round_mode_16_64 0
		.amdhsa_float_denorm_mode_32 3
		.amdhsa_float_denorm_mode_16_64 3
		.amdhsa_fp16_overflow 0
		.amdhsa_workgroup_processor_mode 1
		.amdhsa_memory_ordered 1
		.amdhsa_forward_progress 1
		.amdhsa_inst_pref_size 57
		.amdhsa_round_robin_scheduling 0
		.amdhsa_exception_fp_ieee_invalid_op 0
		.amdhsa_exception_fp_denorm_src 0
		.amdhsa_exception_fp_ieee_div_zero 0
		.amdhsa_exception_fp_ieee_overflow 0
		.amdhsa_exception_fp_ieee_underflow 0
		.amdhsa_exception_fp_ieee_inexact 0
		.amdhsa_exception_int_div_zero 0
	.end_amdhsa_kernel
	.section	.text._ZN2at6native20bitonicSortKVInPlaceILin1ELin1ELi16ELi16EdlNS0_4GTOpIdLb1EEEmEEvNS_4cuda6detail10TensorInfoIT3_T6_EES8_S8_S8_NS6_IT4_S8_EES8_T5_,"axG",@progbits,_ZN2at6native20bitonicSortKVInPlaceILin1ELin1ELi16ELi16EdlNS0_4GTOpIdLb1EEEmEEvNS_4cuda6detail10TensorInfoIT3_T6_EES8_S8_S8_NS6_IT4_S8_EES8_T5_,comdat
.Lfunc_end47:
	.size	_ZN2at6native20bitonicSortKVInPlaceILin1ELin1ELi16ELi16EdlNS0_4GTOpIdLb1EEEmEEvNS_4cuda6detail10TensorInfoIT3_T6_EES8_S8_S8_NS6_IT4_S8_EES8_T5_, .Lfunc_end47-_ZN2at6native20bitonicSortKVInPlaceILin1ELin1ELi16ELi16EdlNS0_4GTOpIdLb1EEEmEEvNS_4cuda6detail10TensorInfoIT3_T6_EES8_S8_S8_NS6_IT4_S8_EES8_T5_
                                        ; -- End function
	.set _ZN2at6native20bitonicSortKVInPlaceILin1ELin1ELi16ELi16EdlNS0_4GTOpIdLb1EEEmEEvNS_4cuda6detail10TensorInfoIT3_T6_EES8_S8_S8_NS6_IT4_S8_EES8_T5_.num_vgpr, 46
	.set _ZN2at6native20bitonicSortKVInPlaceILin1ELin1ELi16ELi16EdlNS0_4GTOpIdLb1EEEmEEvNS_4cuda6detail10TensorInfoIT3_T6_EES8_S8_S8_NS6_IT4_S8_EES8_T5_.num_agpr, 0
	.set _ZN2at6native20bitonicSortKVInPlaceILin1ELin1ELi16ELi16EdlNS0_4GTOpIdLb1EEEmEEvNS_4cuda6detail10TensorInfoIT3_T6_EES8_S8_S8_NS6_IT4_S8_EES8_T5_.numbered_sgpr, 31
	.set _ZN2at6native20bitonicSortKVInPlaceILin1ELin1ELi16ELi16EdlNS0_4GTOpIdLb1EEEmEEvNS_4cuda6detail10TensorInfoIT3_T6_EES8_S8_S8_NS6_IT4_S8_EES8_T5_.num_named_barrier, 0
	.set _ZN2at6native20bitonicSortKVInPlaceILin1ELin1ELi16ELi16EdlNS0_4GTOpIdLb1EEEmEEvNS_4cuda6detail10TensorInfoIT3_T6_EES8_S8_S8_NS6_IT4_S8_EES8_T5_.private_seg_size, 0
	.set _ZN2at6native20bitonicSortKVInPlaceILin1ELin1ELi16ELi16EdlNS0_4GTOpIdLb1EEEmEEvNS_4cuda6detail10TensorInfoIT3_T6_EES8_S8_S8_NS6_IT4_S8_EES8_T5_.uses_vcc, 1
	.set _ZN2at6native20bitonicSortKVInPlaceILin1ELin1ELi16ELi16EdlNS0_4GTOpIdLb1EEEmEEvNS_4cuda6detail10TensorInfoIT3_T6_EES8_S8_S8_NS6_IT4_S8_EES8_T5_.uses_flat_scratch, 0
	.set _ZN2at6native20bitonicSortKVInPlaceILin1ELin1ELi16ELi16EdlNS0_4GTOpIdLb1EEEmEEvNS_4cuda6detail10TensorInfoIT3_T6_EES8_S8_S8_NS6_IT4_S8_EES8_T5_.has_dyn_sized_stack, 0
	.set _ZN2at6native20bitonicSortKVInPlaceILin1ELin1ELi16ELi16EdlNS0_4GTOpIdLb1EEEmEEvNS_4cuda6detail10TensorInfoIT3_T6_EES8_S8_S8_NS6_IT4_S8_EES8_T5_.has_recursion, 0
	.set _ZN2at6native20bitonicSortKVInPlaceILin1ELin1ELi16ELi16EdlNS0_4GTOpIdLb1EEEmEEvNS_4cuda6detail10TensorInfoIT3_T6_EES8_S8_S8_NS6_IT4_S8_EES8_T5_.has_indirect_call, 0
	.section	.AMDGPU.csdata,"",@progbits
; Kernel info:
; codeLenInByte = 7256
; TotalNumSgprs: 33
; NumVgprs: 46
; ScratchSize: 0
; MemoryBound: 0
; FloatMode: 240
; IeeeMode: 1
; LDSByteSize: 8704 bytes/workgroup (compile time only)
; SGPRBlocks: 0
; VGPRBlocks: 5
; NumSGPRsForWavesPerEU: 33
; NumVGPRsForWavesPerEU: 46
; Occupancy: 16
; WaveLimiterHint : 1
; COMPUTE_PGM_RSRC2:SCRATCH_EN: 0
; COMPUTE_PGM_RSRC2:USER_SGPR: 2
; COMPUTE_PGM_RSRC2:TRAP_HANDLER: 0
; COMPUTE_PGM_RSRC2:TGID_X_EN: 1
; COMPUTE_PGM_RSRC2:TGID_Y_EN: 1
; COMPUTE_PGM_RSRC2:TGID_Z_EN: 1
; COMPUTE_PGM_RSRC2:TIDIG_COMP_CNT: 1
	.section	.text._ZN2at6native20bitonicSortKVInPlaceILin2ELin1ELi16ELi16EflNS0_4LTOpIfLb1EEEjEEvNS_4cuda6detail10TensorInfoIT3_T6_EES8_S8_S8_NS6_IT4_S8_EES8_T5_,"axG",@progbits,_ZN2at6native20bitonicSortKVInPlaceILin2ELin1ELi16ELi16EflNS0_4LTOpIfLb1EEEjEEvNS_4cuda6detail10TensorInfoIT3_T6_EES8_S8_S8_NS6_IT4_S8_EES8_T5_,comdat
	.protected	_ZN2at6native20bitonicSortKVInPlaceILin2ELin1ELi16ELi16EflNS0_4LTOpIfLb1EEEjEEvNS_4cuda6detail10TensorInfoIT3_T6_EES8_S8_S8_NS6_IT4_S8_EES8_T5_ ; -- Begin function _ZN2at6native20bitonicSortKVInPlaceILin2ELin1ELi16ELi16EflNS0_4LTOpIfLb1EEEjEEvNS_4cuda6detail10TensorInfoIT3_T6_EES8_S8_S8_NS6_IT4_S8_EES8_T5_
	.globl	_ZN2at6native20bitonicSortKVInPlaceILin2ELin1ELi16ELi16EflNS0_4LTOpIfLb1EEEjEEvNS_4cuda6detail10TensorInfoIT3_T6_EES8_S8_S8_NS6_IT4_S8_EES8_T5_
	.p2align	8
	.type	_ZN2at6native20bitonicSortKVInPlaceILin2ELin1ELi16ELi16EflNS0_4LTOpIfLb1EEEjEEvNS_4cuda6detail10TensorInfoIT3_T6_EES8_S8_S8_NS6_IT4_S8_EES8_T5_,@function
_ZN2at6native20bitonicSortKVInPlaceILin2ELin1ELi16ELi16EflNS0_4LTOpIfLb1EEEjEEvNS_4cuda6detail10TensorInfoIT3_T6_EES8_S8_S8_NS6_IT4_S8_EES8_T5_: ; @_ZN2at6native20bitonicSortKVInPlaceILin2ELin1ELi16ELi16EflNS0_4LTOpIfLb1EEEjEEvNS_4cuda6detail10TensorInfoIT3_T6_EES8_S8_S8_NS6_IT4_S8_EES8_T5_
; %bb.0:
	s_clause 0x2
	s_load_b64 s[2:3], s[0:1], 0x1c8
	s_load_u16 s4, s[0:1], 0x1d6
	s_load_b96 s[8:10], s[0:1], 0xd8
	s_lshr_b32 s5, ttmp7, 16
	s_wait_kmcnt 0x0
	s_mul_i32 s3, s3, s5
	s_and_b32 s5, ttmp7, 0xffff
	s_delay_alu instid0(SALU_CYCLE_1) | instskip(NEXT) | instid1(SALU_CYCLE_1)
	s_add_co_i32 s3, s3, s5
	s_mul_i32 s2, s3, s2
	s_delay_alu instid0(SALU_CYCLE_1) | instskip(NEXT) | instid1(SALU_CYCLE_1)
	s_add_co_i32 s2, s2, ttmp9
	s_mul_i32 s2, s2, s4
	s_delay_alu instid0(SALU_CYCLE_1)
	s_cmp_ge_u32 s2, s8
	s_cbranch_scc1 .LBB48_43
; %bb.1:
	s_clause 0x1
	s_load_b32 s4, s[0:1], 0x1b8
	s_load_b64 s[12:13], s[0:1], 0x0
	v_bfe_u32 v8, v0, 10, 10
	s_delay_alu instid0(VALU_DEP_1) | instskip(SKIP_2) | instid1(VALU_DEP_2)
	v_add_nc_u32_e32 v3, s2, v8
	v_mov_b32_e32 v1, 0
	s_add_nc_u64 s[2:3], s[0:1], 0xe8
	v_mov_b32_e32 v4, v3
	s_wait_kmcnt 0x0
	s_cmp_lt_i32 s4, 2
	s_cbranch_scc1 .LBB48_4
; %bb.2:
	s_add_co_i32 s6, s4, -1
	s_mov_b32 s7, 0
	v_dual_mov_b32 v1, 0 :: v_dual_mov_b32 v4, v3
	s_lshl_b64 s[6:7], s[6:7], 2
	s_wait_alu 0xfffe
	s_add_nc_u64 s[14:15], s[2:3], s[6:7]
	s_add_co_i32 s6, s4, 1
	s_add_nc_u64 s[4:5], s[14:15], 8
.LBB48_3:                               ; =>This Inner Loop Header: Depth=1
	s_clause 0x1
	s_load_b32 s7, s[4:5], 0x0
	s_load_b32 s11, s[4:5], 0x64
	s_add_co_i32 s6, s6, -1
	s_add_nc_u64 s[4:5], s[4:5], -4
	s_wait_kmcnt 0x0
	s_cvt_f32_u32 s14, s7
	s_sub_co_i32 s15, 0, s7
	s_wait_alu 0xfffe
	s_delay_alu instid0(SALU_CYCLE_1) | instskip(NEXT) | instid1(TRANS32_DEP_1)
	v_rcp_iflag_f32_e32 v2, s14
	v_readfirstlane_b32 s14, v2
	v_mov_b32_e32 v2, v4
	s_mul_f32 s14, s14, 0x4f7ffffe
	s_wait_alu 0xfffe
	s_delay_alu instid0(SALU_CYCLE_2) | instskip(SKIP_1) | instid1(SALU_CYCLE_2)
	s_cvt_u32_f32 s14, s14
	s_wait_alu 0xfffe
	s_mul_i32 s15, s15, s14
	s_wait_alu 0xfffe
	s_mul_hi_u32 s15, s14, s15
	s_wait_alu 0xfffe
	s_add_co_i32 s14, s14, s15
	s_cmp_gt_u32 s6, 2
	s_wait_alu 0xfffe
	v_mul_hi_u32 v4, v2, s14
	s_delay_alu instid0(VALU_DEP_1) | instskip(SKIP_1) | instid1(VALU_DEP_2)
	v_mul_lo_u32 v5, v4, s7
	v_add_nc_u32_e32 v6, 1, v4
	v_sub_nc_u32_e32 v5, v2, v5
	s_delay_alu instid0(VALU_DEP_1) | instskip(SKIP_2) | instid1(VALU_DEP_2)
	v_subrev_nc_u32_e32 v7, s7, v5
	v_cmp_le_u32_e32 vcc_lo, s7, v5
	s_wait_alu 0xfffd
	v_dual_cndmask_b32 v4, v4, v6 :: v_dual_cndmask_b32 v5, v5, v7
	s_delay_alu instid0(VALU_DEP_1) | instskip(NEXT) | instid1(VALU_DEP_2)
	v_add_nc_u32_e32 v6, 1, v4
	v_cmp_le_u32_e32 vcc_lo, s7, v5
	s_wait_alu 0xfffd
	s_delay_alu instid0(VALU_DEP_2) | instskip(NEXT) | instid1(VALU_DEP_1)
	v_cndmask_b32_e32 v4, v4, v6, vcc_lo
	v_mul_lo_u32 v5, v4, s7
	s_delay_alu instid0(VALU_DEP_1) | instskip(NEXT) | instid1(VALU_DEP_1)
	v_sub_nc_u32_e32 v2, v2, v5
	v_mad_co_u64_u32 v[1:2], null, s11, v2, v[1:2]
	s_cbranch_scc1 .LBB48_3
.LBB48_4:
	s_load_b32 s6, s[0:1], 0x6c
	s_add_nc_u64 s[4:5], s[0:1], 0x1c8
	s_load_b32 s11, s[2:3], 0x6c
	s_load_b32 s4, s[4:5], 0xc
	s_clause 0x1
	s_load_b32 s7, s[0:1], 0x1c0
	s_load_b64 s[14:15], s[2:3], 0x0
	v_and_b32_e32 v7, 0x3ff, v0
	v_cmp_gt_u32_e64 s0, s8, v3
	v_mov_b32_e32 v5, 0
	v_dual_mov_b32 v6, 0 :: v_dual_mov_b32 v11, 0
	v_mov_b32_e32 v10, 0
	s_wait_kmcnt 0x0
	v_mul_lo_u32 v2, s6, v3
	s_delay_alu instid0(VALU_DEP_1)
	v_mad_co_u64_u32 v[0:1], null, s11, v4, v[1:2]
	v_mov_b32_e32 v3, 0
	v_mov_b32_e32 v4, 0
	v_cmp_gt_u32_e32 vcc_lo, s9, v7
	s_and_b32 s2, s0, vcc_lo
	s_wait_alu 0xfffe
	s_and_saveexec_b32 s3, s2
	s_cbranch_execz .LBB48_6
; %bb.5:
	v_mad_co_u64_u32 v[5:6], null, v7, s10, v[2:3]
	v_mov_b32_e32 v6, 0
	v_mad_co_u64_u32 v[11:12], null, v7, s7, v[0:1]
	s_delay_alu instid0(VALU_DEP_2) | instskip(NEXT) | instid1(VALU_DEP_4)
	v_mov_b32_e32 v12, v6
	v_lshlrev_b64_e32 v[5:6], 2, v[5:6]
	s_delay_alu instid0(VALU_DEP_2) | instskip(NEXT) | instid1(VALU_DEP_2)
	v_lshlrev_b64_e32 v[11:12], 3, v[11:12]
	v_add_co_u32 v5, s1, s12, v5
	s_delay_alu instid0(VALU_DEP_1) | instskip(NEXT) | instid1(VALU_DEP_3)
	v_add_co_ci_u32_e64 v6, null, s13, v6, s1
	v_add_co_u32 v13, s1, s14, v11
	s_wait_alu 0xf1ff
	s_delay_alu instid0(VALU_DEP_4)
	v_add_co_ci_u32_e64 v14, null, s15, v12, s1
	global_load_b32 v11, v[5:6], off
	global_load_b64 v[5:6], v[13:14], off
.LBB48_6:
	s_wait_alu 0xfffe
	s_or_b32 exec_lo, exec_lo, s3
	s_and_b32 s3, 0xffff, s4
	v_lshl_add_u32 v16, v8, 7, 0x1000
	s_wait_alu 0xfffe
	v_add_nc_u32_e32 v1, s3, v7
	v_lshlrev_b32_e32 v12, 8, v8
	v_lshl_add_u32 v17, v8, 5, 0x1800
	v_cndmask_b32_e64 v13, 0, 1, s2
	v_lshl_add_u32 v8, v7, 2, v16
	v_cmp_gt_u32_e64 s1, s9, v1
	v_lshl_add_u32 v9, v7, 3, v12
	v_add_nc_u32_e32 v14, v17, v7
	s_wait_loadcnt 0x1
	ds_store_b32 v8, v11
	s_wait_loadcnt 0x0
	ds_store_b64 v9, v[5:6]
	ds_store_b8 v14, v13
	s_and_b32 s4, s0, s1
	s_delay_alu instid0(SALU_CYCLE_1)
	s_and_saveexec_b32 s5, s4
	s_cbranch_execz .LBB48_8
; %bb.7:
	v_mad_co_u64_u32 v[3:4], null, v1, s10, v[2:3]
	v_mov_b32_e32 v4, 0
	v_mad_co_u64_u32 v[5:6], null, v1, s7, v[0:1]
	s_delay_alu instid0(VALU_DEP_2) | instskip(NEXT) | instid1(VALU_DEP_4)
	v_mov_b32_e32 v6, v4
	v_lshlrev_b64_e32 v[3:4], 2, v[3:4]
	s_delay_alu instid0(VALU_DEP_2) | instskip(NEXT) | instid1(VALU_DEP_2)
	v_lshlrev_b64_e32 v[5:6], 3, v[5:6]
	v_add_co_u32 v3, s2, s12, v3
	s_wait_alu 0xf1ff
	s_delay_alu instid0(VALU_DEP_3) | instskip(NEXT) | instid1(VALU_DEP_3)
	v_add_co_ci_u32_e64 v4, null, s13, v4, s2
	v_add_co_u32 v5, s2, s14, v5
	s_wait_alu 0xf1ff
	v_add_co_ci_u32_e64 v6, null, s15, v6, s2
	global_load_b32 v10, v[3:4], off
	global_load_b64 v[3:4], v[5:6], off
.LBB48_8:
	s_or_b32 exec_lo, exec_lo, s5
	v_lshl_add_u32 v5, s3, 2, v8
	v_lshlrev_b32_e32 v14, 2, v7
	v_lshl_add_u32 v6, s3, 3, v9
	v_lshlrev_b32_e32 v18, 1, v7
	v_cndmask_b32_e64 v11, 0, 1, s4
	v_add_nc_u32_e32 v13, v17, v1
	s_wait_loadcnt 0x1
	ds_store_b32 v5, v10
	s_wait_loadcnt 0x0
	ds_store_b64 v6, v[3:4]
	ds_store_b8 v13, v11
	v_add_nc_u32_e32 v10, v8, v14
	v_add_nc_u32_e32 v11, v17, v18
	s_wait_dscnt 0x0
	s_barrier_signal -1
	s_barrier_wait -1
	global_inv scope:SCOPE_SE
	ds_load_b64 v[3:4], v10
	ds_load_u16 v15, v11
	v_and_b32_e32 v13, 1, v7
	s_wait_dscnt 0x1
	v_cmp_u_f32_e64 s2, v4, v4
	v_cmp_o_f32_e64 s3, v3, v3
	s_wait_dscnt 0x0
	v_lshrrev_b16 v14, 8, v15
	v_and_b32_e32 v19, 1, v15
	v_cmp_lt_f32_e64 s4, v3, v4
	s_and_b32 s5, s2, s3
	v_cmp_ne_u16_e64 s3, v14, v13
	v_cmp_eq_u32_e64 s2, 1, v19
	s_wait_alu 0xf1ff
	s_delay_alu instid0(VALU_DEP_2)
	v_cndmask_b32_e64 v19, 0, 1, s3
	s_wait_alu 0xfffe
	s_or_b32 s3, s5, s4
	s_wait_alu 0xfffe
	s_and_b32 s2, s3, s2
	s_wait_alu 0xfffe
	v_cndmask_b32_e64 v19, v19, v7, s2
	s_delay_alu instid0(VALU_DEP_1) | instskip(NEXT) | instid1(VALU_DEP_1)
	v_and_b32_e32 v19, 1, v19
	v_cmp_eq_u32_e64 s2, 1, v19
	v_lshl_add_u32 v19, v7, 3, v9
	s_and_saveexec_b32 s3, s2
	s_wait_alu 0xfffe
	s_xor_b32 s2, exec_lo, s3
	s_cbranch_execz .LBB48_10
; %bb.9:
	ds_load_b128 v[20:23], v19
	v_mov_b32_e32 v26, v4
	v_lshlrev_b16 v4, 8, v15
	v_mov_b32_e32 v27, v3
	s_delay_alu instid0(VALU_DEP_2)
	v_or_b32_e32 v3, v14, v4
	s_wait_dscnt 0x0
	v_dual_mov_b32 v24, v20 :: v_dual_mov_b32 v25, v21
	ds_store_b128 v19, v[22:25]
	ds_store_b64 v10, v[26:27]
	ds_store_b16 v11, v3
.LBB48_10:
	s_wait_alu 0xfffe
	s_or_b32 exec_lo, exec_lo, s2
	v_sub_nc_u32_e32 v15, v18, v13
	s_wait_loadcnt_dscnt 0x0
	s_barrier_signal -1
	s_barrier_wait -1
	global_inv scope:SCOPE_SE
	v_lshl_add_u32 v14, v15, 2, v16
	v_add_nc_u32_e32 v13, v17, v15
	v_bfe_u32 v21, v7, 1, 1
	v_lshl_add_u32 v15, v15, 3, v12
	ds_load_2addr_b32 v[3:4], v14 offset1:2
	ds_load_u8 v20, v13
	ds_load_u8 v22, v13 offset:2
	s_wait_dscnt 0x2
	v_cmp_u_f32_e64 s2, v4, v4
	s_wait_dscnt 0x1
	v_and_b32_e32 v23, 1, v20
	s_wait_dscnt 0x0
	v_cmp_ne_u16_e64 s5, v22, v21
	v_cmp_o_f32_e64 s3, v3, v3
	v_cmp_lt_f32_e64 s4, v3, v4
	s_wait_alu 0xf1ff
	s_delay_alu instid0(VALU_DEP_3)
	v_cndmask_b32_e64 v24, 0, 1, s5
	v_cmp_eq_u32_e64 s5, 1, v23
	s_and_b32 s2, s2, s3
	s_wait_alu 0xfffe
	s_or_b32 s2, s2, s4
	s_wait_alu 0xfffe
	s_and_b32 s2, s2, s5
	s_wait_alu 0xfffe
	v_cndmask_b32_e64 v23, v24, v21, s2
	v_and_b32_e32 v21, 2, v7
	s_delay_alu instid0(VALU_DEP_2) | instskip(NEXT) | instid1(VALU_DEP_2)
	v_and_b32_e32 v23, 1, v23
	v_cmp_ne_u32_e64 s2, 0, v21
	s_delay_alu instid0(VALU_DEP_2)
	v_cmp_eq_u32_e64 s3, 1, v23
	s_and_saveexec_b32 s4, s3
	s_wait_alu 0xfffe
	s_xor_b32 s3, exec_lo, s4
	s_cbranch_execz .LBB48_12
; %bb.11:
	ds_load_2addr_b64 v[23:26], v15 offset1:2
	ds_store_2addr_b32 v14, v4, v3 offset1:2
	s_wait_dscnt 0x1
	ds_store_2addr_b64 v15, v[25:26], v[23:24] offset1:2
	ds_store_b8 v13, v22
	ds_store_b8 v13, v20 offset:2
.LBB48_12:
	s_wait_alu 0xfffe
	s_or_b32 exec_lo, exec_lo, s3
	s_wait_loadcnt_dscnt 0x0
	s_barrier_signal -1
	s_barrier_wait -1
	global_inv scope:SCOPE_SE
	ds_load_u16 v20, v11
	ds_load_b64 v[3:4], v10
	v_lshrrev_b32_e32 v22, 1, v21
	v_cndmask_b32_e64 v23, 0, 1, s2
	s_wait_dscnt 0x1
	v_lshrrev_b16 v21, 8, v20
	v_and_b32_e32 v24, 1, v20
	s_wait_dscnt 0x0
	v_cmp_u_f32_e64 s2, v4, v4
	v_cmp_o_f32_e64 s3, v3, v3
	v_cmp_lt_f32_e64 s4, v3, v4
	v_cmp_ne_u16_e64 s6, v21, v22
	v_cmp_eq_u32_e64 s5, 1, v24
	s_and_b32 s2, s2, s3
	s_mov_b32 s3, exec_lo
	v_cndmask_b32_e64 v22, 0, 1, s6
	s_wait_alu 0xfffe
	s_or_b32 s2, s2, s4
	s_wait_alu 0xfffe
	s_and_b32 s2, s2, s5
	s_wait_alu 0xfffe
	v_cndmask_b32_e64 v22, v22, v23, s2
	s_delay_alu instid0(VALU_DEP_1) | instskip(NEXT) | instid1(VALU_DEP_1)
	v_and_b32_e32 v22, 1, v22
	v_cmpx_eq_u32_e32 1, v22
	s_cbranch_execz .LBB48_14
; %bb.13:
	ds_load_b128 v[22:25], v19
	v_mov_b32_e32 v28, v4
	v_lshlrev_b16 v4, 8, v20
	v_mov_b32_e32 v29, v3
	s_delay_alu instid0(VALU_DEP_2)
	v_or_b32_e32 v3, v21, v4
	s_wait_dscnt 0x0
	v_dual_mov_b32 v26, v22 :: v_dual_mov_b32 v27, v23
	ds_store_b128 v19, v[24:27]
	ds_store_b64 v10, v[28:29]
	ds_store_b16 v11, v3
.LBB48_14:
	s_or_b32 exec_lo, exec_lo, s3
	v_and_b32_e32 v3, 3, v7
	s_wait_loadcnt_dscnt 0x0
	s_barrier_signal -1
	s_barrier_wait -1
	global_inv scope:SCOPE_SE
	v_sub_nc_u32_e32 v22, v18, v3
	v_bfe_u32 v21, v7, 2, 1
	s_delay_alu instid0(VALU_DEP_2)
	v_lshl_add_u32 v20, v22, 2, v16
	v_add_nc_u32_e32 v19, v17, v22
	v_lshl_add_u32 v22, v22, 3, v12
	ds_load_2addr_b32 v[3:4], v20 offset1:4
	ds_load_u8 v23, v19
	ds_load_u8 v24, v19 offset:4
	s_wait_dscnt 0x2
	v_cmp_u_f32_e64 s2, v4, v4
	s_wait_dscnt 0x1
	v_and_b32_e32 v25, 1, v23
	s_wait_dscnt 0x0
	v_cmp_ne_u16_e64 s5, v24, v21
	v_cmp_o_f32_e64 s3, v3, v3
	v_cmp_lt_f32_e64 s4, v3, v4
	s_wait_alu 0xf1ff
	s_delay_alu instid0(VALU_DEP_3)
	v_cndmask_b32_e64 v26, 0, 1, s5
	v_cmp_eq_u32_e64 s5, 1, v25
	s_and_b32 s2, s2, s3
	s_wait_alu 0xfffe
	s_or_b32 s2, s2, s4
	s_mov_b32 s4, exec_lo
	s_wait_alu 0xfffe
	s_and_b32 s2, s2, s5
	s_wait_alu 0xfffe
	v_cndmask_b32_e64 v25, v26, v21, s2
	v_and_b32_e32 v21, 4, v7
	s_delay_alu instid0(VALU_DEP_2) | instskip(NEXT) | instid1(VALU_DEP_2)
	v_and_b32_e32 v25, 1, v25
	v_cmp_ne_u32_e64 s2, 0, v21
	s_delay_alu instid0(VALU_DEP_2)
	v_cmpx_eq_u32_e32 1, v25
	s_cbranch_execz .LBB48_16
; %bb.15:
	ds_load_2addr_b64 v[25:28], v22 offset1:4
	ds_store_2addr_b32 v20, v4, v3 offset1:4
	s_wait_dscnt 0x1
	ds_store_2addr_b64 v22, v[27:28], v[25:26] offset1:4
	ds_store_b8 v19, v24
	ds_store_b8 v19, v23 offset:4
.LBB48_16:
	s_or_b32 exec_lo, exec_lo, s4
	s_wait_loadcnt_dscnt 0x0
	s_barrier_signal -1
	s_barrier_wait -1
	global_inv scope:SCOPE_SE
	ds_load_2addr_b32 v[3:4], v14 offset1:2
	ds_load_u8 v24, v13
	ds_load_u8 v25, v13 offset:2
	v_lshrrev_b32_e32 v21, 2, v21
	v_cndmask_b32_e64 v23, 0, 1, s2
	s_wait_dscnt 0x2
	v_cmp_u_f32_e64 s2, v4, v4
	s_wait_dscnt 0x1
	v_and_b32_e32 v26, 1, v24
	s_wait_dscnt 0x0
	v_cmp_ne_u16_e64 s5, v25, v21
	v_cmp_o_f32_e64 s3, v3, v3
	v_cmp_lt_f32_e64 s4, v3, v4
	s_wait_alu 0xf1ff
	s_delay_alu instid0(VALU_DEP_3)
	v_cndmask_b32_e64 v27, 0, 1, s5
	v_cmp_eq_u32_e64 s5, 1, v26
	s_and_b32 s2, s2, s3
	s_mov_b32 s3, exec_lo
	s_wait_alu 0xfffe
	s_or_b32 s2, s2, s4
	s_wait_alu 0xfffe
	s_and_b32 s2, s2, s5
	s_wait_alu 0xfffe
	v_cndmask_b32_e64 v26, v27, v23, s2
	s_delay_alu instid0(VALU_DEP_1) | instskip(NEXT) | instid1(VALU_DEP_1)
	v_and_b32_e32 v26, 1, v26
	v_cmpx_eq_u32_e32 1, v26
	s_cbranch_execz .LBB48_18
; %bb.17:
	ds_load_2addr_b64 v[26:29], v15 offset1:2
	ds_store_2addr_b32 v14, v4, v3 offset1:2
	s_wait_dscnt 0x1
	ds_store_2addr_b64 v15, v[28:29], v[26:27] offset1:2
	ds_store_b8 v13, v25
	ds_store_b8 v13, v24 offset:2
.LBB48_18:
	s_or_b32 exec_lo, exec_lo, s3
	s_wait_loadcnt_dscnt 0x0
	s_barrier_signal -1
	s_barrier_wait -1
	global_inv scope:SCOPE_SE
	ds_load_b64 v[3:4], v10
	ds_load_u16 v25, v11
	s_wait_dscnt 0x1
	v_cmp_u_f32_e64 s2, v4, v4
	v_cmp_o_f32_e64 s3, v3, v3
	s_wait_dscnt 0x0
	v_lshrrev_b16 v24, 8, v25
	v_and_b32_e32 v26, 1, v25
	v_cmp_lt_f32_e64 s4, v3, v4
	s_and_b32 s5, s2, s3
	v_cmp_ne_u16_e64 s3, v24, v21
	v_cmp_eq_u32_e64 s2, 1, v26
	s_wait_alu 0xf1ff
	s_delay_alu instid0(VALU_DEP_2)
	v_cndmask_b32_e64 v21, 0, 1, s3
	s_wait_alu 0xfffe
	s_or_b32 s3, s5, s4
	s_wait_alu 0xfffe
	s_and_b32 s2, s3, s2
	s_wait_alu 0xfffe
	v_cndmask_b32_e64 v21, v21, v23, s2
	s_delay_alu instid0(VALU_DEP_1) | instskip(NEXT) | instid1(VALU_DEP_1)
	v_and_b32_e32 v21, 1, v21
	v_cmp_eq_u32_e64 s2, 1, v21
	v_lshl_add_u32 v21, v18, 3, v12
	s_and_saveexec_b32 s3, s2
	s_cbranch_execz .LBB48_20
; %bb.19:
	ds_load_b128 v[26:29], v21
	v_mov_b32_e32 v32, v4
	v_lshlrev_b16 v4, 8, v25
	v_mov_b32_e32 v33, v3
	s_delay_alu instid0(VALU_DEP_2)
	v_or_b32_e32 v3, v24, v4
	s_wait_dscnt 0x0
	v_dual_mov_b32 v30, v26 :: v_dual_mov_b32 v31, v27
	ds_store_b128 v21, v[28:31]
	ds_store_b64 v10, v[32:33]
	ds_store_b16 v11, v3
.LBB48_20:
	s_wait_alu 0xfffe
	s_or_b32 exec_lo, exec_lo, s3
	v_and_b32_e32 v3, 7, v7
	s_wait_loadcnt_dscnt 0x0
	s_barrier_signal -1
	s_barrier_wait -1
	global_inv scope:SCOPE_SE
	v_sub_nc_u32_e32 v25, v18, v3
	v_bfe_u32 v26, v7, 3, 1
	s_delay_alu instid0(VALU_DEP_2)
	v_lshl_add_u32 v24, v25, 2, v16
	v_add_nc_u32_e32 v23, v17, v25
	v_lshl_add_u32 v25, v25, 3, v12
	ds_load_2addr_b32 v[3:4], v24 offset1:8
	ds_load_u8 v27, v23
	ds_load_u8 v28, v23 offset:8
	s_wait_dscnt 0x2
	v_cmp_u_f32_e64 s2, v4, v4
	s_wait_dscnt 0x1
	v_and_b32_e32 v29, 1, v27
	s_wait_dscnt 0x0
	v_cmp_ne_u16_e64 s5, v28, v26
	v_cmp_o_f32_e64 s3, v3, v3
	v_cmp_lt_f32_e64 s4, v3, v4
	s_wait_alu 0xf1ff
	s_delay_alu instid0(VALU_DEP_3)
	v_cndmask_b32_e64 v30, 0, 1, s5
	v_cmp_eq_u32_e64 s5, 1, v29
	s_and_b32 s2, s2, s3
	s_wait_alu 0xfffe
	s_or_b32 s2, s2, s4
	s_mov_b32 s4, exec_lo
	s_wait_alu 0xfffe
	s_and_b32 s2, s2, s5
	s_wait_alu 0xfffe
	v_cndmask_b32_e64 v29, v30, v26, s2
	v_and_b32_e32 v26, 8, v7
	s_delay_alu instid0(VALU_DEP_2) | instskip(NEXT) | instid1(VALU_DEP_2)
	v_and_b32_e32 v29, 1, v29
	v_cmp_ne_u32_e64 s2, 0, v26
	s_delay_alu instid0(VALU_DEP_2)
	v_cmpx_eq_u32_e32 1, v29
	s_cbranch_execz .LBB48_22
; %bb.21:
	ds_load_2addr_b64 v[29:32], v25 offset1:8
	ds_store_2addr_b32 v24, v4, v3 offset1:8
	s_wait_dscnt 0x1
	ds_store_2addr_b64 v25, v[31:32], v[29:30] offset1:8
	ds_store_b8 v23, v28
	ds_store_b8 v23, v27 offset:8
.LBB48_22:
	s_or_b32 exec_lo, exec_lo, s4
	s_wait_loadcnt_dscnt 0x0
	s_barrier_signal -1
	s_barrier_wait -1
	global_inv scope:SCOPE_SE
	ds_load_2addr_b32 v[3:4], v20 offset1:4
	ds_load_u8 v28, v19
	ds_load_u8 v29, v19 offset:4
	v_lshrrev_b32_e32 v26, 3, v26
	v_cndmask_b32_e64 v27, 0, 1, s2
	s_wait_dscnt 0x2
	v_cmp_u_f32_e64 s2, v4, v4
	s_wait_dscnt 0x1
	v_and_b32_e32 v30, 1, v28
	s_wait_dscnt 0x0
	v_cmp_ne_u16_e64 s5, v29, v26
	v_cmp_o_f32_e64 s3, v3, v3
	v_cmp_lt_f32_e64 s4, v3, v4
	s_wait_alu 0xf1ff
	s_delay_alu instid0(VALU_DEP_3)
	v_cndmask_b32_e64 v31, 0, 1, s5
	v_cmp_eq_u32_e64 s5, 1, v30
	s_and_b32 s2, s2, s3
	s_mov_b32 s3, exec_lo
	s_wait_alu 0xfffe
	s_or_b32 s2, s2, s4
	s_wait_alu 0xfffe
	s_and_b32 s2, s2, s5
	s_wait_alu 0xfffe
	v_cndmask_b32_e64 v30, v31, v27, s2
	s_delay_alu instid0(VALU_DEP_1) | instskip(NEXT) | instid1(VALU_DEP_1)
	v_and_b32_e32 v30, 1, v30
	v_cmpx_eq_u32_e32 1, v30
	s_cbranch_execz .LBB48_24
; %bb.23:
	ds_load_2addr_b64 v[30:33], v22 offset1:4
	ds_store_2addr_b32 v20, v4, v3 offset1:4
	s_wait_dscnt 0x1
	ds_store_2addr_b64 v22, v[32:33], v[30:31] offset1:4
	ds_store_b8 v19, v29
	ds_store_b8 v19, v28 offset:4
.LBB48_24:
	s_or_b32 exec_lo, exec_lo, s3
	s_wait_loadcnt_dscnt 0x0
	s_barrier_signal -1
	s_barrier_wait -1
	global_inv scope:SCOPE_SE
	ds_load_2addr_b32 v[3:4], v14 offset1:2
	ds_load_u8 v28, v13
	ds_load_u8 v29, v13 offset:2
	s_wait_dscnt 0x2
	v_cmp_u_f32_e64 s2, v4, v4
	s_wait_dscnt 0x1
	v_and_b32_e32 v30, 1, v28
	s_wait_dscnt 0x0
	v_cmp_ne_u16_e64 s5, v29, v26
	v_cmp_o_f32_e64 s3, v3, v3
	v_cmp_lt_f32_e64 s4, v3, v4
	s_wait_alu 0xf1ff
	s_delay_alu instid0(VALU_DEP_3)
	v_cndmask_b32_e64 v31, 0, 1, s5
	v_cmp_eq_u32_e64 s5, 1, v30
	s_and_b32 s2, s2, s3
	s_mov_b32 s3, exec_lo
	s_wait_alu 0xfffe
	s_or_b32 s2, s2, s4
	s_wait_alu 0xfffe
	s_and_b32 s2, s2, s5
	s_wait_alu 0xfffe
	v_cndmask_b32_e64 v30, v31, v27, s2
	s_delay_alu instid0(VALU_DEP_1) | instskip(NEXT) | instid1(VALU_DEP_1)
	v_and_b32_e32 v30, 1, v30
	v_cmpx_eq_u32_e32 1, v30
	s_cbranch_execz .LBB48_26
; %bb.25:
	ds_load_2addr_b64 v[30:33], v15 offset1:2
	ds_store_2addr_b32 v14, v4, v3 offset1:2
	s_wait_dscnt 0x1
	ds_store_2addr_b64 v15, v[32:33], v[30:31] offset1:2
	ds_store_b8 v13, v29
	ds_store_b8 v13, v28 offset:2
.LBB48_26:
	s_or_b32 exec_lo, exec_lo, s3
	s_wait_loadcnt_dscnt 0x0
	s_barrier_signal -1
	s_barrier_wait -1
	global_inv scope:SCOPE_SE
	ds_load_u16 v29, v11
	ds_load_b64 v[3:4], v10
	s_wait_dscnt 0x1
	v_lshrrev_b16 v28, 8, v29
	v_and_b32_e32 v30, 1, v29
	s_wait_dscnt 0x0
	v_cmp_u_f32_e64 s2, v4, v4
	v_cmp_o_f32_e64 s3, v3, v3
	v_cmp_lt_f32_e64 s4, v3, v4
	v_cmp_ne_u16_e64 s6, v28, v26
	v_cmp_eq_u32_e64 s5, 1, v30
	s_and_b32 s2, s2, s3
	s_mov_b32 s3, exec_lo
	v_cndmask_b32_e64 v26, 0, 1, s6
	s_wait_alu 0xfffe
	s_or_b32 s2, s2, s4
	s_wait_alu 0xfffe
	s_and_b32 s2, s2, s5
	s_wait_alu 0xfffe
	v_cndmask_b32_e64 v26, v26, v27, s2
	s_delay_alu instid0(VALU_DEP_1) | instskip(NEXT) | instid1(VALU_DEP_1)
	v_and_b32_e32 v26, 1, v26
	v_cmpx_eq_u32_e32 1, v26
	s_cbranch_execz .LBB48_28
; %bb.27:
	ds_load_b128 v[30:33], v21
	v_mov_b32_e32 v26, v4
	v_lshlrev_b16 v4, 8, v29
	v_mov_b32_e32 v27, v3
	s_delay_alu instid0(VALU_DEP_2)
	v_or_b32_e32 v3, v28, v4
	s_wait_dscnt 0x0
	v_dual_mov_b32 v34, v30 :: v_dual_mov_b32 v35, v31
	ds_store_b128 v21, v[32:35]
	ds_store_b64 v10, v[26:27]
	ds_store_b16 v11, v3
.LBB48_28:
	s_or_b32 exec_lo, exec_lo, s3
	v_and_b32_e32 v3, 15, v7
	s_wait_loadcnt_dscnt 0x0
	s_barrier_signal -1
	s_barrier_wait -1
	global_inv scope:SCOPE_SE
	v_sub_nc_u32_e32 v26, v18, v3
	s_delay_alu instid0(VALU_DEP_1)
	v_lshl_add_u32 v18, v26, 2, v16
	v_add_nc_u32_e32 v16, v17, v26
	ds_load_2addr_b32 v[3:4], v18 offset1:16
	ds_load_u8 v17, v16
	ds_load_u8 v27, v16 offset:16
	s_wait_dscnt 0x2
	v_cmp_u_f32_e64 s2, v4, v4
	s_wait_dscnt 0x1
	v_and_b32_e32 v28, 1, v17
	v_cmp_o_f32_e64 s3, v3, v3
	v_cmp_lt_f32_e64 s4, v3, v4
	s_wait_dscnt 0x0
	v_and_b32_e32 v27, 0xff, v27
	v_cmp_eq_u32_e64 s5, 1, v28
	s_and_b32 s2, s2, s3
	s_wait_alu 0xfffe
	s_or_b32 s3, s2, s4
	v_cmp_ne_u16_e64 s2, 0, v27
	s_wait_alu 0xfffe
	s_and_b32 s3, s3, s5
	s_wait_alu 0xfffe
	s_xor_b32 s3, s3, -1
	s_wait_alu 0xfffe
	s_and_b32 s3, s3, s2
	s_wait_alu 0xfffe
	s_and_saveexec_b32 s2, s3
	s_cbranch_execz .LBB48_30
; %bb.29:
	v_lshl_add_u32 v12, v26, 3, v12
	v_mov_b32_e32 v30, 1
	ds_load_2addr_b64 v[26:29], v12 offset1:16
	ds_store_2addr_b32 v18, v4, v3 offset1:16
	s_wait_dscnt 0x1
	ds_store_2addr_b64 v12, v[28:29], v[26:27] offset1:16
	ds_store_b8 v16, v30
	ds_store_b8 v16, v17 offset:16
.LBB48_30:
	s_wait_alu 0xfffe
	s_or_b32 exec_lo, exec_lo, s2
	s_wait_loadcnt_dscnt 0x0
	s_barrier_signal -1
	s_barrier_wait -1
	global_inv scope:SCOPE_SE
	ds_load_2addr_b32 v[3:4], v24 offset1:8
	ds_load_u8 v12, v23
	ds_load_u8 v16, v23 offset:8
	s_wait_dscnt 0x2
	v_cmp_u_f32_e64 s2, v4, v4
	s_wait_dscnt 0x1
	v_and_b32_e32 v17, 1, v12
	v_cmp_o_f32_e64 s3, v3, v3
	v_cmp_lt_f32_e64 s4, v3, v4
	s_wait_dscnt 0x0
	v_and_b32_e32 v16, 0xff, v16
	v_cmp_eq_u32_e64 s5, 1, v17
	s_and_b32 s2, s2, s3
	s_wait_alu 0xfffe
	s_or_b32 s3, s2, s4
	v_cmp_ne_u16_e64 s2, 0, v16
	s_wait_alu 0xfffe
	s_and_b32 s3, s3, s5
	s_wait_alu 0xfffe
	s_xor_b32 s3, s3, -1
	s_wait_alu 0xfffe
	s_and_b32 s3, s3, s2
	s_wait_alu 0xfffe
	s_and_saveexec_b32 s2, s3
	s_cbranch_execz .LBB48_32
; %bb.31:
	ds_load_2addr_b64 v[26:29], v25 offset1:8
	v_mov_b32_e32 v16, 1
	ds_store_2addr_b32 v24, v4, v3 offset1:8
	s_wait_dscnt 0x1
	ds_store_2addr_b64 v25, v[28:29], v[26:27] offset1:8
	ds_store_b8 v23, v16
	ds_store_b8 v23, v12 offset:8
.LBB48_32:
	s_wait_alu 0xfffe
	s_or_b32 exec_lo, exec_lo, s2
	s_wait_loadcnt_dscnt 0x0
	s_barrier_signal -1
	s_barrier_wait -1
	global_inv scope:SCOPE_SE
	ds_load_2addr_b32 v[3:4], v20 offset1:4
	ds_load_u8 v12, v19
	ds_load_u8 v16, v19 offset:4
	s_wait_dscnt 0x2
	v_cmp_u_f32_e64 s2, v4, v4
	s_wait_dscnt 0x1
	v_and_b32_e32 v17, 1, v12
	v_cmp_o_f32_e64 s3, v3, v3
	v_cmp_lt_f32_e64 s4, v3, v4
	s_wait_dscnt 0x0
	v_and_b32_e32 v16, 0xff, v16
	v_cmp_eq_u32_e64 s5, 1, v17
	s_and_b32 s2, s2, s3
	s_wait_alu 0xfffe
	s_or_b32 s3, s2, s4
	v_cmp_ne_u16_e64 s2, 0, v16
	s_wait_alu 0xfffe
	s_and_b32 s3, s3, s5
	s_wait_alu 0xfffe
	s_xor_b32 s3, s3, -1
	s_wait_alu 0xfffe
	s_and_b32 s3, s3, s2
	s_wait_alu 0xfffe
	s_and_saveexec_b32 s2, s3
	s_cbranch_execz .LBB48_34
; %bb.33:
	ds_load_2addr_b64 v[23:26], v22 offset1:4
	v_mov_b32_e32 v16, 1
	ds_store_2addr_b32 v20, v4, v3 offset1:4
	s_wait_dscnt 0x1
	ds_store_2addr_b64 v22, v[25:26], v[23:24] offset1:4
	ds_store_b8 v19, v16
	ds_store_b8 v19, v12 offset:4
.LBB48_34:
	;; [unrolled: 40-line block ×3, first 2 shown]
	s_wait_alu 0xfffe
	s_or_b32 exec_lo, exec_lo, s2
	s_wait_loadcnt_dscnt 0x0
	s_barrier_signal -1
	s_barrier_wait -1
	global_inv scope:SCOPE_SE
	ds_load_b64 v[3:4], v10
	ds_load_u16 v12, v11
	s_wait_dscnt 0x1
	v_cmp_u_f32_e64 s2, v4, v4
	s_wait_dscnt 0x0
	v_and_b32_e32 v13, 1, v12
	v_cmp_o_f32_e64 s3, v3, v3
	v_cmp_lt_f32_e64 s4, v3, v4
	v_lshrrev_b16 v14, 8, v12
	s_delay_alu instid0(VALU_DEP_4)
	v_cmp_eq_u32_e64 s5, 1, v13
	s_and_b32 s2, s2, s3
	s_wait_alu 0xfffe
	s_or_b32 s3, s2, s4
	v_cmp_ne_u16_e64 s2, 0, v14
	s_wait_alu 0xfffe
	s_and_b32 s3, s3, s5
	s_wait_alu 0xfffe
	s_xor_b32 s3, s3, -1
	s_wait_alu 0xfffe
	s_and_b32 s3, s3, s2
	s_wait_alu 0xfffe
	s_and_saveexec_b32 s2, s3
	s_cbranch_execz .LBB48_38
; %bb.37:
	ds_load_b128 v[13:16], v21
	v_mov_b32_e32 v19, v4
	v_lshlrev_b16 v4, 8, v12
	v_mov_b32_e32 v20, v3
	s_delay_alu instid0(VALU_DEP_2)
	v_or_b32_e32 v3, 1, v4
	s_wait_dscnt 0x0
	v_dual_mov_b32 v17, v13 :: v_dual_mov_b32 v18, v14
	ds_store_b128 v21, v[15:18]
	ds_store_b64 v10, v[19:20]
	ds_store_b16 v11, v3
.LBB48_38:
	s_wait_alu 0xfffe
	s_or_b32 exec_lo, exec_lo, s2
	s_wait_loadcnt_dscnt 0x0
	s_barrier_signal -1
	s_barrier_wait -1
	global_inv scope:SCOPE_SE
	s_and_saveexec_b32 s2, s0
	s_cbranch_execz .LBB48_43
; %bb.39:
	s_and_saveexec_b32 s0, vcc_lo
	s_cbranch_execz .LBB48_41
; %bb.40:
	v_mad_co_u64_u32 v[3:4], null, v7, s10, v[2:3]
	v_mov_b32_e32 v4, 0
	v_mad_co_u64_u32 v[10:11], null, v7, s7, v[0:1]
	ds_load_b32 v12, v8
	ds_load_b64 v[7:8], v9
	v_mov_b32_e32 v11, v4
	v_lshlrev_b64_e32 v[3:4], 2, v[3:4]
	s_delay_alu instid0(VALU_DEP_2) | instskip(NEXT) | instid1(VALU_DEP_2)
	v_lshlrev_b64_e32 v[9:10], 3, v[10:11]
	v_add_co_u32 v3, vcc_lo, s12, v3
	s_wait_alu 0xfffd
	s_delay_alu instid0(VALU_DEP_3) | instskip(NEXT) | instid1(VALU_DEP_3)
	v_add_co_ci_u32_e64 v4, null, s13, v4, vcc_lo
	v_add_co_u32 v9, vcc_lo, s14, v9
	s_wait_alu 0xfffd
	v_add_co_ci_u32_e64 v10, null, s15, v10, vcc_lo
	s_wait_dscnt 0x1
	global_store_b32 v[3:4], v12, off
	s_wait_dscnt 0x0
	global_store_b64 v[9:10], v[7:8], off
.LBB48_41:
	s_wait_alu 0xfffe
	s_or_b32 exec_lo, exec_lo, s0
	s_delay_alu instid0(SALU_CYCLE_1)
	s_and_b32 exec_lo, exec_lo, s1
	s_cbranch_execz .LBB48_43
; %bb.42:
	v_mad_co_u64_u32 v[2:3], null, v1, s10, v[2:3]
	v_mov_b32_e32 v3, 0
	v_mad_co_u64_u32 v[0:1], null, v1, s7, v[0:1]
	ds_load_b32 v7, v5
	ds_load_b64 v[4:5], v6
	v_mov_b32_e32 v1, v3
	v_lshlrev_b64_e32 v[2:3], 2, v[2:3]
	s_delay_alu instid0(VALU_DEP_2) | instskip(NEXT) | instid1(VALU_DEP_2)
	v_lshlrev_b64_e32 v[0:1], 3, v[0:1]
	v_add_co_u32 v2, vcc_lo, s12, v2
	s_wait_alu 0xfffd
	s_delay_alu instid0(VALU_DEP_3) | instskip(NEXT) | instid1(VALU_DEP_3)
	v_add_co_ci_u32_e64 v3, null, s13, v3, vcc_lo
	v_add_co_u32 v0, vcc_lo, s14, v0
	s_wait_alu 0xfffd
	v_add_co_ci_u32_e64 v1, null, s15, v1, vcc_lo
	s_wait_dscnt 0x1
	global_store_b32 v[2:3], v7, off
	s_wait_dscnt 0x0
	global_store_b64 v[0:1], v[4:5], off
.LBB48_43:
	s_endpgm
	.section	.rodata,"a",@progbits
	.p2align	6, 0x0
	.amdhsa_kernel _ZN2at6native20bitonicSortKVInPlaceILin2ELin1ELi16ELi16EflNS0_4LTOpIfLb1EEEjEEvNS_4cuda6detail10TensorInfoIT3_T6_EES8_S8_S8_NS6_IT4_S8_EES8_T5_
		.amdhsa_group_segment_fixed_size 6656
		.amdhsa_private_segment_fixed_size 0
		.amdhsa_kernarg_size 712
		.amdhsa_user_sgpr_count 2
		.amdhsa_user_sgpr_dispatch_ptr 0
		.amdhsa_user_sgpr_queue_ptr 0
		.amdhsa_user_sgpr_kernarg_segment_ptr 1
		.amdhsa_user_sgpr_dispatch_id 0
		.amdhsa_user_sgpr_private_segment_size 0
		.amdhsa_wavefront_size32 1
		.amdhsa_uses_dynamic_stack 0
		.amdhsa_enable_private_segment 0
		.amdhsa_system_sgpr_workgroup_id_x 1
		.amdhsa_system_sgpr_workgroup_id_y 1
		.amdhsa_system_sgpr_workgroup_id_z 1
		.amdhsa_system_sgpr_workgroup_info 0
		.amdhsa_system_vgpr_workitem_id 1
		.amdhsa_next_free_vgpr 36
		.amdhsa_next_free_sgpr 16
		.amdhsa_reserve_vcc 1
		.amdhsa_float_round_mode_32 0
		.amdhsa_float_round_mode_16_64 0
		.amdhsa_float_denorm_mode_32 3
		.amdhsa_float_denorm_mode_16_64 3
		.amdhsa_fp16_overflow 0
		.amdhsa_workgroup_processor_mode 1
		.amdhsa_memory_ordered 1
		.amdhsa_forward_progress 1
		.amdhsa_inst_pref_size 39
		.amdhsa_round_robin_scheduling 0
		.amdhsa_exception_fp_ieee_invalid_op 0
		.amdhsa_exception_fp_denorm_src 0
		.amdhsa_exception_fp_ieee_div_zero 0
		.amdhsa_exception_fp_ieee_overflow 0
		.amdhsa_exception_fp_ieee_underflow 0
		.amdhsa_exception_fp_ieee_inexact 0
		.amdhsa_exception_int_div_zero 0
	.end_amdhsa_kernel
	.section	.text._ZN2at6native20bitonicSortKVInPlaceILin2ELin1ELi16ELi16EflNS0_4LTOpIfLb1EEEjEEvNS_4cuda6detail10TensorInfoIT3_T6_EES8_S8_S8_NS6_IT4_S8_EES8_T5_,"axG",@progbits,_ZN2at6native20bitonicSortKVInPlaceILin2ELin1ELi16ELi16EflNS0_4LTOpIfLb1EEEjEEvNS_4cuda6detail10TensorInfoIT3_T6_EES8_S8_S8_NS6_IT4_S8_EES8_T5_,comdat
.Lfunc_end48:
	.size	_ZN2at6native20bitonicSortKVInPlaceILin2ELin1ELi16ELi16EflNS0_4LTOpIfLb1EEEjEEvNS_4cuda6detail10TensorInfoIT3_T6_EES8_S8_S8_NS6_IT4_S8_EES8_T5_, .Lfunc_end48-_ZN2at6native20bitonicSortKVInPlaceILin2ELin1ELi16ELi16EflNS0_4LTOpIfLb1EEEjEEvNS_4cuda6detail10TensorInfoIT3_T6_EES8_S8_S8_NS6_IT4_S8_EES8_T5_
                                        ; -- End function
	.set _ZN2at6native20bitonicSortKVInPlaceILin2ELin1ELi16ELi16EflNS0_4LTOpIfLb1EEEjEEvNS_4cuda6detail10TensorInfoIT3_T6_EES8_S8_S8_NS6_IT4_S8_EES8_T5_.num_vgpr, 36
	.set _ZN2at6native20bitonicSortKVInPlaceILin2ELin1ELi16ELi16EflNS0_4LTOpIfLb1EEEjEEvNS_4cuda6detail10TensorInfoIT3_T6_EES8_S8_S8_NS6_IT4_S8_EES8_T5_.num_agpr, 0
	.set _ZN2at6native20bitonicSortKVInPlaceILin2ELin1ELi16ELi16EflNS0_4LTOpIfLb1EEEjEEvNS_4cuda6detail10TensorInfoIT3_T6_EES8_S8_S8_NS6_IT4_S8_EES8_T5_.numbered_sgpr, 16
	.set _ZN2at6native20bitonicSortKVInPlaceILin2ELin1ELi16ELi16EflNS0_4LTOpIfLb1EEEjEEvNS_4cuda6detail10TensorInfoIT3_T6_EES8_S8_S8_NS6_IT4_S8_EES8_T5_.num_named_barrier, 0
	.set _ZN2at6native20bitonicSortKVInPlaceILin2ELin1ELi16ELi16EflNS0_4LTOpIfLb1EEEjEEvNS_4cuda6detail10TensorInfoIT3_T6_EES8_S8_S8_NS6_IT4_S8_EES8_T5_.private_seg_size, 0
	.set _ZN2at6native20bitonicSortKVInPlaceILin2ELin1ELi16ELi16EflNS0_4LTOpIfLb1EEEjEEvNS_4cuda6detail10TensorInfoIT3_T6_EES8_S8_S8_NS6_IT4_S8_EES8_T5_.uses_vcc, 1
	.set _ZN2at6native20bitonicSortKVInPlaceILin2ELin1ELi16ELi16EflNS0_4LTOpIfLb1EEEjEEvNS_4cuda6detail10TensorInfoIT3_T6_EES8_S8_S8_NS6_IT4_S8_EES8_T5_.uses_flat_scratch, 0
	.set _ZN2at6native20bitonicSortKVInPlaceILin2ELin1ELi16ELi16EflNS0_4LTOpIfLb1EEEjEEvNS_4cuda6detail10TensorInfoIT3_T6_EES8_S8_S8_NS6_IT4_S8_EES8_T5_.has_dyn_sized_stack, 0
	.set _ZN2at6native20bitonicSortKVInPlaceILin2ELin1ELi16ELi16EflNS0_4LTOpIfLb1EEEjEEvNS_4cuda6detail10TensorInfoIT3_T6_EES8_S8_S8_NS6_IT4_S8_EES8_T5_.has_recursion, 0
	.set _ZN2at6native20bitonicSortKVInPlaceILin2ELin1ELi16ELi16EflNS0_4LTOpIfLb1EEEjEEvNS_4cuda6detail10TensorInfoIT3_T6_EES8_S8_S8_NS6_IT4_S8_EES8_T5_.has_indirect_call, 0
	.section	.AMDGPU.csdata,"",@progbits
; Kernel info:
; codeLenInByte = 4932
; TotalNumSgprs: 18
; NumVgprs: 36
; ScratchSize: 0
; MemoryBound: 0
; FloatMode: 240
; IeeeMode: 1
; LDSByteSize: 6656 bytes/workgroup (compile time only)
; SGPRBlocks: 0
; VGPRBlocks: 4
; NumSGPRsForWavesPerEU: 18
; NumVGPRsForWavesPerEU: 36
; Occupancy: 16
; WaveLimiterHint : 1
; COMPUTE_PGM_RSRC2:SCRATCH_EN: 0
; COMPUTE_PGM_RSRC2:USER_SGPR: 2
; COMPUTE_PGM_RSRC2:TRAP_HANDLER: 0
; COMPUTE_PGM_RSRC2:TGID_X_EN: 1
; COMPUTE_PGM_RSRC2:TGID_Y_EN: 1
; COMPUTE_PGM_RSRC2:TGID_Z_EN: 1
; COMPUTE_PGM_RSRC2:TIDIG_COMP_CNT: 1
	.section	.text._ZN2at6native20bitonicSortKVInPlaceILin2ELin1ELi16ELi16EflNS0_4GTOpIfLb1EEEjEEvNS_4cuda6detail10TensorInfoIT3_T6_EES8_S8_S8_NS6_IT4_S8_EES8_T5_,"axG",@progbits,_ZN2at6native20bitonicSortKVInPlaceILin2ELin1ELi16ELi16EflNS0_4GTOpIfLb1EEEjEEvNS_4cuda6detail10TensorInfoIT3_T6_EES8_S8_S8_NS6_IT4_S8_EES8_T5_,comdat
	.protected	_ZN2at6native20bitonicSortKVInPlaceILin2ELin1ELi16ELi16EflNS0_4GTOpIfLb1EEEjEEvNS_4cuda6detail10TensorInfoIT3_T6_EES8_S8_S8_NS6_IT4_S8_EES8_T5_ ; -- Begin function _ZN2at6native20bitonicSortKVInPlaceILin2ELin1ELi16ELi16EflNS0_4GTOpIfLb1EEEjEEvNS_4cuda6detail10TensorInfoIT3_T6_EES8_S8_S8_NS6_IT4_S8_EES8_T5_
	.globl	_ZN2at6native20bitonicSortKVInPlaceILin2ELin1ELi16ELi16EflNS0_4GTOpIfLb1EEEjEEvNS_4cuda6detail10TensorInfoIT3_T6_EES8_S8_S8_NS6_IT4_S8_EES8_T5_
	.p2align	8
	.type	_ZN2at6native20bitonicSortKVInPlaceILin2ELin1ELi16ELi16EflNS0_4GTOpIfLb1EEEjEEvNS_4cuda6detail10TensorInfoIT3_T6_EES8_S8_S8_NS6_IT4_S8_EES8_T5_,@function
_ZN2at6native20bitonicSortKVInPlaceILin2ELin1ELi16ELi16EflNS0_4GTOpIfLb1EEEjEEvNS_4cuda6detail10TensorInfoIT3_T6_EES8_S8_S8_NS6_IT4_S8_EES8_T5_: ; @_ZN2at6native20bitonicSortKVInPlaceILin2ELin1ELi16ELi16EflNS0_4GTOpIfLb1EEEjEEvNS_4cuda6detail10TensorInfoIT3_T6_EES8_S8_S8_NS6_IT4_S8_EES8_T5_
; %bb.0:
	s_clause 0x2
	s_load_b64 s[2:3], s[0:1], 0x1c8
	s_load_u16 s4, s[0:1], 0x1d6
	s_load_b96 s[8:10], s[0:1], 0xd8
	s_lshr_b32 s5, ttmp7, 16
	s_wait_kmcnt 0x0
	s_mul_i32 s3, s3, s5
	s_and_b32 s5, ttmp7, 0xffff
	s_delay_alu instid0(SALU_CYCLE_1) | instskip(NEXT) | instid1(SALU_CYCLE_1)
	s_add_co_i32 s3, s3, s5
	s_mul_i32 s2, s3, s2
	s_delay_alu instid0(SALU_CYCLE_1) | instskip(NEXT) | instid1(SALU_CYCLE_1)
	s_add_co_i32 s2, s2, ttmp9
	s_mul_i32 s2, s2, s4
	s_delay_alu instid0(SALU_CYCLE_1)
	s_cmp_ge_u32 s2, s8
	s_cbranch_scc1 .LBB49_43
; %bb.1:
	s_clause 0x1
	s_load_b32 s4, s[0:1], 0x1b8
	s_load_b64 s[12:13], s[0:1], 0x0
	v_bfe_u32 v8, v0, 10, 10
	s_delay_alu instid0(VALU_DEP_1) | instskip(SKIP_2) | instid1(VALU_DEP_2)
	v_add_nc_u32_e32 v3, s2, v8
	v_mov_b32_e32 v1, 0
	s_add_nc_u64 s[2:3], s[0:1], 0xe8
	v_mov_b32_e32 v4, v3
	s_wait_kmcnt 0x0
	s_cmp_lt_i32 s4, 2
	s_cbranch_scc1 .LBB49_4
; %bb.2:
	s_add_co_i32 s6, s4, -1
	s_mov_b32 s7, 0
	v_dual_mov_b32 v1, 0 :: v_dual_mov_b32 v4, v3
	s_lshl_b64 s[6:7], s[6:7], 2
	s_wait_alu 0xfffe
	s_add_nc_u64 s[14:15], s[2:3], s[6:7]
	s_add_co_i32 s6, s4, 1
	s_add_nc_u64 s[4:5], s[14:15], 8
.LBB49_3:                               ; =>This Inner Loop Header: Depth=1
	s_clause 0x1
	s_load_b32 s7, s[4:5], 0x0
	s_load_b32 s11, s[4:5], 0x64
	s_add_co_i32 s6, s6, -1
	s_add_nc_u64 s[4:5], s[4:5], -4
	s_wait_kmcnt 0x0
	s_cvt_f32_u32 s14, s7
	s_sub_co_i32 s15, 0, s7
	s_wait_alu 0xfffe
	s_delay_alu instid0(SALU_CYCLE_1) | instskip(NEXT) | instid1(TRANS32_DEP_1)
	v_rcp_iflag_f32_e32 v2, s14
	v_readfirstlane_b32 s14, v2
	v_mov_b32_e32 v2, v4
	s_mul_f32 s14, s14, 0x4f7ffffe
	s_wait_alu 0xfffe
	s_delay_alu instid0(SALU_CYCLE_2) | instskip(SKIP_1) | instid1(SALU_CYCLE_2)
	s_cvt_u32_f32 s14, s14
	s_wait_alu 0xfffe
	s_mul_i32 s15, s15, s14
	s_wait_alu 0xfffe
	s_mul_hi_u32 s15, s14, s15
	s_wait_alu 0xfffe
	s_add_co_i32 s14, s14, s15
	s_cmp_gt_u32 s6, 2
	s_wait_alu 0xfffe
	v_mul_hi_u32 v4, v2, s14
	s_delay_alu instid0(VALU_DEP_1) | instskip(SKIP_1) | instid1(VALU_DEP_2)
	v_mul_lo_u32 v5, v4, s7
	v_add_nc_u32_e32 v6, 1, v4
	v_sub_nc_u32_e32 v5, v2, v5
	s_delay_alu instid0(VALU_DEP_1) | instskip(SKIP_2) | instid1(VALU_DEP_2)
	v_subrev_nc_u32_e32 v7, s7, v5
	v_cmp_le_u32_e32 vcc_lo, s7, v5
	s_wait_alu 0xfffd
	v_dual_cndmask_b32 v4, v4, v6 :: v_dual_cndmask_b32 v5, v5, v7
	s_delay_alu instid0(VALU_DEP_1) | instskip(NEXT) | instid1(VALU_DEP_2)
	v_add_nc_u32_e32 v6, 1, v4
	v_cmp_le_u32_e32 vcc_lo, s7, v5
	s_wait_alu 0xfffd
	s_delay_alu instid0(VALU_DEP_2) | instskip(NEXT) | instid1(VALU_DEP_1)
	v_cndmask_b32_e32 v4, v4, v6, vcc_lo
	v_mul_lo_u32 v5, v4, s7
	s_delay_alu instid0(VALU_DEP_1) | instskip(NEXT) | instid1(VALU_DEP_1)
	v_sub_nc_u32_e32 v2, v2, v5
	v_mad_co_u64_u32 v[1:2], null, s11, v2, v[1:2]
	s_cbranch_scc1 .LBB49_3
.LBB49_4:
	s_load_b32 s6, s[0:1], 0x6c
	s_add_nc_u64 s[4:5], s[0:1], 0x1c8
	s_load_b32 s11, s[2:3], 0x6c
	s_load_b32 s4, s[4:5], 0xc
	s_clause 0x1
	s_load_b32 s7, s[0:1], 0x1c0
	s_load_b64 s[14:15], s[2:3], 0x0
	v_and_b32_e32 v7, 0x3ff, v0
	v_cmp_gt_u32_e64 s0, s8, v3
	v_mov_b32_e32 v5, 0
	v_dual_mov_b32 v6, 0 :: v_dual_mov_b32 v11, 0
	v_mov_b32_e32 v10, 0
	s_wait_kmcnt 0x0
	v_mul_lo_u32 v2, s6, v3
	s_delay_alu instid0(VALU_DEP_1)
	v_mad_co_u64_u32 v[0:1], null, s11, v4, v[1:2]
	v_mov_b32_e32 v3, 0
	v_mov_b32_e32 v4, 0
	v_cmp_gt_u32_e32 vcc_lo, s9, v7
	s_and_b32 s2, s0, vcc_lo
	s_wait_alu 0xfffe
	s_and_saveexec_b32 s3, s2
	s_cbranch_execz .LBB49_6
; %bb.5:
	v_mad_co_u64_u32 v[5:6], null, v7, s10, v[2:3]
	v_mov_b32_e32 v6, 0
	v_mad_co_u64_u32 v[11:12], null, v7, s7, v[0:1]
	s_delay_alu instid0(VALU_DEP_2) | instskip(NEXT) | instid1(VALU_DEP_4)
	v_mov_b32_e32 v12, v6
	v_lshlrev_b64_e32 v[5:6], 2, v[5:6]
	s_delay_alu instid0(VALU_DEP_2) | instskip(NEXT) | instid1(VALU_DEP_2)
	v_lshlrev_b64_e32 v[11:12], 3, v[11:12]
	v_add_co_u32 v5, s1, s12, v5
	s_delay_alu instid0(VALU_DEP_1) | instskip(NEXT) | instid1(VALU_DEP_3)
	v_add_co_ci_u32_e64 v6, null, s13, v6, s1
	v_add_co_u32 v13, s1, s14, v11
	s_wait_alu 0xf1ff
	s_delay_alu instid0(VALU_DEP_4)
	v_add_co_ci_u32_e64 v14, null, s15, v12, s1
	global_load_b32 v11, v[5:6], off
	global_load_b64 v[5:6], v[13:14], off
.LBB49_6:
	s_wait_alu 0xfffe
	s_or_b32 exec_lo, exec_lo, s3
	s_and_b32 s3, 0xffff, s4
	v_lshl_add_u32 v16, v8, 7, 0x1000
	s_wait_alu 0xfffe
	v_add_nc_u32_e32 v1, s3, v7
	v_lshlrev_b32_e32 v12, 8, v8
	v_lshl_add_u32 v17, v8, 5, 0x1800
	v_cndmask_b32_e64 v13, 0, 1, s2
	v_lshl_add_u32 v8, v7, 2, v16
	v_cmp_gt_u32_e64 s1, s9, v1
	v_lshl_add_u32 v9, v7, 3, v12
	v_add_nc_u32_e32 v14, v17, v7
	s_wait_loadcnt 0x1
	ds_store_b32 v8, v11
	s_wait_loadcnt 0x0
	ds_store_b64 v9, v[5:6]
	ds_store_b8 v14, v13
	s_and_b32 s4, s0, s1
	s_delay_alu instid0(SALU_CYCLE_1)
	s_and_saveexec_b32 s5, s4
	s_cbranch_execz .LBB49_8
; %bb.7:
	v_mad_co_u64_u32 v[3:4], null, v1, s10, v[2:3]
	v_mov_b32_e32 v4, 0
	v_mad_co_u64_u32 v[5:6], null, v1, s7, v[0:1]
	s_delay_alu instid0(VALU_DEP_2) | instskip(NEXT) | instid1(VALU_DEP_4)
	v_mov_b32_e32 v6, v4
	v_lshlrev_b64_e32 v[3:4], 2, v[3:4]
	s_delay_alu instid0(VALU_DEP_2) | instskip(NEXT) | instid1(VALU_DEP_2)
	v_lshlrev_b64_e32 v[5:6], 3, v[5:6]
	v_add_co_u32 v3, s2, s12, v3
	s_wait_alu 0xf1ff
	s_delay_alu instid0(VALU_DEP_3) | instskip(NEXT) | instid1(VALU_DEP_3)
	v_add_co_ci_u32_e64 v4, null, s13, v4, s2
	v_add_co_u32 v5, s2, s14, v5
	s_wait_alu 0xf1ff
	v_add_co_ci_u32_e64 v6, null, s15, v6, s2
	global_load_b32 v10, v[3:4], off
	global_load_b64 v[3:4], v[5:6], off
.LBB49_8:
	s_or_b32 exec_lo, exec_lo, s5
	v_lshl_add_u32 v5, s3, 2, v8
	v_lshlrev_b32_e32 v14, 2, v7
	v_lshl_add_u32 v6, s3, 3, v9
	v_lshlrev_b32_e32 v18, 1, v7
	v_cndmask_b32_e64 v11, 0, 1, s4
	v_add_nc_u32_e32 v13, v17, v1
	s_wait_loadcnt 0x1
	ds_store_b32 v5, v10
	s_wait_loadcnt 0x0
	ds_store_b64 v6, v[3:4]
	ds_store_b8 v13, v11
	v_add_nc_u32_e32 v10, v8, v14
	v_add_nc_u32_e32 v11, v17, v18
	s_wait_dscnt 0x0
	s_barrier_signal -1
	s_barrier_wait -1
	global_inv scope:SCOPE_SE
	ds_load_b64 v[3:4], v10
	ds_load_u16 v15, v11
	v_and_b32_e32 v13, 1, v7
	s_wait_dscnt 0x1
	v_cmp_u_f32_e64 s2, v3, v3
	v_cmp_o_f32_e64 s3, v4, v4
	s_wait_dscnt 0x0
	v_lshrrev_b16 v14, 8, v15
	v_and_b32_e32 v19, 1, v15
	v_cmp_gt_f32_e64 s4, v3, v4
	s_and_b32 s5, s2, s3
	v_cmp_ne_u16_e64 s3, v14, v13
	v_cmp_eq_u32_e64 s2, 1, v19
	s_wait_alu 0xf1ff
	s_delay_alu instid0(VALU_DEP_2)
	v_cndmask_b32_e64 v19, 0, 1, s3
	s_wait_alu 0xfffe
	s_or_b32 s3, s5, s4
	s_wait_alu 0xfffe
	s_and_b32 s2, s3, s2
	s_wait_alu 0xfffe
	v_cndmask_b32_e64 v19, v19, v7, s2
	s_delay_alu instid0(VALU_DEP_1) | instskip(NEXT) | instid1(VALU_DEP_1)
	v_and_b32_e32 v19, 1, v19
	v_cmp_eq_u32_e64 s2, 1, v19
	v_lshl_add_u32 v19, v7, 3, v9
	s_and_saveexec_b32 s3, s2
	s_wait_alu 0xfffe
	s_xor_b32 s2, exec_lo, s3
	s_cbranch_execz .LBB49_10
; %bb.9:
	ds_load_b128 v[20:23], v19
	v_mov_b32_e32 v26, v4
	v_lshlrev_b16 v4, 8, v15
	v_mov_b32_e32 v27, v3
	s_delay_alu instid0(VALU_DEP_2)
	v_or_b32_e32 v3, v14, v4
	s_wait_dscnt 0x0
	v_dual_mov_b32 v24, v20 :: v_dual_mov_b32 v25, v21
	ds_store_b128 v19, v[22:25]
	ds_store_b64 v10, v[26:27]
	ds_store_b16 v11, v3
.LBB49_10:
	s_wait_alu 0xfffe
	s_or_b32 exec_lo, exec_lo, s2
	v_sub_nc_u32_e32 v15, v18, v13
	s_wait_loadcnt_dscnt 0x0
	s_barrier_signal -1
	s_barrier_wait -1
	global_inv scope:SCOPE_SE
	v_lshl_add_u32 v14, v15, 2, v16
	v_add_nc_u32_e32 v13, v17, v15
	v_bfe_u32 v21, v7, 1, 1
	v_lshl_add_u32 v15, v15, 3, v12
	ds_load_2addr_b32 v[3:4], v14 offset1:2
	ds_load_u8 v20, v13
	ds_load_u8 v22, v13 offset:2
	s_wait_dscnt 0x2
	v_cmp_u_f32_e64 s2, v3, v3
	s_wait_dscnt 0x1
	v_and_b32_e32 v23, 1, v20
	s_wait_dscnt 0x0
	v_cmp_ne_u16_e64 s5, v22, v21
	v_cmp_o_f32_e64 s3, v4, v4
	v_cmp_gt_f32_e64 s4, v3, v4
	s_wait_alu 0xf1ff
	s_delay_alu instid0(VALU_DEP_3)
	v_cndmask_b32_e64 v24, 0, 1, s5
	v_cmp_eq_u32_e64 s5, 1, v23
	s_and_b32 s2, s2, s3
	s_wait_alu 0xfffe
	s_or_b32 s2, s2, s4
	s_wait_alu 0xfffe
	s_and_b32 s2, s2, s5
	s_wait_alu 0xfffe
	v_cndmask_b32_e64 v23, v24, v21, s2
	v_and_b32_e32 v21, 2, v7
	s_delay_alu instid0(VALU_DEP_2) | instskip(NEXT) | instid1(VALU_DEP_2)
	v_and_b32_e32 v23, 1, v23
	v_cmp_ne_u32_e64 s2, 0, v21
	s_delay_alu instid0(VALU_DEP_2)
	v_cmp_eq_u32_e64 s3, 1, v23
	s_and_saveexec_b32 s4, s3
	s_wait_alu 0xfffe
	s_xor_b32 s3, exec_lo, s4
	s_cbranch_execz .LBB49_12
; %bb.11:
	ds_load_2addr_b64 v[23:26], v15 offset1:2
	ds_store_2addr_b32 v14, v4, v3 offset1:2
	s_wait_dscnt 0x1
	ds_store_2addr_b64 v15, v[25:26], v[23:24] offset1:2
	ds_store_b8 v13, v22
	ds_store_b8 v13, v20 offset:2
.LBB49_12:
	s_wait_alu 0xfffe
	s_or_b32 exec_lo, exec_lo, s3
	s_wait_loadcnt_dscnt 0x0
	s_barrier_signal -1
	s_barrier_wait -1
	global_inv scope:SCOPE_SE
	ds_load_u16 v20, v11
	ds_load_b64 v[3:4], v10
	v_lshrrev_b32_e32 v22, 1, v21
	v_cndmask_b32_e64 v23, 0, 1, s2
	s_wait_dscnt 0x1
	v_lshrrev_b16 v21, 8, v20
	v_and_b32_e32 v24, 1, v20
	s_wait_dscnt 0x0
	v_cmp_u_f32_e64 s2, v3, v3
	v_cmp_o_f32_e64 s3, v4, v4
	v_cmp_gt_f32_e64 s4, v3, v4
	v_cmp_ne_u16_e64 s6, v21, v22
	v_cmp_eq_u32_e64 s5, 1, v24
	s_and_b32 s2, s2, s3
	s_mov_b32 s3, exec_lo
	v_cndmask_b32_e64 v22, 0, 1, s6
	s_wait_alu 0xfffe
	s_or_b32 s2, s2, s4
	s_wait_alu 0xfffe
	s_and_b32 s2, s2, s5
	s_wait_alu 0xfffe
	v_cndmask_b32_e64 v22, v22, v23, s2
	s_delay_alu instid0(VALU_DEP_1) | instskip(NEXT) | instid1(VALU_DEP_1)
	v_and_b32_e32 v22, 1, v22
	v_cmpx_eq_u32_e32 1, v22
	s_cbranch_execz .LBB49_14
; %bb.13:
	ds_load_b128 v[22:25], v19
	v_mov_b32_e32 v28, v4
	v_lshlrev_b16 v4, 8, v20
	v_mov_b32_e32 v29, v3
	s_delay_alu instid0(VALU_DEP_2)
	v_or_b32_e32 v3, v21, v4
	s_wait_dscnt 0x0
	v_dual_mov_b32 v26, v22 :: v_dual_mov_b32 v27, v23
	ds_store_b128 v19, v[24:27]
	ds_store_b64 v10, v[28:29]
	ds_store_b16 v11, v3
.LBB49_14:
	s_or_b32 exec_lo, exec_lo, s3
	v_and_b32_e32 v3, 3, v7
	s_wait_loadcnt_dscnt 0x0
	s_barrier_signal -1
	s_barrier_wait -1
	global_inv scope:SCOPE_SE
	v_sub_nc_u32_e32 v22, v18, v3
	v_bfe_u32 v21, v7, 2, 1
	s_delay_alu instid0(VALU_DEP_2)
	v_lshl_add_u32 v20, v22, 2, v16
	v_add_nc_u32_e32 v19, v17, v22
	v_lshl_add_u32 v22, v22, 3, v12
	ds_load_2addr_b32 v[3:4], v20 offset1:4
	ds_load_u8 v23, v19
	ds_load_u8 v24, v19 offset:4
	s_wait_dscnt 0x2
	v_cmp_u_f32_e64 s2, v3, v3
	s_wait_dscnt 0x1
	v_and_b32_e32 v25, 1, v23
	s_wait_dscnt 0x0
	v_cmp_ne_u16_e64 s5, v24, v21
	v_cmp_o_f32_e64 s3, v4, v4
	v_cmp_gt_f32_e64 s4, v3, v4
	s_wait_alu 0xf1ff
	s_delay_alu instid0(VALU_DEP_3)
	v_cndmask_b32_e64 v26, 0, 1, s5
	v_cmp_eq_u32_e64 s5, 1, v25
	s_and_b32 s2, s2, s3
	s_wait_alu 0xfffe
	s_or_b32 s2, s2, s4
	s_mov_b32 s4, exec_lo
	s_wait_alu 0xfffe
	s_and_b32 s2, s2, s5
	s_wait_alu 0xfffe
	v_cndmask_b32_e64 v25, v26, v21, s2
	v_and_b32_e32 v21, 4, v7
	s_delay_alu instid0(VALU_DEP_2) | instskip(NEXT) | instid1(VALU_DEP_2)
	v_and_b32_e32 v25, 1, v25
	v_cmp_ne_u32_e64 s2, 0, v21
	s_delay_alu instid0(VALU_DEP_2)
	v_cmpx_eq_u32_e32 1, v25
	s_cbranch_execz .LBB49_16
; %bb.15:
	ds_load_2addr_b64 v[25:28], v22 offset1:4
	ds_store_2addr_b32 v20, v4, v3 offset1:4
	s_wait_dscnt 0x1
	ds_store_2addr_b64 v22, v[27:28], v[25:26] offset1:4
	ds_store_b8 v19, v24
	ds_store_b8 v19, v23 offset:4
.LBB49_16:
	s_or_b32 exec_lo, exec_lo, s4
	s_wait_loadcnt_dscnt 0x0
	s_barrier_signal -1
	s_barrier_wait -1
	global_inv scope:SCOPE_SE
	ds_load_2addr_b32 v[3:4], v14 offset1:2
	ds_load_u8 v24, v13
	ds_load_u8 v25, v13 offset:2
	v_lshrrev_b32_e32 v21, 2, v21
	v_cndmask_b32_e64 v23, 0, 1, s2
	s_wait_dscnt 0x2
	v_cmp_u_f32_e64 s2, v3, v3
	s_wait_dscnt 0x1
	v_and_b32_e32 v26, 1, v24
	s_wait_dscnt 0x0
	v_cmp_ne_u16_e64 s5, v25, v21
	v_cmp_o_f32_e64 s3, v4, v4
	v_cmp_gt_f32_e64 s4, v3, v4
	s_wait_alu 0xf1ff
	s_delay_alu instid0(VALU_DEP_3)
	v_cndmask_b32_e64 v27, 0, 1, s5
	v_cmp_eq_u32_e64 s5, 1, v26
	s_and_b32 s2, s2, s3
	s_mov_b32 s3, exec_lo
	s_wait_alu 0xfffe
	s_or_b32 s2, s2, s4
	s_wait_alu 0xfffe
	s_and_b32 s2, s2, s5
	s_wait_alu 0xfffe
	v_cndmask_b32_e64 v26, v27, v23, s2
	s_delay_alu instid0(VALU_DEP_1) | instskip(NEXT) | instid1(VALU_DEP_1)
	v_and_b32_e32 v26, 1, v26
	v_cmpx_eq_u32_e32 1, v26
	s_cbranch_execz .LBB49_18
; %bb.17:
	ds_load_2addr_b64 v[26:29], v15 offset1:2
	ds_store_2addr_b32 v14, v4, v3 offset1:2
	s_wait_dscnt 0x1
	ds_store_2addr_b64 v15, v[28:29], v[26:27] offset1:2
	ds_store_b8 v13, v25
	ds_store_b8 v13, v24 offset:2
.LBB49_18:
	s_or_b32 exec_lo, exec_lo, s3
	s_wait_loadcnt_dscnt 0x0
	s_barrier_signal -1
	s_barrier_wait -1
	global_inv scope:SCOPE_SE
	ds_load_b64 v[3:4], v10
	ds_load_u16 v25, v11
	s_wait_dscnt 0x1
	v_cmp_u_f32_e64 s2, v3, v3
	v_cmp_o_f32_e64 s3, v4, v4
	s_wait_dscnt 0x0
	v_lshrrev_b16 v24, 8, v25
	v_and_b32_e32 v26, 1, v25
	v_cmp_gt_f32_e64 s4, v3, v4
	s_and_b32 s5, s2, s3
	v_cmp_ne_u16_e64 s3, v24, v21
	v_cmp_eq_u32_e64 s2, 1, v26
	s_wait_alu 0xf1ff
	s_delay_alu instid0(VALU_DEP_2)
	v_cndmask_b32_e64 v21, 0, 1, s3
	s_wait_alu 0xfffe
	s_or_b32 s3, s5, s4
	s_wait_alu 0xfffe
	s_and_b32 s2, s3, s2
	s_wait_alu 0xfffe
	v_cndmask_b32_e64 v21, v21, v23, s2
	s_delay_alu instid0(VALU_DEP_1) | instskip(NEXT) | instid1(VALU_DEP_1)
	v_and_b32_e32 v21, 1, v21
	v_cmp_eq_u32_e64 s2, 1, v21
	v_lshl_add_u32 v21, v18, 3, v12
	s_and_saveexec_b32 s3, s2
	s_cbranch_execz .LBB49_20
; %bb.19:
	ds_load_b128 v[26:29], v21
	v_mov_b32_e32 v32, v4
	v_lshlrev_b16 v4, 8, v25
	v_mov_b32_e32 v33, v3
	s_delay_alu instid0(VALU_DEP_2)
	v_or_b32_e32 v3, v24, v4
	s_wait_dscnt 0x0
	v_dual_mov_b32 v30, v26 :: v_dual_mov_b32 v31, v27
	ds_store_b128 v21, v[28:31]
	ds_store_b64 v10, v[32:33]
	ds_store_b16 v11, v3
.LBB49_20:
	s_wait_alu 0xfffe
	s_or_b32 exec_lo, exec_lo, s3
	v_and_b32_e32 v3, 7, v7
	s_wait_loadcnt_dscnt 0x0
	s_barrier_signal -1
	s_barrier_wait -1
	global_inv scope:SCOPE_SE
	v_sub_nc_u32_e32 v25, v18, v3
	v_bfe_u32 v26, v7, 3, 1
	s_delay_alu instid0(VALU_DEP_2)
	v_lshl_add_u32 v24, v25, 2, v16
	v_add_nc_u32_e32 v23, v17, v25
	v_lshl_add_u32 v25, v25, 3, v12
	ds_load_2addr_b32 v[3:4], v24 offset1:8
	ds_load_u8 v27, v23
	ds_load_u8 v28, v23 offset:8
	s_wait_dscnt 0x2
	v_cmp_u_f32_e64 s2, v3, v3
	s_wait_dscnt 0x1
	v_and_b32_e32 v29, 1, v27
	s_wait_dscnt 0x0
	v_cmp_ne_u16_e64 s5, v28, v26
	v_cmp_o_f32_e64 s3, v4, v4
	v_cmp_gt_f32_e64 s4, v3, v4
	s_wait_alu 0xf1ff
	s_delay_alu instid0(VALU_DEP_3)
	v_cndmask_b32_e64 v30, 0, 1, s5
	v_cmp_eq_u32_e64 s5, 1, v29
	s_and_b32 s2, s2, s3
	s_wait_alu 0xfffe
	s_or_b32 s2, s2, s4
	s_mov_b32 s4, exec_lo
	s_wait_alu 0xfffe
	s_and_b32 s2, s2, s5
	s_wait_alu 0xfffe
	v_cndmask_b32_e64 v29, v30, v26, s2
	v_and_b32_e32 v26, 8, v7
	s_delay_alu instid0(VALU_DEP_2) | instskip(NEXT) | instid1(VALU_DEP_2)
	v_and_b32_e32 v29, 1, v29
	v_cmp_ne_u32_e64 s2, 0, v26
	s_delay_alu instid0(VALU_DEP_2)
	v_cmpx_eq_u32_e32 1, v29
	s_cbranch_execz .LBB49_22
; %bb.21:
	ds_load_2addr_b64 v[29:32], v25 offset1:8
	ds_store_2addr_b32 v24, v4, v3 offset1:8
	s_wait_dscnt 0x1
	ds_store_2addr_b64 v25, v[31:32], v[29:30] offset1:8
	ds_store_b8 v23, v28
	ds_store_b8 v23, v27 offset:8
.LBB49_22:
	s_or_b32 exec_lo, exec_lo, s4
	s_wait_loadcnt_dscnt 0x0
	s_barrier_signal -1
	s_barrier_wait -1
	global_inv scope:SCOPE_SE
	ds_load_2addr_b32 v[3:4], v20 offset1:4
	ds_load_u8 v28, v19
	ds_load_u8 v29, v19 offset:4
	v_lshrrev_b32_e32 v26, 3, v26
	v_cndmask_b32_e64 v27, 0, 1, s2
	s_wait_dscnt 0x2
	v_cmp_u_f32_e64 s2, v3, v3
	s_wait_dscnt 0x1
	v_and_b32_e32 v30, 1, v28
	s_wait_dscnt 0x0
	v_cmp_ne_u16_e64 s5, v29, v26
	v_cmp_o_f32_e64 s3, v4, v4
	v_cmp_gt_f32_e64 s4, v3, v4
	s_wait_alu 0xf1ff
	s_delay_alu instid0(VALU_DEP_3)
	v_cndmask_b32_e64 v31, 0, 1, s5
	v_cmp_eq_u32_e64 s5, 1, v30
	s_and_b32 s2, s2, s3
	s_mov_b32 s3, exec_lo
	s_wait_alu 0xfffe
	s_or_b32 s2, s2, s4
	s_wait_alu 0xfffe
	s_and_b32 s2, s2, s5
	s_wait_alu 0xfffe
	v_cndmask_b32_e64 v30, v31, v27, s2
	s_delay_alu instid0(VALU_DEP_1) | instskip(NEXT) | instid1(VALU_DEP_1)
	v_and_b32_e32 v30, 1, v30
	v_cmpx_eq_u32_e32 1, v30
	s_cbranch_execz .LBB49_24
; %bb.23:
	ds_load_2addr_b64 v[30:33], v22 offset1:4
	ds_store_2addr_b32 v20, v4, v3 offset1:4
	s_wait_dscnt 0x1
	ds_store_2addr_b64 v22, v[32:33], v[30:31] offset1:4
	ds_store_b8 v19, v29
	ds_store_b8 v19, v28 offset:4
.LBB49_24:
	s_or_b32 exec_lo, exec_lo, s3
	s_wait_loadcnt_dscnt 0x0
	s_barrier_signal -1
	s_barrier_wait -1
	global_inv scope:SCOPE_SE
	ds_load_2addr_b32 v[3:4], v14 offset1:2
	ds_load_u8 v28, v13
	ds_load_u8 v29, v13 offset:2
	s_wait_dscnt 0x2
	v_cmp_u_f32_e64 s2, v3, v3
	s_wait_dscnt 0x1
	v_and_b32_e32 v30, 1, v28
	s_wait_dscnt 0x0
	v_cmp_ne_u16_e64 s5, v29, v26
	v_cmp_o_f32_e64 s3, v4, v4
	v_cmp_gt_f32_e64 s4, v3, v4
	s_wait_alu 0xf1ff
	s_delay_alu instid0(VALU_DEP_3)
	v_cndmask_b32_e64 v31, 0, 1, s5
	v_cmp_eq_u32_e64 s5, 1, v30
	s_and_b32 s2, s2, s3
	s_mov_b32 s3, exec_lo
	s_wait_alu 0xfffe
	s_or_b32 s2, s2, s4
	s_wait_alu 0xfffe
	s_and_b32 s2, s2, s5
	s_wait_alu 0xfffe
	v_cndmask_b32_e64 v30, v31, v27, s2
	s_delay_alu instid0(VALU_DEP_1) | instskip(NEXT) | instid1(VALU_DEP_1)
	v_and_b32_e32 v30, 1, v30
	v_cmpx_eq_u32_e32 1, v30
	s_cbranch_execz .LBB49_26
; %bb.25:
	ds_load_2addr_b64 v[30:33], v15 offset1:2
	ds_store_2addr_b32 v14, v4, v3 offset1:2
	s_wait_dscnt 0x1
	ds_store_2addr_b64 v15, v[32:33], v[30:31] offset1:2
	ds_store_b8 v13, v29
	ds_store_b8 v13, v28 offset:2
.LBB49_26:
	s_or_b32 exec_lo, exec_lo, s3
	s_wait_loadcnt_dscnt 0x0
	s_barrier_signal -1
	s_barrier_wait -1
	global_inv scope:SCOPE_SE
	ds_load_u16 v29, v11
	ds_load_b64 v[3:4], v10
	s_wait_dscnt 0x1
	v_lshrrev_b16 v28, 8, v29
	v_and_b32_e32 v30, 1, v29
	s_wait_dscnt 0x0
	v_cmp_u_f32_e64 s2, v3, v3
	v_cmp_o_f32_e64 s3, v4, v4
	v_cmp_gt_f32_e64 s4, v3, v4
	v_cmp_ne_u16_e64 s6, v28, v26
	v_cmp_eq_u32_e64 s5, 1, v30
	s_and_b32 s2, s2, s3
	s_mov_b32 s3, exec_lo
	v_cndmask_b32_e64 v26, 0, 1, s6
	s_wait_alu 0xfffe
	s_or_b32 s2, s2, s4
	s_wait_alu 0xfffe
	s_and_b32 s2, s2, s5
	s_wait_alu 0xfffe
	v_cndmask_b32_e64 v26, v26, v27, s2
	s_delay_alu instid0(VALU_DEP_1) | instskip(NEXT) | instid1(VALU_DEP_1)
	v_and_b32_e32 v26, 1, v26
	v_cmpx_eq_u32_e32 1, v26
	s_cbranch_execz .LBB49_28
; %bb.27:
	ds_load_b128 v[30:33], v21
	v_mov_b32_e32 v26, v4
	v_lshlrev_b16 v4, 8, v29
	v_mov_b32_e32 v27, v3
	s_delay_alu instid0(VALU_DEP_2)
	v_or_b32_e32 v3, v28, v4
	s_wait_dscnt 0x0
	v_dual_mov_b32 v34, v30 :: v_dual_mov_b32 v35, v31
	ds_store_b128 v21, v[32:35]
	ds_store_b64 v10, v[26:27]
	ds_store_b16 v11, v3
.LBB49_28:
	s_or_b32 exec_lo, exec_lo, s3
	v_and_b32_e32 v3, 15, v7
	s_wait_loadcnt_dscnt 0x0
	s_barrier_signal -1
	s_barrier_wait -1
	global_inv scope:SCOPE_SE
	v_sub_nc_u32_e32 v26, v18, v3
	s_delay_alu instid0(VALU_DEP_1)
	v_lshl_add_u32 v18, v26, 2, v16
	v_add_nc_u32_e32 v16, v17, v26
	ds_load_2addr_b32 v[3:4], v18 offset1:16
	ds_load_u8 v17, v16
	ds_load_u8 v27, v16 offset:16
	s_wait_dscnt 0x2
	v_cmp_u_f32_e64 s2, v3, v3
	s_wait_dscnt 0x1
	v_and_b32_e32 v28, 1, v17
	v_cmp_o_f32_e64 s3, v4, v4
	v_cmp_gt_f32_e64 s4, v3, v4
	s_wait_dscnt 0x0
	v_and_b32_e32 v27, 0xff, v27
	v_cmp_eq_u32_e64 s5, 1, v28
	s_and_b32 s2, s2, s3
	s_wait_alu 0xfffe
	s_or_b32 s3, s2, s4
	v_cmp_ne_u16_e64 s2, 0, v27
	s_wait_alu 0xfffe
	s_and_b32 s3, s3, s5
	s_wait_alu 0xfffe
	s_xor_b32 s3, s3, -1
	s_wait_alu 0xfffe
	s_and_b32 s3, s3, s2
	s_wait_alu 0xfffe
	s_and_saveexec_b32 s2, s3
	s_cbranch_execz .LBB49_30
; %bb.29:
	v_lshl_add_u32 v12, v26, 3, v12
	v_mov_b32_e32 v30, 1
	ds_load_2addr_b64 v[26:29], v12 offset1:16
	ds_store_2addr_b32 v18, v4, v3 offset1:16
	s_wait_dscnt 0x1
	ds_store_2addr_b64 v12, v[28:29], v[26:27] offset1:16
	ds_store_b8 v16, v30
	ds_store_b8 v16, v17 offset:16
.LBB49_30:
	s_wait_alu 0xfffe
	s_or_b32 exec_lo, exec_lo, s2
	s_wait_loadcnt_dscnt 0x0
	s_barrier_signal -1
	s_barrier_wait -1
	global_inv scope:SCOPE_SE
	ds_load_2addr_b32 v[3:4], v24 offset1:8
	ds_load_u8 v12, v23
	ds_load_u8 v16, v23 offset:8
	s_wait_dscnt 0x2
	v_cmp_u_f32_e64 s2, v3, v3
	s_wait_dscnt 0x1
	v_and_b32_e32 v17, 1, v12
	v_cmp_o_f32_e64 s3, v4, v4
	v_cmp_gt_f32_e64 s4, v3, v4
	s_wait_dscnt 0x0
	v_and_b32_e32 v16, 0xff, v16
	v_cmp_eq_u32_e64 s5, 1, v17
	s_and_b32 s2, s2, s3
	s_wait_alu 0xfffe
	s_or_b32 s3, s2, s4
	v_cmp_ne_u16_e64 s2, 0, v16
	s_wait_alu 0xfffe
	s_and_b32 s3, s3, s5
	s_wait_alu 0xfffe
	s_xor_b32 s3, s3, -1
	s_wait_alu 0xfffe
	s_and_b32 s3, s3, s2
	s_wait_alu 0xfffe
	s_and_saveexec_b32 s2, s3
	s_cbranch_execz .LBB49_32
; %bb.31:
	ds_load_2addr_b64 v[26:29], v25 offset1:8
	v_mov_b32_e32 v16, 1
	ds_store_2addr_b32 v24, v4, v3 offset1:8
	s_wait_dscnt 0x1
	ds_store_2addr_b64 v25, v[28:29], v[26:27] offset1:8
	ds_store_b8 v23, v16
	ds_store_b8 v23, v12 offset:8
.LBB49_32:
	s_wait_alu 0xfffe
	s_or_b32 exec_lo, exec_lo, s2
	s_wait_loadcnt_dscnt 0x0
	s_barrier_signal -1
	s_barrier_wait -1
	global_inv scope:SCOPE_SE
	ds_load_2addr_b32 v[3:4], v20 offset1:4
	ds_load_u8 v12, v19
	ds_load_u8 v16, v19 offset:4
	s_wait_dscnt 0x2
	v_cmp_u_f32_e64 s2, v3, v3
	s_wait_dscnt 0x1
	v_and_b32_e32 v17, 1, v12
	v_cmp_o_f32_e64 s3, v4, v4
	v_cmp_gt_f32_e64 s4, v3, v4
	s_wait_dscnt 0x0
	v_and_b32_e32 v16, 0xff, v16
	v_cmp_eq_u32_e64 s5, 1, v17
	s_and_b32 s2, s2, s3
	s_wait_alu 0xfffe
	s_or_b32 s3, s2, s4
	v_cmp_ne_u16_e64 s2, 0, v16
	s_wait_alu 0xfffe
	s_and_b32 s3, s3, s5
	s_wait_alu 0xfffe
	s_xor_b32 s3, s3, -1
	s_wait_alu 0xfffe
	s_and_b32 s3, s3, s2
	s_wait_alu 0xfffe
	s_and_saveexec_b32 s2, s3
	s_cbranch_execz .LBB49_34
; %bb.33:
	ds_load_2addr_b64 v[23:26], v22 offset1:4
	v_mov_b32_e32 v16, 1
	ds_store_2addr_b32 v20, v4, v3 offset1:4
	s_wait_dscnt 0x1
	ds_store_2addr_b64 v22, v[25:26], v[23:24] offset1:4
	ds_store_b8 v19, v16
	ds_store_b8 v19, v12 offset:4
.LBB49_34:
	;; [unrolled: 40-line block ×3, first 2 shown]
	s_wait_alu 0xfffe
	s_or_b32 exec_lo, exec_lo, s2
	s_wait_loadcnt_dscnt 0x0
	s_barrier_signal -1
	s_barrier_wait -1
	global_inv scope:SCOPE_SE
	ds_load_b64 v[3:4], v10
	ds_load_u16 v12, v11
	s_wait_dscnt 0x1
	v_cmp_u_f32_e64 s2, v3, v3
	s_wait_dscnt 0x0
	v_and_b32_e32 v13, 1, v12
	v_cmp_o_f32_e64 s3, v4, v4
	v_cmp_gt_f32_e64 s4, v3, v4
	v_lshrrev_b16 v14, 8, v12
	s_delay_alu instid0(VALU_DEP_4)
	v_cmp_eq_u32_e64 s5, 1, v13
	s_and_b32 s2, s2, s3
	s_wait_alu 0xfffe
	s_or_b32 s3, s2, s4
	v_cmp_ne_u16_e64 s2, 0, v14
	s_wait_alu 0xfffe
	s_and_b32 s3, s3, s5
	s_wait_alu 0xfffe
	s_xor_b32 s3, s3, -1
	s_wait_alu 0xfffe
	s_and_b32 s3, s3, s2
	s_wait_alu 0xfffe
	s_and_saveexec_b32 s2, s3
	s_cbranch_execz .LBB49_38
; %bb.37:
	ds_load_b128 v[13:16], v21
	v_mov_b32_e32 v19, v4
	v_lshlrev_b16 v4, 8, v12
	v_mov_b32_e32 v20, v3
	s_delay_alu instid0(VALU_DEP_2)
	v_or_b32_e32 v3, 1, v4
	s_wait_dscnt 0x0
	v_dual_mov_b32 v17, v13 :: v_dual_mov_b32 v18, v14
	ds_store_b128 v21, v[15:18]
	ds_store_b64 v10, v[19:20]
	ds_store_b16 v11, v3
.LBB49_38:
	s_wait_alu 0xfffe
	s_or_b32 exec_lo, exec_lo, s2
	s_wait_loadcnt_dscnt 0x0
	s_barrier_signal -1
	s_barrier_wait -1
	global_inv scope:SCOPE_SE
	s_and_saveexec_b32 s2, s0
	s_cbranch_execz .LBB49_43
; %bb.39:
	s_and_saveexec_b32 s0, vcc_lo
	s_cbranch_execz .LBB49_41
; %bb.40:
	v_mad_co_u64_u32 v[3:4], null, v7, s10, v[2:3]
	v_mov_b32_e32 v4, 0
	v_mad_co_u64_u32 v[10:11], null, v7, s7, v[0:1]
	ds_load_b32 v12, v8
	ds_load_b64 v[7:8], v9
	v_mov_b32_e32 v11, v4
	v_lshlrev_b64_e32 v[3:4], 2, v[3:4]
	s_delay_alu instid0(VALU_DEP_2) | instskip(NEXT) | instid1(VALU_DEP_2)
	v_lshlrev_b64_e32 v[9:10], 3, v[10:11]
	v_add_co_u32 v3, vcc_lo, s12, v3
	s_wait_alu 0xfffd
	s_delay_alu instid0(VALU_DEP_3) | instskip(NEXT) | instid1(VALU_DEP_3)
	v_add_co_ci_u32_e64 v4, null, s13, v4, vcc_lo
	v_add_co_u32 v9, vcc_lo, s14, v9
	s_wait_alu 0xfffd
	v_add_co_ci_u32_e64 v10, null, s15, v10, vcc_lo
	s_wait_dscnt 0x1
	global_store_b32 v[3:4], v12, off
	s_wait_dscnt 0x0
	global_store_b64 v[9:10], v[7:8], off
.LBB49_41:
	s_wait_alu 0xfffe
	s_or_b32 exec_lo, exec_lo, s0
	s_delay_alu instid0(SALU_CYCLE_1)
	s_and_b32 exec_lo, exec_lo, s1
	s_cbranch_execz .LBB49_43
; %bb.42:
	v_mad_co_u64_u32 v[2:3], null, v1, s10, v[2:3]
	v_mov_b32_e32 v3, 0
	v_mad_co_u64_u32 v[0:1], null, v1, s7, v[0:1]
	ds_load_b32 v7, v5
	ds_load_b64 v[4:5], v6
	v_mov_b32_e32 v1, v3
	v_lshlrev_b64_e32 v[2:3], 2, v[2:3]
	s_delay_alu instid0(VALU_DEP_2) | instskip(NEXT) | instid1(VALU_DEP_2)
	v_lshlrev_b64_e32 v[0:1], 3, v[0:1]
	v_add_co_u32 v2, vcc_lo, s12, v2
	s_wait_alu 0xfffd
	s_delay_alu instid0(VALU_DEP_3) | instskip(NEXT) | instid1(VALU_DEP_3)
	v_add_co_ci_u32_e64 v3, null, s13, v3, vcc_lo
	v_add_co_u32 v0, vcc_lo, s14, v0
	s_wait_alu 0xfffd
	v_add_co_ci_u32_e64 v1, null, s15, v1, vcc_lo
	s_wait_dscnt 0x1
	global_store_b32 v[2:3], v7, off
	s_wait_dscnt 0x0
	global_store_b64 v[0:1], v[4:5], off
.LBB49_43:
	s_endpgm
	.section	.rodata,"a",@progbits
	.p2align	6, 0x0
	.amdhsa_kernel _ZN2at6native20bitonicSortKVInPlaceILin2ELin1ELi16ELi16EflNS0_4GTOpIfLb1EEEjEEvNS_4cuda6detail10TensorInfoIT3_T6_EES8_S8_S8_NS6_IT4_S8_EES8_T5_
		.amdhsa_group_segment_fixed_size 6656
		.amdhsa_private_segment_fixed_size 0
		.amdhsa_kernarg_size 712
		.amdhsa_user_sgpr_count 2
		.amdhsa_user_sgpr_dispatch_ptr 0
		.amdhsa_user_sgpr_queue_ptr 0
		.amdhsa_user_sgpr_kernarg_segment_ptr 1
		.amdhsa_user_sgpr_dispatch_id 0
		.amdhsa_user_sgpr_private_segment_size 0
		.amdhsa_wavefront_size32 1
		.amdhsa_uses_dynamic_stack 0
		.amdhsa_enable_private_segment 0
		.amdhsa_system_sgpr_workgroup_id_x 1
		.amdhsa_system_sgpr_workgroup_id_y 1
		.amdhsa_system_sgpr_workgroup_id_z 1
		.amdhsa_system_sgpr_workgroup_info 0
		.amdhsa_system_vgpr_workitem_id 1
		.amdhsa_next_free_vgpr 36
		.amdhsa_next_free_sgpr 16
		.amdhsa_reserve_vcc 1
		.amdhsa_float_round_mode_32 0
		.amdhsa_float_round_mode_16_64 0
		.amdhsa_float_denorm_mode_32 3
		.amdhsa_float_denorm_mode_16_64 3
		.amdhsa_fp16_overflow 0
		.amdhsa_workgroup_processor_mode 1
		.amdhsa_memory_ordered 1
		.amdhsa_forward_progress 1
		.amdhsa_inst_pref_size 39
		.amdhsa_round_robin_scheduling 0
		.amdhsa_exception_fp_ieee_invalid_op 0
		.amdhsa_exception_fp_denorm_src 0
		.amdhsa_exception_fp_ieee_div_zero 0
		.amdhsa_exception_fp_ieee_overflow 0
		.amdhsa_exception_fp_ieee_underflow 0
		.amdhsa_exception_fp_ieee_inexact 0
		.amdhsa_exception_int_div_zero 0
	.end_amdhsa_kernel
	.section	.text._ZN2at6native20bitonicSortKVInPlaceILin2ELin1ELi16ELi16EflNS0_4GTOpIfLb1EEEjEEvNS_4cuda6detail10TensorInfoIT3_T6_EES8_S8_S8_NS6_IT4_S8_EES8_T5_,"axG",@progbits,_ZN2at6native20bitonicSortKVInPlaceILin2ELin1ELi16ELi16EflNS0_4GTOpIfLb1EEEjEEvNS_4cuda6detail10TensorInfoIT3_T6_EES8_S8_S8_NS6_IT4_S8_EES8_T5_,comdat
.Lfunc_end49:
	.size	_ZN2at6native20bitonicSortKVInPlaceILin2ELin1ELi16ELi16EflNS0_4GTOpIfLb1EEEjEEvNS_4cuda6detail10TensorInfoIT3_T6_EES8_S8_S8_NS6_IT4_S8_EES8_T5_, .Lfunc_end49-_ZN2at6native20bitonicSortKVInPlaceILin2ELin1ELi16ELi16EflNS0_4GTOpIfLb1EEEjEEvNS_4cuda6detail10TensorInfoIT3_T6_EES8_S8_S8_NS6_IT4_S8_EES8_T5_
                                        ; -- End function
	.set _ZN2at6native20bitonicSortKVInPlaceILin2ELin1ELi16ELi16EflNS0_4GTOpIfLb1EEEjEEvNS_4cuda6detail10TensorInfoIT3_T6_EES8_S8_S8_NS6_IT4_S8_EES8_T5_.num_vgpr, 36
	.set _ZN2at6native20bitonicSortKVInPlaceILin2ELin1ELi16ELi16EflNS0_4GTOpIfLb1EEEjEEvNS_4cuda6detail10TensorInfoIT3_T6_EES8_S8_S8_NS6_IT4_S8_EES8_T5_.num_agpr, 0
	.set _ZN2at6native20bitonicSortKVInPlaceILin2ELin1ELi16ELi16EflNS0_4GTOpIfLb1EEEjEEvNS_4cuda6detail10TensorInfoIT3_T6_EES8_S8_S8_NS6_IT4_S8_EES8_T5_.numbered_sgpr, 16
	.set _ZN2at6native20bitonicSortKVInPlaceILin2ELin1ELi16ELi16EflNS0_4GTOpIfLb1EEEjEEvNS_4cuda6detail10TensorInfoIT3_T6_EES8_S8_S8_NS6_IT4_S8_EES8_T5_.num_named_barrier, 0
	.set _ZN2at6native20bitonicSortKVInPlaceILin2ELin1ELi16ELi16EflNS0_4GTOpIfLb1EEEjEEvNS_4cuda6detail10TensorInfoIT3_T6_EES8_S8_S8_NS6_IT4_S8_EES8_T5_.private_seg_size, 0
	.set _ZN2at6native20bitonicSortKVInPlaceILin2ELin1ELi16ELi16EflNS0_4GTOpIfLb1EEEjEEvNS_4cuda6detail10TensorInfoIT3_T6_EES8_S8_S8_NS6_IT4_S8_EES8_T5_.uses_vcc, 1
	.set _ZN2at6native20bitonicSortKVInPlaceILin2ELin1ELi16ELi16EflNS0_4GTOpIfLb1EEEjEEvNS_4cuda6detail10TensorInfoIT3_T6_EES8_S8_S8_NS6_IT4_S8_EES8_T5_.uses_flat_scratch, 0
	.set _ZN2at6native20bitonicSortKVInPlaceILin2ELin1ELi16ELi16EflNS0_4GTOpIfLb1EEEjEEvNS_4cuda6detail10TensorInfoIT3_T6_EES8_S8_S8_NS6_IT4_S8_EES8_T5_.has_dyn_sized_stack, 0
	.set _ZN2at6native20bitonicSortKVInPlaceILin2ELin1ELi16ELi16EflNS0_4GTOpIfLb1EEEjEEvNS_4cuda6detail10TensorInfoIT3_T6_EES8_S8_S8_NS6_IT4_S8_EES8_T5_.has_recursion, 0
	.set _ZN2at6native20bitonicSortKVInPlaceILin2ELin1ELi16ELi16EflNS0_4GTOpIfLb1EEEjEEvNS_4cuda6detail10TensorInfoIT3_T6_EES8_S8_S8_NS6_IT4_S8_EES8_T5_.has_indirect_call, 0
	.section	.AMDGPU.csdata,"",@progbits
; Kernel info:
; codeLenInByte = 4932
; TotalNumSgprs: 18
; NumVgprs: 36
; ScratchSize: 0
; MemoryBound: 0
; FloatMode: 240
; IeeeMode: 1
; LDSByteSize: 6656 bytes/workgroup (compile time only)
; SGPRBlocks: 0
; VGPRBlocks: 4
; NumSGPRsForWavesPerEU: 18
; NumVGPRsForWavesPerEU: 36
; Occupancy: 16
; WaveLimiterHint : 1
; COMPUTE_PGM_RSRC2:SCRATCH_EN: 0
; COMPUTE_PGM_RSRC2:USER_SGPR: 2
; COMPUTE_PGM_RSRC2:TRAP_HANDLER: 0
; COMPUTE_PGM_RSRC2:TGID_X_EN: 1
; COMPUTE_PGM_RSRC2:TGID_Y_EN: 1
; COMPUTE_PGM_RSRC2:TGID_Z_EN: 1
; COMPUTE_PGM_RSRC2:TIDIG_COMP_CNT: 1
	.section	.text._ZN2at6native20bitonicSortKVInPlaceILi2ELin1ELi16ELi16EflNS0_4LTOpIfLb1EEEjEEvNS_4cuda6detail10TensorInfoIT3_T6_EES8_S8_S8_NS6_IT4_S8_EES8_T5_,"axG",@progbits,_ZN2at6native20bitonicSortKVInPlaceILi2ELin1ELi16ELi16EflNS0_4LTOpIfLb1EEEjEEvNS_4cuda6detail10TensorInfoIT3_T6_EES8_S8_S8_NS6_IT4_S8_EES8_T5_,comdat
	.protected	_ZN2at6native20bitonicSortKVInPlaceILi2ELin1ELi16ELi16EflNS0_4LTOpIfLb1EEEjEEvNS_4cuda6detail10TensorInfoIT3_T6_EES8_S8_S8_NS6_IT4_S8_EES8_T5_ ; -- Begin function _ZN2at6native20bitonicSortKVInPlaceILi2ELin1ELi16ELi16EflNS0_4LTOpIfLb1EEEjEEvNS_4cuda6detail10TensorInfoIT3_T6_EES8_S8_S8_NS6_IT4_S8_EES8_T5_
	.globl	_ZN2at6native20bitonicSortKVInPlaceILi2ELin1ELi16ELi16EflNS0_4LTOpIfLb1EEEjEEvNS_4cuda6detail10TensorInfoIT3_T6_EES8_S8_S8_NS6_IT4_S8_EES8_T5_
	.p2align	8
	.type	_ZN2at6native20bitonicSortKVInPlaceILi2ELin1ELi16ELi16EflNS0_4LTOpIfLb1EEEjEEvNS_4cuda6detail10TensorInfoIT3_T6_EES8_S8_S8_NS6_IT4_S8_EES8_T5_,@function
_ZN2at6native20bitonicSortKVInPlaceILi2ELin1ELi16ELi16EflNS0_4LTOpIfLb1EEEjEEvNS_4cuda6detail10TensorInfoIT3_T6_EES8_S8_S8_NS6_IT4_S8_EES8_T5_: ; @_ZN2at6native20bitonicSortKVInPlaceILi2ELin1ELi16ELi16EflNS0_4LTOpIfLb1EEEjEEvNS_4cuda6detail10TensorInfoIT3_T6_EES8_S8_S8_NS6_IT4_S8_EES8_T5_
; %bb.0:
	s_clause 0x2
	s_load_b64 s[2:3], s[0:1], 0x1c8
	s_load_u16 s4, s[0:1], 0x1d6
	s_load_b96 s[8:10], s[0:1], 0xd8
	s_lshr_b32 s5, ttmp7, 16
	s_wait_kmcnt 0x0
	s_mul_i32 s3, s3, s5
	s_and_b32 s5, ttmp7, 0xffff
	s_delay_alu instid0(SALU_CYCLE_1) | instskip(NEXT) | instid1(SALU_CYCLE_1)
	s_add_co_i32 s3, s3, s5
	s_mul_i32 s2, s3, s2
	s_delay_alu instid0(SALU_CYCLE_1) | instskip(NEXT) | instid1(SALU_CYCLE_1)
	s_add_co_i32 s2, s2, ttmp9
	s_mul_i32 s4, s2, s4
	s_delay_alu instid0(SALU_CYCLE_1)
	s_cmp_ge_u32 s4, s8
	s_cbranch_scc1 .LBB50_44
; %bb.1:
	s_clause 0x3
	s_load_b32 s11, s[0:1], 0xc
	s_load_b64 s[2:3], s[0:1], 0x6c
	s_load_b32 s14, s[0:1], 0x1b8
	s_load_b64 s[12:13], s[0:1], 0x0
	v_bfe_u32 v8, v0, 10, 10
	s_mov_b32 s7, 0
	s_delay_alu instid0(VALU_DEP_1) | instskip(SKIP_4) | instid1(SALU_CYCLE_1)
	v_add_nc_u32_e32 v4, s4, v8
	s_wait_kmcnt 0x0
	s_cvt_f32_u32 s5, s11
	s_sub_co_i32 s6, 0, s11
	s_wait_alu 0xfffe
	v_rcp_iflag_f32_e32 v1, s5
	s_delay_alu instid0(TRANS32_DEP_1) | instskip(SKIP_3) | instid1(SALU_CYCLE_2)
	v_readfirstlane_b32 s5, v1
	v_mov_b32_e32 v1, 0
	s_mul_f32 s5, s5, 0x4f7ffffe
	s_wait_alu 0xfffe
	s_cvt_u32_f32 s5, s5
	s_wait_alu 0xfffe
	s_delay_alu instid0(SALU_CYCLE_2) | instskip(NEXT) | instid1(SALU_CYCLE_1)
	s_mul_i32 s6, s6, s5
	s_mul_hi_u32 s4, s5, s6
	s_wait_alu 0xfffe
	s_add_co_i32 s5, s5, s4
	s_cmp_lt_i32 s14, 2
	s_wait_alu 0xfffe
	v_mad_co_u64_u32 v[2:3], null, v4, s5, 0
	s_add_nc_u64 s[4:5], s[0:1], 0xe8
	s_cbranch_scc1 .LBB50_4
; %bb.2:
	s_add_co_i32 s6, s14, -1
	v_mov_b32_e32 v1, 0
	s_lshl_b64 s[6:7], s[6:7], 2
	v_mov_b32_e32 v5, v4
	s_wait_alu 0xfffe
	s_add_nc_u64 s[6:7], s[4:5], s[6:7]
	s_add_co_i32 s14, s14, 1
	s_add_nc_u64 s[6:7], s[6:7], 8
.LBB50_3:                               ; =>This Inner Loop Header: Depth=1
	s_clause 0x1
	s_load_b32 s15, s[6:7], 0x0
	s_load_b32 s16, s[6:7], 0x64
	s_add_co_i32 s14, s14, -1
	s_add_nc_u64 s[6:7], s[6:7], -4
	s_wait_kmcnt 0x0
	s_cvt_f32_u32 s17, s15
	s_sub_co_i32 s18, 0, s15
	s_wait_alu 0xfffe
	s_delay_alu instid0(SALU_CYCLE_1) | instskip(NEXT) | instid1(TRANS32_DEP_1)
	v_rcp_iflag_f32_e32 v2, s17
	v_readfirstlane_b32 s17, v2
	v_mov_b32_e32 v2, v5
	s_mul_f32 s17, s17, 0x4f7ffffe
	s_wait_alu 0xfffe
	s_delay_alu instid0(SALU_CYCLE_2) | instskip(SKIP_1) | instid1(SALU_CYCLE_2)
	s_cvt_u32_f32 s17, s17
	s_wait_alu 0xfffe
	s_mul_i32 s18, s18, s17
	s_delay_alu instid0(SALU_CYCLE_1) | instskip(NEXT) | instid1(SALU_CYCLE_1)
	s_mul_hi_u32 s18, s17, s18
	s_add_co_i32 s17, s17, s18
	s_cmp_gt_u32 s14, 2
	s_wait_alu 0xfffe
	v_mul_hi_u32 v5, v2, s17
	s_delay_alu instid0(VALU_DEP_1) | instskip(SKIP_1) | instid1(VALU_DEP_2)
	v_mul_lo_u32 v6, v5, s15
	v_add_nc_u32_e32 v7, 1, v5
	v_sub_nc_u32_e32 v6, v2, v6
	s_delay_alu instid0(VALU_DEP_1) | instskip(SKIP_2) | instid1(VALU_DEP_2)
	v_subrev_nc_u32_e32 v9, s15, v6
	v_cmp_le_u32_e32 vcc_lo, s15, v6
	s_wait_alu 0xfffd
	v_dual_cndmask_b32 v5, v5, v7 :: v_dual_cndmask_b32 v6, v6, v9
	s_delay_alu instid0(VALU_DEP_1) | instskip(NEXT) | instid1(VALU_DEP_2)
	v_add_nc_u32_e32 v7, 1, v5
	v_cmp_le_u32_e32 vcc_lo, s15, v6
	s_wait_alu 0xfffd
	s_delay_alu instid0(VALU_DEP_2) | instskip(NEXT) | instid1(VALU_DEP_1)
	v_cndmask_b32_e32 v5, v5, v7, vcc_lo
	v_mul_lo_u32 v6, v5, s15
	s_delay_alu instid0(VALU_DEP_1) | instskip(NEXT) | instid1(VALU_DEP_1)
	v_sub_nc_u32_e32 v2, v2, v6
	v_mad_co_u64_u32 v[1:2], null, s16, v2, v[1:2]
	s_cbranch_scc1 .LBB50_3
	s_branch .LBB50_5
.LBB50_4:
	v_mov_b32_e32 v5, v4
.LBB50_5:
	v_mul_lo_u32 v2, v3, s11
	v_add_nc_u32_e32 v6, 1, v3
	s_load_b32 s16, s[4:5], 0x6c
	s_add_nc_u64 s[6:7], s[0:1], 0x1c8
	v_mov_b32_e32 v10, 0
	s_load_b32 s6, s[6:7], 0xc
	s_clause 0x1
	s_load_b32 s7, s[0:1], 0x1c0
	s_load_b64 s[14:15], s[4:5], 0x0
	v_cmp_gt_u32_e64 s0, s8, v4
	v_sub_nc_u32_e32 v2, v4, v2
	v_mov_b32_e32 v11, 0
	s_delay_alu instid0(VALU_DEP_2) | instskip(SKIP_2) | instid1(VALU_DEP_2)
	v_subrev_nc_u32_e32 v7, s11, v2
	v_cmp_le_u32_e32 vcc_lo, s11, v2
	s_wait_alu 0xfffd
	v_dual_cndmask_b32 v3, v3, v6 :: v_dual_cndmask_b32 v2, v2, v7
	s_delay_alu instid0(VALU_DEP_1) | instskip(NEXT) | instid1(VALU_DEP_2)
	v_add_nc_u32_e32 v6, 1, v3
	v_cmp_le_u32_e32 vcc_lo, s11, v2
	s_wait_alu 0xfffd
	s_delay_alu instid0(VALU_DEP_2) | instskip(NEXT) | instid1(VALU_DEP_1)
	v_dual_cndmask_b32 v3, v3, v6 :: v_dual_and_b32 v6, 0x3ff, v0
	v_mul_lo_u32 v2, v3, s11
	s_delay_alu instid0(VALU_DEP_2) | instskip(NEXT) | instid1(VALU_DEP_2)
	v_cmp_gt_u32_e32 vcc_lo, s9, v6
	v_sub_nc_u32_e32 v2, v4, v2
	s_delay_alu instid0(VALU_DEP_1) | instskip(SKIP_1) | instid1(VALU_DEP_1)
	v_mul_lo_u32 v2, v2, s3
	s_wait_kmcnt 0x0
	v_mad_co_u64_u32 v[0:1], null, s16, v5, v[1:2]
	v_mad_co_u64_u32 v[1:2], null, v3, s2, v[2:3]
	v_mov_b32_e32 v2, 0
	v_dual_mov_b32 v4, 0 :: v_dual_mov_b32 v3, 0
	v_mov_b32_e32 v5, 0
	s_and_b32 s2, s0, vcc_lo
	s_wait_alu 0xfffe
	s_and_saveexec_b32 s3, s2
	s_cbranch_execz .LBB50_7
; %bb.6:
	v_mad_co_u64_u32 v[4:5], null, v6, s10, v[1:2]
	v_mov_b32_e32 v5, 0
	v_mad_co_u64_u32 v[11:12], null, v6, s7, v[0:1]
	s_delay_alu instid0(VALU_DEP_2) | instskip(NEXT) | instid1(VALU_DEP_4)
	v_mov_b32_e32 v12, v5
	v_lshlrev_b64_e32 v[4:5], 2, v[4:5]
	s_delay_alu instid0(VALU_DEP_2) | instskip(NEXT) | instid1(VALU_DEP_2)
	v_lshlrev_b64_e32 v[11:12], 3, v[11:12]
	v_add_co_u32 v4, s1, s12, v4
	s_delay_alu instid0(VALU_DEP_1) | instskip(NEXT) | instid1(VALU_DEP_3)
	v_add_co_ci_u32_e64 v5, null, s13, v5, s1
	v_add_co_u32 v13, s1, s14, v11
	s_wait_alu 0xf1ff
	s_delay_alu instid0(VALU_DEP_4)
	v_add_co_ci_u32_e64 v14, null, s15, v12, s1
	global_load_b32 v11, v[4:5], off
	global_load_b64 v[4:5], v[13:14], off
.LBB50_7:
	s_wait_alu 0xfffe
	s_or_b32 exec_lo, exec_lo, s3
	s_and_b32 s3, 0xffff, s6
	v_lshl_add_u32 v16, v8, 7, 0x1000
	s_wait_alu 0xfffe
	v_add_nc_u32_e32 v7, s3, v6
	v_lshlrev_b32_e32 v12, 8, v8
	v_lshl_add_u32 v17, v8, 5, 0x1800
	v_cndmask_b32_e64 v13, 0, 1, s2
	v_lshl_add_u32 v8, v6, 2, v16
	v_cmp_gt_u32_e64 s1, s9, v7
	v_lshl_add_u32 v9, v6, 3, v12
	v_add_nc_u32_e32 v14, v17, v6
	s_wait_loadcnt 0x1
	ds_store_b32 v8, v11
	s_wait_loadcnt 0x0
	ds_store_b64 v9, v[4:5]
	ds_store_b8 v14, v13
	s_and_b32 s4, s0, s1
	s_wait_alu 0xfffe
	s_and_saveexec_b32 s5, s4
	s_cbranch_execz .LBB50_9
; %bb.8:
	v_mad_co_u64_u32 v[2:3], null, v7, s10, v[1:2]
	v_mov_b32_e32 v3, 0
	v_mad_co_u64_u32 v[4:5], null, v7, s7, v[0:1]
	s_delay_alu instid0(VALU_DEP_2) | instskip(NEXT) | instid1(VALU_DEP_4)
	v_mov_b32_e32 v5, v3
	v_lshlrev_b64_e32 v[2:3], 2, v[2:3]
	s_delay_alu instid0(VALU_DEP_2) | instskip(NEXT) | instid1(VALU_DEP_2)
	v_lshlrev_b64_e32 v[4:5], 3, v[4:5]
	v_add_co_u32 v2, s2, s12, v2
	s_wait_alu 0xf1ff
	s_delay_alu instid0(VALU_DEP_3) | instskip(NEXT) | instid1(VALU_DEP_3)
	v_add_co_ci_u32_e64 v3, null, s13, v3, s2
	v_add_co_u32 v4, s2, s14, v4
	s_wait_alu 0xf1ff
	v_add_co_ci_u32_e64 v5, null, s15, v5, s2
	global_load_b32 v10, v[2:3], off
	global_load_b64 v[2:3], v[4:5], off
.LBB50_9:
	s_wait_alu 0xfffe
	s_or_b32 exec_lo, exec_lo, s5
	v_lshl_add_u32 v4, s3, 2, v8
	v_lshlrev_b32_e32 v14, 2, v6
	v_lshl_add_u32 v5, s3, 3, v9
	v_lshlrev_b32_e32 v18, 1, v6
	v_cndmask_b32_e64 v11, 0, 1, s4
	v_add_nc_u32_e32 v13, v17, v7
	s_wait_loadcnt 0x1
	ds_store_b32 v4, v10
	s_wait_loadcnt 0x0
	ds_store_b64 v5, v[2:3]
	ds_store_b8 v13, v11
	v_add_nc_u32_e32 v10, v8, v14
	v_add_nc_u32_e32 v11, v17, v18
	s_wait_dscnt 0x0
	s_barrier_signal -1
	s_barrier_wait -1
	global_inv scope:SCOPE_SE
	ds_load_b64 v[2:3], v10
	ds_load_u16 v15, v11
	v_and_b32_e32 v13, 1, v6
	s_wait_dscnt 0x1
	v_cmp_u_f32_e64 s2, v3, v3
	v_cmp_o_f32_e64 s3, v2, v2
	s_wait_dscnt 0x0
	v_lshrrev_b16 v14, 8, v15
	v_and_b32_e32 v19, 1, v15
	v_cmp_lt_f32_e64 s4, v2, v3
	s_and_b32 s5, s2, s3
	v_cmp_ne_u16_e64 s3, v14, v13
	v_cmp_eq_u32_e64 s2, 1, v19
	s_wait_alu 0xf1ff
	s_delay_alu instid0(VALU_DEP_2)
	v_cndmask_b32_e64 v19, 0, 1, s3
	s_wait_alu 0xfffe
	s_or_b32 s3, s5, s4
	s_wait_alu 0xfffe
	s_and_b32 s2, s3, s2
	s_wait_alu 0xfffe
	v_cndmask_b32_e64 v19, v19, v6, s2
	s_delay_alu instid0(VALU_DEP_1) | instskip(NEXT) | instid1(VALU_DEP_1)
	v_and_b32_e32 v19, 1, v19
	v_cmp_eq_u32_e64 s2, 1, v19
	v_lshl_add_u32 v19, v6, 3, v9
	s_and_saveexec_b32 s3, s2
	s_wait_alu 0xfffe
	s_xor_b32 s2, exec_lo, s3
	s_cbranch_execz .LBB50_11
; %bb.10:
	ds_load_b128 v[20:23], v19
	v_mov_b32_e32 v26, v3
	v_lshlrev_b16 v3, 8, v15
	v_mov_b32_e32 v27, v2
	s_delay_alu instid0(VALU_DEP_2)
	v_or_b32_e32 v2, v14, v3
	s_wait_dscnt 0x0
	v_dual_mov_b32 v24, v20 :: v_dual_mov_b32 v25, v21
	ds_store_b128 v19, v[22:25]
	ds_store_b64 v10, v[26:27]
	ds_store_b16 v11, v2
.LBB50_11:
	s_wait_alu 0xfffe
	s_or_b32 exec_lo, exec_lo, s2
	v_sub_nc_u32_e32 v15, v18, v13
	s_wait_loadcnt_dscnt 0x0
	s_barrier_signal -1
	s_barrier_wait -1
	global_inv scope:SCOPE_SE
	v_lshl_add_u32 v14, v15, 2, v16
	v_add_nc_u32_e32 v13, v17, v15
	v_bfe_u32 v21, v6, 1, 1
	v_lshl_add_u32 v15, v15, 3, v12
	ds_load_2addr_b32 v[2:3], v14 offset1:2
	ds_load_u8 v20, v13
	ds_load_u8 v22, v13 offset:2
	s_wait_dscnt 0x2
	v_cmp_u_f32_e64 s2, v3, v3
	s_wait_dscnt 0x1
	v_and_b32_e32 v23, 1, v20
	s_wait_dscnt 0x0
	v_cmp_ne_u16_e64 s5, v22, v21
	v_cmp_o_f32_e64 s3, v2, v2
	v_cmp_lt_f32_e64 s4, v2, v3
	s_wait_alu 0xf1ff
	s_delay_alu instid0(VALU_DEP_3)
	v_cndmask_b32_e64 v24, 0, 1, s5
	v_cmp_eq_u32_e64 s5, 1, v23
	s_and_b32 s2, s2, s3
	s_wait_alu 0xfffe
	s_or_b32 s2, s2, s4
	s_wait_alu 0xfffe
	s_and_b32 s2, s2, s5
	s_wait_alu 0xfffe
	v_cndmask_b32_e64 v23, v24, v21, s2
	v_and_b32_e32 v21, 2, v6
	s_delay_alu instid0(VALU_DEP_2) | instskip(NEXT) | instid1(VALU_DEP_2)
	v_and_b32_e32 v23, 1, v23
	v_cmp_ne_u32_e64 s2, 0, v21
	s_delay_alu instid0(VALU_DEP_2)
	v_cmp_eq_u32_e64 s3, 1, v23
	s_and_saveexec_b32 s4, s3
	s_wait_alu 0xfffe
	s_xor_b32 s3, exec_lo, s4
	s_cbranch_execz .LBB50_13
; %bb.12:
	ds_load_2addr_b64 v[23:26], v15 offset1:2
	ds_store_2addr_b32 v14, v3, v2 offset1:2
	s_wait_dscnt 0x1
	ds_store_2addr_b64 v15, v[25:26], v[23:24] offset1:2
	ds_store_b8 v13, v22
	ds_store_b8 v13, v20 offset:2
.LBB50_13:
	s_wait_alu 0xfffe
	s_or_b32 exec_lo, exec_lo, s3
	s_wait_loadcnt_dscnt 0x0
	s_barrier_signal -1
	s_barrier_wait -1
	global_inv scope:SCOPE_SE
	ds_load_u16 v20, v11
	ds_load_b64 v[2:3], v10
	v_lshrrev_b32_e32 v22, 1, v21
	v_cndmask_b32_e64 v23, 0, 1, s2
	s_wait_dscnt 0x1
	v_lshrrev_b16 v21, 8, v20
	v_and_b32_e32 v24, 1, v20
	s_wait_dscnt 0x0
	v_cmp_u_f32_e64 s2, v3, v3
	v_cmp_o_f32_e64 s3, v2, v2
	v_cmp_lt_f32_e64 s4, v2, v3
	v_cmp_ne_u16_e64 s6, v21, v22
	v_cmp_eq_u32_e64 s5, 1, v24
	s_and_b32 s2, s2, s3
	s_mov_b32 s3, exec_lo
	v_cndmask_b32_e64 v22, 0, 1, s6
	s_wait_alu 0xfffe
	s_or_b32 s2, s2, s4
	s_wait_alu 0xfffe
	s_and_b32 s2, s2, s5
	s_wait_alu 0xfffe
	v_cndmask_b32_e64 v22, v22, v23, s2
	s_delay_alu instid0(VALU_DEP_1) | instskip(NEXT) | instid1(VALU_DEP_1)
	v_and_b32_e32 v22, 1, v22
	v_cmpx_eq_u32_e32 1, v22
	s_cbranch_execz .LBB50_15
; %bb.14:
	ds_load_b128 v[22:25], v19
	v_mov_b32_e32 v28, v3
	v_lshlrev_b16 v3, 8, v20
	v_mov_b32_e32 v29, v2
	s_delay_alu instid0(VALU_DEP_2)
	v_or_b32_e32 v2, v21, v3
	s_wait_dscnt 0x0
	v_dual_mov_b32 v26, v22 :: v_dual_mov_b32 v27, v23
	ds_store_b128 v19, v[24:27]
	ds_store_b64 v10, v[28:29]
	ds_store_b16 v11, v2
.LBB50_15:
	s_or_b32 exec_lo, exec_lo, s3
	v_and_b32_e32 v2, 3, v6
	s_wait_loadcnt_dscnt 0x0
	s_barrier_signal -1
	s_barrier_wait -1
	global_inv scope:SCOPE_SE
	v_sub_nc_u32_e32 v22, v18, v2
	v_bfe_u32 v21, v6, 2, 1
	s_delay_alu instid0(VALU_DEP_2)
	v_lshl_add_u32 v20, v22, 2, v16
	v_add_nc_u32_e32 v19, v17, v22
	v_lshl_add_u32 v22, v22, 3, v12
	ds_load_2addr_b32 v[2:3], v20 offset1:4
	ds_load_u8 v23, v19
	ds_load_u8 v24, v19 offset:4
	s_wait_dscnt 0x2
	v_cmp_u_f32_e64 s2, v3, v3
	s_wait_dscnt 0x1
	v_and_b32_e32 v25, 1, v23
	s_wait_dscnt 0x0
	v_cmp_ne_u16_e64 s5, v24, v21
	v_cmp_o_f32_e64 s3, v2, v2
	v_cmp_lt_f32_e64 s4, v2, v3
	s_wait_alu 0xf1ff
	s_delay_alu instid0(VALU_DEP_3)
	v_cndmask_b32_e64 v26, 0, 1, s5
	v_cmp_eq_u32_e64 s5, 1, v25
	s_and_b32 s2, s2, s3
	s_wait_alu 0xfffe
	s_or_b32 s2, s2, s4
	s_mov_b32 s4, exec_lo
	s_wait_alu 0xfffe
	s_and_b32 s2, s2, s5
	s_wait_alu 0xfffe
	v_cndmask_b32_e64 v25, v26, v21, s2
	v_and_b32_e32 v21, 4, v6
	s_delay_alu instid0(VALU_DEP_2) | instskip(NEXT) | instid1(VALU_DEP_2)
	v_and_b32_e32 v25, 1, v25
	v_cmp_ne_u32_e64 s2, 0, v21
	s_delay_alu instid0(VALU_DEP_2)
	v_cmpx_eq_u32_e32 1, v25
	s_cbranch_execz .LBB50_17
; %bb.16:
	ds_load_2addr_b64 v[25:28], v22 offset1:4
	ds_store_2addr_b32 v20, v3, v2 offset1:4
	s_wait_dscnt 0x1
	ds_store_2addr_b64 v22, v[27:28], v[25:26] offset1:4
	ds_store_b8 v19, v24
	ds_store_b8 v19, v23 offset:4
.LBB50_17:
	s_or_b32 exec_lo, exec_lo, s4
	s_wait_loadcnt_dscnt 0x0
	s_barrier_signal -1
	s_barrier_wait -1
	global_inv scope:SCOPE_SE
	ds_load_2addr_b32 v[2:3], v14 offset1:2
	ds_load_u8 v24, v13
	ds_load_u8 v25, v13 offset:2
	v_lshrrev_b32_e32 v21, 2, v21
	v_cndmask_b32_e64 v23, 0, 1, s2
	s_wait_dscnt 0x2
	v_cmp_u_f32_e64 s2, v3, v3
	s_wait_dscnt 0x1
	v_and_b32_e32 v26, 1, v24
	s_wait_dscnt 0x0
	v_cmp_ne_u16_e64 s5, v25, v21
	v_cmp_o_f32_e64 s3, v2, v2
	v_cmp_lt_f32_e64 s4, v2, v3
	s_wait_alu 0xf1ff
	s_delay_alu instid0(VALU_DEP_3)
	v_cndmask_b32_e64 v27, 0, 1, s5
	v_cmp_eq_u32_e64 s5, 1, v26
	s_and_b32 s2, s2, s3
	s_mov_b32 s3, exec_lo
	s_wait_alu 0xfffe
	s_or_b32 s2, s2, s4
	s_wait_alu 0xfffe
	s_and_b32 s2, s2, s5
	s_wait_alu 0xfffe
	v_cndmask_b32_e64 v26, v27, v23, s2
	s_delay_alu instid0(VALU_DEP_1) | instskip(NEXT) | instid1(VALU_DEP_1)
	v_and_b32_e32 v26, 1, v26
	v_cmpx_eq_u32_e32 1, v26
	s_cbranch_execz .LBB50_19
; %bb.18:
	ds_load_2addr_b64 v[26:29], v15 offset1:2
	ds_store_2addr_b32 v14, v3, v2 offset1:2
	s_wait_dscnt 0x1
	ds_store_2addr_b64 v15, v[28:29], v[26:27] offset1:2
	ds_store_b8 v13, v25
	ds_store_b8 v13, v24 offset:2
.LBB50_19:
	s_or_b32 exec_lo, exec_lo, s3
	s_wait_loadcnt_dscnt 0x0
	s_barrier_signal -1
	s_barrier_wait -1
	global_inv scope:SCOPE_SE
	ds_load_b64 v[2:3], v10
	ds_load_u16 v25, v11
	s_wait_dscnt 0x1
	v_cmp_u_f32_e64 s2, v3, v3
	v_cmp_o_f32_e64 s3, v2, v2
	s_wait_dscnt 0x0
	v_lshrrev_b16 v24, 8, v25
	v_and_b32_e32 v26, 1, v25
	v_cmp_lt_f32_e64 s4, v2, v3
	s_and_b32 s5, s2, s3
	v_cmp_ne_u16_e64 s3, v24, v21
	v_cmp_eq_u32_e64 s2, 1, v26
	s_wait_alu 0xf1ff
	s_delay_alu instid0(VALU_DEP_2)
	v_cndmask_b32_e64 v21, 0, 1, s3
	s_wait_alu 0xfffe
	s_or_b32 s3, s5, s4
	s_wait_alu 0xfffe
	s_and_b32 s2, s3, s2
	s_wait_alu 0xfffe
	v_cndmask_b32_e64 v21, v21, v23, s2
	s_delay_alu instid0(VALU_DEP_1) | instskip(NEXT) | instid1(VALU_DEP_1)
	v_and_b32_e32 v21, 1, v21
	v_cmp_eq_u32_e64 s2, 1, v21
	v_lshl_add_u32 v21, v18, 3, v12
	s_and_saveexec_b32 s3, s2
	s_cbranch_execz .LBB50_21
; %bb.20:
	ds_load_b128 v[26:29], v21
	v_mov_b32_e32 v32, v3
	v_lshlrev_b16 v3, 8, v25
	v_mov_b32_e32 v33, v2
	s_delay_alu instid0(VALU_DEP_2)
	v_or_b32_e32 v2, v24, v3
	s_wait_dscnt 0x0
	v_dual_mov_b32 v30, v26 :: v_dual_mov_b32 v31, v27
	ds_store_b128 v21, v[28:31]
	ds_store_b64 v10, v[32:33]
	ds_store_b16 v11, v2
.LBB50_21:
	s_wait_alu 0xfffe
	s_or_b32 exec_lo, exec_lo, s3
	v_and_b32_e32 v2, 7, v6
	s_wait_loadcnt_dscnt 0x0
	s_barrier_signal -1
	s_barrier_wait -1
	global_inv scope:SCOPE_SE
	v_sub_nc_u32_e32 v25, v18, v2
	v_bfe_u32 v26, v6, 3, 1
	s_delay_alu instid0(VALU_DEP_2)
	v_lshl_add_u32 v24, v25, 2, v16
	v_add_nc_u32_e32 v23, v17, v25
	v_lshl_add_u32 v25, v25, 3, v12
	ds_load_2addr_b32 v[2:3], v24 offset1:8
	ds_load_u8 v27, v23
	ds_load_u8 v28, v23 offset:8
	s_wait_dscnt 0x2
	v_cmp_u_f32_e64 s2, v3, v3
	s_wait_dscnt 0x1
	v_and_b32_e32 v29, 1, v27
	s_wait_dscnt 0x0
	v_cmp_ne_u16_e64 s5, v28, v26
	v_cmp_o_f32_e64 s3, v2, v2
	v_cmp_lt_f32_e64 s4, v2, v3
	s_wait_alu 0xf1ff
	s_delay_alu instid0(VALU_DEP_3)
	v_cndmask_b32_e64 v30, 0, 1, s5
	v_cmp_eq_u32_e64 s5, 1, v29
	s_and_b32 s2, s2, s3
	s_wait_alu 0xfffe
	s_or_b32 s2, s2, s4
	s_mov_b32 s4, exec_lo
	s_wait_alu 0xfffe
	s_and_b32 s2, s2, s5
	s_wait_alu 0xfffe
	v_cndmask_b32_e64 v29, v30, v26, s2
	v_and_b32_e32 v26, 8, v6
	s_delay_alu instid0(VALU_DEP_2) | instskip(NEXT) | instid1(VALU_DEP_2)
	v_and_b32_e32 v29, 1, v29
	v_cmp_ne_u32_e64 s2, 0, v26
	s_delay_alu instid0(VALU_DEP_2)
	v_cmpx_eq_u32_e32 1, v29
	s_cbranch_execz .LBB50_23
; %bb.22:
	ds_load_2addr_b64 v[29:32], v25 offset1:8
	ds_store_2addr_b32 v24, v3, v2 offset1:8
	s_wait_dscnt 0x1
	ds_store_2addr_b64 v25, v[31:32], v[29:30] offset1:8
	ds_store_b8 v23, v28
	ds_store_b8 v23, v27 offset:8
.LBB50_23:
	s_or_b32 exec_lo, exec_lo, s4
	s_wait_loadcnt_dscnt 0x0
	s_barrier_signal -1
	s_barrier_wait -1
	global_inv scope:SCOPE_SE
	ds_load_2addr_b32 v[2:3], v20 offset1:4
	ds_load_u8 v28, v19
	ds_load_u8 v29, v19 offset:4
	v_lshrrev_b32_e32 v26, 3, v26
	v_cndmask_b32_e64 v27, 0, 1, s2
	s_wait_dscnt 0x2
	v_cmp_u_f32_e64 s2, v3, v3
	s_wait_dscnt 0x1
	v_and_b32_e32 v30, 1, v28
	s_wait_dscnt 0x0
	v_cmp_ne_u16_e64 s5, v29, v26
	v_cmp_o_f32_e64 s3, v2, v2
	v_cmp_lt_f32_e64 s4, v2, v3
	s_wait_alu 0xf1ff
	s_delay_alu instid0(VALU_DEP_3)
	v_cndmask_b32_e64 v31, 0, 1, s5
	v_cmp_eq_u32_e64 s5, 1, v30
	s_and_b32 s2, s2, s3
	s_mov_b32 s3, exec_lo
	s_wait_alu 0xfffe
	s_or_b32 s2, s2, s4
	s_wait_alu 0xfffe
	s_and_b32 s2, s2, s5
	s_wait_alu 0xfffe
	v_cndmask_b32_e64 v30, v31, v27, s2
	s_delay_alu instid0(VALU_DEP_1) | instskip(NEXT) | instid1(VALU_DEP_1)
	v_and_b32_e32 v30, 1, v30
	v_cmpx_eq_u32_e32 1, v30
	s_cbranch_execz .LBB50_25
; %bb.24:
	ds_load_2addr_b64 v[30:33], v22 offset1:4
	ds_store_2addr_b32 v20, v3, v2 offset1:4
	s_wait_dscnt 0x1
	ds_store_2addr_b64 v22, v[32:33], v[30:31] offset1:4
	ds_store_b8 v19, v29
	ds_store_b8 v19, v28 offset:4
.LBB50_25:
	s_or_b32 exec_lo, exec_lo, s3
	s_wait_loadcnt_dscnt 0x0
	s_barrier_signal -1
	s_barrier_wait -1
	global_inv scope:SCOPE_SE
	ds_load_2addr_b32 v[2:3], v14 offset1:2
	ds_load_u8 v28, v13
	ds_load_u8 v29, v13 offset:2
	s_wait_dscnt 0x2
	v_cmp_u_f32_e64 s2, v3, v3
	s_wait_dscnt 0x1
	v_and_b32_e32 v30, 1, v28
	s_wait_dscnt 0x0
	v_cmp_ne_u16_e64 s5, v29, v26
	v_cmp_o_f32_e64 s3, v2, v2
	v_cmp_lt_f32_e64 s4, v2, v3
	s_wait_alu 0xf1ff
	s_delay_alu instid0(VALU_DEP_3)
	v_cndmask_b32_e64 v31, 0, 1, s5
	v_cmp_eq_u32_e64 s5, 1, v30
	s_and_b32 s2, s2, s3
	s_mov_b32 s3, exec_lo
	s_wait_alu 0xfffe
	s_or_b32 s2, s2, s4
	s_wait_alu 0xfffe
	s_and_b32 s2, s2, s5
	s_wait_alu 0xfffe
	v_cndmask_b32_e64 v30, v31, v27, s2
	s_delay_alu instid0(VALU_DEP_1) | instskip(NEXT) | instid1(VALU_DEP_1)
	v_and_b32_e32 v30, 1, v30
	v_cmpx_eq_u32_e32 1, v30
	s_cbranch_execz .LBB50_27
; %bb.26:
	ds_load_2addr_b64 v[30:33], v15 offset1:2
	ds_store_2addr_b32 v14, v3, v2 offset1:2
	s_wait_dscnt 0x1
	ds_store_2addr_b64 v15, v[32:33], v[30:31] offset1:2
	ds_store_b8 v13, v29
	ds_store_b8 v13, v28 offset:2
.LBB50_27:
	s_or_b32 exec_lo, exec_lo, s3
	s_wait_loadcnt_dscnt 0x0
	s_barrier_signal -1
	s_barrier_wait -1
	global_inv scope:SCOPE_SE
	ds_load_u16 v29, v11
	ds_load_b64 v[2:3], v10
	s_wait_dscnt 0x1
	v_lshrrev_b16 v28, 8, v29
	v_and_b32_e32 v30, 1, v29
	s_wait_dscnt 0x0
	v_cmp_u_f32_e64 s2, v3, v3
	v_cmp_o_f32_e64 s3, v2, v2
	v_cmp_lt_f32_e64 s4, v2, v3
	v_cmp_ne_u16_e64 s6, v28, v26
	v_cmp_eq_u32_e64 s5, 1, v30
	s_and_b32 s2, s2, s3
	s_mov_b32 s3, exec_lo
	v_cndmask_b32_e64 v26, 0, 1, s6
	s_wait_alu 0xfffe
	s_or_b32 s2, s2, s4
	s_wait_alu 0xfffe
	s_and_b32 s2, s2, s5
	s_wait_alu 0xfffe
	v_cndmask_b32_e64 v26, v26, v27, s2
	s_delay_alu instid0(VALU_DEP_1) | instskip(NEXT) | instid1(VALU_DEP_1)
	v_and_b32_e32 v26, 1, v26
	v_cmpx_eq_u32_e32 1, v26
	s_cbranch_execz .LBB50_29
; %bb.28:
	ds_load_b128 v[30:33], v21
	v_mov_b32_e32 v26, v3
	v_lshlrev_b16 v3, 8, v29
	v_mov_b32_e32 v27, v2
	s_delay_alu instid0(VALU_DEP_2)
	v_or_b32_e32 v2, v28, v3
	s_wait_dscnt 0x0
	v_dual_mov_b32 v34, v30 :: v_dual_mov_b32 v35, v31
	ds_store_b128 v21, v[32:35]
	ds_store_b64 v10, v[26:27]
	ds_store_b16 v11, v2
.LBB50_29:
	s_or_b32 exec_lo, exec_lo, s3
	v_and_b32_e32 v2, 15, v6
	s_wait_loadcnt_dscnt 0x0
	s_barrier_signal -1
	s_barrier_wait -1
	global_inv scope:SCOPE_SE
	v_sub_nc_u32_e32 v26, v18, v2
	s_delay_alu instid0(VALU_DEP_1)
	v_lshl_add_u32 v18, v26, 2, v16
	v_add_nc_u32_e32 v16, v17, v26
	ds_load_2addr_b32 v[2:3], v18 offset1:16
	ds_load_u8 v17, v16
	ds_load_u8 v27, v16 offset:16
	s_wait_dscnt 0x2
	v_cmp_u_f32_e64 s2, v3, v3
	s_wait_dscnt 0x1
	v_and_b32_e32 v28, 1, v17
	v_cmp_o_f32_e64 s3, v2, v2
	v_cmp_lt_f32_e64 s4, v2, v3
	s_wait_dscnt 0x0
	v_and_b32_e32 v27, 0xff, v27
	v_cmp_eq_u32_e64 s5, 1, v28
	s_and_b32 s2, s2, s3
	s_wait_alu 0xfffe
	s_or_b32 s3, s2, s4
	v_cmp_ne_u16_e64 s2, 0, v27
	s_wait_alu 0xfffe
	s_and_b32 s3, s3, s5
	s_wait_alu 0xfffe
	s_xor_b32 s3, s3, -1
	s_wait_alu 0xfffe
	s_and_b32 s3, s3, s2
	s_wait_alu 0xfffe
	s_and_saveexec_b32 s2, s3
	s_cbranch_execz .LBB50_31
; %bb.30:
	v_lshl_add_u32 v12, v26, 3, v12
	v_mov_b32_e32 v30, 1
	ds_load_2addr_b64 v[26:29], v12 offset1:16
	ds_store_2addr_b32 v18, v3, v2 offset1:16
	s_wait_dscnt 0x1
	ds_store_2addr_b64 v12, v[28:29], v[26:27] offset1:16
	ds_store_b8 v16, v30
	ds_store_b8 v16, v17 offset:16
.LBB50_31:
	s_wait_alu 0xfffe
	s_or_b32 exec_lo, exec_lo, s2
	s_wait_loadcnt_dscnt 0x0
	s_barrier_signal -1
	s_barrier_wait -1
	global_inv scope:SCOPE_SE
	ds_load_2addr_b32 v[2:3], v24 offset1:8
	ds_load_u8 v12, v23
	ds_load_u8 v16, v23 offset:8
	s_wait_dscnt 0x2
	v_cmp_u_f32_e64 s2, v3, v3
	s_wait_dscnt 0x1
	v_and_b32_e32 v17, 1, v12
	v_cmp_o_f32_e64 s3, v2, v2
	v_cmp_lt_f32_e64 s4, v2, v3
	s_wait_dscnt 0x0
	v_and_b32_e32 v16, 0xff, v16
	v_cmp_eq_u32_e64 s5, 1, v17
	s_and_b32 s2, s2, s3
	s_wait_alu 0xfffe
	s_or_b32 s3, s2, s4
	v_cmp_ne_u16_e64 s2, 0, v16
	s_wait_alu 0xfffe
	s_and_b32 s3, s3, s5
	s_wait_alu 0xfffe
	s_xor_b32 s3, s3, -1
	s_wait_alu 0xfffe
	s_and_b32 s3, s3, s2
	s_wait_alu 0xfffe
	s_and_saveexec_b32 s2, s3
	s_cbranch_execz .LBB50_33
; %bb.32:
	ds_load_2addr_b64 v[26:29], v25 offset1:8
	v_mov_b32_e32 v16, 1
	ds_store_2addr_b32 v24, v3, v2 offset1:8
	s_wait_dscnt 0x1
	ds_store_2addr_b64 v25, v[28:29], v[26:27] offset1:8
	ds_store_b8 v23, v16
	ds_store_b8 v23, v12 offset:8
.LBB50_33:
	s_wait_alu 0xfffe
	s_or_b32 exec_lo, exec_lo, s2
	s_wait_loadcnt_dscnt 0x0
	s_barrier_signal -1
	s_barrier_wait -1
	global_inv scope:SCOPE_SE
	ds_load_2addr_b32 v[2:3], v20 offset1:4
	ds_load_u8 v12, v19
	ds_load_u8 v16, v19 offset:4
	s_wait_dscnt 0x2
	v_cmp_u_f32_e64 s2, v3, v3
	s_wait_dscnt 0x1
	v_and_b32_e32 v17, 1, v12
	v_cmp_o_f32_e64 s3, v2, v2
	v_cmp_lt_f32_e64 s4, v2, v3
	s_wait_dscnt 0x0
	v_and_b32_e32 v16, 0xff, v16
	v_cmp_eq_u32_e64 s5, 1, v17
	s_and_b32 s2, s2, s3
	s_wait_alu 0xfffe
	s_or_b32 s3, s2, s4
	v_cmp_ne_u16_e64 s2, 0, v16
	s_wait_alu 0xfffe
	s_and_b32 s3, s3, s5
	s_wait_alu 0xfffe
	s_xor_b32 s3, s3, -1
	s_wait_alu 0xfffe
	s_and_b32 s3, s3, s2
	s_wait_alu 0xfffe
	s_and_saveexec_b32 s2, s3
	s_cbranch_execz .LBB50_35
; %bb.34:
	ds_load_2addr_b64 v[23:26], v22 offset1:4
	v_mov_b32_e32 v16, 1
	ds_store_2addr_b32 v20, v3, v2 offset1:4
	s_wait_dscnt 0x1
	ds_store_2addr_b64 v22, v[25:26], v[23:24] offset1:4
	ds_store_b8 v19, v16
	ds_store_b8 v19, v12 offset:4
.LBB50_35:
	;; [unrolled: 40-line block ×3, first 2 shown]
	s_wait_alu 0xfffe
	s_or_b32 exec_lo, exec_lo, s2
	s_wait_loadcnt_dscnt 0x0
	s_barrier_signal -1
	s_barrier_wait -1
	global_inv scope:SCOPE_SE
	ds_load_b64 v[2:3], v10
	ds_load_u16 v12, v11
	s_wait_dscnt 0x1
	v_cmp_u_f32_e64 s2, v3, v3
	s_wait_dscnt 0x0
	v_and_b32_e32 v13, 1, v12
	v_cmp_o_f32_e64 s3, v2, v2
	v_cmp_lt_f32_e64 s4, v2, v3
	v_lshrrev_b16 v14, 8, v12
	s_delay_alu instid0(VALU_DEP_4)
	v_cmp_eq_u32_e64 s5, 1, v13
	s_and_b32 s2, s2, s3
	s_wait_alu 0xfffe
	s_or_b32 s3, s2, s4
	v_cmp_ne_u16_e64 s2, 0, v14
	s_wait_alu 0xfffe
	s_and_b32 s3, s3, s5
	s_wait_alu 0xfffe
	s_xor_b32 s3, s3, -1
	s_wait_alu 0xfffe
	s_and_b32 s3, s3, s2
	s_wait_alu 0xfffe
	s_and_saveexec_b32 s2, s3
	s_cbranch_execz .LBB50_39
; %bb.38:
	ds_load_b128 v[13:16], v21
	v_mov_b32_e32 v19, v3
	v_lshlrev_b16 v3, 8, v12
	v_mov_b32_e32 v20, v2
	s_delay_alu instid0(VALU_DEP_2)
	v_or_b32_e32 v2, 1, v3
	s_wait_dscnt 0x0
	v_dual_mov_b32 v17, v13 :: v_dual_mov_b32 v18, v14
	ds_store_b128 v21, v[15:18]
	ds_store_b64 v10, v[19:20]
	ds_store_b16 v11, v2
.LBB50_39:
	s_wait_alu 0xfffe
	s_or_b32 exec_lo, exec_lo, s2
	s_wait_loadcnt_dscnt 0x0
	s_barrier_signal -1
	s_barrier_wait -1
	global_inv scope:SCOPE_SE
	s_and_saveexec_b32 s2, s0
	s_cbranch_execz .LBB50_44
; %bb.40:
	s_and_saveexec_b32 s0, vcc_lo
	s_cbranch_execz .LBB50_42
; %bb.41:
	v_mad_co_u64_u32 v[2:3], null, v6, s10, v[1:2]
	v_mov_b32_e32 v3, 0
	v_mad_co_u64_u32 v[10:11], null, v6, s7, v[0:1]
	ds_load_b32 v6, v8
	ds_load_b64 v[8:9], v9
	v_mov_b32_e32 v11, v3
	v_lshlrev_b64_e32 v[2:3], 2, v[2:3]
	s_delay_alu instid0(VALU_DEP_2) | instskip(NEXT) | instid1(VALU_DEP_2)
	v_lshlrev_b64_e32 v[10:11], 3, v[10:11]
	v_add_co_u32 v2, vcc_lo, s12, v2
	s_wait_alu 0xfffd
	s_delay_alu instid0(VALU_DEP_3) | instskip(NEXT) | instid1(VALU_DEP_3)
	v_add_co_ci_u32_e64 v3, null, s13, v3, vcc_lo
	v_add_co_u32 v10, vcc_lo, s14, v10
	s_wait_alu 0xfffd
	v_add_co_ci_u32_e64 v11, null, s15, v11, vcc_lo
	s_wait_dscnt 0x1
	global_store_b32 v[2:3], v6, off
	s_wait_dscnt 0x0
	global_store_b64 v[10:11], v[8:9], off
.LBB50_42:
	s_wait_alu 0xfffe
	s_or_b32 exec_lo, exec_lo, s0
	s_delay_alu instid0(SALU_CYCLE_1)
	s_and_b32 exec_lo, exec_lo, s1
	s_cbranch_execz .LBB50_44
; %bb.43:
	v_mad_co_u64_u32 v[1:2], null, v7, s10, v[1:2]
	v_mov_b32_e32 v2, 0
	ds_load_b32 v8, v4
	ds_load_b64 v[3:4], v5
	v_mad_co_u64_u32 v[6:7], null, v7, s7, v[0:1]
	v_mov_b32_e32 v7, v2
	v_lshlrev_b64_e32 v[0:1], 2, v[1:2]
	s_delay_alu instid0(VALU_DEP_2) | instskip(NEXT) | instid1(VALU_DEP_2)
	v_lshlrev_b64_e32 v[5:6], 3, v[6:7]
	v_add_co_u32 v0, vcc_lo, s12, v0
	s_wait_alu 0xfffd
	s_delay_alu instid0(VALU_DEP_3) | instskip(NEXT) | instid1(VALU_DEP_3)
	v_add_co_ci_u32_e64 v1, null, s13, v1, vcc_lo
	v_add_co_u32 v5, vcc_lo, s14, v5
	s_wait_alu 0xfffd
	v_add_co_ci_u32_e64 v6, null, s15, v6, vcc_lo
	s_wait_dscnt 0x1
	global_store_b32 v[0:1], v8, off
	s_wait_dscnt 0x0
	global_store_b64 v[5:6], v[3:4], off
.LBB50_44:
	s_endpgm
	.section	.rodata,"a",@progbits
	.p2align	6, 0x0
	.amdhsa_kernel _ZN2at6native20bitonicSortKVInPlaceILi2ELin1ELi16ELi16EflNS0_4LTOpIfLb1EEEjEEvNS_4cuda6detail10TensorInfoIT3_T6_EES8_S8_S8_NS6_IT4_S8_EES8_T5_
		.amdhsa_group_segment_fixed_size 6656
		.amdhsa_private_segment_fixed_size 0
		.amdhsa_kernarg_size 712
		.amdhsa_user_sgpr_count 2
		.amdhsa_user_sgpr_dispatch_ptr 0
		.amdhsa_user_sgpr_queue_ptr 0
		.amdhsa_user_sgpr_kernarg_segment_ptr 1
		.amdhsa_user_sgpr_dispatch_id 0
		.amdhsa_user_sgpr_private_segment_size 0
		.amdhsa_wavefront_size32 1
		.amdhsa_uses_dynamic_stack 0
		.amdhsa_enable_private_segment 0
		.amdhsa_system_sgpr_workgroup_id_x 1
		.amdhsa_system_sgpr_workgroup_id_y 1
		.amdhsa_system_sgpr_workgroup_id_z 1
		.amdhsa_system_sgpr_workgroup_info 0
		.amdhsa_system_vgpr_workitem_id 1
		.amdhsa_next_free_vgpr 36
		.amdhsa_next_free_sgpr 19
		.amdhsa_reserve_vcc 1
		.amdhsa_float_round_mode_32 0
		.amdhsa_float_round_mode_16_64 0
		.amdhsa_float_denorm_mode_32 3
		.amdhsa_float_denorm_mode_16_64 3
		.amdhsa_fp16_overflow 0
		.amdhsa_workgroup_processor_mode 1
		.amdhsa_memory_ordered 1
		.amdhsa_forward_progress 1
		.amdhsa_inst_pref_size 40
		.amdhsa_round_robin_scheduling 0
		.amdhsa_exception_fp_ieee_invalid_op 0
		.amdhsa_exception_fp_denorm_src 0
		.amdhsa_exception_fp_ieee_div_zero 0
		.amdhsa_exception_fp_ieee_overflow 0
		.amdhsa_exception_fp_ieee_underflow 0
		.amdhsa_exception_fp_ieee_inexact 0
		.amdhsa_exception_int_div_zero 0
	.end_amdhsa_kernel
	.section	.text._ZN2at6native20bitonicSortKVInPlaceILi2ELin1ELi16ELi16EflNS0_4LTOpIfLb1EEEjEEvNS_4cuda6detail10TensorInfoIT3_T6_EES8_S8_S8_NS6_IT4_S8_EES8_T5_,"axG",@progbits,_ZN2at6native20bitonicSortKVInPlaceILi2ELin1ELi16ELi16EflNS0_4LTOpIfLb1EEEjEEvNS_4cuda6detail10TensorInfoIT3_T6_EES8_S8_S8_NS6_IT4_S8_EES8_T5_,comdat
.Lfunc_end50:
	.size	_ZN2at6native20bitonicSortKVInPlaceILi2ELin1ELi16ELi16EflNS0_4LTOpIfLb1EEEjEEvNS_4cuda6detail10TensorInfoIT3_T6_EES8_S8_S8_NS6_IT4_S8_EES8_T5_, .Lfunc_end50-_ZN2at6native20bitonicSortKVInPlaceILi2ELin1ELi16ELi16EflNS0_4LTOpIfLb1EEEjEEvNS_4cuda6detail10TensorInfoIT3_T6_EES8_S8_S8_NS6_IT4_S8_EES8_T5_
                                        ; -- End function
	.set _ZN2at6native20bitonicSortKVInPlaceILi2ELin1ELi16ELi16EflNS0_4LTOpIfLb1EEEjEEvNS_4cuda6detail10TensorInfoIT3_T6_EES8_S8_S8_NS6_IT4_S8_EES8_T5_.num_vgpr, 36
	.set _ZN2at6native20bitonicSortKVInPlaceILi2ELin1ELi16ELi16EflNS0_4LTOpIfLb1EEEjEEvNS_4cuda6detail10TensorInfoIT3_T6_EES8_S8_S8_NS6_IT4_S8_EES8_T5_.num_agpr, 0
	.set _ZN2at6native20bitonicSortKVInPlaceILi2ELin1ELi16ELi16EflNS0_4LTOpIfLb1EEEjEEvNS_4cuda6detail10TensorInfoIT3_T6_EES8_S8_S8_NS6_IT4_S8_EES8_T5_.numbered_sgpr, 19
	.set _ZN2at6native20bitonicSortKVInPlaceILi2ELin1ELi16ELi16EflNS0_4LTOpIfLb1EEEjEEvNS_4cuda6detail10TensorInfoIT3_T6_EES8_S8_S8_NS6_IT4_S8_EES8_T5_.num_named_barrier, 0
	.set _ZN2at6native20bitonicSortKVInPlaceILi2ELin1ELi16ELi16EflNS0_4LTOpIfLb1EEEjEEvNS_4cuda6detail10TensorInfoIT3_T6_EES8_S8_S8_NS6_IT4_S8_EES8_T5_.private_seg_size, 0
	.set _ZN2at6native20bitonicSortKVInPlaceILi2ELin1ELi16ELi16EflNS0_4LTOpIfLb1EEEjEEvNS_4cuda6detail10TensorInfoIT3_T6_EES8_S8_S8_NS6_IT4_S8_EES8_T5_.uses_vcc, 1
	.set _ZN2at6native20bitonicSortKVInPlaceILi2ELin1ELi16ELi16EflNS0_4LTOpIfLb1EEEjEEvNS_4cuda6detail10TensorInfoIT3_T6_EES8_S8_S8_NS6_IT4_S8_EES8_T5_.uses_flat_scratch, 0
	.set _ZN2at6native20bitonicSortKVInPlaceILi2ELin1ELi16ELi16EflNS0_4LTOpIfLb1EEEjEEvNS_4cuda6detail10TensorInfoIT3_T6_EES8_S8_S8_NS6_IT4_S8_EES8_T5_.has_dyn_sized_stack, 0
	.set _ZN2at6native20bitonicSortKVInPlaceILi2ELin1ELi16ELi16EflNS0_4LTOpIfLb1EEEjEEvNS_4cuda6detail10TensorInfoIT3_T6_EES8_S8_S8_NS6_IT4_S8_EES8_T5_.has_recursion, 0
	.set _ZN2at6native20bitonicSortKVInPlaceILi2ELin1ELi16ELi16EflNS0_4LTOpIfLb1EEEjEEvNS_4cuda6detail10TensorInfoIT3_T6_EES8_S8_S8_NS6_IT4_S8_EES8_T5_.has_indirect_call, 0
	.section	.AMDGPU.csdata,"",@progbits
; Kernel info:
; codeLenInByte = 5108
; TotalNumSgprs: 21
; NumVgprs: 36
; ScratchSize: 0
; MemoryBound: 0
; FloatMode: 240
; IeeeMode: 1
; LDSByteSize: 6656 bytes/workgroup (compile time only)
; SGPRBlocks: 0
; VGPRBlocks: 4
; NumSGPRsForWavesPerEU: 21
; NumVGPRsForWavesPerEU: 36
; Occupancy: 16
; WaveLimiterHint : 1
; COMPUTE_PGM_RSRC2:SCRATCH_EN: 0
; COMPUTE_PGM_RSRC2:USER_SGPR: 2
; COMPUTE_PGM_RSRC2:TRAP_HANDLER: 0
; COMPUTE_PGM_RSRC2:TGID_X_EN: 1
; COMPUTE_PGM_RSRC2:TGID_Y_EN: 1
; COMPUTE_PGM_RSRC2:TGID_Z_EN: 1
; COMPUTE_PGM_RSRC2:TIDIG_COMP_CNT: 1
	.section	.text._ZN2at6native20bitonicSortKVInPlaceILi2ELin1ELi16ELi16EflNS0_4GTOpIfLb1EEEjEEvNS_4cuda6detail10TensorInfoIT3_T6_EES8_S8_S8_NS6_IT4_S8_EES8_T5_,"axG",@progbits,_ZN2at6native20bitonicSortKVInPlaceILi2ELin1ELi16ELi16EflNS0_4GTOpIfLb1EEEjEEvNS_4cuda6detail10TensorInfoIT3_T6_EES8_S8_S8_NS6_IT4_S8_EES8_T5_,comdat
	.protected	_ZN2at6native20bitonicSortKVInPlaceILi2ELin1ELi16ELi16EflNS0_4GTOpIfLb1EEEjEEvNS_4cuda6detail10TensorInfoIT3_T6_EES8_S8_S8_NS6_IT4_S8_EES8_T5_ ; -- Begin function _ZN2at6native20bitonicSortKVInPlaceILi2ELin1ELi16ELi16EflNS0_4GTOpIfLb1EEEjEEvNS_4cuda6detail10TensorInfoIT3_T6_EES8_S8_S8_NS6_IT4_S8_EES8_T5_
	.globl	_ZN2at6native20bitonicSortKVInPlaceILi2ELin1ELi16ELi16EflNS0_4GTOpIfLb1EEEjEEvNS_4cuda6detail10TensorInfoIT3_T6_EES8_S8_S8_NS6_IT4_S8_EES8_T5_
	.p2align	8
	.type	_ZN2at6native20bitonicSortKVInPlaceILi2ELin1ELi16ELi16EflNS0_4GTOpIfLb1EEEjEEvNS_4cuda6detail10TensorInfoIT3_T6_EES8_S8_S8_NS6_IT4_S8_EES8_T5_,@function
_ZN2at6native20bitonicSortKVInPlaceILi2ELin1ELi16ELi16EflNS0_4GTOpIfLb1EEEjEEvNS_4cuda6detail10TensorInfoIT3_T6_EES8_S8_S8_NS6_IT4_S8_EES8_T5_: ; @_ZN2at6native20bitonicSortKVInPlaceILi2ELin1ELi16ELi16EflNS0_4GTOpIfLb1EEEjEEvNS_4cuda6detail10TensorInfoIT3_T6_EES8_S8_S8_NS6_IT4_S8_EES8_T5_
; %bb.0:
	s_clause 0x2
	s_load_b64 s[2:3], s[0:1], 0x1c8
	s_load_u16 s4, s[0:1], 0x1d6
	s_load_b96 s[8:10], s[0:1], 0xd8
	s_lshr_b32 s5, ttmp7, 16
	s_wait_kmcnt 0x0
	s_mul_i32 s3, s3, s5
	s_and_b32 s5, ttmp7, 0xffff
	s_delay_alu instid0(SALU_CYCLE_1) | instskip(NEXT) | instid1(SALU_CYCLE_1)
	s_add_co_i32 s3, s3, s5
	s_mul_i32 s2, s3, s2
	s_delay_alu instid0(SALU_CYCLE_1) | instskip(NEXT) | instid1(SALU_CYCLE_1)
	s_add_co_i32 s2, s2, ttmp9
	s_mul_i32 s4, s2, s4
	s_delay_alu instid0(SALU_CYCLE_1)
	s_cmp_ge_u32 s4, s8
	s_cbranch_scc1 .LBB51_44
; %bb.1:
	s_clause 0x3
	s_load_b32 s11, s[0:1], 0xc
	s_load_b64 s[2:3], s[0:1], 0x6c
	s_load_b32 s14, s[0:1], 0x1b8
	s_load_b64 s[12:13], s[0:1], 0x0
	v_bfe_u32 v8, v0, 10, 10
	s_mov_b32 s7, 0
	s_delay_alu instid0(VALU_DEP_1) | instskip(SKIP_4) | instid1(SALU_CYCLE_1)
	v_add_nc_u32_e32 v4, s4, v8
	s_wait_kmcnt 0x0
	s_cvt_f32_u32 s5, s11
	s_sub_co_i32 s6, 0, s11
	s_wait_alu 0xfffe
	v_rcp_iflag_f32_e32 v1, s5
	s_delay_alu instid0(TRANS32_DEP_1) | instskip(SKIP_3) | instid1(SALU_CYCLE_2)
	v_readfirstlane_b32 s5, v1
	v_mov_b32_e32 v1, 0
	s_mul_f32 s5, s5, 0x4f7ffffe
	s_wait_alu 0xfffe
	s_cvt_u32_f32 s5, s5
	s_wait_alu 0xfffe
	s_delay_alu instid0(SALU_CYCLE_2) | instskip(NEXT) | instid1(SALU_CYCLE_1)
	s_mul_i32 s6, s6, s5
	s_mul_hi_u32 s4, s5, s6
	s_wait_alu 0xfffe
	s_add_co_i32 s5, s5, s4
	s_cmp_lt_i32 s14, 2
	s_wait_alu 0xfffe
	v_mad_co_u64_u32 v[2:3], null, v4, s5, 0
	s_add_nc_u64 s[4:5], s[0:1], 0xe8
	s_cbranch_scc1 .LBB51_4
; %bb.2:
	s_add_co_i32 s6, s14, -1
	v_mov_b32_e32 v1, 0
	s_lshl_b64 s[6:7], s[6:7], 2
	v_mov_b32_e32 v5, v4
	s_wait_alu 0xfffe
	s_add_nc_u64 s[6:7], s[4:5], s[6:7]
	s_add_co_i32 s14, s14, 1
	s_add_nc_u64 s[6:7], s[6:7], 8
.LBB51_3:                               ; =>This Inner Loop Header: Depth=1
	s_clause 0x1
	s_load_b32 s15, s[6:7], 0x0
	s_load_b32 s16, s[6:7], 0x64
	s_add_co_i32 s14, s14, -1
	s_add_nc_u64 s[6:7], s[6:7], -4
	s_wait_kmcnt 0x0
	s_cvt_f32_u32 s17, s15
	s_sub_co_i32 s18, 0, s15
	s_wait_alu 0xfffe
	s_delay_alu instid0(SALU_CYCLE_1) | instskip(NEXT) | instid1(TRANS32_DEP_1)
	v_rcp_iflag_f32_e32 v2, s17
	v_readfirstlane_b32 s17, v2
	v_mov_b32_e32 v2, v5
	s_mul_f32 s17, s17, 0x4f7ffffe
	s_wait_alu 0xfffe
	s_delay_alu instid0(SALU_CYCLE_2) | instskip(SKIP_1) | instid1(SALU_CYCLE_2)
	s_cvt_u32_f32 s17, s17
	s_wait_alu 0xfffe
	s_mul_i32 s18, s18, s17
	s_delay_alu instid0(SALU_CYCLE_1) | instskip(NEXT) | instid1(SALU_CYCLE_1)
	s_mul_hi_u32 s18, s17, s18
	s_add_co_i32 s17, s17, s18
	s_cmp_gt_u32 s14, 2
	s_wait_alu 0xfffe
	v_mul_hi_u32 v5, v2, s17
	s_delay_alu instid0(VALU_DEP_1) | instskip(SKIP_1) | instid1(VALU_DEP_2)
	v_mul_lo_u32 v6, v5, s15
	v_add_nc_u32_e32 v7, 1, v5
	v_sub_nc_u32_e32 v6, v2, v6
	s_delay_alu instid0(VALU_DEP_1) | instskip(SKIP_2) | instid1(VALU_DEP_2)
	v_subrev_nc_u32_e32 v9, s15, v6
	v_cmp_le_u32_e32 vcc_lo, s15, v6
	s_wait_alu 0xfffd
	v_dual_cndmask_b32 v5, v5, v7 :: v_dual_cndmask_b32 v6, v6, v9
	s_delay_alu instid0(VALU_DEP_1) | instskip(NEXT) | instid1(VALU_DEP_2)
	v_add_nc_u32_e32 v7, 1, v5
	v_cmp_le_u32_e32 vcc_lo, s15, v6
	s_wait_alu 0xfffd
	s_delay_alu instid0(VALU_DEP_2) | instskip(NEXT) | instid1(VALU_DEP_1)
	v_cndmask_b32_e32 v5, v5, v7, vcc_lo
	v_mul_lo_u32 v6, v5, s15
	s_delay_alu instid0(VALU_DEP_1) | instskip(NEXT) | instid1(VALU_DEP_1)
	v_sub_nc_u32_e32 v2, v2, v6
	v_mad_co_u64_u32 v[1:2], null, s16, v2, v[1:2]
	s_cbranch_scc1 .LBB51_3
	s_branch .LBB51_5
.LBB51_4:
	v_mov_b32_e32 v5, v4
.LBB51_5:
	v_mul_lo_u32 v2, v3, s11
	v_add_nc_u32_e32 v6, 1, v3
	s_load_b32 s16, s[4:5], 0x6c
	s_add_nc_u64 s[6:7], s[0:1], 0x1c8
	v_mov_b32_e32 v10, 0
	s_load_b32 s6, s[6:7], 0xc
	s_clause 0x1
	s_load_b32 s7, s[0:1], 0x1c0
	s_load_b64 s[14:15], s[4:5], 0x0
	v_cmp_gt_u32_e64 s0, s8, v4
	v_sub_nc_u32_e32 v2, v4, v2
	v_mov_b32_e32 v11, 0
	s_delay_alu instid0(VALU_DEP_2) | instskip(SKIP_2) | instid1(VALU_DEP_2)
	v_subrev_nc_u32_e32 v7, s11, v2
	v_cmp_le_u32_e32 vcc_lo, s11, v2
	s_wait_alu 0xfffd
	v_dual_cndmask_b32 v3, v3, v6 :: v_dual_cndmask_b32 v2, v2, v7
	s_delay_alu instid0(VALU_DEP_1) | instskip(NEXT) | instid1(VALU_DEP_2)
	v_add_nc_u32_e32 v6, 1, v3
	v_cmp_le_u32_e32 vcc_lo, s11, v2
	s_wait_alu 0xfffd
	s_delay_alu instid0(VALU_DEP_2) | instskip(NEXT) | instid1(VALU_DEP_1)
	v_dual_cndmask_b32 v3, v3, v6 :: v_dual_and_b32 v6, 0x3ff, v0
	v_mul_lo_u32 v2, v3, s11
	s_delay_alu instid0(VALU_DEP_2) | instskip(NEXT) | instid1(VALU_DEP_2)
	v_cmp_gt_u32_e32 vcc_lo, s9, v6
	v_sub_nc_u32_e32 v2, v4, v2
	s_delay_alu instid0(VALU_DEP_1) | instskip(SKIP_1) | instid1(VALU_DEP_1)
	v_mul_lo_u32 v2, v2, s3
	s_wait_kmcnt 0x0
	v_mad_co_u64_u32 v[0:1], null, s16, v5, v[1:2]
	v_mad_co_u64_u32 v[1:2], null, v3, s2, v[2:3]
	v_mov_b32_e32 v2, 0
	v_dual_mov_b32 v4, 0 :: v_dual_mov_b32 v3, 0
	v_mov_b32_e32 v5, 0
	s_and_b32 s2, s0, vcc_lo
	s_wait_alu 0xfffe
	s_and_saveexec_b32 s3, s2
	s_cbranch_execz .LBB51_7
; %bb.6:
	v_mad_co_u64_u32 v[4:5], null, v6, s10, v[1:2]
	v_mov_b32_e32 v5, 0
	v_mad_co_u64_u32 v[11:12], null, v6, s7, v[0:1]
	s_delay_alu instid0(VALU_DEP_2) | instskip(NEXT) | instid1(VALU_DEP_4)
	v_mov_b32_e32 v12, v5
	v_lshlrev_b64_e32 v[4:5], 2, v[4:5]
	s_delay_alu instid0(VALU_DEP_2) | instskip(NEXT) | instid1(VALU_DEP_2)
	v_lshlrev_b64_e32 v[11:12], 3, v[11:12]
	v_add_co_u32 v4, s1, s12, v4
	s_delay_alu instid0(VALU_DEP_1) | instskip(NEXT) | instid1(VALU_DEP_3)
	v_add_co_ci_u32_e64 v5, null, s13, v5, s1
	v_add_co_u32 v13, s1, s14, v11
	s_wait_alu 0xf1ff
	s_delay_alu instid0(VALU_DEP_4)
	v_add_co_ci_u32_e64 v14, null, s15, v12, s1
	global_load_b32 v11, v[4:5], off
	global_load_b64 v[4:5], v[13:14], off
.LBB51_7:
	s_wait_alu 0xfffe
	s_or_b32 exec_lo, exec_lo, s3
	s_and_b32 s3, 0xffff, s6
	v_lshl_add_u32 v16, v8, 7, 0x1000
	s_wait_alu 0xfffe
	v_add_nc_u32_e32 v7, s3, v6
	v_lshlrev_b32_e32 v12, 8, v8
	v_lshl_add_u32 v17, v8, 5, 0x1800
	v_cndmask_b32_e64 v13, 0, 1, s2
	v_lshl_add_u32 v8, v6, 2, v16
	v_cmp_gt_u32_e64 s1, s9, v7
	v_lshl_add_u32 v9, v6, 3, v12
	v_add_nc_u32_e32 v14, v17, v6
	s_wait_loadcnt 0x1
	ds_store_b32 v8, v11
	s_wait_loadcnt 0x0
	ds_store_b64 v9, v[4:5]
	ds_store_b8 v14, v13
	s_and_b32 s4, s0, s1
	s_wait_alu 0xfffe
	s_and_saveexec_b32 s5, s4
	s_cbranch_execz .LBB51_9
; %bb.8:
	v_mad_co_u64_u32 v[2:3], null, v7, s10, v[1:2]
	v_mov_b32_e32 v3, 0
	v_mad_co_u64_u32 v[4:5], null, v7, s7, v[0:1]
	s_delay_alu instid0(VALU_DEP_2) | instskip(NEXT) | instid1(VALU_DEP_4)
	v_mov_b32_e32 v5, v3
	v_lshlrev_b64_e32 v[2:3], 2, v[2:3]
	s_delay_alu instid0(VALU_DEP_2) | instskip(NEXT) | instid1(VALU_DEP_2)
	v_lshlrev_b64_e32 v[4:5], 3, v[4:5]
	v_add_co_u32 v2, s2, s12, v2
	s_wait_alu 0xf1ff
	s_delay_alu instid0(VALU_DEP_3) | instskip(NEXT) | instid1(VALU_DEP_3)
	v_add_co_ci_u32_e64 v3, null, s13, v3, s2
	v_add_co_u32 v4, s2, s14, v4
	s_wait_alu 0xf1ff
	v_add_co_ci_u32_e64 v5, null, s15, v5, s2
	global_load_b32 v10, v[2:3], off
	global_load_b64 v[2:3], v[4:5], off
.LBB51_9:
	s_wait_alu 0xfffe
	s_or_b32 exec_lo, exec_lo, s5
	v_lshl_add_u32 v4, s3, 2, v8
	v_lshlrev_b32_e32 v14, 2, v6
	v_lshl_add_u32 v5, s3, 3, v9
	v_lshlrev_b32_e32 v18, 1, v6
	v_cndmask_b32_e64 v11, 0, 1, s4
	v_add_nc_u32_e32 v13, v17, v7
	s_wait_loadcnt 0x1
	ds_store_b32 v4, v10
	s_wait_loadcnt 0x0
	ds_store_b64 v5, v[2:3]
	ds_store_b8 v13, v11
	v_add_nc_u32_e32 v10, v8, v14
	v_add_nc_u32_e32 v11, v17, v18
	s_wait_dscnt 0x0
	s_barrier_signal -1
	s_barrier_wait -1
	global_inv scope:SCOPE_SE
	ds_load_b64 v[2:3], v10
	ds_load_u16 v15, v11
	v_and_b32_e32 v13, 1, v6
	s_wait_dscnt 0x1
	v_cmp_u_f32_e64 s2, v2, v2
	v_cmp_o_f32_e64 s3, v3, v3
	s_wait_dscnt 0x0
	v_lshrrev_b16 v14, 8, v15
	v_and_b32_e32 v19, 1, v15
	v_cmp_gt_f32_e64 s4, v2, v3
	s_and_b32 s5, s2, s3
	v_cmp_ne_u16_e64 s3, v14, v13
	v_cmp_eq_u32_e64 s2, 1, v19
	s_wait_alu 0xf1ff
	s_delay_alu instid0(VALU_DEP_2)
	v_cndmask_b32_e64 v19, 0, 1, s3
	s_wait_alu 0xfffe
	s_or_b32 s3, s5, s4
	s_wait_alu 0xfffe
	s_and_b32 s2, s3, s2
	s_wait_alu 0xfffe
	v_cndmask_b32_e64 v19, v19, v6, s2
	s_delay_alu instid0(VALU_DEP_1) | instskip(NEXT) | instid1(VALU_DEP_1)
	v_and_b32_e32 v19, 1, v19
	v_cmp_eq_u32_e64 s2, 1, v19
	v_lshl_add_u32 v19, v6, 3, v9
	s_and_saveexec_b32 s3, s2
	s_wait_alu 0xfffe
	s_xor_b32 s2, exec_lo, s3
	s_cbranch_execz .LBB51_11
; %bb.10:
	ds_load_b128 v[20:23], v19
	v_mov_b32_e32 v26, v3
	v_lshlrev_b16 v3, 8, v15
	v_mov_b32_e32 v27, v2
	s_delay_alu instid0(VALU_DEP_2)
	v_or_b32_e32 v2, v14, v3
	s_wait_dscnt 0x0
	v_dual_mov_b32 v24, v20 :: v_dual_mov_b32 v25, v21
	ds_store_b128 v19, v[22:25]
	ds_store_b64 v10, v[26:27]
	ds_store_b16 v11, v2
.LBB51_11:
	s_wait_alu 0xfffe
	s_or_b32 exec_lo, exec_lo, s2
	v_sub_nc_u32_e32 v15, v18, v13
	s_wait_loadcnt_dscnt 0x0
	s_barrier_signal -1
	s_barrier_wait -1
	global_inv scope:SCOPE_SE
	v_lshl_add_u32 v14, v15, 2, v16
	v_add_nc_u32_e32 v13, v17, v15
	v_bfe_u32 v21, v6, 1, 1
	v_lshl_add_u32 v15, v15, 3, v12
	ds_load_2addr_b32 v[2:3], v14 offset1:2
	ds_load_u8 v20, v13
	ds_load_u8 v22, v13 offset:2
	s_wait_dscnt 0x2
	v_cmp_u_f32_e64 s2, v2, v2
	s_wait_dscnt 0x1
	v_and_b32_e32 v23, 1, v20
	s_wait_dscnt 0x0
	v_cmp_ne_u16_e64 s5, v22, v21
	v_cmp_o_f32_e64 s3, v3, v3
	v_cmp_gt_f32_e64 s4, v2, v3
	s_wait_alu 0xf1ff
	s_delay_alu instid0(VALU_DEP_3)
	v_cndmask_b32_e64 v24, 0, 1, s5
	v_cmp_eq_u32_e64 s5, 1, v23
	s_and_b32 s2, s2, s3
	s_wait_alu 0xfffe
	s_or_b32 s2, s2, s4
	s_wait_alu 0xfffe
	s_and_b32 s2, s2, s5
	s_wait_alu 0xfffe
	v_cndmask_b32_e64 v23, v24, v21, s2
	v_and_b32_e32 v21, 2, v6
	s_delay_alu instid0(VALU_DEP_2) | instskip(NEXT) | instid1(VALU_DEP_2)
	v_and_b32_e32 v23, 1, v23
	v_cmp_ne_u32_e64 s2, 0, v21
	s_delay_alu instid0(VALU_DEP_2)
	v_cmp_eq_u32_e64 s3, 1, v23
	s_and_saveexec_b32 s4, s3
	s_wait_alu 0xfffe
	s_xor_b32 s3, exec_lo, s4
	s_cbranch_execz .LBB51_13
; %bb.12:
	ds_load_2addr_b64 v[23:26], v15 offset1:2
	ds_store_2addr_b32 v14, v3, v2 offset1:2
	s_wait_dscnt 0x1
	ds_store_2addr_b64 v15, v[25:26], v[23:24] offset1:2
	ds_store_b8 v13, v22
	ds_store_b8 v13, v20 offset:2
.LBB51_13:
	s_wait_alu 0xfffe
	s_or_b32 exec_lo, exec_lo, s3
	s_wait_loadcnt_dscnt 0x0
	s_barrier_signal -1
	s_barrier_wait -1
	global_inv scope:SCOPE_SE
	ds_load_u16 v20, v11
	ds_load_b64 v[2:3], v10
	v_lshrrev_b32_e32 v22, 1, v21
	v_cndmask_b32_e64 v23, 0, 1, s2
	s_wait_dscnt 0x1
	v_lshrrev_b16 v21, 8, v20
	v_and_b32_e32 v24, 1, v20
	s_wait_dscnt 0x0
	v_cmp_u_f32_e64 s2, v2, v2
	v_cmp_o_f32_e64 s3, v3, v3
	v_cmp_gt_f32_e64 s4, v2, v3
	v_cmp_ne_u16_e64 s6, v21, v22
	v_cmp_eq_u32_e64 s5, 1, v24
	s_and_b32 s2, s2, s3
	s_mov_b32 s3, exec_lo
	v_cndmask_b32_e64 v22, 0, 1, s6
	s_wait_alu 0xfffe
	s_or_b32 s2, s2, s4
	s_wait_alu 0xfffe
	s_and_b32 s2, s2, s5
	s_wait_alu 0xfffe
	v_cndmask_b32_e64 v22, v22, v23, s2
	s_delay_alu instid0(VALU_DEP_1) | instskip(NEXT) | instid1(VALU_DEP_1)
	v_and_b32_e32 v22, 1, v22
	v_cmpx_eq_u32_e32 1, v22
	s_cbranch_execz .LBB51_15
; %bb.14:
	ds_load_b128 v[22:25], v19
	v_mov_b32_e32 v28, v3
	v_lshlrev_b16 v3, 8, v20
	v_mov_b32_e32 v29, v2
	s_delay_alu instid0(VALU_DEP_2)
	v_or_b32_e32 v2, v21, v3
	s_wait_dscnt 0x0
	v_dual_mov_b32 v26, v22 :: v_dual_mov_b32 v27, v23
	ds_store_b128 v19, v[24:27]
	ds_store_b64 v10, v[28:29]
	ds_store_b16 v11, v2
.LBB51_15:
	s_or_b32 exec_lo, exec_lo, s3
	v_and_b32_e32 v2, 3, v6
	s_wait_loadcnt_dscnt 0x0
	s_barrier_signal -1
	s_barrier_wait -1
	global_inv scope:SCOPE_SE
	v_sub_nc_u32_e32 v22, v18, v2
	v_bfe_u32 v21, v6, 2, 1
	s_delay_alu instid0(VALU_DEP_2)
	v_lshl_add_u32 v20, v22, 2, v16
	v_add_nc_u32_e32 v19, v17, v22
	v_lshl_add_u32 v22, v22, 3, v12
	ds_load_2addr_b32 v[2:3], v20 offset1:4
	ds_load_u8 v23, v19
	ds_load_u8 v24, v19 offset:4
	s_wait_dscnt 0x2
	v_cmp_u_f32_e64 s2, v2, v2
	s_wait_dscnt 0x1
	v_and_b32_e32 v25, 1, v23
	s_wait_dscnt 0x0
	v_cmp_ne_u16_e64 s5, v24, v21
	v_cmp_o_f32_e64 s3, v3, v3
	v_cmp_gt_f32_e64 s4, v2, v3
	s_wait_alu 0xf1ff
	s_delay_alu instid0(VALU_DEP_3)
	v_cndmask_b32_e64 v26, 0, 1, s5
	v_cmp_eq_u32_e64 s5, 1, v25
	s_and_b32 s2, s2, s3
	s_wait_alu 0xfffe
	s_or_b32 s2, s2, s4
	s_mov_b32 s4, exec_lo
	s_wait_alu 0xfffe
	s_and_b32 s2, s2, s5
	s_wait_alu 0xfffe
	v_cndmask_b32_e64 v25, v26, v21, s2
	v_and_b32_e32 v21, 4, v6
	s_delay_alu instid0(VALU_DEP_2) | instskip(NEXT) | instid1(VALU_DEP_2)
	v_and_b32_e32 v25, 1, v25
	v_cmp_ne_u32_e64 s2, 0, v21
	s_delay_alu instid0(VALU_DEP_2)
	v_cmpx_eq_u32_e32 1, v25
	s_cbranch_execz .LBB51_17
; %bb.16:
	ds_load_2addr_b64 v[25:28], v22 offset1:4
	ds_store_2addr_b32 v20, v3, v2 offset1:4
	s_wait_dscnt 0x1
	ds_store_2addr_b64 v22, v[27:28], v[25:26] offset1:4
	ds_store_b8 v19, v24
	ds_store_b8 v19, v23 offset:4
.LBB51_17:
	s_or_b32 exec_lo, exec_lo, s4
	s_wait_loadcnt_dscnt 0x0
	s_barrier_signal -1
	s_barrier_wait -1
	global_inv scope:SCOPE_SE
	ds_load_2addr_b32 v[2:3], v14 offset1:2
	ds_load_u8 v24, v13
	ds_load_u8 v25, v13 offset:2
	v_lshrrev_b32_e32 v21, 2, v21
	v_cndmask_b32_e64 v23, 0, 1, s2
	s_wait_dscnt 0x2
	v_cmp_u_f32_e64 s2, v2, v2
	s_wait_dscnt 0x1
	v_and_b32_e32 v26, 1, v24
	s_wait_dscnt 0x0
	v_cmp_ne_u16_e64 s5, v25, v21
	v_cmp_o_f32_e64 s3, v3, v3
	v_cmp_gt_f32_e64 s4, v2, v3
	s_wait_alu 0xf1ff
	s_delay_alu instid0(VALU_DEP_3)
	v_cndmask_b32_e64 v27, 0, 1, s5
	v_cmp_eq_u32_e64 s5, 1, v26
	s_and_b32 s2, s2, s3
	s_mov_b32 s3, exec_lo
	s_wait_alu 0xfffe
	s_or_b32 s2, s2, s4
	s_wait_alu 0xfffe
	s_and_b32 s2, s2, s5
	s_wait_alu 0xfffe
	v_cndmask_b32_e64 v26, v27, v23, s2
	s_delay_alu instid0(VALU_DEP_1) | instskip(NEXT) | instid1(VALU_DEP_1)
	v_and_b32_e32 v26, 1, v26
	v_cmpx_eq_u32_e32 1, v26
	s_cbranch_execz .LBB51_19
; %bb.18:
	ds_load_2addr_b64 v[26:29], v15 offset1:2
	ds_store_2addr_b32 v14, v3, v2 offset1:2
	s_wait_dscnt 0x1
	ds_store_2addr_b64 v15, v[28:29], v[26:27] offset1:2
	ds_store_b8 v13, v25
	ds_store_b8 v13, v24 offset:2
.LBB51_19:
	s_or_b32 exec_lo, exec_lo, s3
	s_wait_loadcnt_dscnt 0x0
	s_barrier_signal -1
	s_barrier_wait -1
	global_inv scope:SCOPE_SE
	ds_load_b64 v[2:3], v10
	ds_load_u16 v25, v11
	s_wait_dscnt 0x1
	v_cmp_u_f32_e64 s2, v2, v2
	v_cmp_o_f32_e64 s3, v3, v3
	s_wait_dscnt 0x0
	v_lshrrev_b16 v24, 8, v25
	v_and_b32_e32 v26, 1, v25
	v_cmp_gt_f32_e64 s4, v2, v3
	s_and_b32 s5, s2, s3
	v_cmp_ne_u16_e64 s3, v24, v21
	v_cmp_eq_u32_e64 s2, 1, v26
	s_wait_alu 0xf1ff
	s_delay_alu instid0(VALU_DEP_2)
	v_cndmask_b32_e64 v21, 0, 1, s3
	s_wait_alu 0xfffe
	s_or_b32 s3, s5, s4
	s_wait_alu 0xfffe
	s_and_b32 s2, s3, s2
	s_wait_alu 0xfffe
	v_cndmask_b32_e64 v21, v21, v23, s2
	s_delay_alu instid0(VALU_DEP_1) | instskip(NEXT) | instid1(VALU_DEP_1)
	v_and_b32_e32 v21, 1, v21
	v_cmp_eq_u32_e64 s2, 1, v21
	v_lshl_add_u32 v21, v18, 3, v12
	s_and_saveexec_b32 s3, s2
	s_cbranch_execz .LBB51_21
; %bb.20:
	ds_load_b128 v[26:29], v21
	v_mov_b32_e32 v32, v3
	v_lshlrev_b16 v3, 8, v25
	v_mov_b32_e32 v33, v2
	s_delay_alu instid0(VALU_DEP_2)
	v_or_b32_e32 v2, v24, v3
	s_wait_dscnt 0x0
	v_dual_mov_b32 v30, v26 :: v_dual_mov_b32 v31, v27
	ds_store_b128 v21, v[28:31]
	ds_store_b64 v10, v[32:33]
	ds_store_b16 v11, v2
.LBB51_21:
	s_wait_alu 0xfffe
	s_or_b32 exec_lo, exec_lo, s3
	v_and_b32_e32 v2, 7, v6
	s_wait_loadcnt_dscnt 0x0
	s_barrier_signal -1
	s_barrier_wait -1
	global_inv scope:SCOPE_SE
	v_sub_nc_u32_e32 v25, v18, v2
	v_bfe_u32 v26, v6, 3, 1
	s_delay_alu instid0(VALU_DEP_2)
	v_lshl_add_u32 v24, v25, 2, v16
	v_add_nc_u32_e32 v23, v17, v25
	v_lshl_add_u32 v25, v25, 3, v12
	ds_load_2addr_b32 v[2:3], v24 offset1:8
	ds_load_u8 v27, v23
	ds_load_u8 v28, v23 offset:8
	s_wait_dscnt 0x2
	v_cmp_u_f32_e64 s2, v2, v2
	s_wait_dscnt 0x1
	v_and_b32_e32 v29, 1, v27
	s_wait_dscnt 0x0
	v_cmp_ne_u16_e64 s5, v28, v26
	v_cmp_o_f32_e64 s3, v3, v3
	v_cmp_gt_f32_e64 s4, v2, v3
	s_wait_alu 0xf1ff
	s_delay_alu instid0(VALU_DEP_3)
	v_cndmask_b32_e64 v30, 0, 1, s5
	v_cmp_eq_u32_e64 s5, 1, v29
	s_and_b32 s2, s2, s3
	s_wait_alu 0xfffe
	s_or_b32 s2, s2, s4
	s_mov_b32 s4, exec_lo
	s_wait_alu 0xfffe
	s_and_b32 s2, s2, s5
	s_wait_alu 0xfffe
	v_cndmask_b32_e64 v29, v30, v26, s2
	v_and_b32_e32 v26, 8, v6
	s_delay_alu instid0(VALU_DEP_2) | instskip(NEXT) | instid1(VALU_DEP_2)
	v_and_b32_e32 v29, 1, v29
	v_cmp_ne_u32_e64 s2, 0, v26
	s_delay_alu instid0(VALU_DEP_2)
	v_cmpx_eq_u32_e32 1, v29
	s_cbranch_execz .LBB51_23
; %bb.22:
	ds_load_2addr_b64 v[29:32], v25 offset1:8
	ds_store_2addr_b32 v24, v3, v2 offset1:8
	s_wait_dscnt 0x1
	ds_store_2addr_b64 v25, v[31:32], v[29:30] offset1:8
	ds_store_b8 v23, v28
	ds_store_b8 v23, v27 offset:8
.LBB51_23:
	s_or_b32 exec_lo, exec_lo, s4
	s_wait_loadcnt_dscnt 0x0
	s_barrier_signal -1
	s_barrier_wait -1
	global_inv scope:SCOPE_SE
	ds_load_2addr_b32 v[2:3], v20 offset1:4
	ds_load_u8 v28, v19
	ds_load_u8 v29, v19 offset:4
	v_lshrrev_b32_e32 v26, 3, v26
	v_cndmask_b32_e64 v27, 0, 1, s2
	s_wait_dscnt 0x2
	v_cmp_u_f32_e64 s2, v2, v2
	s_wait_dscnt 0x1
	v_and_b32_e32 v30, 1, v28
	s_wait_dscnt 0x0
	v_cmp_ne_u16_e64 s5, v29, v26
	v_cmp_o_f32_e64 s3, v3, v3
	v_cmp_gt_f32_e64 s4, v2, v3
	s_wait_alu 0xf1ff
	s_delay_alu instid0(VALU_DEP_3)
	v_cndmask_b32_e64 v31, 0, 1, s5
	v_cmp_eq_u32_e64 s5, 1, v30
	s_and_b32 s2, s2, s3
	s_mov_b32 s3, exec_lo
	s_wait_alu 0xfffe
	s_or_b32 s2, s2, s4
	s_wait_alu 0xfffe
	s_and_b32 s2, s2, s5
	s_wait_alu 0xfffe
	v_cndmask_b32_e64 v30, v31, v27, s2
	s_delay_alu instid0(VALU_DEP_1) | instskip(NEXT) | instid1(VALU_DEP_1)
	v_and_b32_e32 v30, 1, v30
	v_cmpx_eq_u32_e32 1, v30
	s_cbranch_execz .LBB51_25
; %bb.24:
	ds_load_2addr_b64 v[30:33], v22 offset1:4
	ds_store_2addr_b32 v20, v3, v2 offset1:4
	s_wait_dscnt 0x1
	ds_store_2addr_b64 v22, v[32:33], v[30:31] offset1:4
	ds_store_b8 v19, v29
	ds_store_b8 v19, v28 offset:4
.LBB51_25:
	s_or_b32 exec_lo, exec_lo, s3
	s_wait_loadcnt_dscnt 0x0
	s_barrier_signal -1
	s_barrier_wait -1
	global_inv scope:SCOPE_SE
	ds_load_2addr_b32 v[2:3], v14 offset1:2
	ds_load_u8 v28, v13
	ds_load_u8 v29, v13 offset:2
	s_wait_dscnt 0x2
	v_cmp_u_f32_e64 s2, v2, v2
	s_wait_dscnt 0x1
	v_and_b32_e32 v30, 1, v28
	s_wait_dscnt 0x0
	v_cmp_ne_u16_e64 s5, v29, v26
	v_cmp_o_f32_e64 s3, v3, v3
	v_cmp_gt_f32_e64 s4, v2, v3
	s_wait_alu 0xf1ff
	s_delay_alu instid0(VALU_DEP_3)
	v_cndmask_b32_e64 v31, 0, 1, s5
	v_cmp_eq_u32_e64 s5, 1, v30
	s_and_b32 s2, s2, s3
	s_mov_b32 s3, exec_lo
	s_wait_alu 0xfffe
	s_or_b32 s2, s2, s4
	s_wait_alu 0xfffe
	s_and_b32 s2, s2, s5
	s_wait_alu 0xfffe
	v_cndmask_b32_e64 v30, v31, v27, s2
	s_delay_alu instid0(VALU_DEP_1) | instskip(NEXT) | instid1(VALU_DEP_1)
	v_and_b32_e32 v30, 1, v30
	v_cmpx_eq_u32_e32 1, v30
	s_cbranch_execz .LBB51_27
; %bb.26:
	ds_load_2addr_b64 v[30:33], v15 offset1:2
	ds_store_2addr_b32 v14, v3, v2 offset1:2
	s_wait_dscnt 0x1
	ds_store_2addr_b64 v15, v[32:33], v[30:31] offset1:2
	ds_store_b8 v13, v29
	ds_store_b8 v13, v28 offset:2
.LBB51_27:
	s_or_b32 exec_lo, exec_lo, s3
	s_wait_loadcnt_dscnt 0x0
	s_barrier_signal -1
	s_barrier_wait -1
	global_inv scope:SCOPE_SE
	ds_load_u16 v29, v11
	ds_load_b64 v[2:3], v10
	s_wait_dscnt 0x1
	v_lshrrev_b16 v28, 8, v29
	v_and_b32_e32 v30, 1, v29
	s_wait_dscnt 0x0
	v_cmp_u_f32_e64 s2, v2, v2
	v_cmp_o_f32_e64 s3, v3, v3
	v_cmp_gt_f32_e64 s4, v2, v3
	v_cmp_ne_u16_e64 s6, v28, v26
	v_cmp_eq_u32_e64 s5, 1, v30
	s_and_b32 s2, s2, s3
	s_mov_b32 s3, exec_lo
	v_cndmask_b32_e64 v26, 0, 1, s6
	s_wait_alu 0xfffe
	s_or_b32 s2, s2, s4
	s_wait_alu 0xfffe
	s_and_b32 s2, s2, s5
	s_wait_alu 0xfffe
	v_cndmask_b32_e64 v26, v26, v27, s2
	s_delay_alu instid0(VALU_DEP_1) | instskip(NEXT) | instid1(VALU_DEP_1)
	v_and_b32_e32 v26, 1, v26
	v_cmpx_eq_u32_e32 1, v26
	s_cbranch_execz .LBB51_29
; %bb.28:
	ds_load_b128 v[30:33], v21
	v_mov_b32_e32 v26, v3
	v_lshlrev_b16 v3, 8, v29
	v_mov_b32_e32 v27, v2
	s_delay_alu instid0(VALU_DEP_2)
	v_or_b32_e32 v2, v28, v3
	s_wait_dscnt 0x0
	v_dual_mov_b32 v34, v30 :: v_dual_mov_b32 v35, v31
	ds_store_b128 v21, v[32:35]
	ds_store_b64 v10, v[26:27]
	ds_store_b16 v11, v2
.LBB51_29:
	s_or_b32 exec_lo, exec_lo, s3
	v_and_b32_e32 v2, 15, v6
	s_wait_loadcnt_dscnt 0x0
	s_barrier_signal -1
	s_barrier_wait -1
	global_inv scope:SCOPE_SE
	v_sub_nc_u32_e32 v26, v18, v2
	s_delay_alu instid0(VALU_DEP_1)
	v_lshl_add_u32 v18, v26, 2, v16
	v_add_nc_u32_e32 v16, v17, v26
	ds_load_2addr_b32 v[2:3], v18 offset1:16
	ds_load_u8 v17, v16
	ds_load_u8 v27, v16 offset:16
	s_wait_dscnt 0x2
	v_cmp_u_f32_e64 s2, v2, v2
	s_wait_dscnt 0x1
	v_and_b32_e32 v28, 1, v17
	v_cmp_o_f32_e64 s3, v3, v3
	v_cmp_gt_f32_e64 s4, v2, v3
	s_wait_dscnt 0x0
	v_and_b32_e32 v27, 0xff, v27
	v_cmp_eq_u32_e64 s5, 1, v28
	s_and_b32 s2, s2, s3
	s_wait_alu 0xfffe
	s_or_b32 s3, s2, s4
	v_cmp_ne_u16_e64 s2, 0, v27
	s_wait_alu 0xfffe
	s_and_b32 s3, s3, s5
	s_wait_alu 0xfffe
	s_xor_b32 s3, s3, -1
	s_wait_alu 0xfffe
	s_and_b32 s3, s3, s2
	s_wait_alu 0xfffe
	s_and_saveexec_b32 s2, s3
	s_cbranch_execz .LBB51_31
; %bb.30:
	v_lshl_add_u32 v12, v26, 3, v12
	v_mov_b32_e32 v30, 1
	ds_load_2addr_b64 v[26:29], v12 offset1:16
	ds_store_2addr_b32 v18, v3, v2 offset1:16
	s_wait_dscnt 0x1
	ds_store_2addr_b64 v12, v[28:29], v[26:27] offset1:16
	ds_store_b8 v16, v30
	ds_store_b8 v16, v17 offset:16
.LBB51_31:
	s_wait_alu 0xfffe
	s_or_b32 exec_lo, exec_lo, s2
	s_wait_loadcnt_dscnt 0x0
	s_barrier_signal -1
	s_barrier_wait -1
	global_inv scope:SCOPE_SE
	ds_load_2addr_b32 v[2:3], v24 offset1:8
	ds_load_u8 v12, v23
	ds_load_u8 v16, v23 offset:8
	s_wait_dscnt 0x2
	v_cmp_u_f32_e64 s2, v2, v2
	s_wait_dscnt 0x1
	v_and_b32_e32 v17, 1, v12
	v_cmp_o_f32_e64 s3, v3, v3
	v_cmp_gt_f32_e64 s4, v2, v3
	s_wait_dscnt 0x0
	v_and_b32_e32 v16, 0xff, v16
	v_cmp_eq_u32_e64 s5, 1, v17
	s_and_b32 s2, s2, s3
	s_wait_alu 0xfffe
	s_or_b32 s3, s2, s4
	v_cmp_ne_u16_e64 s2, 0, v16
	s_wait_alu 0xfffe
	s_and_b32 s3, s3, s5
	s_wait_alu 0xfffe
	s_xor_b32 s3, s3, -1
	s_wait_alu 0xfffe
	s_and_b32 s3, s3, s2
	s_wait_alu 0xfffe
	s_and_saveexec_b32 s2, s3
	s_cbranch_execz .LBB51_33
; %bb.32:
	ds_load_2addr_b64 v[26:29], v25 offset1:8
	v_mov_b32_e32 v16, 1
	ds_store_2addr_b32 v24, v3, v2 offset1:8
	s_wait_dscnt 0x1
	ds_store_2addr_b64 v25, v[28:29], v[26:27] offset1:8
	ds_store_b8 v23, v16
	ds_store_b8 v23, v12 offset:8
.LBB51_33:
	s_wait_alu 0xfffe
	s_or_b32 exec_lo, exec_lo, s2
	s_wait_loadcnt_dscnt 0x0
	s_barrier_signal -1
	s_barrier_wait -1
	global_inv scope:SCOPE_SE
	ds_load_2addr_b32 v[2:3], v20 offset1:4
	ds_load_u8 v12, v19
	ds_load_u8 v16, v19 offset:4
	s_wait_dscnt 0x2
	v_cmp_u_f32_e64 s2, v2, v2
	s_wait_dscnt 0x1
	v_and_b32_e32 v17, 1, v12
	v_cmp_o_f32_e64 s3, v3, v3
	v_cmp_gt_f32_e64 s4, v2, v3
	s_wait_dscnt 0x0
	v_and_b32_e32 v16, 0xff, v16
	v_cmp_eq_u32_e64 s5, 1, v17
	s_and_b32 s2, s2, s3
	s_wait_alu 0xfffe
	s_or_b32 s3, s2, s4
	v_cmp_ne_u16_e64 s2, 0, v16
	s_wait_alu 0xfffe
	s_and_b32 s3, s3, s5
	s_wait_alu 0xfffe
	s_xor_b32 s3, s3, -1
	s_wait_alu 0xfffe
	s_and_b32 s3, s3, s2
	s_wait_alu 0xfffe
	s_and_saveexec_b32 s2, s3
	s_cbranch_execz .LBB51_35
; %bb.34:
	ds_load_2addr_b64 v[23:26], v22 offset1:4
	v_mov_b32_e32 v16, 1
	ds_store_2addr_b32 v20, v3, v2 offset1:4
	s_wait_dscnt 0x1
	ds_store_2addr_b64 v22, v[25:26], v[23:24] offset1:4
	ds_store_b8 v19, v16
	ds_store_b8 v19, v12 offset:4
.LBB51_35:
	;; [unrolled: 40-line block ×3, first 2 shown]
	s_wait_alu 0xfffe
	s_or_b32 exec_lo, exec_lo, s2
	s_wait_loadcnt_dscnt 0x0
	s_barrier_signal -1
	s_barrier_wait -1
	global_inv scope:SCOPE_SE
	ds_load_b64 v[2:3], v10
	ds_load_u16 v12, v11
	s_wait_dscnt 0x1
	v_cmp_u_f32_e64 s2, v2, v2
	s_wait_dscnt 0x0
	v_and_b32_e32 v13, 1, v12
	v_cmp_o_f32_e64 s3, v3, v3
	v_cmp_gt_f32_e64 s4, v2, v3
	v_lshrrev_b16 v14, 8, v12
	s_delay_alu instid0(VALU_DEP_4)
	v_cmp_eq_u32_e64 s5, 1, v13
	s_and_b32 s2, s2, s3
	s_wait_alu 0xfffe
	s_or_b32 s3, s2, s4
	v_cmp_ne_u16_e64 s2, 0, v14
	s_wait_alu 0xfffe
	s_and_b32 s3, s3, s5
	s_wait_alu 0xfffe
	s_xor_b32 s3, s3, -1
	s_wait_alu 0xfffe
	s_and_b32 s3, s3, s2
	s_wait_alu 0xfffe
	s_and_saveexec_b32 s2, s3
	s_cbranch_execz .LBB51_39
; %bb.38:
	ds_load_b128 v[13:16], v21
	v_mov_b32_e32 v19, v3
	v_lshlrev_b16 v3, 8, v12
	v_mov_b32_e32 v20, v2
	s_delay_alu instid0(VALU_DEP_2)
	v_or_b32_e32 v2, 1, v3
	s_wait_dscnt 0x0
	v_dual_mov_b32 v17, v13 :: v_dual_mov_b32 v18, v14
	ds_store_b128 v21, v[15:18]
	ds_store_b64 v10, v[19:20]
	ds_store_b16 v11, v2
.LBB51_39:
	s_wait_alu 0xfffe
	s_or_b32 exec_lo, exec_lo, s2
	s_wait_loadcnt_dscnt 0x0
	s_barrier_signal -1
	s_barrier_wait -1
	global_inv scope:SCOPE_SE
	s_and_saveexec_b32 s2, s0
	s_cbranch_execz .LBB51_44
; %bb.40:
	s_and_saveexec_b32 s0, vcc_lo
	s_cbranch_execz .LBB51_42
; %bb.41:
	v_mad_co_u64_u32 v[2:3], null, v6, s10, v[1:2]
	v_mov_b32_e32 v3, 0
	v_mad_co_u64_u32 v[10:11], null, v6, s7, v[0:1]
	ds_load_b32 v6, v8
	ds_load_b64 v[8:9], v9
	v_mov_b32_e32 v11, v3
	v_lshlrev_b64_e32 v[2:3], 2, v[2:3]
	s_delay_alu instid0(VALU_DEP_2) | instskip(NEXT) | instid1(VALU_DEP_2)
	v_lshlrev_b64_e32 v[10:11], 3, v[10:11]
	v_add_co_u32 v2, vcc_lo, s12, v2
	s_wait_alu 0xfffd
	s_delay_alu instid0(VALU_DEP_3) | instskip(NEXT) | instid1(VALU_DEP_3)
	v_add_co_ci_u32_e64 v3, null, s13, v3, vcc_lo
	v_add_co_u32 v10, vcc_lo, s14, v10
	s_wait_alu 0xfffd
	v_add_co_ci_u32_e64 v11, null, s15, v11, vcc_lo
	s_wait_dscnt 0x1
	global_store_b32 v[2:3], v6, off
	s_wait_dscnt 0x0
	global_store_b64 v[10:11], v[8:9], off
.LBB51_42:
	s_wait_alu 0xfffe
	s_or_b32 exec_lo, exec_lo, s0
	s_delay_alu instid0(SALU_CYCLE_1)
	s_and_b32 exec_lo, exec_lo, s1
	s_cbranch_execz .LBB51_44
; %bb.43:
	v_mad_co_u64_u32 v[1:2], null, v7, s10, v[1:2]
	v_mov_b32_e32 v2, 0
	ds_load_b32 v8, v4
	ds_load_b64 v[3:4], v5
	v_mad_co_u64_u32 v[6:7], null, v7, s7, v[0:1]
	v_mov_b32_e32 v7, v2
	v_lshlrev_b64_e32 v[0:1], 2, v[1:2]
	s_delay_alu instid0(VALU_DEP_2) | instskip(NEXT) | instid1(VALU_DEP_2)
	v_lshlrev_b64_e32 v[5:6], 3, v[6:7]
	v_add_co_u32 v0, vcc_lo, s12, v0
	s_wait_alu 0xfffd
	s_delay_alu instid0(VALU_DEP_3) | instskip(NEXT) | instid1(VALU_DEP_3)
	v_add_co_ci_u32_e64 v1, null, s13, v1, vcc_lo
	v_add_co_u32 v5, vcc_lo, s14, v5
	s_wait_alu 0xfffd
	v_add_co_ci_u32_e64 v6, null, s15, v6, vcc_lo
	s_wait_dscnt 0x1
	global_store_b32 v[0:1], v8, off
	s_wait_dscnt 0x0
	global_store_b64 v[5:6], v[3:4], off
.LBB51_44:
	s_endpgm
	.section	.rodata,"a",@progbits
	.p2align	6, 0x0
	.amdhsa_kernel _ZN2at6native20bitonicSortKVInPlaceILi2ELin1ELi16ELi16EflNS0_4GTOpIfLb1EEEjEEvNS_4cuda6detail10TensorInfoIT3_T6_EES8_S8_S8_NS6_IT4_S8_EES8_T5_
		.amdhsa_group_segment_fixed_size 6656
		.amdhsa_private_segment_fixed_size 0
		.amdhsa_kernarg_size 712
		.amdhsa_user_sgpr_count 2
		.amdhsa_user_sgpr_dispatch_ptr 0
		.amdhsa_user_sgpr_queue_ptr 0
		.amdhsa_user_sgpr_kernarg_segment_ptr 1
		.amdhsa_user_sgpr_dispatch_id 0
		.amdhsa_user_sgpr_private_segment_size 0
		.amdhsa_wavefront_size32 1
		.amdhsa_uses_dynamic_stack 0
		.amdhsa_enable_private_segment 0
		.amdhsa_system_sgpr_workgroup_id_x 1
		.amdhsa_system_sgpr_workgroup_id_y 1
		.amdhsa_system_sgpr_workgroup_id_z 1
		.amdhsa_system_sgpr_workgroup_info 0
		.amdhsa_system_vgpr_workitem_id 1
		.amdhsa_next_free_vgpr 36
		.amdhsa_next_free_sgpr 19
		.amdhsa_reserve_vcc 1
		.amdhsa_float_round_mode_32 0
		.amdhsa_float_round_mode_16_64 0
		.amdhsa_float_denorm_mode_32 3
		.amdhsa_float_denorm_mode_16_64 3
		.amdhsa_fp16_overflow 0
		.amdhsa_workgroup_processor_mode 1
		.amdhsa_memory_ordered 1
		.amdhsa_forward_progress 1
		.amdhsa_inst_pref_size 40
		.amdhsa_round_robin_scheduling 0
		.amdhsa_exception_fp_ieee_invalid_op 0
		.amdhsa_exception_fp_denorm_src 0
		.amdhsa_exception_fp_ieee_div_zero 0
		.amdhsa_exception_fp_ieee_overflow 0
		.amdhsa_exception_fp_ieee_underflow 0
		.amdhsa_exception_fp_ieee_inexact 0
		.amdhsa_exception_int_div_zero 0
	.end_amdhsa_kernel
	.section	.text._ZN2at6native20bitonicSortKVInPlaceILi2ELin1ELi16ELi16EflNS0_4GTOpIfLb1EEEjEEvNS_4cuda6detail10TensorInfoIT3_T6_EES8_S8_S8_NS6_IT4_S8_EES8_T5_,"axG",@progbits,_ZN2at6native20bitonicSortKVInPlaceILi2ELin1ELi16ELi16EflNS0_4GTOpIfLb1EEEjEEvNS_4cuda6detail10TensorInfoIT3_T6_EES8_S8_S8_NS6_IT4_S8_EES8_T5_,comdat
.Lfunc_end51:
	.size	_ZN2at6native20bitonicSortKVInPlaceILi2ELin1ELi16ELi16EflNS0_4GTOpIfLb1EEEjEEvNS_4cuda6detail10TensorInfoIT3_T6_EES8_S8_S8_NS6_IT4_S8_EES8_T5_, .Lfunc_end51-_ZN2at6native20bitonicSortKVInPlaceILi2ELin1ELi16ELi16EflNS0_4GTOpIfLb1EEEjEEvNS_4cuda6detail10TensorInfoIT3_T6_EES8_S8_S8_NS6_IT4_S8_EES8_T5_
                                        ; -- End function
	.set _ZN2at6native20bitonicSortKVInPlaceILi2ELin1ELi16ELi16EflNS0_4GTOpIfLb1EEEjEEvNS_4cuda6detail10TensorInfoIT3_T6_EES8_S8_S8_NS6_IT4_S8_EES8_T5_.num_vgpr, 36
	.set _ZN2at6native20bitonicSortKVInPlaceILi2ELin1ELi16ELi16EflNS0_4GTOpIfLb1EEEjEEvNS_4cuda6detail10TensorInfoIT3_T6_EES8_S8_S8_NS6_IT4_S8_EES8_T5_.num_agpr, 0
	.set _ZN2at6native20bitonicSortKVInPlaceILi2ELin1ELi16ELi16EflNS0_4GTOpIfLb1EEEjEEvNS_4cuda6detail10TensorInfoIT3_T6_EES8_S8_S8_NS6_IT4_S8_EES8_T5_.numbered_sgpr, 19
	.set _ZN2at6native20bitonicSortKVInPlaceILi2ELin1ELi16ELi16EflNS0_4GTOpIfLb1EEEjEEvNS_4cuda6detail10TensorInfoIT3_T6_EES8_S8_S8_NS6_IT4_S8_EES8_T5_.num_named_barrier, 0
	.set _ZN2at6native20bitonicSortKVInPlaceILi2ELin1ELi16ELi16EflNS0_4GTOpIfLb1EEEjEEvNS_4cuda6detail10TensorInfoIT3_T6_EES8_S8_S8_NS6_IT4_S8_EES8_T5_.private_seg_size, 0
	.set _ZN2at6native20bitonicSortKVInPlaceILi2ELin1ELi16ELi16EflNS0_4GTOpIfLb1EEEjEEvNS_4cuda6detail10TensorInfoIT3_T6_EES8_S8_S8_NS6_IT4_S8_EES8_T5_.uses_vcc, 1
	.set _ZN2at6native20bitonicSortKVInPlaceILi2ELin1ELi16ELi16EflNS0_4GTOpIfLb1EEEjEEvNS_4cuda6detail10TensorInfoIT3_T6_EES8_S8_S8_NS6_IT4_S8_EES8_T5_.uses_flat_scratch, 0
	.set _ZN2at6native20bitonicSortKVInPlaceILi2ELin1ELi16ELi16EflNS0_4GTOpIfLb1EEEjEEvNS_4cuda6detail10TensorInfoIT3_T6_EES8_S8_S8_NS6_IT4_S8_EES8_T5_.has_dyn_sized_stack, 0
	.set _ZN2at6native20bitonicSortKVInPlaceILi2ELin1ELi16ELi16EflNS0_4GTOpIfLb1EEEjEEvNS_4cuda6detail10TensorInfoIT3_T6_EES8_S8_S8_NS6_IT4_S8_EES8_T5_.has_recursion, 0
	.set _ZN2at6native20bitonicSortKVInPlaceILi2ELin1ELi16ELi16EflNS0_4GTOpIfLb1EEEjEEvNS_4cuda6detail10TensorInfoIT3_T6_EES8_S8_S8_NS6_IT4_S8_EES8_T5_.has_indirect_call, 0
	.section	.AMDGPU.csdata,"",@progbits
; Kernel info:
; codeLenInByte = 5108
; TotalNumSgprs: 21
; NumVgprs: 36
; ScratchSize: 0
; MemoryBound: 0
; FloatMode: 240
; IeeeMode: 1
; LDSByteSize: 6656 bytes/workgroup (compile time only)
; SGPRBlocks: 0
; VGPRBlocks: 4
; NumSGPRsForWavesPerEU: 21
; NumVGPRsForWavesPerEU: 36
; Occupancy: 16
; WaveLimiterHint : 1
; COMPUTE_PGM_RSRC2:SCRATCH_EN: 0
; COMPUTE_PGM_RSRC2:USER_SGPR: 2
; COMPUTE_PGM_RSRC2:TRAP_HANDLER: 0
; COMPUTE_PGM_RSRC2:TGID_X_EN: 1
; COMPUTE_PGM_RSRC2:TGID_Y_EN: 1
; COMPUTE_PGM_RSRC2:TGID_Z_EN: 1
; COMPUTE_PGM_RSRC2:TIDIG_COMP_CNT: 1
	.section	.text._ZN2at6native20bitonicSortKVInPlaceILin1ELin1ELi16ELi16EflNS0_4LTOpIfLb1EEEjEEvNS_4cuda6detail10TensorInfoIT3_T6_EES8_S8_S8_NS6_IT4_S8_EES8_T5_,"axG",@progbits,_ZN2at6native20bitonicSortKVInPlaceILin1ELin1ELi16ELi16EflNS0_4LTOpIfLb1EEEjEEvNS_4cuda6detail10TensorInfoIT3_T6_EES8_S8_S8_NS6_IT4_S8_EES8_T5_,comdat
	.protected	_ZN2at6native20bitonicSortKVInPlaceILin1ELin1ELi16ELi16EflNS0_4LTOpIfLb1EEEjEEvNS_4cuda6detail10TensorInfoIT3_T6_EES8_S8_S8_NS6_IT4_S8_EES8_T5_ ; -- Begin function _ZN2at6native20bitonicSortKVInPlaceILin1ELin1ELi16ELi16EflNS0_4LTOpIfLb1EEEjEEvNS_4cuda6detail10TensorInfoIT3_T6_EES8_S8_S8_NS6_IT4_S8_EES8_T5_
	.globl	_ZN2at6native20bitonicSortKVInPlaceILin1ELin1ELi16ELi16EflNS0_4LTOpIfLb1EEEjEEvNS_4cuda6detail10TensorInfoIT3_T6_EES8_S8_S8_NS6_IT4_S8_EES8_T5_
	.p2align	8
	.type	_ZN2at6native20bitonicSortKVInPlaceILin1ELin1ELi16ELi16EflNS0_4LTOpIfLb1EEEjEEvNS_4cuda6detail10TensorInfoIT3_T6_EES8_S8_S8_NS6_IT4_S8_EES8_T5_,@function
_ZN2at6native20bitonicSortKVInPlaceILin1ELin1ELi16ELi16EflNS0_4LTOpIfLb1EEEjEEvNS_4cuda6detail10TensorInfoIT3_T6_EES8_S8_S8_NS6_IT4_S8_EES8_T5_: ; @_ZN2at6native20bitonicSortKVInPlaceILin1ELin1ELi16ELi16EflNS0_4LTOpIfLb1EEEjEEvNS_4cuda6detail10TensorInfoIT3_T6_EES8_S8_S8_NS6_IT4_S8_EES8_T5_
; %bb.0:
	s_clause 0x2
	s_load_b64 s[2:3], s[0:1], 0x1c8
	s_load_u16 s4, s[0:1], 0x1d6
	s_load_b96 s[8:10], s[0:1], 0xd8
	s_lshr_b32 s5, ttmp7, 16
	s_wait_kmcnt 0x0
	s_mul_i32 s3, s3, s5
	s_and_b32 s5, ttmp7, 0xffff
	s_delay_alu instid0(SALU_CYCLE_1) | instskip(NEXT) | instid1(SALU_CYCLE_1)
	s_add_co_i32 s3, s3, s5
	s_mul_i32 s2, s3, s2
	s_delay_alu instid0(SALU_CYCLE_1) | instskip(NEXT) | instid1(SALU_CYCLE_1)
	s_add_co_i32 s3, s2, ttmp9
	s_mul_i32 s3, s3, s4
	s_delay_alu instid0(SALU_CYCLE_1)
	s_cmp_ge_u32 s3, s8
	s_cbranch_scc1 .LBB52_46
; %bb.1:
	s_load_b32 s2, s[0:1], 0xd0
	v_bfe_u32 v8, v0, 10, 10
	s_delay_alu instid0(VALU_DEP_1) | instskip(NEXT) | instid1(VALU_DEP_1)
	v_dual_mov_b32 v1, 0 :: v_dual_add_nc_u32 v6, s3, v8
	v_mov_b32_e32 v3, v6
	s_wait_kmcnt 0x0
	s_cmp_lt_i32 s2, 2
	s_cbranch_scc1 .LBB52_4
; %bb.2:
	s_add_co_i32 s4, s2, -1
	s_mov_b32 s5, 0
	v_mov_b32_e32 v1, 0
	s_lshl_b64 s[4:5], s[4:5], 2
	v_mov_b32_e32 v3, v6
	s_add_nc_u64 s[6:7], s[0:1], s[4:5]
	s_add_co_i32 s4, s2, 1
	s_add_nc_u64 s[2:3], s[6:7], 8
.LBB52_3:                               ; =>This Inner Loop Header: Depth=1
	s_clause 0x1
	s_load_b32 s5, s[2:3], 0x0
	s_load_b32 s6, s[2:3], 0x64
	s_add_co_i32 s4, s4, -1
	s_add_nc_u64 s[2:3], s[2:3], -4
	s_wait_kmcnt 0x0
	s_cvt_f32_u32 s7, s5
	s_sub_co_i32 s11, 0, s5
	s_wait_alu 0xfffe
	s_delay_alu instid0(SALU_CYCLE_1) | instskip(NEXT) | instid1(TRANS32_DEP_1)
	v_rcp_iflag_f32_e32 v2, s7
	v_readfirstlane_b32 s7, v2
	v_mov_b32_e32 v2, v3
	s_mul_f32 s7, s7, 0x4f7ffffe
	s_wait_alu 0xfffe
	s_delay_alu instid0(SALU_CYCLE_2) | instskip(SKIP_1) | instid1(SALU_CYCLE_2)
	s_cvt_u32_f32 s7, s7
	s_wait_alu 0xfffe
	s_mul_i32 s11, s11, s7
	s_delay_alu instid0(SALU_CYCLE_1) | instskip(NEXT) | instid1(SALU_CYCLE_1)
	s_mul_hi_u32 s11, s7, s11
	s_add_co_i32 s7, s7, s11
	s_cmp_gt_u32 s4, 2
	s_wait_alu 0xfffe
	v_mul_hi_u32 v3, v2, s7
	s_delay_alu instid0(VALU_DEP_1) | instskip(SKIP_1) | instid1(VALU_DEP_2)
	v_mul_lo_u32 v4, v3, s5
	v_add_nc_u32_e32 v5, 1, v3
	v_sub_nc_u32_e32 v4, v2, v4
	s_delay_alu instid0(VALU_DEP_1) | instskip(SKIP_2) | instid1(VALU_DEP_2)
	v_subrev_nc_u32_e32 v7, s5, v4
	v_cmp_le_u32_e32 vcc_lo, s5, v4
	s_wait_alu 0xfffd
	v_dual_cndmask_b32 v3, v3, v5 :: v_dual_cndmask_b32 v4, v4, v7
	s_delay_alu instid0(VALU_DEP_1) | instskip(NEXT) | instid1(VALU_DEP_2)
	v_add_nc_u32_e32 v5, 1, v3
	v_cmp_le_u32_e32 vcc_lo, s5, v4
	s_wait_alu 0xfffd
	s_delay_alu instid0(VALU_DEP_2) | instskip(NEXT) | instid1(VALU_DEP_1)
	v_cndmask_b32_e32 v3, v3, v5, vcc_lo
	v_mul_lo_u32 v4, v3, s5
	s_delay_alu instid0(VALU_DEP_1) | instskip(NEXT) | instid1(VALU_DEP_1)
	v_sub_nc_u32_e32 v2, v2, v4
	v_mad_co_u64_u32 v[1:2], null, s6, v2, v[1:2]
	s_cbranch_scc1 .LBB52_3
.LBB52_4:
	s_load_b32 s4, s[0:1], 0x1b8
	v_dual_mov_b32 v4, 0 :: v_dual_mov_b32 v9, v6
	s_add_nc_u64 s[2:3], s[0:1], 0x1c8
	s_wait_kmcnt 0x0
	s_cmp_lt_i32 s4, 2
	s_cbranch_scc1 .LBB52_7
; %bb.5:
	s_add_co_i32 s6, s4, -1
	s_mov_b32 s7, 0
	v_dual_mov_b32 v4, 0 :: v_dual_mov_b32 v9, v6
	s_wait_alu 0xfffe
	s_lshl_b64 s[6:7], s[6:7], 2
	s_wait_alu 0xfffe
	s_add_nc_u64 s[12:13], s[0:1], s[6:7]
	s_add_co_i32 s6, s4, 1
	s_add_nc_u64 s[4:5], s[12:13], 0xf0
.LBB52_6:                               ; =>This Inner Loop Header: Depth=1
	s_clause 0x1
	s_load_b32 s7, s[4:5], 0x0
	s_load_b32 s11, s[4:5], 0x64
	s_add_co_i32 s6, s6, -1
	s_add_nc_u64 s[4:5], s[4:5], -4
	s_wait_kmcnt 0x0
	s_cvt_f32_u32 s12, s7
	s_sub_co_i32 s13, 0, s7
	s_wait_alu 0xfffe
	s_delay_alu instid0(SALU_CYCLE_1) | instskip(NEXT) | instid1(TRANS32_DEP_1)
	v_rcp_iflag_f32_e32 v2, s12
	v_readfirstlane_b32 s12, v2
	v_mov_b32_e32 v2, v9
	s_mul_f32 s12, s12, 0x4f7ffffe
	s_wait_alu 0xfffe
	s_delay_alu instid0(SALU_CYCLE_2) | instskip(SKIP_1) | instid1(SALU_CYCLE_2)
	s_cvt_u32_f32 s12, s12
	s_wait_alu 0xfffe
	s_mul_i32 s13, s13, s12
	s_wait_alu 0xfffe
	s_mul_hi_u32 s13, s12, s13
	s_wait_alu 0xfffe
	s_add_co_i32 s12, s12, s13
	s_cmp_gt_u32 s6, 2
	s_wait_alu 0xfffe
	v_mul_hi_u32 v5, v2, s12
	s_delay_alu instid0(VALU_DEP_1) | instskip(SKIP_1) | instid1(VALU_DEP_2)
	v_mul_lo_u32 v7, v5, s7
	v_add_nc_u32_e32 v9, 1, v5
	v_sub_nc_u32_e32 v7, v2, v7
	s_delay_alu instid0(VALU_DEP_1) | instskip(SKIP_3) | instid1(VALU_DEP_3)
	v_subrev_nc_u32_e32 v10, s7, v7
	v_cmp_le_u32_e32 vcc_lo, s7, v7
	s_wait_alu 0xfffd
	v_cndmask_b32_e32 v5, v5, v9, vcc_lo
	v_cndmask_b32_e32 v7, v7, v10, vcc_lo
	s_delay_alu instid0(VALU_DEP_2) | instskip(NEXT) | instid1(VALU_DEP_2)
	v_add_nc_u32_e32 v9, 1, v5
	v_cmp_le_u32_e32 vcc_lo, s7, v7
	s_wait_alu 0xfffd
	s_delay_alu instid0(VALU_DEP_2) | instskip(NEXT) | instid1(VALU_DEP_1)
	v_cndmask_b32_e32 v9, v5, v9, vcc_lo
	v_mul_lo_u32 v5, v9, s7
	s_delay_alu instid0(VALU_DEP_1) | instskip(NEXT) | instid1(VALU_DEP_1)
	v_sub_nc_u32_e32 v2, v2, v5
	v_mad_co_u64_u32 v[4:5], null, s11, v2, v[4:5]
	s_cbranch_scc1 .LBB52_6
.LBB52_7:
	s_clause 0x1
	s_load_b32 s4, s[0:1], 0x6c
	s_load_b32 s5, s[0:1], 0x154
	;; [unrolled: 1-line block ×3, first 2 shown]
	s_clause 0x2
	s_load_b32 s7, s[0:1], 0x1c0
	s_load_b64 s[14:15], s[0:1], 0x0
	s_load_b64 s[12:13], s[0:1], 0xe8
	v_and_b32_e32 v7, 0x3ff, v0
	v_cmp_gt_u32_e64 s0, s8, v6
	v_dual_mov_b32 v10, 0 :: v_dual_mov_b32 v11, 0
	s_wait_kmcnt 0x0
	v_mad_co_u64_u32 v[2:3], null, s4, v3, v[1:2]
	v_mad_co_u64_u32 v[0:1], null, s5, v9, v[4:5]
	v_mov_b32_e32 v3, 0
	v_mov_b32_e32 v4, 0
	v_cmp_gt_u32_e32 vcc_lo, s9, v7
	v_mov_b32_e32 v5, 0
	v_mov_b32_e32 v6, 0
	s_and_b32 s4, s0, vcc_lo
	s_wait_alu 0xfffe
	s_and_saveexec_b32 s3, s4
	s_cbranch_execz .LBB52_9
; %bb.8:
	v_mad_co_u64_u32 v[5:6], null, v7, s10, v[2:3]
	v_mov_b32_e32 v6, 0
	v_mad_co_u64_u32 v[11:12], null, v7, s7, v[0:1]
	s_delay_alu instid0(VALU_DEP_2) | instskip(NEXT) | instid1(VALU_DEP_4)
	v_mov_b32_e32 v12, v6
	v_lshlrev_b64_e32 v[5:6], 2, v[5:6]
	s_delay_alu instid0(VALU_DEP_2) | instskip(NEXT) | instid1(VALU_DEP_2)
	v_lshlrev_b64_e32 v[11:12], 3, v[11:12]
	v_add_co_u32 v5, s1, s14, v5
	s_delay_alu instid0(VALU_DEP_1) | instskip(NEXT) | instid1(VALU_DEP_3)
	v_add_co_ci_u32_e64 v6, null, s15, v6, s1
	v_add_co_u32 v13, s1, s12, v11
	s_wait_alu 0xf1ff
	s_delay_alu instid0(VALU_DEP_4)
	v_add_co_ci_u32_e64 v14, null, s13, v12, s1
	global_load_b32 v11, v[5:6], off
	global_load_b64 v[5:6], v[13:14], off
.LBB52_9:
	s_wait_alu 0xfffe
	s_or_b32 exec_lo, exec_lo, s3
	s_and_b32 s3, 0xffff, s2
	v_lshl_add_u32 v16, v8, 7, 0x1000
	s_wait_alu 0xfffe
	v_add_nc_u32_e32 v1, s3, v7
	v_lshlrev_b32_e32 v12, 8, v8
	v_lshl_add_u32 v17, v8, 5, 0x1800
	v_cndmask_b32_e64 v13, 0, 1, s4
	v_lshl_add_u32 v8, v7, 2, v16
	v_cmp_gt_u32_e64 s1, s9, v1
	v_lshl_add_u32 v9, v7, 3, v12
	v_add_nc_u32_e32 v14, v17, v7
	s_wait_loadcnt 0x1
	ds_store_b32 v8, v11
	s_wait_loadcnt 0x0
	ds_store_b64 v9, v[5:6]
	ds_store_b8 v14, v13
	s_and_b32 s4, s0, s1
	s_wait_alu 0xfffe
	s_and_saveexec_b32 s5, s4
	s_cbranch_execz .LBB52_11
; %bb.10:
	v_mad_co_u64_u32 v[3:4], null, v1, s10, v[2:3]
	v_mov_b32_e32 v4, 0
	v_mad_co_u64_u32 v[5:6], null, v1, s7, v[0:1]
	s_delay_alu instid0(VALU_DEP_2) | instskip(NEXT) | instid1(VALU_DEP_4)
	v_mov_b32_e32 v6, v4
	v_lshlrev_b64_e32 v[3:4], 2, v[3:4]
	s_delay_alu instid0(VALU_DEP_2) | instskip(NEXT) | instid1(VALU_DEP_2)
	v_lshlrev_b64_e32 v[5:6], 3, v[5:6]
	v_add_co_u32 v3, s2, s14, v3
	s_wait_alu 0xf1ff
	s_delay_alu instid0(VALU_DEP_3) | instskip(NEXT) | instid1(VALU_DEP_3)
	v_add_co_ci_u32_e64 v4, null, s15, v4, s2
	v_add_co_u32 v5, s2, s12, v5
	s_wait_alu 0xf1ff
	v_add_co_ci_u32_e64 v6, null, s13, v6, s2
	global_load_b32 v10, v[3:4], off
	global_load_b64 v[3:4], v[5:6], off
.LBB52_11:
	s_wait_alu 0xfffe
	s_or_b32 exec_lo, exec_lo, s5
	v_lshl_add_u32 v5, s3, 2, v8
	v_lshlrev_b32_e32 v14, 2, v7
	v_lshl_add_u32 v6, s3, 3, v9
	v_lshlrev_b32_e32 v18, 1, v7
	v_cndmask_b32_e64 v11, 0, 1, s4
	v_add_nc_u32_e32 v13, v17, v1
	s_wait_loadcnt 0x1
	ds_store_b32 v5, v10
	s_wait_loadcnt 0x0
	ds_store_b64 v6, v[3:4]
	ds_store_b8 v13, v11
	v_add_nc_u32_e32 v10, v8, v14
	v_add_nc_u32_e32 v11, v17, v18
	s_wait_dscnt 0x0
	s_barrier_signal -1
	s_barrier_wait -1
	global_inv scope:SCOPE_SE
	ds_load_b64 v[3:4], v10
	ds_load_u16 v15, v11
	v_and_b32_e32 v13, 1, v7
	s_wait_dscnt 0x1
	v_cmp_u_f32_e64 s2, v4, v4
	v_cmp_o_f32_e64 s3, v3, v3
	s_wait_dscnt 0x0
	v_lshrrev_b16 v14, 8, v15
	v_and_b32_e32 v19, 1, v15
	v_cmp_lt_f32_e64 s4, v3, v4
	s_and_b32 s5, s2, s3
	v_cmp_ne_u16_e64 s3, v14, v13
	v_cmp_eq_u32_e64 s2, 1, v19
	s_wait_alu 0xf1ff
	s_delay_alu instid0(VALU_DEP_2)
	v_cndmask_b32_e64 v19, 0, 1, s3
	s_wait_alu 0xfffe
	s_or_b32 s3, s5, s4
	s_wait_alu 0xfffe
	s_and_b32 s2, s3, s2
	s_wait_alu 0xfffe
	v_cndmask_b32_e64 v19, v19, v7, s2
	s_delay_alu instid0(VALU_DEP_1) | instskip(NEXT) | instid1(VALU_DEP_1)
	v_and_b32_e32 v19, 1, v19
	v_cmp_eq_u32_e64 s2, 1, v19
	v_lshl_add_u32 v19, v7, 3, v9
	s_and_saveexec_b32 s3, s2
	s_wait_alu 0xfffe
	s_xor_b32 s2, exec_lo, s3
	s_cbranch_execz .LBB52_13
; %bb.12:
	ds_load_b128 v[20:23], v19
	v_mov_b32_e32 v26, v4
	v_lshlrev_b16 v4, 8, v15
	v_mov_b32_e32 v27, v3
	s_delay_alu instid0(VALU_DEP_2)
	v_or_b32_e32 v3, v14, v4
	s_wait_dscnt 0x0
	v_dual_mov_b32 v24, v20 :: v_dual_mov_b32 v25, v21
	ds_store_b128 v19, v[22:25]
	ds_store_b64 v10, v[26:27]
	ds_store_b16 v11, v3
.LBB52_13:
	s_wait_alu 0xfffe
	s_or_b32 exec_lo, exec_lo, s2
	v_sub_nc_u32_e32 v15, v18, v13
	s_wait_loadcnt_dscnt 0x0
	s_barrier_signal -1
	s_barrier_wait -1
	global_inv scope:SCOPE_SE
	v_lshl_add_u32 v14, v15, 2, v16
	v_add_nc_u32_e32 v13, v17, v15
	v_bfe_u32 v21, v7, 1, 1
	v_lshl_add_u32 v15, v15, 3, v12
	ds_load_2addr_b32 v[3:4], v14 offset1:2
	ds_load_u8 v20, v13
	ds_load_u8 v22, v13 offset:2
	s_wait_dscnt 0x2
	v_cmp_u_f32_e64 s2, v4, v4
	s_wait_dscnt 0x1
	v_and_b32_e32 v23, 1, v20
	s_wait_dscnt 0x0
	v_cmp_ne_u16_e64 s5, v22, v21
	v_cmp_o_f32_e64 s3, v3, v3
	v_cmp_lt_f32_e64 s4, v3, v4
	s_wait_alu 0xf1ff
	s_delay_alu instid0(VALU_DEP_3)
	v_cndmask_b32_e64 v24, 0, 1, s5
	v_cmp_eq_u32_e64 s5, 1, v23
	s_and_b32 s2, s2, s3
	s_wait_alu 0xfffe
	s_or_b32 s2, s2, s4
	s_wait_alu 0xfffe
	s_and_b32 s2, s2, s5
	s_wait_alu 0xfffe
	v_cndmask_b32_e64 v23, v24, v21, s2
	v_and_b32_e32 v21, 2, v7
	s_delay_alu instid0(VALU_DEP_2) | instskip(NEXT) | instid1(VALU_DEP_2)
	v_and_b32_e32 v23, 1, v23
	v_cmp_ne_u32_e64 s2, 0, v21
	s_delay_alu instid0(VALU_DEP_2)
	v_cmp_eq_u32_e64 s3, 1, v23
	s_and_saveexec_b32 s4, s3
	s_wait_alu 0xfffe
	s_xor_b32 s3, exec_lo, s4
	s_cbranch_execz .LBB52_15
; %bb.14:
	ds_load_2addr_b64 v[23:26], v15 offset1:2
	ds_store_2addr_b32 v14, v4, v3 offset1:2
	s_wait_dscnt 0x1
	ds_store_2addr_b64 v15, v[25:26], v[23:24] offset1:2
	ds_store_b8 v13, v22
	ds_store_b8 v13, v20 offset:2
.LBB52_15:
	s_wait_alu 0xfffe
	s_or_b32 exec_lo, exec_lo, s3
	s_wait_loadcnt_dscnt 0x0
	s_barrier_signal -1
	s_barrier_wait -1
	global_inv scope:SCOPE_SE
	ds_load_u16 v20, v11
	ds_load_b64 v[3:4], v10
	v_lshrrev_b32_e32 v22, 1, v21
	v_cndmask_b32_e64 v23, 0, 1, s2
	s_wait_dscnt 0x1
	v_lshrrev_b16 v21, 8, v20
	v_and_b32_e32 v24, 1, v20
	s_wait_dscnt 0x0
	v_cmp_u_f32_e64 s2, v4, v4
	v_cmp_o_f32_e64 s3, v3, v3
	v_cmp_lt_f32_e64 s4, v3, v4
	v_cmp_ne_u16_e64 s6, v21, v22
	v_cmp_eq_u32_e64 s5, 1, v24
	s_and_b32 s2, s2, s3
	s_mov_b32 s3, exec_lo
	v_cndmask_b32_e64 v22, 0, 1, s6
	s_wait_alu 0xfffe
	s_or_b32 s2, s2, s4
	s_wait_alu 0xfffe
	s_and_b32 s2, s2, s5
	s_wait_alu 0xfffe
	v_cndmask_b32_e64 v22, v22, v23, s2
	s_delay_alu instid0(VALU_DEP_1) | instskip(NEXT) | instid1(VALU_DEP_1)
	v_and_b32_e32 v22, 1, v22
	v_cmpx_eq_u32_e32 1, v22
	s_cbranch_execz .LBB52_17
; %bb.16:
	ds_load_b128 v[22:25], v19
	v_mov_b32_e32 v28, v4
	v_lshlrev_b16 v4, 8, v20
	v_mov_b32_e32 v29, v3
	s_delay_alu instid0(VALU_DEP_2)
	v_or_b32_e32 v3, v21, v4
	s_wait_dscnt 0x0
	v_dual_mov_b32 v26, v22 :: v_dual_mov_b32 v27, v23
	ds_store_b128 v19, v[24:27]
	ds_store_b64 v10, v[28:29]
	ds_store_b16 v11, v3
.LBB52_17:
	s_or_b32 exec_lo, exec_lo, s3
	v_and_b32_e32 v3, 3, v7
	s_wait_loadcnt_dscnt 0x0
	s_barrier_signal -1
	s_barrier_wait -1
	global_inv scope:SCOPE_SE
	v_sub_nc_u32_e32 v22, v18, v3
	v_bfe_u32 v21, v7, 2, 1
	s_delay_alu instid0(VALU_DEP_2)
	v_lshl_add_u32 v20, v22, 2, v16
	v_add_nc_u32_e32 v19, v17, v22
	v_lshl_add_u32 v22, v22, 3, v12
	ds_load_2addr_b32 v[3:4], v20 offset1:4
	ds_load_u8 v23, v19
	ds_load_u8 v24, v19 offset:4
	s_wait_dscnt 0x2
	v_cmp_u_f32_e64 s2, v4, v4
	s_wait_dscnt 0x1
	v_and_b32_e32 v25, 1, v23
	s_wait_dscnt 0x0
	v_cmp_ne_u16_e64 s5, v24, v21
	v_cmp_o_f32_e64 s3, v3, v3
	v_cmp_lt_f32_e64 s4, v3, v4
	s_wait_alu 0xf1ff
	s_delay_alu instid0(VALU_DEP_3)
	v_cndmask_b32_e64 v26, 0, 1, s5
	v_cmp_eq_u32_e64 s5, 1, v25
	s_and_b32 s2, s2, s3
	s_wait_alu 0xfffe
	s_or_b32 s2, s2, s4
	s_mov_b32 s4, exec_lo
	s_wait_alu 0xfffe
	s_and_b32 s2, s2, s5
	s_wait_alu 0xfffe
	v_cndmask_b32_e64 v25, v26, v21, s2
	v_and_b32_e32 v21, 4, v7
	s_delay_alu instid0(VALU_DEP_2) | instskip(NEXT) | instid1(VALU_DEP_2)
	v_and_b32_e32 v25, 1, v25
	v_cmp_ne_u32_e64 s2, 0, v21
	s_delay_alu instid0(VALU_DEP_2)
	v_cmpx_eq_u32_e32 1, v25
	s_cbranch_execz .LBB52_19
; %bb.18:
	ds_load_2addr_b64 v[25:28], v22 offset1:4
	ds_store_2addr_b32 v20, v4, v3 offset1:4
	s_wait_dscnt 0x1
	ds_store_2addr_b64 v22, v[27:28], v[25:26] offset1:4
	ds_store_b8 v19, v24
	ds_store_b8 v19, v23 offset:4
.LBB52_19:
	s_or_b32 exec_lo, exec_lo, s4
	s_wait_loadcnt_dscnt 0x0
	s_barrier_signal -1
	s_barrier_wait -1
	global_inv scope:SCOPE_SE
	ds_load_2addr_b32 v[3:4], v14 offset1:2
	ds_load_u8 v24, v13
	ds_load_u8 v25, v13 offset:2
	v_lshrrev_b32_e32 v21, 2, v21
	v_cndmask_b32_e64 v23, 0, 1, s2
	s_wait_dscnt 0x2
	v_cmp_u_f32_e64 s2, v4, v4
	s_wait_dscnt 0x1
	v_and_b32_e32 v26, 1, v24
	s_wait_dscnt 0x0
	v_cmp_ne_u16_e64 s5, v25, v21
	v_cmp_o_f32_e64 s3, v3, v3
	v_cmp_lt_f32_e64 s4, v3, v4
	s_wait_alu 0xf1ff
	s_delay_alu instid0(VALU_DEP_3)
	v_cndmask_b32_e64 v27, 0, 1, s5
	v_cmp_eq_u32_e64 s5, 1, v26
	s_and_b32 s2, s2, s3
	s_mov_b32 s3, exec_lo
	s_wait_alu 0xfffe
	s_or_b32 s2, s2, s4
	s_wait_alu 0xfffe
	s_and_b32 s2, s2, s5
	s_wait_alu 0xfffe
	v_cndmask_b32_e64 v26, v27, v23, s2
	s_delay_alu instid0(VALU_DEP_1) | instskip(NEXT) | instid1(VALU_DEP_1)
	v_and_b32_e32 v26, 1, v26
	v_cmpx_eq_u32_e32 1, v26
	s_cbranch_execz .LBB52_21
; %bb.20:
	ds_load_2addr_b64 v[26:29], v15 offset1:2
	ds_store_2addr_b32 v14, v4, v3 offset1:2
	s_wait_dscnt 0x1
	ds_store_2addr_b64 v15, v[28:29], v[26:27] offset1:2
	ds_store_b8 v13, v25
	ds_store_b8 v13, v24 offset:2
.LBB52_21:
	s_or_b32 exec_lo, exec_lo, s3
	s_wait_loadcnt_dscnt 0x0
	s_barrier_signal -1
	s_barrier_wait -1
	global_inv scope:SCOPE_SE
	ds_load_b64 v[3:4], v10
	ds_load_u16 v25, v11
	s_wait_dscnt 0x1
	v_cmp_u_f32_e64 s2, v4, v4
	v_cmp_o_f32_e64 s3, v3, v3
	s_wait_dscnt 0x0
	v_lshrrev_b16 v24, 8, v25
	v_and_b32_e32 v26, 1, v25
	v_cmp_lt_f32_e64 s4, v3, v4
	s_and_b32 s5, s2, s3
	v_cmp_ne_u16_e64 s3, v24, v21
	v_cmp_eq_u32_e64 s2, 1, v26
	s_wait_alu 0xf1ff
	s_delay_alu instid0(VALU_DEP_2)
	v_cndmask_b32_e64 v21, 0, 1, s3
	s_wait_alu 0xfffe
	s_or_b32 s3, s5, s4
	s_wait_alu 0xfffe
	s_and_b32 s2, s3, s2
	s_wait_alu 0xfffe
	v_cndmask_b32_e64 v21, v21, v23, s2
	s_delay_alu instid0(VALU_DEP_1) | instskip(NEXT) | instid1(VALU_DEP_1)
	v_and_b32_e32 v21, 1, v21
	v_cmp_eq_u32_e64 s2, 1, v21
	v_lshl_add_u32 v21, v18, 3, v12
	s_and_saveexec_b32 s3, s2
	s_cbranch_execz .LBB52_23
; %bb.22:
	ds_load_b128 v[26:29], v21
	v_mov_b32_e32 v32, v4
	v_lshlrev_b16 v4, 8, v25
	v_mov_b32_e32 v33, v3
	s_delay_alu instid0(VALU_DEP_2)
	v_or_b32_e32 v3, v24, v4
	s_wait_dscnt 0x0
	v_dual_mov_b32 v30, v26 :: v_dual_mov_b32 v31, v27
	ds_store_b128 v21, v[28:31]
	ds_store_b64 v10, v[32:33]
	ds_store_b16 v11, v3
.LBB52_23:
	s_wait_alu 0xfffe
	s_or_b32 exec_lo, exec_lo, s3
	v_and_b32_e32 v3, 7, v7
	s_wait_loadcnt_dscnt 0x0
	s_barrier_signal -1
	s_barrier_wait -1
	global_inv scope:SCOPE_SE
	v_sub_nc_u32_e32 v25, v18, v3
	v_bfe_u32 v26, v7, 3, 1
	s_delay_alu instid0(VALU_DEP_2)
	v_lshl_add_u32 v24, v25, 2, v16
	v_add_nc_u32_e32 v23, v17, v25
	v_lshl_add_u32 v25, v25, 3, v12
	ds_load_2addr_b32 v[3:4], v24 offset1:8
	ds_load_u8 v27, v23
	ds_load_u8 v28, v23 offset:8
	s_wait_dscnt 0x2
	v_cmp_u_f32_e64 s2, v4, v4
	s_wait_dscnt 0x1
	v_and_b32_e32 v29, 1, v27
	s_wait_dscnt 0x0
	v_cmp_ne_u16_e64 s5, v28, v26
	v_cmp_o_f32_e64 s3, v3, v3
	v_cmp_lt_f32_e64 s4, v3, v4
	s_wait_alu 0xf1ff
	s_delay_alu instid0(VALU_DEP_3)
	v_cndmask_b32_e64 v30, 0, 1, s5
	v_cmp_eq_u32_e64 s5, 1, v29
	s_and_b32 s2, s2, s3
	s_wait_alu 0xfffe
	s_or_b32 s2, s2, s4
	s_mov_b32 s4, exec_lo
	s_wait_alu 0xfffe
	s_and_b32 s2, s2, s5
	s_wait_alu 0xfffe
	v_cndmask_b32_e64 v29, v30, v26, s2
	v_and_b32_e32 v26, 8, v7
	s_delay_alu instid0(VALU_DEP_2) | instskip(NEXT) | instid1(VALU_DEP_2)
	v_and_b32_e32 v29, 1, v29
	v_cmp_ne_u32_e64 s2, 0, v26
	s_delay_alu instid0(VALU_DEP_2)
	v_cmpx_eq_u32_e32 1, v29
	s_cbranch_execz .LBB52_25
; %bb.24:
	ds_load_2addr_b64 v[29:32], v25 offset1:8
	ds_store_2addr_b32 v24, v4, v3 offset1:8
	s_wait_dscnt 0x1
	ds_store_2addr_b64 v25, v[31:32], v[29:30] offset1:8
	ds_store_b8 v23, v28
	ds_store_b8 v23, v27 offset:8
.LBB52_25:
	s_or_b32 exec_lo, exec_lo, s4
	s_wait_loadcnt_dscnt 0x0
	s_barrier_signal -1
	s_barrier_wait -1
	global_inv scope:SCOPE_SE
	ds_load_2addr_b32 v[3:4], v20 offset1:4
	ds_load_u8 v28, v19
	ds_load_u8 v29, v19 offset:4
	v_lshrrev_b32_e32 v26, 3, v26
	v_cndmask_b32_e64 v27, 0, 1, s2
	s_wait_dscnt 0x2
	v_cmp_u_f32_e64 s2, v4, v4
	s_wait_dscnt 0x1
	v_and_b32_e32 v30, 1, v28
	s_wait_dscnt 0x0
	v_cmp_ne_u16_e64 s5, v29, v26
	v_cmp_o_f32_e64 s3, v3, v3
	v_cmp_lt_f32_e64 s4, v3, v4
	s_wait_alu 0xf1ff
	s_delay_alu instid0(VALU_DEP_3)
	v_cndmask_b32_e64 v31, 0, 1, s5
	v_cmp_eq_u32_e64 s5, 1, v30
	s_and_b32 s2, s2, s3
	s_mov_b32 s3, exec_lo
	s_wait_alu 0xfffe
	s_or_b32 s2, s2, s4
	s_wait_alu 0xfffe
	s_and_b32 s2, s2, s5
	s_wait_alu 0xfffe
	v_cndmask_b32_e64 v30, v31, v27, s2
	s_delay_alu instid0(VALU_DEP_1) | instskip(NEXT) | instid1(VALU_DEP_1)
	v_and_b32_e32 v30, 1, v30
	v_cmpx_eq_u32_e32 1, v30
	s_cbranch_execz .LBB52_27
; %bb.26:
	ds_load_2addr_b64 v[30:33], v22 offset1:4
	ds_store_2addr_b32 v20, v4, v3 offset1:4
	s_wait_dscnt 0x1
	ds_store_2addr_b64 v22, v[32:33], v[30:31] offset1:4
	ds_store_b8 v19, v29
	ds_store_b8 v19, v28 offset:4
.LBB52_27:
	s_or_b32 exec_lo, exec_lo, s3
	s_wait_loadcnt_dscnt 0x0
	s_barrier_signal -1
	s_barrier_wait -1
	global_inv scope:SCOPE_SE
	ds_load_2addr_b32 v[3:4], v14 offset1:2
	ds_load_u8 v28, v13
	ds_load_u8 v29, v13 offset:2
	s_wait_dscnt 0x2
	v_cmp_u_f32_e64 s2, v4, v4
	s_wait_dscnt 0x1
	v_and_b32_e32 v30, 1, v28
	s_wait_dscnt 0x0
	v_cmp_ne_u16_e64 s5, v29, v26
	v_cmp_o_f32_e64 s3, v3, v3
	v_cmp_lt_f32_e64 s4, v3, v4
	s_wait_alu 0xf1ff
	s_delay_alu instid0(VALU_DEP_3)
	v_cndmask_b32_e64 v31, 0, 1, s5
	v_cmp_eq_u32_e64 s5, 1, v30
	s_and_b32 s2, s2, s3
	s_mov_b32 s3, exec_lo
	s_wait_alu 0xfffe
	s_or_b32 s2, s2, s4
	s_wait_alu 0xfffe
	s_and_b32 s2, s2, s5
	s_wait_alu 0xfffe
	v_cndmask_b32_e64 v30, v31, v27, s2
	s_delay_alu instid0(VALU_DEP_1) | instskip(NEXT) | instid1(VALU_DEP_1)
	v_and_b32_e32 v30, 1, v30
	v_cmpx_eq_u32_e32 1, v30
	s_cbranch_execz .LBB52_29
; %bb.28:
	ds_load_2addr_b64 v[30:33], v15 offset1:2
	ds_store_2addr_b32 v14, v4, v3 offset1:2
	s_wait_dscnt 0x1
	ds_store_2addr_b64 v15, v[32:33], v[30:31] offset1:2
	ds_store_b8 v13, v29
	ds_store_b8 v13, v28 offset:2
.LBB52_29:
	s_or_b32 exec_lo, exec_lo, s3
	s_wait_loadcnt_dscnt 0x0
	s_barrier_signal -1
	s_barrier_wait -1
	global_inv scope:SCOPE_SE
	ds_load_u16 v29, v11
	ds_load_b64 v[3:4], v10
	s_wait_dscnt 0x1
	v_lshrrev_b16 v28, 8, v29
	v_and_b32_e32 v30, 1, v29
	s_wait_dscnt 0x0
	v_cmp_u_f32_e64 s2, v4, v4
	v_cmp_o_f32_e64 s3, v3, v3
	v_cmp_lt_f32_e64 s4, v3, v4
	v_cmp_ne_u16_e64 s6, v28, v26
	v_cmp_eq_u32_e64 s5, 1, v30
	s_and_b32 s2, s2, s3
	s_mov_b32 s3, exec_lo
	v_cndmask_b32_e64 v26, 0, 1, s6
	s_wait_alu 0xfffe
	s_or_b32 s2, s2, s4
	s_wait_alu 0xfffe
	s_and_b32 s2, s2, s5
	s_wait_alu 0xfffe
	v_cndmask_b32_e64 v26, v26, v27, s2
	s_delay_alu instid0(VALU_DEP_1) | instskip(NEXT) | instid1(VALU_DEP_1)
	v_and_b32_e32 v26, 1, v26
	v_cmpx_eq_u32_e32 1, v26
	s_cbranch_execz .LBB52_31
; %bb.30:
	ds_load_b128 v[30:33], v21
	v_mov_b32_e32 v26, v4
	v_lshlrev_b16 v4, 8, v29
	v_mov_b32_e32 v27, v3
	s_delay_alu instid0(VALU_DEP_2)
	v_or_b32_e32 v3, v28, v4
	s_wait_dscnt 0x0
	v_dual_mov_b32 v34, v30 :: v_dual_mov_b32 v35, v31
	ds_store_b128 v21, v[32:35]
	ds_store_b64 v10, v[26:27]
	ds_store_b16 v11, v3
.LBB52_31:
	s_or_b32 exec_lo, exec_lo, s3
	v_and_b32_e32 v3, 15, v7
	s_wait_loadcnt_dscnt 0x0
	s_barrier_signal -1
	s_barrier_wait -1
	global_inv scope:SCOPE_SE
	v_sub_nc_u32_e32 v26, v18, v3
	s_delay_alu instid0(VALU_DEP_1)
	v_lshl_add_u32 v18, v26, 2, v16
	v_add_nc_u32_e32 v16, v17, v26
	ds_load_2addr_b32 v[3:4], v18 offset1:16
	ds_load_u8 v17, v16
	ds_load_u8 v27, v16 offset:16
	s_wait_dscnt 0x2
	v_cmp_u_f32_e64 s2, v4, v4
	s_wait_dscnt 0x1
	v_and_b32_e32 v28, 1, v17
	v_cmp_o_f32_e64 s3, v3, v3
	v_cmp_lt_f32_e64 s4, v3, v4
	s_wait_dscnt 0x0
	v_and_b32_e32 v27, 0xff, v27
	v_cmp_eq_u32_e64 s5, 1, v28
	s_and_b32 s2, s2, s3
	s_wait_alu 0xfffe
	s_or_b32 s3, s2, s4
	v_cmp_ne_u16_e64 s2, 0, v27
	s_wait_alu 0xfffe
	s_and_b32 s3, s3, s5
	s_wait_alu 0xfffe
	s_xor_b32 s3, s3, -1
	s_wait_alu 0xfffe
	s_and_b32 s3, s3, s2
	s_wait_alu 0xfffe
	s_and_saveexec_b32 s2, s3
	s_cbranch_execz .LBB52_33
; %bb.32:
	v_lshl_add_u32 v12, v26, 3, v12
	v_mov_b32_e32 v30, 1
	ds_load_2addr_b64 v[26:29], v12 offset1:16
	ds_store_2addr_b32 v18, v4, v3 offset1:16
	s_wait_dscnt 0x1
	ds_store_2addr_b64 v12, v[28:29], v[26:27] offset1:16
	ds_store_b8 v16, v30
	ds_store_b8 v16, v17 offset:16
.LBB52_33:
	s_wait_alu 0xfffe
	s_or_b32 exec_lo, exec_lo, s2
	s_wait_loadcnt_dscnt 0x0
	s_barrier_signal -1
	s_barrier_wait -1
	global_inv scope:SCOPE_SE
	ds_load_2addr_b32 v[3:4], v24 offset1:8
	ds_load_u8 v12, v23
	ds_load_u8 v16, v23 offset:8
	s_wait_dscnt 0x2
	v_cmp_u_f32_e64 s2, v4, v4
	s_wait_dscnt 0x1
	v_and_b32_e32 v17, 1, v12
	v_cmp_o_f32_e64 s3, v3, v3
	v_cmp_lt_f32_e64 s4, v3, v4
	s_wait_dscnt 0x0
	v_and_b32_e32 v16, 0xff, v16
	v_cmp_eq_u32_e64 s5, 1, v17
	s_and_b32 s2, s2, s3
	s_wait_alu 0xfffe
	s_or_b32 s3, s2, s4
	v_cmp_ne_u16_e64 s2, 0, v16
	s_wait_alu 0xfffe
	s_and_b32 s3, s3, s5
	s_wait_alu 0xfffe
	s_xor_b32 s3, s3, -1
	s_wait_alu 0xfffe
	s_and_b32 s3, s3, s2
	s_wait_alu 0xfffe
	s_and_saveexec_b32 s2, s3
	s_cbranch_execz .LBB52_35
; %bb.34:
	ds_load_2addr_b64 v[26:29], v25 offset1:8
	v_mov_b32_e32 v16, 1
	ds_store_2addr_b32 v24, v4, v3 offset1:8
	s_wait_dscnt 0x1
	ds_store_2addr_b64 v25, v[28:29], v[26:27] offset1:8
	ds_store_b8 v23, v16
	ds_store_b8 v23, v12 offset:8
.LBB52_35:
	s_wait_alu 0xfffe
	s_or_b32 exec_lo, exec_lo, s2
	s_wait_loadcnt_dscnt 0x0
	s_barrier_signal -1
	s_barrier_wait -1
	global_inv scope:SCOPE_SE
	ds_load_2addr_b32 v[3:4], v20 offset1:4
	ds_load_u8 v12, v19
	ds_load_u8 v16, v19 offset:4
	s_wait_dscnt 0x2
	v_cmp_u_f32_e64 s2, v4, v4
	s_wait_dscnt 0x1
	v_and_b32_e32 v17, 1, v12
	v_cmp_o_f32_e64 s3, v3, v3
	v_cmp_lt_f32_e64 s4, v3, v4
	s_wait_dscnt 0x0
	v_and_b32_e32 v16, 0xff, v16
	v_cmp_eq_u32_e64 s5, 1, v17
	s_and_b32 s2, s2, s3
	s_wait_alu 0xfffe
	s_or_b32 s3, s2, s4
	v_cmp_ne_u16_e64 s2, 0, v16
	s_wait_alu 0xfffe
	s_and_b32 s3, s3, s5
	s_wait_alu 0xfffe
	s_xor_b32 s3, s3, -1
	s_wait_alu 0xfffe
	s_and_b32 s3, s3, s2
	s_wait_alu 0xfffe
	s_and_saveexec_b32 s2, s3
	s_cbranch_execz .LBB52_37
; %bb.36:
	ds_load_2addr_b64 v[23:26], v22 offset1:4
	v_mov_b32_e32 v16, 1
	ds_store_2addr_b32 v20, v4, v3 offset1:4
	s_wait_dscnt 0x1
	ds_store_2addr_b64 v22, v[25:26], v[23:24] offset1:4
	ds_store_b8 v19, v16
	ds_store_b8 v19, v12 offset:4
.LBB52_37:
	;; [unrolled: 40-line block ×3, first 2 shown]
	s_wait_alu 0xfffe
	s_or_b32 exec_lo, exec_lo, s2
	s_wait_loadcnt_dscnt 0x0
	s_barrier_signal -1
	s_barrier_wait -1
	global_inv scope:SCOPE_SE
	ds_load_b64 v[3:4], v10
	ds_load_u16 v12, v11
	s_wait_dscnt 0x1
	v_cmp_u_f32_e64 s2, v4, v4
	s_wait_dscnt 0x0
	v_and_b32_e32 v13, 1, v12
	v_cmp_o_f32_e64 s3, v3, v3
	v_cmp_lt_f32_e64 s4, v3, v4
	v_lshrrev_b16 v14, 8, v12
	s_delay_alu instid0(VALU_DEP_4)
	v_cmp_eq_u32_e64 s5, 1, v13
	s_and_b32 s2, s2, s3
	s_wait_alu 0xfffe
	s_or_b32 s3, s2, s4
	v_cmp_ne_u16_e64 s2, 0, v14
	s_wait_alu 0xfffe
	s_and_b32 s3, s3, s5
	s_wait_alu 0xfffe
	s_xor_b32 s3, s3, -1
	s_wait_alu 0xfffe
	s_and_b32 s3, s3, s2
	s_wait_alu 0xfffe
	s_and_saveexec_b32 s2, s3
	s_cbranch_execz .LBB52_41
; %bb.40:
	ds_load_b128 v[13:16], v21
	v_mov_b32_e32 v19, v4
	v_lshlrev_b16 v4, 8, v12
	v_mov_b32_e32 v20, v3
	s_delay_alu instid0(VALU_DEP_2)
	v_or_b32_e32 v3, 1, v4
	s_wait_dscnt 0x0
	v_dual_mov_b32 v17, v13 :: v_dual_mov_b32 v18, v14
	ds_store_b128 v21, v[15:18]
	ds_store_b64 v10, v[19:20]
	ds_store_b16 v11, v3
.LBB52_41:
	s_wait_alu 0xfffe
	s_or_b32 exec_lo, exec_lo, s2
	s_wait_loadcnt_dscnt 0x0
	s_barrier_signal -1
	s_barrier_wait -1
	global_inv scope:SCOPE_SE
	s_and_saveexec_b32 s2, s0
	s_cbranch_execz .LBB52_46
; %bb.42:
	s_and_saveexec_b32 s0, vcc_lo
	s_cbranch_execz .LBB52_44
; %bb.43:
	v_mad_co_u64_u32 v[3:4], null, v7, s10, v[2:3]
	v_mov_b32_e32 v4, 0
	v_mad_co_u64_u32 v[10:11], null, v7, s7, v[0:1]
	ds_load_b32 v12, v8
	ds_load_b64 v[7:8], v9
	v_mov_b32_e32 v11, v4
	v_lshlrev_b64_e32 v[3:4], 2, v[3:4]
	s_delay_alu instid0(VALU_DEP_2) | instskip(NEXT) | instid1(VALU_DEP_2)
	v_lshlrev_b64_e32 v[9:10], 3, v[10:11]
	v_add_co_u32 v3, vcc_lo, s14, v3
	s_wait_alu 0xfffd
	s_delay_alu instid0(VALU_DEP_3) | instskip(NEXT) | instid1(VALU_DEP_3)
	v_add_co_ci_u32_e64 v4, null, s15, v4, vcc_lo
	v_add_co_u32 v9, vcc_lo, s12, v9
	s_wait_alu 0xfffd
	v_add_co_ci_u32_e64 v10, null, s13, v10, vcc_lo
	s_wait_dscnt 0x1
	global_store_b32 v[3:4], v12, off
	s_wait_dscnt 0x0
	global_store_b64 v[9:10], v[7:8], off
.LBB52_44:
	s_wait_alu 0xfffe
	s_or_b32 exec_lo, exec_lo, s0
	s_delay_alu instid0(SALU_CYCLE_1)
	s_and_b32 exec_lo, exec_lo, s1
	s_cbranch_execz .LBB52_46
; %bb.45:
	v_mad_co_u64_u32 v[2:3], null, v1, s10, v[2:3]
	v_mov_b32_e32 v3, 0
	v_mad_co_u64_u32 v[0:1], null, v1, s7, v[0:1]
	ds_load_b32 v7, v5
	ds_load_b64 v[4:5], v6
	v_mov_b32_e32 v1, v3
	v_lshlrev_b64_e32 v[2:3], 2, v[2:3]
	s_delay_alu instid0(VALU_DEP_2) | instskip(NEXT) | instid1(VALU_DEP_2)
	v_lshlrev_b64_e32 v[0:1], 3, v[0:1]
	v_add_co_u32 v2, vcc_lo, s14, v2
	s_wait_alu 0xfffd
	s_delay_alu instid0(VALU_DEP_3) | instskip(NEXT) | instid1(VALU_DEP_3)
	v_add_co_ci_u32_e64 v3, null, s15, v3, vcc_lo
	v_add_co_u32 v0, vcc_lo, s12, v0
	s_wait_alu 0xfffd
	v_add_co_ci_u32_e64 v1, null, s13, v1, vcc_lo
	s_wait_dscnt 0x1
	global_store_b32 v[2:3], v7, off
	s_wait_dscnt 0x0
	global_store_b64 v[0:1], v[4:5], off
.LBB52_46:
	s_endpgm
	.section	.rodata,"a",@progbits
	.p2align	6, 0x0
	.amdhsa_kernel _ZN2at6native20bitonicSortKVInPlaceILin1ELin1ELi16ELi16EflNS0_4LTOpIfLb1EEEjEEvNS_4cuda6detail10TensorInfoIT3_T6_EES8_S8_S8_NS6_IT4_S8_EES8_T5_
		.amdhsa_group_segment_fixed_size 6656
		.amdhsa_private_segment_fixed_size 0
		.amdhsa_kernarg_size 712
		.amdhsa_user_sgpr_count 2
		.amdhsa_user_sgpr_dispatch_ptr 0
		.amdhsa_user_sgpr_queue_ptr 0
		.amdhsa_user_sgpr_kernarg_segment_ptr 1
		.amdhsa_user_sgpr_dispatch_id 0
		.amdhsa_user_sgpr_private_segment_size 0
		.amdhsa_wavefront_size32 1
		.amdhsa_uses_dynamic_stack 0
		.amdhsa_enable_private_segment 0
		.amdhsa_system_sgpr_workgroup_id_x 1
		.amdhsa_system_sgpr_workgroup_id_y 1
		.amdhsa_system_sgpr_workgroup_id_z 1
		.amdhsa_system_sgpr_workgroup_info 0
		.amdhsa_system_vgpr_workitem_id 1
		.amdhsa_next_free_vgpr 36
		.amdhsa_next_free_sgpr 16
		.amdhsa_reserve_vcc 1
		.amdhsa_float_round_mode_32 0
		.amdhsa_float_round_mode_16_64 0
		.amdhsa_float_denorm_mode_32 3
		.amdhsa_float_denorm_mode_16_64 3
		.amdhsa_fp16_overflow 0
		.amdhsa_workgroup_processor_mode 1
		.amdhsa_memory_ordered 1
		.amdhsa_forward_progress 1
		.amdhsa_inst_pref_size 41
		.amdhsa_round_robin_scheduling 0
		.amdhsa_exception_fp_ieee_invalid_op 0
		.amdhsa_exception_fp_denorm_src 0
		.amdhsa_exception_fp_ieee_div_zero 0
		.amdhsa_exception_fp_ieee_overflow 0
		.amdhsa_exception_fp_ieee_underflow 0
		.amdhsa_exception_fp_ieee_inexact 0
		.amdhsa_exception_int_div_zero 0
	.end_amdhsa_kernel
	.section	.text._ZN2at6native20bitonicSortKVInPlaceILin1ELin1ELi16ELi16EflNS0_4LTOpIfLb1EEEjEEvNS_4cuda6detail10TensorInfoIT3_T6_EES8_S8_S8_NS6_IT4_S8_EES8_T5_,"axG",@progbits,_ZN2at6native20bitonicSortKVInPlaceILin1ELin1ELi16ELi16EflNS0_4LTOpIfLb1EEEjEEvNS_4cuda6detail10TensorInfoIT3_T6_EES8_S8_S8_NS6_IT4_S8_EES8_T5_,comdat
.Lfunc_end52:
	.size	_ZN2at6native20bitonicSortKVInPlaceILin1ELin1ELi16ELi16EflNS0_4LTOpIfLb1EEEjEEvNS_4cuda6detail10TensorInfoIT3_T6_EES8_S8_S8_NS6_IT4_S8_EES8_T5_, .Lfunc_end52-_ZN2at6native20bitonicSortKVInPlaceILin1ELin1ELi16ELi16EflNS0_4LTOpIfLb1EEEjEEvNS_4cuda6detail10TensorInfoIT3_T6_EES8_S8_S8_NS6_IT4_S8_EES8_T5_
                                        ; -- End function
	.set _ZN2at6native20bitonicSortKVInPlaceILin1ELin1ELi16ELi16EflNS0_4LTOpIfLb1EEEjEEvNS_4cuda6detail10TensorInfoIT3_T6_EES8_S8_S8_NS6_IT4_S8_EES8_T5_.num_vgpr, 36
	.set _ZN2at6native20bitonicSortKVInPlaceILin1ELin1ELi16ELi16EflNS0_4LTOpIfLb1EEEjEEvNS_4cuda6detail10TensorInfoIT3_T6_EES8_S8_S8_NS6_IT4_S8_EES8_T5_.num_agpr, 0
	.set _ZN2at6native20bitonicSortKVInPlaceILin1ELin1ELi16ELi16EflNS0_4LTOpIfLb1EEEjEEvNS_4cuda6detail10TensorInfoIT3_T6_EES8_S8_S8_NS6_IT4_S8_EES8_T5_.numbered_sgpr, 16
	.set _ZN2at6native20bitonicSortKVInPlaceILin1ELin1ELi16ELi16EflNS0_4LTOpIfLb1EEEjEEvNS_4cuda6detail10TensorInfoIT3_T6_EES8_S8_S8_NS6_IT4_S8_EES8_T5_.num_named_barrier, 0
	.set _ZN2at6native20bitonicSortKVInPlaceILin1ELin1ELi16ELi16EflNS0_4LTOpIfLb1EEEjEEvNS_4cuda6detail10TensorInfoIT3_T6_EES8_S8_S8_NS6_IT4_S8_EES8_T5_.private_seg_size, 0
	.set _ZN2at6native20bitonicSortKVInPlaceILin1ELin1ELi16ELi16EflNS0_4LTOpIfLb1EEEjEEvNS_4cuda6detail10TensorInfoIT3_T6_EES8_S8_S8_NS6_IT4_S8_EES8_T5_.uses_vcc, 1
	.set _ZN2at6native20bitonicSortKVInPlaceILin1ELin1ELi16ELi16EflNS0_4LTOpIfLb1EEEjEEvNS_4cuda6detail10TensorInfoIT3_T6_EES8_S8_S8_NS6_IT4_S8_EES8_T5_.uses_flat_scratch, 0
	.set _ZN2at6native20bitonicSortKVInPlaceILin1ELin1ELi16ELi16EflNS0_4LTOpIfLb1EEEjEEvNS_4cuda6detail10TensorInfoIT3_T6_EES8_S8_S8_NS6_IT4_S8_EES8_T5_.has_dyn_sized_stack, 0
	.set _ZN2at6native20bitonicSortKVInPlaceILin1ELin1ELi16ELi16EflNS0_4LTOpIfLb1EEEjEEvNS_4cuda6detail10TensorInfoIT3_T6_EES8_S8_S8_NS6_IT4_S8_EES8_T5_.has_recursion, 0
	.set _ZN2at6native20bitonicSortKVInPlaceILin1ELin1ELi16ELi16EflNS0_4LTOpIfLb1EEEjEEvNS_4cuda6detail10TensorInfoIT3_T6_EES8_S8_S8_NS6_IT4_S8_EES8_T5_.has_indirect_call, 0
	.section	.AMDGPU.csdata,"",@progbits
; Kernel info:
; codeLenInByte = 5204
; TotalNumSgprs: 18
; NumVgprs: 36
; ScratchSize: 0
; MemoryBound: 0
; FloatMode: 240
; IeeeMode: 1
; LDSByteSize: 6656 bytes/workgroup (compile time only)
; SGPRBlocks: 0
; VGPRBlocks: 4
; NumSGPRsForWavesPerEU: 18
; NumVGPRsForWavesPerEU: 36
; Occupancy: 16
; WaveLimiterHint : 1
; COMPUTE_PGM_RSRC2:SCRATCH_EN: 0
; COMPUTE_PGM_RSRC2:USER_SGPR: 2
; COMPUTE_PGM_RSRC2:TRAP_HANDLER: 0
; COMPUTE_PGM_RSRC2:TGID_X_EN: 1
; COMPUTE_PGM_RSRC2:TGID_Y_EN: 1
; COMPUTE_PGM_RSRC2:TGID_Z_EN: 1
; COMPUTE_PGM_RSRC2:TIDIG_COMP_CNT: 1
	.section	.text._ZN2at6native20bitonicSortKVInPlaceILin1ELin1ELi16ELi16EflNS0_4GTOpIfLb1EEEjEEvNS_4cuda6detail10TensorInfoIT3_T6_EES8_S8_S8_NS6_IT4_S8_EES8_T5_,"axG",@progbits,_ZN2at6native20bitonicSortKVInPlaceILin1ELin1ELi16ELi16EflNS0_4GTOpIfLb1EEEjEEvNS_4cuda6detail10TensorInfoIT3_T6_EES8_S8_S8_NS6_IT4_S8_EES8_T5_,comdat
	.protected	_ZN2at6native20bitonicSortKVInPlaceILin1ELin1ELi16ELi16EflNS0_4GTOpIfLb1EEEjEEvNS_4cuda6detail10TensorInfoIT3_T6_EES8_S8_S8_NS6_IT4_S8_EES8_T5_ ; -- Begin function _ZN2at6native20bitonicSortKVInPlaceILin1ELin1ELi16ELi16EflNS0_4GTOpIfLb1EEEjEEvNS_4cuda6detail10TensorInfoIT3_T6_EES8_S8_S8_NS6_IT4_S8_EES8_T5_
	.globl	_ZN2at6native20bitonicSortKVInPlaceILin1ELin1ELi16ELi16EflNS0_4GTOpIfLb1EEEjEEvNS_4cuda6detail10TensorInfoIT3_T6_EES8_S8_S8_NS6_IT4_S8_EES8_T5_
	.p2align	8
	.type	_ZN2at6native20bitonicSortKVInPlaceILin1ELin1ELi16ELi16EflNS0_4GTOpIfLb1EEEjEEvNS_4cuda6detail10TensorInfoIT3_T6_EES8_S8_S8_NS6_IT4_S8_EES8_T5_,@function
_ZN2at6native20bitonicSortKVInPlaceILin1ELin1ELi16ELi16EflNS0_4GTOpIfLb1EEEjEEvNS_4cuda6detail10TensorInfoIT3_T6_EES8_S8_S8_NS6_IT4_S8_EES8_T5_: ; @_ZN2at6native20bitonicSortKVInPlaceILin1ELin1ELi16ELi16EflNS0_4GTOpIfLb1EEEjEEvNS_4cuda6detail10TensorInfoIT3_T6_EES8_S8_S8_NS6_IT4_S8_EES8_T5_
; %bb.0:
	s_clause 0x2
	s_load_b64 s[2:3], s[0:1], 0x1c8
	s_load_u16 s4, s[0:1], 0x1d6
	s_load_b96 s[8:10], s[0:1], 0xd8
	s_lshr_b32 s5, ttmp7, 16
	s_wait_kmcnt 0x0
	s_mul_i32 s3, s3, s5
	s_and_b32 s5, ttmp7, 0xffff
	s_delay_alu instid0(SALU_CYCLE_1) | instskip(NEXT) | instid1(SALU_CYCLE_1)
	s_add_co_i32 s3, s3, s5
	s_mul_i32 s2, s3, s2
	s_delay_alu instid0(SALU_CYCLE_1) | instskip(NEXT) | instid1(SALU_CYCLE_1)
	s_add_co_i32 s3, s2, ttmp9
	s_mul_i32 s3, s3, s4
	s_delay_alu instid0(SALU_CYCLE_1)
	s_cmp_ge_u32 s3, s8
	s_cbranch_scc1 .LBB53_46
; %bb.1:
	s_load_b32 s2, s[0:1], 0xd0
	v_bfe_u32 v8, v0, 10, 10
	s_delay_alu instid0(VALU_DEP_1) | instskip(NEXT) | instid1(VALU_DEP_1)
	v_dual_mov_b32 v1, 0 :: v_dual_add_nc_u32 v6, s3, v8
	v_mov_b32_e32 v3, v6
	s_wait_kmcnt 0x0
	s_cmp_lt_i32 s2, 2
	s_cbranch_scc1 .LBB53_4
; %bb.2:
	s_add_co_i32 s4, s2, -1
	s_mov_b32 s5, 0
	v_mov_b32_e32 v1, 0
	s_lshl_b64 s[4:5], s[4:5], 2
	v_mov_b32_e32 v3, v6
	s_add_nc_u64 s[6:7], s[0:1], s[4:5]
	s_add_co_i32 s4, s2, 1
	s_add_nc_u64 s[2:3], s[6:7], 8
.LBB53_3:                               ; =>This Inner Loop Header: Depth=1
	s_clause 0x1
	s_load_b32 s5, s[2:3], 0x0
	s_load_b32 s6, s[2:3], 0x64
	s_add_co_i32 s4, s4, -1
	s_add_nc_u64 s[2:3], s[2:3], -4
	s_wait_kmcnt 0x0
	s_cvt_f32_u32 s7, s5
	s_sub_co_i32 s11, 0, s5
	s_wait_alu 0xfffe
	s_delay_alu instid0(SALU_CYCLE_1) | instskip(NEXT) | instid1(TRANS32_DEP_1)
	v_rcp_iflag_f32_e32 v2, s7
	v_readfirstlane_b32 s7, v2
	v_mov_b32_e32 v2, v3
	s_mul_f32 s7, s7, 0x4f7ffffe
	s_wait_alu 0xfffe
	s_delay_alu instid0(SALU_CYCLE_2) | instskip(SKIP_1) | instid1(SALU_CYCLE_2)
	s_cvt_u32_f32 s7, s7
	s_wait_alu 0xfffe
	s_mul_i32 s11, s11, s7
	s_delay_alu instid0(SALU_CYCLE_1) | instskip(NEXT) | instid1(SALU_CYCLE_1)
	s_mul_hi_u32 s11, s7, s11
	s_add_co_i32 s7, s7, s11
	s_cmp_gt_u32 s4, 2
	s_wait_alu 0xfffe
	v_mul_hi_u32 v3, v2, s7
	s_delay_alu instid0(VALU_DEP_1) | instskip(SKIP_1) | instid1(VALU_DEP_2)
	v_mul_lo_u32 v4, v3, s5
	v_add_nc_u32_e32 v5, 1, v3
	v_sub_nc_u32_e32 v4, v2, v4
	s_delay_alu instid0(VALU_DEP_1) | instskip(SKIP_2) | instid1(VALU_DEP_2)
	v_subrev_nc_u32_e32 v7, s5, v4
	v_cmp_le_u32_e32 vcc_lo, s5, v4
	s_wait_alu 0xfffd
	v_dual_cndmask_b32 v3, v3, v5 :: v_dual_cndmask_b32 v4, v4, v7
	s_delay_alu instid0(VALU_DEP_1) | instskip(NEXT) | instid1(VALU_DEP_2)
	v_add_nc_u32_e32 v5, 1, v3
	v_cmp_le_u32_e32 vcc_lo, s5, v4
	s_wait_alu 0xfffd
	s_delay_alu instid0(VALU_DEP_2) | instskip(NEXT) | instid1(VALU_DEP_1)
	v_cndmask_b32_e32 v3, v3, v5, vcc_lo
	v_mul_lo_u32 v4, v3, s5
	s_delay_alu instid0(VALU_DEP_1) | instskip(NEXT) | instid1(VALU_DEP_1)
	v_sub_nc_u32_e32 v2, v2, v4
	v_mad_co_u64_u32 v[1:2], null, s6, v2, v[1:2]
	s_cbranch_scc1 .LBB53_3
.LBB53_4:
	s_load_b32 s4, s[0:1], 0x1b8
	v_dual_mov_b32 v4, 0 :: v_dual_mov_b32 v9, v6
	s_add_nc_u64 s[2:3], s[0:1], 0x1c8
	s_wait_kmcnt 0x0
	s_cmp_lt_i32 s4, 2
	s_cbranch_scc1 .LBB53_7
; %bb.5:
	s_add_co_i32 s6, s4, -1
	s_mov_b32 s7, 0
	v_dual_mov_b32 v4, 0 :: v_dual_mov_b32 v9, v6
	s_wait_alu 0xfffe
	s_lshl_b64 s[6:7], s[6:7], 2
	s_wait_alu 0xfffe
	s_add_nc_u64 s[12:13], s[0:1], s[6:7]
	s_add_co_i32 s6, s4, 1
	s_add_nc_u64 s[4:5], s[12:13], 0xf0
.LBB53_6:                               ; =>This Inner Loop Header: Depth=1
	s_clause 0x1
	s_load_b32 s7, s[4:5], 0x0
	s_load_b32 s11, s[4:5], 0x64
	s_add_co_i32 s6, s6, -1
	s_add_nc_u64 s[4:5], s[4:5], -4
	s_wait_kmcnt 0x0
	s_cvt_f32_u32 s12, s7
	s_sub_co_i32 s13, 0, s7
	s_wait_alu 0xfffe
	s_delay_alu instid0(SALU_CYCLE_1) | instskip(NEXT) | instid1(TRANS32_DEP_1)
	v_rcp_iflag_f32_e32 v2, s12
	v_readfirstlane_b32 s12, v2
	v_mov_b32_e32 v2, v9
	s_mul_f32 s12, s12, 0x4f7ffffe
	s_wait_alu 0xfffe
	s_delay_alu instid0(SALU_CYCLE_2) | instskip(SKIP_1) | instid1(SALU_CYCLE_2)
	s_cvt_u32_f32 s12, s12
	s_wait_alu 0xfffe
	s_mul_i32 s13, s13, s12
	s_wait_alu 0xfffe
	s_mul_hi_u32 s13, s12, s13
	s_wait_alu 0xfffe
	s_add_co_i32 s12, s12, s13
	s_cmp_gt_u32 s6, 2
	s_wait_alu 0xfffe
	v_mul_hi_u32 v5, v2, s12
	s_delay_alu instid0(VALU_DEP_1) | instskip(SKIP_1) | instid1(VALU_DEP_2)
	v_mul_lo_u32 v7, v5, s7
	v_add_nc_u32_e32 v9, 1, v5
	v_sub_nc_u32_e32 v7, v2, v7
	s_delay_alu instid0(VALU_DEP_1) | instskip(SKIP_3) | instid1(VALU_DEP_3)
	v_subrev_nc_u32_e32 v10, s7, v7
	v_cmp_le_u32_e32 vcc_lo, s7, v7
	s_wait_alu 0xfffd
	v_cndmask_b32_e32 v5, v5, v9, vcc_lo
	v_cndmask_b32_e32 v7, v7, v10, vcc_lo
	s_delay_alu instid0(VALU_DEP_2) | instskip(NEXT) | instid1(VALU_DEP_2)
	v_add_nc_u32_e32 v9, 1, v5
	v_cmp_le_u32_e32 vcc_lo, s7, v7
	s_wait_alu 0xfffd
	s_delay_alu instid0(VALU_DEP_2) | instskip(NEXT) | instid1(VALU_DEP_1)
	v_cndmask_b32_e32 v9, v5, v9, vcc_lo
	v_mul_lo_u32 v5, v9, s7
	s_delay_alu instid0(VALU_DEP_1) | instskip(NEXT) | instid1(VALU_DEP_1)
	v_sub_nc_u32_e32 v2, v2, v5
	v_mad_co_u64_u32 v[4:5], null, s11, v2, v[4:5]
	s_cbranch_scc1 .LBB53_6
.LBB53_7:
	s_clause 0x1
	s_load_b32 s4, s[0:1], 0x6c
	s_load_b32 s5, s[0:1], 0x154
	;; [unrolled: 1-line block ×3, first 2 shown]
	s_clause 0x2
	s_load_b32 s7, s[0:1], 0x1c0
	s_load_b64 s[14:15], s[0:1], 0x0
	s_load_b64 s[12:13], s[0:1], 0xe8
	v_and_b32_e32 v7, 0x3ff, v0
	v_cmp_gt_u32_e64 s0, s8, v6
	v_dual_mov_b32 v10, 0 :: v_dual_mov_b32 v11, 0
	s_wait_kmcnt 0x0
	v_mad_co_u64_u32 v[2:3], null, s4, v3, v[1:2]
	v_mad_co_u64_u32 v[0:1], null, s5, v9, v[4:5]
	v_mov_b32_e32 v3, 0
	v_mov_b32_e32 v4, 0
	v_cmp_gt_u32_e32 vcc_lo, s9, v7
	v_mov_b32_e32 v5, 0
	v_mov_b32_e32 v6, 0
	s_and_b32 s4, s0, vcc_lo
	s_wait_alu 0xfffe
	s_and_saveexec_b32 s3, s4
	s_cbranch_execz .LBB53_9
; %bb.8:
	v_mad_co_u64_u32 v[5:6], null, v7, s10, v[2:3]
	v_mov_b32_e32 v6, 0
	v_mad_co_u64_u32 v[11:12], null, v7, s7, v[0:1]
	s_delay_alu instid0(VALU_DEP_2) | instskip(NEXT) | instid1(VALU_DEP_4)
	v_mov_b32_e32 v12, v6
	v_lshlrev_b64_e32 v[5:6], 2, v[5:6]
	s_delay_alu instid0(VALU_DEP_2) | instskip(NEXT) | instid1(VALU_DEP_2)
	v_lshlrev_b64_e32 v[11:12], 3, v[11:12]
	v_add_co_u32 v5, s1, s14, v5
	s_delay_alu instid0(VALU_DEP_1) | instskip(NEXT) | instid1(VALU_DEP_3)
	v_add_co_ci_u32_e64 v6, null, s15, v6, s1
	v_add_co_u32 v13, s1, s12, v11
	s_wait_alu 0xf1ff
	s_delay_alu instid0(VALU_DEP_4)
	v_add_co_ci_u32_e64 v14, null, s13, v12, s1
	global_load_b32 v11, v[5:6], off
	global_load_b64 v[5:6], v[13:14], off
.LBB53_9:
	s_wait_alu 0xfffe
	s_or_b32 exec_lo, exec_lo, s3
	s_and_b32 s3, 0xffff, s2
	v_lshl_add_u32 v16, v8, 7, 0x1000
	s_wait_alu 0xfffe
	v_add_nc_u32_e32 v1, s3, v7
	v_lshlrev_b32_e32 v12, 8, v8
	v_lshl_add_u32 v17, v8, 5, 0x1800
	v_cndmask_b32_e64 v13, 0, 1, s4
	v_lshl_add_u32 v8, v7, 2, v16
	v_cmp_gt_u32_e64 s1, s9, v1
	v_lshl_add_u32 v9, v7, 3, v12
	v_add_nc_u32_e32 v14, v17, v7
	s_wait_loadcnt 0x1
	ds_store_b32 v8, v11
	s_wait_loadcnt 0x0
	ds_store_b64 v9, v[5:6]
	ds_store_b8 v14, v13
	s_and_b32 s4, s0, s1
	s_wait_alu 0xfffe
	s_and_saveexec_b32 s5, s4
	s_cbranch_execz .LBB53_11
; %bb.10:
	v_mad_co_u64_u32 v[3:4], null, v1, s10, v[2:3]
	v_mov_b32_e32 v4, 0
	v_mad_co_u64_u32 v[5:6], null, v1, s7, v[0:1]
	s_delay_alu instid0(VALU_DEP_2) | instskip(NEXT) | instid1(VALU_DEP_4)
	v_mov_b32_e32 v6, v4
	v_lshlrev_b64_e32 v[3:4], 2, v[3:4]
	s_delay_alu instid0(VALU_DEP_2) | instskip(NEXT) | instid1(VALU_DEP_2)
	v_lshlrev_b64_e32 v[5:6], 3, v[5:6]
	v_add_co_u32 v3, s2, s14, v3
	s_wait_alu 0xf1ff
	s_delay_alu instid0(VALU_DEP_3) | instskip(NEXT) | instid1(VALU_DEP_3)
	v_add_co_ci_u32_e64 v4, null, s15, v4, s2
	v_add_co_u32 v5, s2, s12, v5
	s_wait_alu 0xf1ff
	v_add_co_ci_u32_e64 v6, null, s13, v6, s2
	global_load_b32 v10, v[3:4], off
	global_load_b64 v[3:4], v[5:6], off
.LBB53_11:
	s_wait_alu 0xfffe
	s_or_b32 exec_lo, exec_lo, s5
	v_lshl_add_u32 v5, s3, 2, v8
	v_lshlrev_b32_e32 v14, 2, v7
	v_lshl_add_u32 v6, s3, 3, v9
	v_lshlrev_b32_e32 v18, 1, v7
	v_cndmask_b32_e64 v11, 0, 1, s4
	v_add_nc_u32_e32 v13, v17, v1
	s_wait_loadcnt 0x1
	ds_store_b32 v5, v10
	s_wait_loadcnt 0x0
	ds_store_b64 v6, v[3:4]
	ds_store_b8 v13, v11
	v_add_nc_u32_e32 v10, v8, v14
	v_add_nc_u32_e32 v11, v17, v18
	s_wait_dscnt 0x0
	s_barrier_signal -1
	s_barrier_wait -1
	global_inv scope:SCOPE_SE
	ds_load_b64 v[3:4], v10
	ds_load_u16 v15, v11
	v_and_b32_e32 v13, 1, v7
	s_wait_dscnt 0x1
	v_cmp_u_f32_e64 s2, v3, v3
	v_cmp_o_f32_e64 s3, v4, v4
	s_wait_dscnt 0x0
	v_lshrrev_b16 v14, 8, v15
	v_and_b32_e32 v19, 1, v15
	v_cmp_gt_f32_e64 s4, v3, v4
	s_and_b32 s5, s2, s3
	v_cmp_ne_u16_e64 s3, v14, v13
	v_cmp_eq_u32_e64 s2, 1, v19
	s_wait_alu 0xf1ff
	s_delay_alu instid0(VALU_DEP_2)
	v_cndmask_b32_e64 v19, 0, 1, s3
	s_wait_alu 0xfffe
	s_or_b32 s3, s5, s4
	s_wait_alu 0xfffe
	s_and_b32 s2, s3, s2
	s_wait_alu 0xfffe
	v_cndmask_b32_e64 v19, v19, v7, s2
	s_delay_alu instid0(VALU_DEP_1) | instskip(NEXT) | instid1(VALU_DEP_1)
	v_and_b32_e32 v19, 1, v19
	v_cmp_eq_u32_e64 s2, 1, v19
	v_lshl_add_u32 v19, v7, 3, v9
	s_and_saveexec_b32 s3, s2
	s_wait_alu 0xfffe
	s_xor_b32 s2, exec_lo, s3
	s_cbranch_execz .LBB53_13
; %bb.12:
	ds_load_b128 v[20:23], v19
	v_mov_b32_e32 v26, v4
	v_lshlrev_b16 v4, 8, v15
	v_mov_b32_e32 v27, v3
	s_delay_alu instid0(VALU_DEP_2)
	v_or_b32_e32 v3, v14, v4
	s_wait_dscnt 0x0
	v_dual_mov_b32 v24, v20 :: v_dual_mov_b32 v25, v21
	ds_store_b128 v19, v[22:25]
	ds_store_b64 v10, v[26:27]
	ds_store_b16 v11, v3
.LBB53_13:
	s_wait_alu 0xfffe
	s_or_b32 exec_lo, exec_lo, s2
	v_sub_nc_u32_e32 v15, v18, v13
	s_wait_loadcnt_dscnt 0x0
	s_barrier_signal -1
	s_barrier_wait -1
	global_inv scope:SCOPE_SE
	v_lshl_add_u32 v14, v15, 2, v16
	v_add_nc_u32_e32 v13, v17, v15
	v_bfe_u32 v21, v7, 1, 1
	v_lshl_add_u32 v15, v15, 3, v12
	ds_load_2addr_b32 v[3:4], v14 offset1:2
	ds_load_u8 v20, v13
	ds_load_u8 v22, v13 offset:2
	s_wait_dscnt 0x2
	v_cmp_u_f32_e64 s2, v3, v3
	s_wait_dscnt 0x1
	v_and_b32_e32 v23, 1, v20
	s_wait_dscnt 0x0
	v_cmp_ne_u16_e64 s5, v22, v21
	v_cmp_o_f32_e64 s3, v4, v4
	v_cmp_gt_f32_e64 s4, v3, v4
	s_wait_alu 0xf1ff
	s_delay_alu instid0(VALU_DEP_3)
	v_cndmask_b32_e64 v24, 0, 1, s5
	v_cmp_eq_u32_e64 s5, 1, v23
	s_and_b32 s2, s2, s3
	s_wait_alu 0xfffe
	s_or_b32 s2, s2, s4
	s_wait_alu 0xfffe
	s_and_b32 s2, s2, s5
	s_wait_alu 0xfffe
	v_cndmask_b32_e64 v23, v24, v21, s2
	v_and_b32_e32 v21, 2, v7
	s_delay_alu instid0(VALU_DEP_2) | instskip(NEXT) | instid1(VALU_DEP_2)
	v_and_b32_e32 v23, 1, v23
	v_cmp_ne_u32_e64 s2, 0, v21
	s_delay_alu instid0(VALU_DEP_2)
	v_cmp_eq_u32_e64 s3, 1, v23
	s_and_saveexec_b32 s4, s3
	s_wait_alu 0xfffe
	s_xor_b32 s3, exec_lo, s4
	s_cbranch_execz .LBB53_15
; %bb.14:
	ds_load_2addr_b64 v[23:26], v15 offset1:2
	ds_store_2addr_b32 v14, v4, v3 offset1:2
	s_wait_dscnt 0x1
	ds_store_2addr_b64 v15, v[25:26], v[23:24] offset1:2
	ds_store_b8 v13, v22
	ds_store_b8 v13, v20 offset:2
.LBB53_15:
	s_wait_alu 0xfffe
	s_or_b32 exec_lo, exec_lo, s3
	s_wait_loadcnt_dscnt 0x0
	s_barrier_signal -1
	s_barrier_wait -1
	global_inv scope:SCOPE_SE
	ds_load_u16 v20, v11
	ds_load_b64 v[3:4], v10
	v_lshrrev_b32_e32 v22, 1, v21
	v_cndmask_b32_e64 v23, 0, 1, s2
	s_wait_dscnt 0x1
	v_lshrrev_b16 v21, 8, v20
	v_and_b32_e32 v24, 1, v20
	s_wait_dscnt 0x0
	v_cmp_u_f32_e64 s2, v3, v3
	v_cmp_o_f32_e64 s3, v4, v4
	v_cmp_gt_f32_e64 s4, v3, v4
	v_cmp_ne_u16_e64 s6, v21, v22
	v_cmp_eq_u32_e64 s5, 1, v24
	s_and_b32 s2, s2, s3
	s_mov_b32 s3, exec_lo
	v_cndmask_b32_e64 v22, 0, 1, s6
	s_wait_alu 0xfffe
	s_or_b32 s2, s2, s4
	s_wait_alu 0xfffe
	s_and_b32 s2, s2, s5
	s_wait_alu 0xfffe
	v_cndmask_b32_e64 v22, v22, v23, s2
	s_delay_alu instid0(VALU_DEP_1) | instskip(NEXT) | instid1(VALU_DEP_1)
	v_and_b32_e32 v22, 1, v22
	v_cmpx_eq_u32_e32 1, v22
	s_cbranch_execz .LBB53_17
; %bb.16:
	ds_load_b128 v[22:25], v19
	v_mov_b32_e32 v28, v4
	v_lshlrev_b16 v4, 8, v20
	v_mov_b32_e32 v29, v3
	s_delay_alu instid0(VALU_DEP_2)
	v_or_b32_e32 v3, v21, v4
	s_wait_dscnt 0x0
	v_dual_mov_b32 v26, v22 :: v_dual_mov_b32 v27, v23
	ds_store_b128 v19, v[24:27]
	ds_store_b64 v10, v[28:29]
	ds_store_b16 v11, v3
.LBB53_17:
	s_or_b32 exec_lo, exec_lo, s3
	v_and_b32_e32 v3, 3, v7
	s_wait_loadcnt_dscnt 0x0
	s_barrier_signal -1
	s_barrier_wait -1
	global_inv scope:SCOPE_SE
	v_sub_nc_u32_e32 v22, v18, v3
	v_bfe_u32 v21, v7, 2, 1
	s_delay_alu instid0(VALU_DEP_2)
	v_lshl_add_u32 v20, v22, 2, v16
	v_add_nc_u32_e32 v19, v17, v22
	v_lshl_add_u32 v22, v22, 3, v12
	ds_load_2addr_b32 v[3:4], v20 offset1:4
	ds_load_u8 v23, v19
	ds_load_u8 v24, v19 offset:4
	s_wait_dscnt 0x2
	v_cmp_u_f32_e64 s2, v3, v3
	s_wait_dscnt 0x1
	v_and_b32_e32 v25, 1, v23
	s_wait_dscnt 0x0
	v_cmp_ne_u16_e64 s5, v24, v21
	v_cmp_o_f32_e64 s3, v4, v4
	v_cmp_gt_f32_e64 s4, v3, v4
	s_wait_alu 0xf1ff
	s_delay_alu instid0(VALU_DEP_3)
	v_cndmask_b32_e64 v26, 0, 1, s5
	v_cmp_eq_u32_e64 s5, 1, v25
	s_and_b32 s2, s2, s3
	s_wait_alu 0xfffe
	s_or_b32 s2, s2, s4
	s_mov_b32 s4, exec_lo
	s_wait_alu 0xfffe
	s_and_b32 s2, s2, s5
	s_wait_alu 0xfffe
	v_cndmask_b32_e64 v25, v26, v21, s2
	v_and_b32_e32 v21, 4, v7
	s_delay_alu instid0(VALU_DEP_2) | instskip(NEXT) | instid1(VALU_DEP_2)
	v_and_b32_e32 v25, 1, v25
	v_cmp_ne_u32_e64 s2, 0, v21
	s_delay_alu instid0(VALU_DEP_2)
	v_cmpx_eq_u32_e32 1, v25
	s_cbranch_execz .LBB53_19
; %bb.18:
	ds_load_2addr_b64 v[25:28], v22 offset1:4
	ds_store_2addr_b32 v20, v4, v3 offset1:4
	s_wait_dscnt 0x1
	ds_store_2addr_b64 v22, v[27:28], v[25:26] offset1:4
	ds_store_b8 v19, v24
	ds_store_b8 v19, v23 offset:4
.LBB53_19:
	s_or_b32 exec_lo, exec_lo, s4
	s_wait_loadcnt_dscnt 0x0
	s_barrier_signal -1
	s_barrier_wait -1
	global_inv scope:SCOPE_SE
	ds_load_2addr_b32 v[3:4], v14 offset1:2
	ds_load_u8 v24, v13
	ds_load_u8 v25, v13 offset:2
	v_lshrrev_b32_e32 v21, 2, v21
	v_cndmask_b32_e64 v23, 0, 1, s2
	s_wait_dscnt 0x2
	v_cmp_u_f32_e64 s2, v3, v3
	s_wait_dscnt 0x1
	v_and_b32_e32 v26, 1, v24
	s_wait_dscnt 0x0
	v_cmp_ne_u16_e64 s5, v25, v21
	v_cmp_o_f32_e64 s3, v4, v4
	v_cmp_gt_f32_e64 s4, v3, v4
	s_wait_alu 0xf1ff
	s_delay_alu instid0(VALU_DEP_3)
	v_cndmask_b32_e64 v27, 0, 1, s5
	v_cmp_eq_u32_e64 s5, 1, v26
	s_and_b32 s2, s2, s3
	s_mov_b32 s3, exec_lo
	s_wait_alu 0xfffe
	s_or_b32 s2, s2, s4
	s_wait_alu 0xfffe
	s_and_b32 s2, s2, s5
	s_wait_alu 0xfffe
	v_cndmask_b32_e64 v26, v27, v23, s2
	s_delay_alu instid0(VALU_DEP_1) | instskip(NEXT) | instid1(VALU_DEP_1)
	v_and_b32_e32 v26, 1, v26
	v_cmpx_eq_u32_e32 1, v26
	s_cbranch_execz .LBB53_21
; %bb.20:
	ds_load_2addr_b64 v[26:29], v15 offset1:2
	ds_store_2addr_b32 v14, v4, v3 offset1:2
	s_wait_dscnt 0x1
	ds_store_2addr_b64 v15, v[28:29], v[26:27] offset1:2
	ds_store_b8 v13, v25
	ds_store_b8 v13, v24 offset:2
.LBB53_21:
	s_or_b32 exec_lo, exec_lo, s3
	s_wait_loadcnt_dscnt 0x0
	s_barrier_signal -1
	s_barrier_wait -1
	global_inv scope:SCOPE_SE
	ds_load_b64 v[3:4], v10
	ds_load_u16 v25, v11
	s_wait_dscnt 0x1
	v_cmp_u_f32_e64 s2, v3, v3
	v_cmp_o_f32_e64 s3, v4, v4
	s_wait_dscnt 0x0
	v_lshrrev_b16 v24, 8, v25
	v_and_b32_e32 v26, 1, v25
	v_cmp_gt_f32_e64 s4, v3, v4
	s_and_b32 s5, s2, s3
	v_cmp_ne_u16_e64 s3, v24, v21
	v_cmp_eq_u32_e64 s2, 1, v26
	s_wait_alu 0xf1ff
	s_delay_alu instid0(VALU_DEP_2)
	v_cndmask_b32_e64 v21, 0, 1, s3
	s_wait_alu 0xfffe
	s_or_b32 s3, s5, s4
	s_wait_alu 0xfffe
	s_and_b32 s2, s3, s2
	s_wait_alu 0xfffe
	v_cndmask_b32_e64 v21, v21, v23, s2
	s_delay_alu instid0(VALU_DEP_1) | instskip(NEXT) | instid1(VALU_DEP_1)
	v_and_b32_e32 v21, 1, v21
	v_cmp_eq_u32_e64 s2, 1, v21
	v_lshl_add_u32 v21, v18, 3, v12
	s_and_saveexec_b32 s3, s2
	s_cbranch_execz .LBB53_23
; %bb.22:
	ds_load_b128 v[26:29], v21
	v_mov_b32_e32 v32, v4
	v_lshlrev_b16 v4, 8, v25
	v_mov_b32_e32 v33, v3
	s_delay_alu instid0(VALU_DEP_2)
	v_or_b32_e32 v3, v24, v4
	s_wait_dscnt 0x0
	v_dual_mov_b32 v30, v26 :: v_dual_mov_b32 v31, v27
	ds_store_b128 v21, v[28:31]
	ds_store_b64 v10, v[32:33]
	ds_store_b16 v11, v3
.LBB53_23:
	s_wait_alu 0xfffe
	s_or_b32 exec_lo, exec_lo, s3
	v_and_b32_e32 v3, 7, v7
	s_wait_loadcnt_dscnt 0x0
	s_barrier_signal -1
	s_barrier_wait -1
	global_inv scope:SCOPE_SE
	v_sub_nc_u32_e32 v25, v18, v3
	v_bfe_u32 v26, v7, 3, 1
	s_delay_alu instid0(VALU_DEP_2)
	v_lshl_add_u32 v24, v25, 2, v16
	v_add_nc_u32_e32 v23, v17, v25
	v_lshl_add_u32 v25, v25, 3, v12
	ds_load_2addr_b32 v[3:4], v24 offset1:8
	ds_load_u8 v27, v23
	ds_load_u8 v28, v23 offset:8
	s_wait_dscnt 0x2
	v_cmp_u_f32_e64 s2, v3, v3
	s_wait_dscnt 0x1
	v_and_b32_e32 v29, 1, v27
	s_wait_dscnt 0x0
	v_cmp_ne_u16_e64 s5, v28, v26
	v_cmp_o_f32_e64 s3, v4, v4
	v_cmp_gt_f32_e64 s4, v3, v4
	s_wait_alu 0xf1ff
	s_delay_alu instid0(VALU_DEP_3)
	v_cndmask_b32_e64 v30, 0, 1, s5
	v_cmp_eq_u32_e64 s5, 1, v29
	s_and_b32 s2, s2, s3
	s_wait_alu 0xfffe
	s_or_b32 s2, s2, s4
	s_mov_b32 s4, exec_lo
	s_wait_alu 0xfffe
	s_and_b32 s2, s2, s5
	s_wait_alu 0xfffe
	v_cndmask_b32_e64 v29, v30, v26, s2
	v_and_b32_e32 v26, 8, v7
	s_delay_alu instid0(VALU_DEP_2) | instskip(NEXT) | instid1(VALU_DEP_2)
	v_and_b32_e32 v29, 1, v29
	v_cmp_ne_u32_e64 s2, 0, v26
	s_delay_alu instid0(VALU_DEP_2)
	v_cmpx_eq_u32_e32 1, v29
	s_cbranch_execz .LBB53_25
; %bb.24:
	ds_load_2addr_b64 v[29:32], v25 offset1:8
	ds_store_2addr_b32 v24, v4, v3 offset1:8
	s_wait_dscnt 0x1
	ds_store_2addr_b64 v25, v[31:32], v[29:30] offset1:8
	ds_store_b8 v23, v28
	ds_store_b8 v23, v27 offset:8
.LBB53_25:
	s_or_b32 exec_lo, exec_lo, s4
	s_wait_loadcnt_dscnt 0x0
	s_barrier_signal -1
	s_barrier_wait -1
	global_inv scope:SCOPE_SE
	ds_load_2addr_b32 v[3:4], v20 offset1:4
	ds_load_u8 v28, v19
	ds_load_u8 v29, v19 offset:4
	v_lshrrev_b32_e32 v26, 3, v26
	v_cndmask_b32_e64 v27, 0, 1, s2
	s_wait_dscnt 0x2
	v_cmp_u_f32_e64 s2, v3, v3
	s_wait_dscnt 0x1
	v_and_b32_e32 v30, 1, v28
	s_wait_dscnt 0x0
	v_cmp_ne_u16_e64 s5, v29, v26
	v_cmp_o_f32_e64 s3, v4, v4
	v_cmp_gt_f32_e64 s4, v3, v4
	s_wait_alu 0xf1ff
	s_delay_alu instid0(VALU_DEP_3)
	v_cndmask_b32_e64 v31, 0, 1, s5
	v_cmp_eq_u32_e64 s5, 1, v30
	s_and_b32 s2, s2, s3
	s_mov_b32 s3, exec_lo
	s_wait_alu 0xfffe
	s_or_b32 s2, s2, s4
	s_wait_alu 0xfffe
	s_and_b32 s2, s2, s5
	s_wait_alu 0xfffe
	v_cndmask_b32_e64 v30, v31, v27, s2
	s_delay_alu instid0(VALU_DEP_1) | instskip(NEXT) | instid1(VALU_DEP_1)
	v_and_b32_e32 v30, 1, v30
	v_cmpx_eq_u32_e32 1, v30
	s_cbranch_execz .LBB53_27
; %bb.26:
	ds_load_2addr_b64 v[30:33], v22 offset1:4
	ds_store_2addr_b32 v20, v4, v3 offset1:4
	s_wait_dscnt 0x1
	ds_store_2addr_b64 v22, v[32:33], v[30:31] offset1:4
	ds_store_b8 v19, v29
	ds_store_b8 v19, v28 offset:4
.LBB53_27:
	s_or_b32 exec_lo, exec_lo, s3
	s_wait_loadcnt_dscnt 0x0
	s_barrier_signal -1
	s_barrier_wait -1
	global_inv scope:SCOPE_SE
	ds_load_2addr_b32 v[3:4], v14 offset1:2
	ds_load_u8 v28, v13
	ds_load_u8 v29, v13 offset:2
	s_wait_dscnt 0x2
	v_cmp_u_f32_e64 s2, v3, v3
	s_wait_dscnt 0x1
	v_and_b32_e32 v30, 1, v28
	s_wait_dscnt 0x0
	v_cmp_ne_u16_e64 s5, v29, v26
	v_cmp_o_f32_e64 s3, v4, v4
	v_cmp_gt_f32_e64 s4, v3, v4
	s_wait_alu 0xf1ff
	s_delay_alu instid0(VALU_DEP_3)
	v_cndmask_b32_e64 v31, 0, 1, s5
	v_cmp_eq_u32_e64 s5, 1, v30
	s_and_b32 s2, s2, s3
	s_mov_b32 s3, exec_lo
	s_wait_alu 0xfffe
	s_or_b32 s2, s2, s4
	s_wait_alu 0xfffe
	s_and_b32 s2, s2, s5
	s_wait_alu 0xfffe
	v_cndmask_b32_e64 v30, v31, v27, s2
	s_delay_alu instid0(VALU_DEP_1) | instskip(NEXT) | instid1(VALU_DEP_1)
	v_and_b32_e32 v30, 1, v30
	v_cmpx_eq_u32_e32 1, v30
	s_cbranch_execz .LBB53_29
; %bb.28:
	ds_load_2addr_b64 v[30:33], v15 offset1:2
	ds_store_2addr_b32 v14, v4, v3 offset1:2
	s_wait_dscnt 0x1
	ds_store_2addr_b64 v15, v[32:33], v[30:31] offset1:2
	ds_store_b8 v13, v29
	ds_store_b8 v13, v28 offset:2
.LBB53_29:
	s_or_b32 exec_lo, exec_lo, s3
	s_wait_loadcnt_dscnt 0x0
	s_barrier_signal -1
	s_barrier_wait -1
	global_inv scope:SCOPE_SE
	ds_load_u16 v29, v11
	ds_load_b64 v[3:4], v10
	s_wait_dscnt 0x1
	v_lshrrev_b16 v28, 8, v29
	v_and_b32_e32 v30, 1, v29
	s_wait_dscnt 0x0
	v_cmp_u_f32_e64 s2, v3, v3
	v_cmp_o_f32_e64 s3, v4, v4
	v_cmp_gt_f32_e64 s4, v3, v4
	v_cmp_ne_u16_e64 s6, v28, v26
	v_cmp_eq_u32_e64 s5, 1, v30
	s_and_b32 s2, s2, s3
	s_mov_b32 s3, exec_lo
	v_cndmask_b32_e64 v26, 0, 1, s6
	s_wait_alu 0xfffe
	s_or_b32 s2, s2, s4
	s_wait_alu 0xfffe
	s_and_b32 s2, s2, s5
	s_wait_alu 0xfffe
	v_cndmask_b32_e64 v26, v26, v27, s2
	s_delay_alu instid0(VALU_DEP_1) | instskip(NEXT) | instid1(VALU_DEP_1)
	v_and_b32_e32 v26, 1, v26
	v_cmpx_eq_u32_e32 1, v26
	s_cbranch_execz .LBB53_31
; %bb.30:
	ds_load_b128 v[30:33], v21
	v_mov_b32_e32 v26, v4
	v_lshlrev_b16 v4, 8, v29
	v_mov_b32_e32 v27, v3
	s_delay_alu instid0(VALU_DEP_2)
	v_or_b32_e32 v3, v28, v4
	s_wait_dscnt 0x0
	v_dual_mov_b32 v34, v30 :: v_dual_mov_b32 v35, v31
	ds_store_b128 v21, v[32:35]
	ds_store_b64 v10, v[26:27]
	ds_store_b16 v11, v3
.LBB53_31:
	s_or_b32 exec_lo, exec_lo, s3
	v_and_b32_e32 v3, 15, v7
	s_wait_loadcnt_dscnt 0x0
	s_barrier_signal -1
	s_barrier_wait -1
	global_inv scope:SCOPE_SE
	v_sub_nc_u32_e32 v26, v18, v3
	s_delay_alu instid0(VALU_DEP_1)
	v_lshl_add_u32 v18, v26, 2, v16
	v_add_nc_u32_e32 v16, v17, v26
	ds_load_2addr_b32 v[3:4], v18 offset1:16
	ds_load_u8 v17, v16
	ds_load_u8 v27, v16 offset:16
	s_wait_dscnt 0x2
	v_cmp_u_f32_e64 s2, v3, v3
	s_wait_dscnt 0x1
	v_and_b32_e32 v28, 1, v17
	v_cmp_o_f32_e64 s3, v4, v4
	v_cmp_gt_f32_e64 s4, v3, v4
	s_wait_dscnt 0x0
	v_and_b32_e32 v27, 0xff, v27
	v_cmp_eq_u32_e64 s5, 1, v28
	s_and_b32 s2, s2, s3
	s_wait_alu 0xfffe
	s_or_b32 s3, s2, s4
	v_cmp_ne_u16_e64 s2, 0, v27
	s_wait_alu 0xfffe
	s_and_b32 s3, s3, s5
	s_wait_alu 0xfffe
	s_xor_b32 s3, s3, -1
	s_wait_alu 0xfffe
	s_and_b32 s3, s3, s2
	s_wait_alu 0xfffe
	s_and_saveexec_b32 s2, s3
	s_cbranch_execz .LBB53_33
; %bb.32:
	v_lshl_add_u32 v12, v26, 3, v12
	v_mov_b32_e32 v30, 1
	ds_load_2addr_b64 v[26:29], v12 offset1:16
	ds_store_2addr_b32 v18, v4, v3 offset1:16
	s_wait_dscnt 0x1
	ds_store_2addr_b64 v12, v[28:29], v[26:27] offset1:16
	ds_store_b8 v16, v30
	ds_store_b8 v16, v17 offset:16
.LBB53_33:
	s_wait_alu 0xfffe
	s_or_b32 exec_lo, exec_lo, s2
	s_wait_loadcnt_dscnt 0x0
	s_barrier_signal -1
	s_barrier_wait -1
	global_inv scope:SCOPE_SE
	ds_load_2addr_b32 v[3:4], v24 offset1:8
	ds_load_u8 v12, v23
	ds_load_u8 v16, v23 offset:8
	s_wait_dscnt 0x2
	v_cmp_u_f32_e64 s2, v3, v3
	s_wait_dscnt 0x1
	v_and_b32_e32 v17, 1, v12
	v_cmp_o_f32_e64 s3, v4, v4
	v_cmp_gt_f32_e64 s4, v3, v4
	s_wait_dscnt 0x0
	v_and_b32_e32 v16, 0xff, v16
	v_cmp_eq_u32_e64 s5, 1, v17
	s_and_b32 s2, s2, s3
	s_wait_alu 0xfffe
	s_or_b32 s3, s2, s4
	v_cmp_ne_u16_e64 s2, 0, v16
	s_wait_alu 0xfffe
	s_and_b32 s3, s3, s5
	s_wait_alu 0xfffe
	s_xor_b32 s3, s3, -1
	s_wait_alu 0xfffe
	s_and_b32 s3, s3, s2
	s_wait_alu 0xfffe
	s_and_saveexec_b32 s2, s3
	s_cbranch_execz .LBB53_35
; %bb.34:
	ds_load_2addr_b64 v[26:29], v25 offset1:8
	v_mov_b32_e32 v16, 1
	ds_store_2addr_b32 v24, v4, v3 offset1:8
	s_wait_dscnt 0x1
	ds_store_2addr_b64 v25, v[28:29], v[26:27] offset1:8
	ds_store_b8 v23, v16
	ds_store_b8 v23, v12 offset:8
.LBB53_35:
	s_wait_alu 0xfffe
	s_or_b32 exec_lo, exec_lo, s2
	s_wait_loadcnt_dscnt 0x0
	s_barrier_signal -1
	s_barrier_wait -1
	global_inv scope:SCOPE_SE
	ds_load_2addr_b32 v[3:4], v20 offset1:4
	ds_load_u8 v12, v19
	ds_load_u8 v16, v19 offset:4
	s_wait_dscnt 0x2
	v_cmp_u_f32_e64 s2, v3, v3
	s_wait_dscnt 0x1
	v_and_b32_e32 v17, 1, v12
	v_cmp_o_f32_e64 s3, v4, v4
	v_cmp_gt_f32_e64 s4, v3, v4
	s_wait_dscnt 0x0
	v_and_b32_e32 v16, 0xff, v16
	v_cmp_eq_u32_e64 s5, 1, v17
	s_and_b32 s2, s2, s3
	s_wait_alu 0xfffe
	s_or_b32 s3, s2, s4
	v_cmp_ne_u16_e64 s2, 0, v16
	s_wait_alu 0xfffe
	s_and_b32 s3, s3, s5
	s_wait_alu 0xfffe
	s_xor_b32 s3, s3, -1
	s_wait_alu 0xfffe
	s_and_b32 s3, s3, s2
	s_wait_alu 0xfffe
	s_and_saveexec_b32 s2, s3
	s_cbranch_execz .LBB53_37
; %bb.36:
	ds_load_2addr_b64 v[23:26], v22 offset1:4
	v_mov_b32_e32 v16, 1
	ds_store_2addr_b32 v20, v4, v3 offset1:4
	s_wait_dscnt 0x1
	ds_store_2addr_b64 v22, v[25:26], v[23:24] offset1:4
	ds_store_b8 v19, v16
	ds_store_b8 v19, v12 offset:4
.LBB53_37:
	;; [unrolled: 40-line block ×3, first 2 shown]
	s_wait_alu 0xfffe
	s_or_b32 exec_lo, exec_lo, s2
	s_wait_loadcnt_dscnt 0x0
	s_barrier_signal -1
	s_barrier_wait -1
	global_inv scope:SCOPE_SE
	ds_load_b64 v[3:4], v10
	ds_load_u16 v12, v11
	s_wait_dscnt 0x1
	v_cmp_u_f32_e64 s2, v3, v3
	s_wait_dscnt 0x0
	v_and_b32_e32 v13, 1, v12
	v_cmp_o_f32_e64 s3, v4, v4
	v_cmp_gt_f32_e64 s4, v3, v4
	v_lshrrev_b16 v14, 8, v12
	s_delay_alu instid0(VALU_DEP_4)
	v_cmp_eq_u32_e64 s5, 1, v13
	s_and_b32 s2, s2, s3
	s_wait_alu 0xfffe
	s_or_b32 s3, s2, s4
	v_cmp_ne_u16_e64 s2, 0, v14
	s_wait_alu 0xfffe
	s_and_b32 s3, s3, s5
	s_wait_alu 0xfffe
	s_xor_b32 s3, s3, -1
	s_wait_alu 0xfffe
	s_and_b32 s3, s3, s2
	s_wait_alu 0xfffe
	s_and_saveexec_b32 s2, s3
	s_cbranch_execz .LBB53_41
; %bb.40:
	ds_load_b128 v[13:16], v21
	v_mov_b32_e32 v19, v4
	v_lshlrev_b16 v4, 8, v12
	v_mov_b32_e32 v20, v3
	s_delay_alu instid0(VALU_DEP_2)
	v_or_b32_e32 v3, 1, v4
	s_wait_dscnt 0x0
	v_dual_mov_b32 v17, v13 :: v_dual_mov_b32 v18, v14
	ds_store_b128 v21, v[15:18]
	ds_store_b64 v10, v[19:20]
	ds_store_b16 v11, v3
.LBB53_41:
	s_wait_alu 0xfffe
	s_or_b32 exec_lo, exec_lo, s2
	s_wait_loadcnt_dscnt 0x0
	s_barrier_signal -1
	s_barrier_wait -1
	global_inv scope:SCOPE_SE
	s_and_saveexec_b32 s2, s0
	s_cbranch_execz .LBB53_46
; %bb.42:
	s_and_saveexec_b32 s0, vcc_lo
	s_cbranch_execz .LBB53_44
; %bb.43:
	v_mad_co_u64_u32 v[3:4], null, v7, s10, v[2:3]
	v_mov_b32_e32 v4, 0
	v_mad_co_u64_u32 v[10:11], null, v7, s7, v[0:1]
	ds_load_b32 v12, v8
	ds_load_b64 v[7:8], v9
	v_mov_b32_e32 v11, v4
	v_lshlrev_b64_e32 v[3:4], 2, v[3:4]
	s_delay_alu instid0(VALU_DEP_2) | instskip(NEXT) | instid1(VALU_DEP_2)
	v_lshlrev_b64_e32 v[9:10], 3, v[10:11]
	v_add_co_u32 v3, vcc_lo, s14, v3
	s_wait_alu 0xfffd
	s_delay_alu instid0(VALU_DEP_3) | instskip(NEXT) | instid1(VALU_DEP_3)
	v_add_co_ci_u32_e64 v4, null, s15, v4, vcc_lo
	v_add_co_u32 v9, vcc_lo, s12, v9
	s_wait_alu 0xfffd
	v_add_co_ci_u32_e64 v10, null, s13, v10, vcc_lo
	s_wait_dscnt 0x1
	global_store_b32 v[3:4], v12, off
	s_wait_dscnt 0x0
	global_store_b64 v[9:10], v[7:8], off
.LBB53_44:
	s_wait_alu 0xfffe
	s_or_b32 exec_lo, exec_lo, s0
	s_delay_alu instid0(SALU_CYCLE_1)
	s_and_b32 exec_lo, exec_lo, s1
	s_cbranch_execz .LBB53_46
; %bb.45:
	v_mad_co_u64_u32 v[2:3], null, v1, s10, v[2:3]
	v_mov_b32_e32 v3, 0
	v_mad_co_u64_u32 v[0:1], null, v1, s7, v[0:1]
	ds_load_b32 v7, v5
	ds_load_b64 v[4:5], v6
	v_mov_b32_e32 v1, v3
	v_lshlrev_b64_e32 v[2:3], 2, v[2:3]
	s_delay_alu instid0(VALU_DEP_2) | instskip(NEXT) | instid1(VALU_DEP_2)
	v_lshlrev_b64_e32 v[0:1], 3, v[0:1]
	v_add_co_u32 v2, vcc_lo, s14, v2
	s_wait_alu 0xfffd
	s_delay_alu instid0(VALU_DEP_3) | instskip(NEXT) | instid1(VALU_DEP_3)
	v_add_co_ci_u32_e64 v3, null, s15, v3, vcc_lo
	v_add_co_u32 v0, vcc_lo, s12, v0
	s_wait_alu 0xfffd
	v_add_co_ci_u32_e64 v1, null, s13, v1, vcc_lo
	s_wait_dscnt 0x1
	global_store_b32 v[2:3], v7, off
	s_wait_dscnt 0x0
	global_store_b64 v[0:1], v[4:5], off
.LBB53_46:
	s_endpgm
	.section	.rodata,"a",@progbits
	.p2align	6, 0x0
	.amdhsa_kernel _ZN2at6native20bitonicSortKVInPlaceILin1ELin1ELi16ELi16EflNS0_4GTOpIfLb1EEEjEEvNS_4cuda6detail10TensorInfoIT3_T6_EES8_S8_S8_NS6_IT4_S8_EES8_T5_
		.amdhsa_group_segment_fixed_size 6656
		.amdhsa_private_segment_fixed_size 0
		.amdhsa_kernarg_size 712
		.amdhsa_user_sgpr_count 2
		.amdhsa_user_sgpr_dispatch_ptr 0
		.amdhsa_user_sgpr_queue_ptr 0
		.amdhsa_user_sgpr_kernarg_segment_ptr 1
		.amdhsa_user_sgpr_dispatch_id 0
		.amdhsa_user_sgpr_private_segment_size 0
		.amdhsa_wavefront_size32 1
		.amdhsa_uses_dynamic_stack 0
		.amdhsa_enable_private_segment 0
		.amdhsa_system_sgpr_workgroup_id_x 1
		.amdhsa_system_sgpr_workgroup_id_y 1
		.amdhsa_system_sgpr_workgroup_id_z 1
		.amdhsa_system_sgpr_workgroup_info 0
		.amdhsa_system_vgpr_workitem_id 1
		.amdhsa_next_free_vgpr 36
		.amdhsa_next_free_sgpr 16
		.amdhsa_reserve_vcc 1
		.amdhsa_float_round_mode_32 0
		.amdhsa_float_round_mode_16_64 0
		.amdhsa_float_denorm_mode_32 3
		.amdhsa_float_denorm_mode_16_64 3
		.amdhsa_fp16_overflow 0
		.amdhsa_workgroup_processor_mode 1
		.amdhsa_memory_ordered 1
		.amdhsa_forward_progress 1
		.amdhsa_inst_pref_size 41
		.amdhsa_round_robin_scheduling 0
		.amdhsa_exception_fp_ieee_invalid_op 0
		.amdhsa_exception_fp_denorm_src 0
		.amdhsa_exception_fp_ieee_div_zero 0
		.amdhsa_exception_fp_ieee_overflow 0
		.amdhsa_exception_fp_ieee_underflow 0
		.amdhsa_exception_fp_ieee_inexact 0
		.amdhsa_exception_int_div_zero 0
	.end_amdhsa_kernel
	.section	.text._ZN2at6native20bitonicSortKVInPlaceILin1ELin1ELi16ELi16EflNS0_4GTOpIfLb1EEEjEEvNS_4cuda6detail10TensorInfoIT3_T6_EES8_S8_S8_NS6_IT4_S8_EES8_T5_,"axG",@progbits,_ZN2at6native20bitonicSortKVInPlaceILin1ELin1ELi16ELi16EflNS0_4GTOpIfLb1EEEjEEvNS_4cuda6detail10TensorInfoIT3_T6_EES8_S8_S8_NS6_IT4_S8_EES8_T5_,comdat
.Lfunc_end53:
	.size	_ZN2at6native20bitonicSortKVInPlaceILin1ELin1ELi16ELi16EflNS0_4GTOpIfLb1EEEjEEvNS_4cuda6detail10TensorInfoIT3_T6_EES8_S8_S8_NS6_IT4_S8_EES8_T5_, .Lfunc_end53-_ZN2at6native20bitonicSortKVInPlaceILin1ELin1ELi16ELi16EflNS0_4GTOpIfLb1EEEjEEvNS_4cuda6detail10TensorInfoIT3_T6_EES8_S8_S8_NS6_IT4_S8_EES8_T5_
                                        ; -- End function
	.set _ZN2at6native20bitonicSortKVInPlaceILin1ELin1ELi16ELi16EflNS0_4GTOpIfLb1EEEjEEvNS_4cuda6detail10TensorInfoIT3_T6_EES8_S8_S8_NS6_IT4_S8_EES8_T5_.num_vgpr, 36
	.set _ZN2at6native20bitonicSortKVInPlaceILin1ELin1ELi16ELi16EflNS0_4GTOpIfLb1EEEjEEvNS_4cuda6detail10TensorInfoIT3_T6_EES8_S8_S8_NS6_IT4_S8_EES8_T5_.num_agpr, 0
	.set _ZN2at6native20bitonicSortKVInPlaceILin1ELin1ELi16ELi16EflNS0_4GTOpIfLb1EEEjEEvNS_4cuda6detail10TensorInfoIT3_T6_EES8_S8_S8_NS6_IT4_S8_EES8_T5_.numbered_sgpr, 16
	.set _ZN2at6native20bitonicSortKVInPlaceILin1ELin1ELi16ELi16EflNS0_4GTOpIfLb1EEEjEEvNS_4cuda6detail10TensorInfoIT3_T6_EES8_S8_S8_NS6_IT4_S8_EES8_T5_.num_named_barrier, 0
	.set _ZN2at6native20bitonicSortKVInPlaceILin1ELin1ELi16ELi16EflNS0_4GTOpIfLb1EEEjEEvNS_4cuda6detail10TensorInfoIT3_T6_EES8_S8_S8_NS6_IT4_S8_EES8_T5_.private_seg_size, 0
	.set _ZN2at6native20bitonicSortKVInPlaceILin1ELin1ELi16ELi16EflNS0_4GTOpIfLb1EEEjEEvNS_4cuda6detail10TensorInfoIT3_T6_EES8_S8_S8_NS6_IT4_S8_EES8_T5_.uses_vcc, 1
	.set _ZN2at6native20bitonicSortKVInPlaceILin1ELin1ELi16ELi16EflNS0_4GTOpIfLb1EEEjEEvNS_4cuda6detail10TensorInfoIT3_T6_EES8_S8_S8_NS6_IT4_S8_EES8_T5_.uses_flat_scratch, 0
	.set _ZN2at6native20bitonicSortKVInPlaceILin1ELin1ELi16ELi16EflNS0_4GTOpIfLb1EEEjEEvNS_4cuda6detail10TensorInfoIT3_T6_EES8_S8_S8_NS6_IT4_S8_EES8_T5_.has_dyn_sized_stack, 0
	.set _ZN2at6native20bitonicSortKVInPlaceILin1ELin1ELi16ELi16EflNS0_4GTOpIfLb1EEEjEEvNS_4cuda6detail10TensorInfoIT3_T6_EES8_S8_S8_NS6_IT4_S8_EES8_T5_.has_recursion, 0
	.set _ZN2at6native20bitonicSortKVInPlaceILin1ELin1ELi16ELi16EflNS0_4GTOpIfLb1EEEjEEvNS_4cuda6detail10TensorInfoIT3_T6_EES8_S8_S8_NS6_IT4_S8_EES8_T5_.has_indirect_call, 0
	.section	.AMDGPU.csdata,"",@progbits
; Kernel info:
; codeLenInByte = 5204
; TotalNumSgprs: 18
; NumVgprs: 36
; ScratchSize: 0
; MemoryBound: 0
; FloatMode: 240
; IeeeMode: 1
; LDSByteSize: 6656 bytes/workgroup (compile time only)
; SGPRBlocks: 0
; VGPRBlocks: 4
; NumSGPRsForWavesPerEU: 18
; NumVGPRsForWavesPerEU: 36
; Occupancy: 16
; WaveLimiterHint : 1
; COMPUTE_PGM_RSRC2:SCRATCH_EN: 0
; COMPUTE_PGM_RSRC2:USER_SGPR: 2
; COMPUTE_PGM_RSRC2:TRAP_HANDLER: 0
; COMPUTE_PGM_RSRC2:TGID_X_EN: 1
; COMPUTE_PGM_RSRC2:TGID_Y_EN: 1
; COMPUTE_PGM_RSRC2:TGID_Z_EN: 1
; COMPUTE_PGM_RSRC2:TIDIG_COMP_CNT: 1
	.section	.text._ZN2at6native20bitonicSortKVInPlaceILin1ELin1ELi16ELi16EflNS0_4LTOpIfLb1EEEmEEvNS_4cuda6detail10TensorInfoIT3_T6_EES8_S8_S8_NS6_IT4_S8_EES8_T5_,"axG",@progbits,_ZN2at6native20bitonicSortKVInPlaceILin1ELin1ELi16ELi16EflNS0_4LTOpIfLb1EEEmEEvNS_4cuda6detail10TensorInfoIT3_T6_EES8_S8_S8_NS6_IT4_S8_EES8_T5_,comdat
	.protected	_ZN2at6native20bitonicSortKVInPlaceILin1ELin1ELi16ELi16EflNS0_4LTOpIfLb1EEEmEEvNS_4cuda6detail10TensorInfoIT3_T6_EES8_S8_S8_NS6_IT4_S8_EES8_T5_ ; -- Begin function _ZN2at6native20bitonicSortKVInPlaceILin1ELin1ELi16ELi16EflNS0_4LTOpIfLb1EEEmEEvNS_4cuda6detail10TensorInfoIT3_T6_EES8_S8_S8_NS6_IT4_S8_EES8_T5_
	.globl	_ZN2at6native20bitonicSortKVInPlaceILin1ELin1ELi16ELi16EflNS0_4LTOpIfLb1EEEmEEvNS_4cuda6detail10TensorInfoIT3_T6_EES8_S8_S8_NS6_IT4_S8_EES8_T5_
	.p2align	8
	.type	_ZN2at6native20bitonicSortKVInPlaceILin1ELin1ELi16ELi16EflNS0_4LTOpIfLb1EEEmEEvNS_4cuda6detail10TensorInfoIT3_T6_EES8_S8_S8_NS6_IT4_S8_EES8_T5_,@function
_ZN2at6native20bitonicSortKVInPlaceILin1ELin1ELi16ELi16EflNS0_4LTOpIfLb1EEEmEEvNS_4cuda6detail10TensorInfoIT3_T6_EES8_S8_S8_NS6_IT4_S8_EES8_T5_: ; @_ZN2at6native20bitonicSortKVInPlaceILin1ELin1ELi16ELi16EflNS0_4LTOpIfLb1EEEmEEvNS_4cuda6detail10TensorInfoIT3_T6_EES8_S8_S8_NS6_IT4_S8_EES8_T5_
; %bb.0:
	v_mov_b32_e32 v1, 0
	s_lshr_b32 s8, ttmp7, 16
	s_and_b32 s9, ttmp7, 0xffff
	global_load_u16 v1, v1, s[0:1] offset:886
	s_clause 0x1
	s_load_b64 s[2:3], s[0:1], 0x368
	s_load_b128 s[4:7], s[0:1], 0x1a0
	s_wait_kmcnt 0x0
	s_mul_i32 s3, s3, s8
	s_delay_alu instid0(SALU_CYCLE_1) | instskip(NEXT) | instid1(SALU_CYCLE_1)
	s_add_co_i32 s3, s3, s9
	s_mul_i32 s2, s3, s2
	s_delay_alu instid0(SALU_CYCLE_1) | instskip(SKIP_2) | instid1(VALU_DEP_1)
	s_add_co_i32 s2, s2, ttmp9
	s_wait_loadcnt 0x0
	v_and_b32_e32 v1, 0xffff, v1
	v_mul_hi_u32 v2, v1, s2
	v_mul_lo_u32 v1, v1, s2
	s_delay_alu instid0(VALU_DEP_1)
	v_cmp_le_u64_e32 vcc_lo, s[4:5], v[1:2]
	s_cbranch_vccnz .LBB54_56
; %bb.1:
	s_clause 0x1
	s_load_b32 s10, s[0:1], 0x198
	s_load_b64 s[8:9], s[0:1], 0x1b0
	v_bfe_u32 v16, v0, 10, 10
	s_delay_alu instid0(VALU_DEP_1) | instskip(NEXT) | instid1(VALU_DEP_1)
	v_add_co_u32 v4, vcc_lo, v1, v16
	v_add_co_ci_u32_e64 v5, null, 0, v2, vcc_lo
	v_mov_b32_e32 v2, 0
	v_mov_b32_e32 v3, 0
	s_delay_alu instid0(VALU_DEP_3)
	v_dual_mov_b32 v7, v5 :: v_dual_mov_b32 v6, v4
	s_wait_kmcnt 0x0
	s_cmp_lt_i32 s10, 2
	s_cbranch_scc1 .LBB54_9
; %bb.2:
	s_add_co_i32 s2, s10, -1
	s_mov_b32 s3, 0
	v_dual_mov_b32 v2, 0 :: v_dual_mov_b32 v11, v5
	s_wait_alu 0xfffe
	s_lshl_b64 s[12:13], s[2:3], 3
	v_dual_mov_b32 v3, 0 :: v_dual_mov_b32 v8, 0
	v_mov_b32_e32 v10, v4
	s_add_nc_u64 s[12:13], s[0:1], s[12:13]
	s_add_co_i32 s14, s10, 1
	s_add_nc_u64 s[10:11], s[12:13], 8
.LBB54_3:                               ; =>This Inner Loop Header: Depth=1
	s_load_b64 s[12:13], s[10:11], 0x0
                                        ; implicit-def: $vgpr6_vgpr7
	s_mov_b32 s2, exec_lo
	s_wait_kmcnt 0x0
	v_or_b32_e32 v9, s13, v11
	s_delay_alu instid0(VALU_DEP_1)
	v_cmpx_ne_u64_e32 0, v[8:9]
	s_wait_alu 0xfffe
	s_xor_b32 s15, exec_lo, s2
	s_cbranch_execz .LBB54_5
; %bb.4:                                ;   in Loop: Header=BB54_3 Depth=1
	s_cvt_f32_u32 s2, s12
	s_cvt_f32_u32 s16, s13
	s_sub_nc_u64 s[18:19], 0, s[12:13]
	s_wait_alu 0xfffe
	s_delay_alu instid0(SALU_CYCLE_1) | instskip(SKIP_1) | instid1(SALU_CYCLE_2)
	s_fmamk_f32 s2, s16, 0x4f800000, s2
	s_wait_alu 0xfffe
	v_s_rcp_f32 s2, s2
	s_delay_alu instid0(TRANS32_DEP_1) | instskip(SKIP_1) | instid1(SALU_CYCLE_2)
	s_mul_f32 s2, s2, 0x5f7ffffc
	s_wait_alu 0xfffe
	s_mul_f32 s16, s2, 0x2f800000
	s_wait_alu 0xfffe
	s_delay_alu instid0(SALU_CYCLE_2) | instskip(SKIP_1) | instid1(SALU_CYCLE_2)
	s_trunc_f32 s16, s16
	s_wait_alu 0xfffe
	s_fmamk_f32 s2, s16, 0xcf800000, s2
	s_cvt_u32_f32 s17, s16
	s_wait_alu 0xfffe
	s_delay_alu instid0(SALU_CYCLE_1) | instskip(SKIP_1) | instid1(SALU_CYCLE_2)
	s_cvt_u32_f32 s16, s2
	s_wait_alu 0xfffe
	s_mul_u64 s[20:21], s[18:19], s[16:17]
	s_delay_alu instid0(SALU_CYCLE_1)
	s_mul_hi_u32 s23, s16, s21
	s_mul_i32 s22, s16, s21
	s_mul_hi_u32 s2, s16, s20
	s_mul_i32 s25, s17, s20
	s_wait_alu 0xfffe
	s_add_nc_u64 s[22:23], s[2:3], s[22:23]
	s_mul_hi_u32 s24, s17, s20
	s_mul_hi_u32 s26, s17, s21
	s_add_co_u32 s2, s22, s25
	s_add_co_ci_u32 s2, s23, s24
	s_mul_i32 s20, s17, s21
	s_add_co_ci_u32 s21, s26, 0
	s_wait_alu 0xfffe
	s_add_nc_u64 s[20:21], s[2:3], s[20:21]
	s_delay_alu instid0(SALU_CYCLE_1)
	s_add_co_u32 s16, s16, s20
	s_cselect_b32 s2, -1, 0
	s_wait_alu 0xfffe
	s_cmp_lg_u32 s2, 0
	s_add_co_ci_u32 s17, s17, s21
	s_wait_alu 0xfffe
	s_mul_u64 s[18:19], s[18:19], s[16:17]
	s_delay_alu instid0(SALU_CYCLE_1)
	s_mul_hi_u32 s21, s16, s19
	s_mul_i32 s20, s16, s19
	s_mul_hi_u32 s2, s16, s18
	s_mul_i32 s23, s17, s18
	s_wait_alu 0xfffe
	s_add_nc_u64 s[20:21], s[2:3], s[20:21]
	s_mul_hi_u32 s22, s17, s18
	s_mul_hi_u32 s24, s17, s19
	s_add_co_u32 s2, s20, s23
	s_add_co_ci_u32 s2, s21, s22
	s_mul_i32 s18, s17, s19
	s_add_co_ci_u32 s19, s24, 0
	s_wait_alu 0xfffe
	s_add_nc_u64 s[18:19], s[2:3], s[18:19]
	s_delay_alu instid0(SALU_CYCLE_1)
	s_add_co_u32 s2, s16, s18
	s_cselect_b32 s16, -1, 0
	s_wait_alu 0xfffe
	v_mul_hi_u32 v1, v10, s2
	s_cmp_lg_u32 s16, 0
	v_mad_co_u64_u32 v[12:13], null, v11, s2, 0
	s_add_co_ci_u32 s16, s17, s19
	s_wait_alu 0xfffe
	v_mad_co_u64_u32 v[6:7], null, v10, s16, 0
	v_mad_co_u64_u32 v[14:15], null, v11, s16, 0
	s_delay_alu instid0(VALU_DEP_2) | instskip(SKIP_1) | instid1(VALU_DEP_3)
	v_add_co_u32 v1, vcc_lo, v1, v6
	s_wait_alu 0xfffd
	v_add_co_ci_u32_e64 v6, null, 0, v7, vcc_lo
	s_delay_alu instid0(VALU_DEP_2) | instskip(SKIP_1) | instid1(VALU_DEP_2)
	v_add_co_u32 v1, vcc_lo, v1, v12
	s_wait_alu 0xfffd
	v_add_co_ci_u32_e32 v1, vcc_lo, v6, v13, vcc_lo
	s_wait_alu 0xfffd
	v_add_co_ci_u32_e32 v6, vcc_lo, 0, v15, vcc_lo
	s_delay_alu instid0(VALU_DEP_2) | instskip(SKIP_1) | instid1(VALU_DEP_2)
	v_add_co_u32 v1, vcc_lo, v1, v14
	s_wait_alu 0xfffd
	v_add_co_ci_u32_e64 v9, null, 0, v6, vcc_lo
	s_delay_alu instid0(VALU_DEP_2) | instskip(SKIP_1) | instid1(VALU_DEP_3)
	v_mul_lo_u32 v12, s13, v1
	v_mad_co_u64_u32 v[6:7], null, s12, v1, 0
	v_mul_lo_u32 v13, s12, v9
	s_delay_alu instid0(VALU_DEP_2) | instskip(NEXT) | instid1(VALU_DEP_2)
	v_sub_co_u32 v6, vcc_lo, v10, v6
	v_add3_u32 v7, v7, v13, v12
	v_add_co_u32 v13, s2, v1, 2
	s_wait_alu 0xf1ff
	v_add_co_ci_u32_e64 v14, null, 0, v9, s2
	s_delay_alu instid0(VALU_DEP_3) | instskip(SKIP_3) | instid1(VALU_DEP_3)
	v_sub_nc_u32_e32 v12, v11, v7
	v_sub_co_u32 v15, s2, v6, s12
	s_wait_alu 0xfffd
	v_sub_co_ci_u32_e64 v7, null, v11, v7, vcc_lo
	v_subrev_co_ci_u32_e64 v12, null, s13, v12, vcc_lo
	s_delay_alu instid0(VALU_DEP_3) | instskip(SKIP_1) | instid1(VALU_DEP_2)
	v_cmp_le_u32_e32 vcc_lo, s12, v15
	s_wait_alu 0xf1ff
	v_subrev_co_ci_u32_e64 v12, null, 0, v12, s2
	s_wait_alu 0xfffd
	v_cndmask_b32_e64 v15, 0, -1, vcc_lo
	v_cmp_eq_u32_e64 s2, s13, v7
	s_delay_alu instid0(VALU_DEP_3)
	v_cmp_le_u32_e32 vcc_lo, s13, v12
	s_wait_alu 0xfffd
	v_cndmask_b32_e64 v17, 0, -1, vcc_lo
	v_cmp_le_u32_e32 vcc_lo, s12, v6
	s_wait_alu 0xfffd
	v_cndmask_b32_e64 v6, 0, -1, vcc_lo
	;; [unrolled: 3-line block ×3, first 2 shown]
	v_cmp_eq_u32_e32 vcc_lo, s13, v12
	s_wait_alu 0xf1ff
	s_delay_alu instid0(VALU_DEP_2)
	v_cndmask_b32_e64 v6, v18, v6, s2
	s_wait_alu 0xfffd
	v_cndmask_b32_e32 v12, v17, v15, vcc_lo
	v_add_co_u32 v15, vcc_lo, v1, 1
	s_wait_alu 0xfffd
	v_add_co_ci_u32_e64 v17, null, 0, v9, vcc_lo
	s_delay_alu instid0(VALU_DEP_3) | instskip(SKIP_1) | instid1(VALU_DEP_2)
	v_cmp_ne_u32_e32 vcc_lo, 0, v12
	s_wait_alu 0xfffd
	v_dual_cndmask_b32 v7, v17, v14 :: v_dual_cndmask_b32 v12, v15, v13
	v_cmp_ne_u32_e32 vcc_lo, 0, v6
	s_wait_alu 0xfffd
	s_delay_alu instid0(VALU_DEP_2) | instskip(NEXT) | instid1(VALU_DEP_3)
	v_cndmask_b32_e32 v7, v9, v7, vcc_lo
	v_cndmask_b32_e32 v6, v1, v12, vcc_lo
.LBB54_5:                               ;   in Loop: Header=BB54_3 Depth=1
	s_wait_alu 0xfffe
	s_and_not1_saveexec_b32 s2, s15
	s_cbranch_execz .LBB54_7
; %bb.6:                                ;   in Loop: Header=BB54_3 Depth=1
	v_cvt_f32_u32_e32 v1, s12
	s_sub_co_i32 s15, 0, s12
	s_delay_alu instid0(VALU_DEP_1) | instskip(NEXT) | instid1(TRANS32_DEP_1)
	v_rcp_iflag_f32_e32 v1, v1
	v_mul_f32_e32 v1, 0x4f7ffffe, v1
	s_delay_alu instid0(VALU_DEP_1) | instskip(SKIP_1) | instid1(VALU_DEP_1)
	v_cvt_u32_f32_e32 v1, v1
	s_wait_alu 0xfffe
	v_mul_lo_u32 v6, s15, v1
	s_delay_alu instid0(VALU_DEP_1) | instskip(NEXT) | instid1(VALU_DEP_1)
	v_mul_hi_u32 v6, v1, v6
	v_add_nc_u32_e32 v1, v1, v6
	s_delay_alu instid0(VALU_DEP_1) | instskip(NEXT) | instid1(VALU_DEP_1)
	v_mul_hi_u32 v1, v10, v1
	v_mul_lo_u32 v6, v1, s12
	v_add_nc_u32_e32 v7, 1, v1
	s_delay_alu instid0(VALU_DEP_2) | instskip(NEXT) | instid1(VALU_DEP_1)
	v_sub_nc_u32_e32 v6, v10, v6
	v_subrev_nc_u32_e32 v9, s12, v6
	v_cmp_le_u32_e32 vcc_lo, s12, v6
	s_wait_alu 0xfffd
	s_delay_alu instid0(VALU_DEP_2) | instskip(NEXT) | instid1(VALU_DEP_1)
	v_dual_cndmask_b32 v6, v6, v9 :: v_dual_cndmask_b32 v1, v1, v7
	v_cmp_le_u32_e32 vcc_lo, s12, v6
	s_delay_alu instid0(VALU_DEP_2) | instskip(SKIP_1) | instid1(VALU_DEP_1)
	v_add_nc_u32_e32 v7, 1, v1
	s_wait_alu 0xfffd
	v_dual_cndmask_b32 v6, v1, v7 :: v_dual_mov_b32 v7, v8
.LBB54_7:                               ;   in Loop: Header=BB54_3 Depth=1
	s_wait_alu 0xfffe
	s_or_b32 exec_lo, exec_lo, s2
	s_load_b64 s[16:17], s[10:11], 0xc8
	s_delay_alu instid0(VALU_DEP_1)
	v_mul_lo_u32 v1, v7, s12
	v_mul_lo_u32 v9, v6, s13
	v_mad_co_u64_u32 v[12:13], null, v6, s12, 0
	s_add_co_i32 s14, s14, -1
	s_add_nc_u64 s[10:11], s[10:11], -8
	s_wait_alu 0xfffe
	s_cmp_gt_u32 s14, 2
	v_add3_u32 v1, v13, v9, v1
	v_sub_co_u32 v9, vcc_lo, v10, v12
	s_wait_alu 0xfffd
	s_delay_alu instid0(VALU_DEP_2) | instskip(SKIP_1) | instid1(VALU_DEP_2)
	v_sub_co_ci_u32_e64 v1, null, v11, v1, vcc_lo
	s_wait_kmcnt 0x0
	v_mul_lo_u32 v10, s17, v9
	s_delay_alu instid0(VALU_DEP_2) | instskip(SKIP_1) | instid1(VALU_DEP_1)
	v_mul_lo_u32 v1, s16, v1
	v_mad_co_u64_u32 v[2:3], null, s16, v9, v[2:3]
	v_add3_u32 v3, v10, v3, v1
	s_cbranch_scc0 .LBB54_9
; %bb.8:                                ;   in Loop: Header=BB54_3 Depth=1
	v_dual_mov_b32 v11, v7 :: v_dual_mov_b32 v10, v6
	s_branch .LBB54_3
.LBB54_9:
	s_clause 0x1
	s_load_b32 s14, s[0:1], 0x350
	s_load_b64 s[10:11], s[0:1], 0xd0
	v_dual_mov_b32 v8, 0 :: v_dual_mov_b32 v15, v5
	v_dual_mov_b32 v9, 0 :: v_dual_mov_b32 v14, v4
	s_add_nc_u64 s[12:13], s[0:1], 0x368
	s_wait_kmcnt 0x0
	s_cmp_lt_i32 s14, 2
	s_cbranch_scc1 .LBB54_17
; %bb.10:
	s_add_co_i32 s2, s14, -1
	s_mov_b32 s3, 0
	v_dual_mov_b32 v8, 0 :: v_dual_mov_b32 v13, v5
	s_wait_alu 0xfffe
	s_lshl_b64 s[16:17], s[2:3], 3
	v_dual_mov_b32 v9, 0 :: v_dual_mov_b32 v10, 0
	v_mov_b32_e32 v12, v4
	s_wait_alu 0xfffe
	s_add_nc_u64 s[16:17], s[0:1], s[16:17]
	s_add_co_i32 s18, s14, 1
	s_wait_alu 0xfffe
	s_add_nc_u64 s[14:15], s[16:17], 0x1c0
.LBB54_11:                              ; =>This Inner Loop Header: Depth=1
	s_load_b64 s[16:17], s[14:15], 0x0
                                        ; implicit-def: $vgpr14_vgpr15
	s_mov_b32 s2, exec_lo
	s_wait_kmcnt 0x0
	v_or_b32_e32 v11, s17, v13
	s_delay_alu instid0(VALU_DEP_1)
	v_cmpx_ne_u64_e32 0, v[10:11]
	s_wait_alu 0xfffe
	s_xor_b32 s19, exec_lo, s2
	s_cbranch_execz .LBB54_13
; %bb.12:                               ;   in Loop: Header=BB54_11 Depth=1
	s_cvt_f32_u32 s2, s16
	s_cvt_f32_u32 s20, s17
	s_sub_nc_u64 s[22:23], 0, s[16:17]
	s_wait_alu 0xfffe
	s_delay_alu instid0(SALU_CYCLE_1) | instskip(SKIP_1) | instid1(SALU_CYCLE_2)
	s_fmamk_f32 s2, s20, 0x4f800000, s2
	s_wait_alu 0xfffe
	v_s_rcp_f32 s2, s2
	s_delay_alu instid0(TRANS32_DEP_1) | instskip(SKIP_1) | instid1(SALU_CYCLE_2)
	s_mul_f32 s2, s2, 0x5f7ffffc
	s_wait_alu 0xfffe
	s_mul_f32 s20, s2, 0x2f800000
	s_wait_alu 0xfffe
	s_delay_alu instid0(SALU_CYCLE_2) | instskip(SKIP_1) | instid1(SALU_CYCLE_2)
	s_trunc_f32 s20, s20
	s_wait_alu 0xfffe
	s_fmamk_f32 s2, s20, 0xcf800000, s2
	s_cvt_u32_f32 s21, s20
	s_wait_alu 0xfffe
	s_delay_alu instid0(SALU_CYCLE_1) | instskip(SKIP_1) | instid1(SALU_CYCLE_2)
	s_cvt_u32_f32 s20, s2
	s_wait_alu 0xfffe
	s_mul_u64 s[24:25], s[22:23], s[20:21]
	s_delay_alu instid0(SALU_CYCLE_1)
	s_mul_hi_u32 s27, s20, s25
	s_mul_i32 s26, s20, s25
	s_mul_hi_u32 s2, s20, s24
	s_mul_i32 s29, s21, s24
	s_wait_alu 0xfffe
	s_add_nc_u64 s[26:27], s[2:3], s[26:27]
	s_mul_hi_u32 s28, s21, s24
	s_mul_hi_u32 s30, s21, s25
	s_add_co_u32 s2, s26, s29
	s_add_co_ci_u32 s2, s27, s28
	s_mul_i32 s24, s21, s25
	s_add_co_ci_u32 s25, s30, 0
	s_wait_alu 0xfffe
	s_add_nc_u64 s[24:25], s[2:3], s[24:25]
	s_delay_alu instid0(SALU_CYCLE_1)
	s_add_co_u32 s20, s20, s24
	s_cselect_b32 s2, -1, 0
	s_wait_alu 0xfffe
	s_cmp_lg_u32 s2, 0
	s_add_co_ci_u32 s21, s21, s25
	s_wait_alu 0xfffe
	s_mul_u64 s[22:23], s[22:23], s[20:21]
	s_delay_alu instid0(SALU_CYCLE_1)
	s_mul_hi_u32 s25, s20, s23
	s_mul_i32 s24, s20, s23
	s_mul_hi_u32 s2, s20, s22
	s_mul_i32 s27, s21, s22
	s_wait_alu 0xfffe
	s_add_nc_u64 s[24:25], s[2:3], s[24:25]
	s_mul_hi_u32 s26, s21, s22
	s_mul_hi_u32 s28, s21, s23
	s_add_co_u32 s2, s24, s27
	s_add_co_ci_u32 s2, s25, s26
	s_mul_i32 s22, s21, s23
	s_add_co_ci_u32 s23, s28, 0
	s_wait_alu 0xfffe
	s_add_nc_u64 s[22:23], s[2:3], s[22:23]
	s_delay_alu instid0(SALU_CYCLE_1)
	s_add_co_u32 s2, s20, s22
	s_cselect_b32 s20, -1, 0
	s_wait_alu 0xfffe
	v_mul_hi_u32 v1, v12, s2
	s_cmp_lg_u32 s20, 0
	v_mad_co_u64_u32 v[17:18], null, v13, s2, 0
	s_add_co_ci_u32 s20, s21, s23
	s_wait_alu 0xfffe
	v_mad_co_u64_u32 v[14:15], null, v12, s20, 0
	v_mad_co_u64_u32 v[19:20], null, v13, s20, 0
	s_delay_alu instid0(VALU_DEP_2) | instskip(SKIP_1) | instid1(VALU_DEP_3)
	v_add_co_u32 v1, vcc_lo, v1, v14
	s_wait_alu 0xfffd
	v_add_co_ci_u32_e64 v11, null, 0, v15, vcc_lo
	s_delay_alu instid0(VALU_DEP_2) | instskip(SKIP_1) | instid1(VALU_DEP_2)
	v_add_co_u32 v1, vcc_lo, v1, v17
	s_wait_alu 0xfffd
	v_add_co_ci_u32_e32 v1, vcc_lo, v11, v18, vcc_lo
	s_wait_alu 0xfffd
	v_add_co_ci_u32_e32 v11, vcc_lo, 0, v20, vcc_lo
	s_delay_alu instid0(VALU_DEP_2) | instskip(SKIP_1) | instid1(VALU_DEP_2)
	v_add_co_u32 v1, vcc_lo, v1, v19
	s_wait_alu 0xfffd
	v_add_co_ci_u32_e64 v11, null, 0, v11, vcc_lo
	s_delay_alu instid0(VALU_DEP_2) | instskip(SKIP_1) | instid1(VALU_DEP_3)
	v_mul_lo_u32 v17, s17, v1
	v_mad_co_u64_u32 v[14:15], null, s16, v1, 0
	v_mul_lo_u32 v18, s16, v11
	s_delay_alu instid0(VALU_DEP_2) | instskip(NEXT) | instid1(VALU_DEP_2)
	v_sub_co_u32 v14, vcc_lo, v12, v14
	v_add3_u32 v15, v15, v18, v17
	v_add_co_u32 v18, s2, v1, 2
	s_wait_alu 0xf1ff
	v_add_co_ci_u32_e64 v19, null, 0, v11, s2
	s_delay_alu instid0(VALU_DEP_3) | instskip(SKIP_3) | instid1(VALU_DEP_3)
	v_sub_nc_u32_e32 v17, v13, v15
	v_sub_co_u32 v20, s2, v14, s16
	s_wait_alu 0xfffd
	v_sub_co_ci_u32_e64 v15, null, v13, v15, vcc_lo
	v_subrev_co_ci_u32_e64 v17, null, s17, v17, vcc_lo
	s_delay_alu instid0(VALU_DEP_3) | instskip(SKIP_1) | instid1(VALU_DEP_2)
	v_cmp_le_u32_e32 vcc_lo, s16, v20
	s_wait_alu 0xf1ff
	v_subrev_co_ci_u32_e64 v17, null, 0, v17, s2
	s_wait_alu 0xfffd
	v_cndmask_b32_e64 v20, 0, -1, vcc_lo
	v_cmp_eq_u32_e64 s2, s17, v15
	s_delay_alu instid0(VALU_DEP_3)
	v_cmp_le_u32_e32 vcc_lo, s17, v17
	s_wait_alu 0xfffd
	v_cndmask_b32_e64 v21, 0, -1, vcc_lo
	v_cmp_le_u32_e32 vcc_lo, s16, v14
	s_wait_alu 0xfffd
	v_cndmask_b32_e64 v14, 0, -1, vcc_lo
	;; [unrolled: 3-line block ×3, first 2 shown]
	v_cmp_eq_u32_e32 vcc_lo, s17, v17
	s_wait_alu 0xf1ff
	s_delay_alu instid0(VALU_DEP_2)
	v_cndmask_b32_e64 v14, v22, v14, s2
	s_wait_alu 0xfffd
	v_cndmask_b32_e32 v17, v21, v20, vcc_lo
	v_add_co_u32 v20, vcc_lo, v1, 1
	s_wait_alu 0xfffd
	v_add_co_ci_u32_e64 v21, null, 0, v11, vcc_lo
	s_delay_alu instid0(VALU_DEP_3) | instskip(SKIP_1) | instid1(VALU_DEP_2)
	v_cmp_ne_u32_e32 vcc_lo, 0, v17
	s_wait_alu 0xfffd
	v_cndmask_b32_e32 v15, v21, v19, vcc_lo
	v_cndmask_b32_e32 v17, v20, v18, vcc_lo
	v_cmp_ne_u32_e32 vcc_lo, 0, v14
	s_wait_alu 0xfffd
	s_delay_alu instid0(VALU_DEP_2)
	v_dual_cndmask_b32 v15, v11, v15 :: v_dual_cndmask_b32 v14, v1, v17
.LBB54_13:                              ;   in Loop: Header=BB54_11 Depth=1
	s_wait_alu 0xfffe
	s_and_not1_saveexec_b32 s2, s19
	s_cbranch_execz .LBB54_15
; %bb.14:                               ;   in Loop: Header=BB54_11 Depth=1
	v_cvt_f32_u32_e32 v1, s16
	s_sub_co_i32 s19, 0, s16
	s_delay_alu instid0(VALU_DEP_1) | instskip(NEXT) | instid1(TRANS32_DEP_1)
	v_rcp_iflag_f32_e32 v1, v1
	v_mul_f32_e32 v1, 0x4f7ffffe, v1
	s_delay_alu instid0(VALU_DEP_1) | instskip(SKIP_1) | instid1(VALU_DEP_1)
	v_cvt_u32_f32_e32 v1, v1
	s_wait_alu 0xfffe
	v_mul_lo_u32 v11, s19, v1
	s_delay_alu instid0(VALU_DEP_1) | instskip(NEXT) | instid1(VALU_DEP_1)
	v_mul_hi_u32 v11, v1, v11
	v_add_nc_u32_e32 v1, v1, v11
	s_delay_alu instid0(VALU_DEP_1) | instskip(NEXT) | instid1(VALU_DEP_1)
	v_mul_hi_u32 v1, v12, v1
	v_mul_lo_u32 v11, v1, s16
	s_delay_alu instid0(VALU_DEP_1) | instskip(NEXT) | instid1(VALU_DEP_1)
	v_sub_nc_u32_e32 v11, v12, v11
	v_subrev_nc_u32_e32 v15, s16, v11
	v_cmp_le_u32_e32 vcc_lo, s16, v11
	s_wait_alu 0xfffd
	s_delay_alu instid0(VALU_DEP_2) | instskip(NEXT) | instid1(VALU_DEP_1)
	v_dual_cndmask_b32 v11, v11, v15 :: v_dual_add_nc_u32 v14, 1, v1
	v_cndmask_b32_e32 v1, v1, v14, vcc_lo
	v_mov_b32_e32 v15, v10
	s_delay_alu instid0(VALU_DEP_3) | instskip(NEXT) | instid1(VALU_DEP_3)
	v_cmp_le_u32_e32 vcc_lo, s16, v11
	v_add_nc_u32_e32 v14, 1, v1
	s_wait_alu 0xfffd
	s_delay_alu instid0(VALU_DEP_1)
	v_cndmask_b32_e32 v14, v1, v14, vcc_lo
.LBB54_15:                              ;   in Loop: Header=BB54_11 Depth=1
	s_wait_alu 0xfffe
	s_or_b32 exec_lo, exec_lo, s2
	s_load_b64 s[20:21], s[14:15], 0xc8
	v_mul_lo_u32 v1, v15, s16
	v_mul_lo_u32 v11, v14, s17
	v_mad_co_u64_u32 v[17:18], null, v14, s16, 0
	s_add_co_i32 s18, s18, -1
	s_add_nc_u64 s[14:15], s[14:15], -8
	s_wait_alu 0xfffe
	s_cmp_gt_u32 s18, 2
	v_add3_u32 v1, v18, v11, v1
	v_sub_co_u32 v11, vcc_lo, v12, v17
	s_wait_alu 0xfffd
	s_delay_alu instid0(VALU_DEP_2) | instskip(SKIP_1) | instid1(VALU_DEP_2)
	v_sub_co_ci_u32_e64 v1, null, v13, v1, vcc_lo
	s_wait_kmcnt 0x0
	v_mul_lo_u32 v12, s21, v11
	s_delay_alu instid0(VALU_DEP_2) | instskip(SKIP_1) | instid1(VALU_DEP_1)
	v_mul_lo_u32 v1, s20, v1
	v_mad_co_u64_u32 v[8:9], null, s20, v11, v[8:9]
	v_add3_u32 v9, v12, v9, v1
	s_cbranch_scc0 .LBB54_17
; %bb.16:                               ;   in Loop: Header=BB54_11 Depth=1
	v_dual_mov_b32 v12, v14 :: v_dual_mov_b32 v13, v15
	s_branch .LBB54_11
.LBB54_17:
	s_load_b64 s[2:3], s[0:1], 0x288
	v_mul_lo_u32 v17, s11, v6
	v_mul_lo_u32 v18, s10, v7
	v_mad_co_u64_u32 v[6:7], null, s10, v6, 0
	v_cmp_gt_u64_e32 vcc_lo, s[4:5], v[4:5]
	s_clause 0x2
	s_load_b64 s[10:11], s[0:1], 0x358
	s_load_b64 s[4:5], s[0:1], 0x0
	;; [unrolled: 1-line block ×3, first 2 shown]
	v_mov_b32_e32 v1, 0
	v_lshlrev_b64_e32 v[12:13], 2, v[2:3]
	v_and_b32_e32 v2, 0x3ff, v0
	v_add3_u32 v7, v7, v18, v17
	s_delay_alu instid0(VALU_DEP_4)
	v_mov_b32_e32 v3, v1
	s_wait_kmcnt 0x0
	v_mul_lo_u32 v4, s3, v14
	v_mul_lo_u32 v5, s2, v15
	v_mad_co_u64_u32 v[10:11], null, s2, v14, 0
	s_load_b32 s2, s[12:13], 0xc
	v_lshlrev_b64_e32 v[14:15], 3, v[8:9]
	v_lshlrev_b64_e32 v[8:9], 2, v[6:7]
	v_mov_b32_e32 v6, 0
	v_mov_b32_e32 v7, 0
	v_add3_u32 v11, v11, v5, v4
	v_mov_b32_e32 v4, 0
	v_add_co_u32 v0, s1, s4, v8
	v_cmp_gt_u64_e64 s0, s[6:7], v[2:3]
	s_delay_alu instid0(VALU_DEP_4) | instskip(SKIP_2) | instid1(VALU_DEP_4)
	v_lshlrev_b64_e32 v[10:11], 3, v[10:11]
	v_add_co_ci_u32_e64 v3, null, s5, v9, s1
	v_mov_b32_e32 v5, 0
	s_and_b32 s4, vcc_lo, s0
	s_delay_alu instid0(VALU_DEP_3)
	v_add_co_u32 v10, s1, s14, v10
	s_wait_alu 0xf1ff
	v_add_co_ci_u32_e64 v11, null, s15, v11, s1
	v_add_co_u32 v8, s1, v0, v12
	s_wait_alu 0xf1ff
	v_add_co_ci_u32_e64 v9, null, v3, v13, s1
	;; [unrolled: 3-line block ×3, first 2 shown]
	v_mov_b32_e32 v3, 0
	s_wait_alu 0xfffe
	s_and_saveexec_b32 s3, s4
	s_cbranch_execz .LBB54_19
; %bb.18:
	v_mad_co_u64_u32 v[6:7], null, s8, v2, 0
	v_mad_co_u64_u32 v[12:13], null, s10, v2, 0
	s_delay_alu instid0(VALU_DEP_1) | instskip(NEXT) | instid1(VALU_DEP_1)
	v_dual_mov_b32 v0, v7 :: v_dual_mov_b32 v3, v13
	v_mad_co_u64_u32 v[13:14], null, s9, v2, v[0:1]
	s_delay_alu instid0(VALU_DEP_2) | instskip(NEXT) | instid1(VALU_DEP_2)
	v_mad_co_u64_u32 v[14:15], null, s11, v2, v[3:4]
	v_mov_b32_e32 v7, v13
	s_delay_alu instid0(VALU_DEP_2) | instskip(NEXT) | instid1(VALU_DEP_2)
	v_mov_b32_e32 v13, v14
	v_lshlrev_b64_e32 v[6:7], 2, v[6:7]
	s_delay_alu instid0(VALU_DEP_2) | instskip(NEXT) | instid1(VALU_DEP_2)
	v_lshlrev_b64_e32 v[12:13], 3, v[12:13]
	v_add_co_u32 v6, s1, v8, v6
	s_wait_alu 0xf1ff
	s_delay_alu instid0(VALU_DEP_3) | instskip(NEXT) | instid1(VALU_DEP_3)
	v_add_co_ci_u32_e64 v7, null, v9, v7, s1
	v_add_co_u32 v12, s1, v10, v12
	s_wait_alu 0xf1ff
	v_add_co_ci_u32_e64 v13, null, v11, v13, s1
	global_load_b32 v3, v[6:7], off
	global_load_b64 v[6:7], v[12:13], off
.LBB54_19:
	s_wait_alu 0xfffe
	s_or_b32 exec_lo, exec_lo, s3
	s_wait_kmcnt 0x0
	s_and_b32 s3, 0xffff, s2
	v_lshl_add_u32 v17, v16, 7, 0x1000
	s_wait_alu 0xfffe
	v_add_nc_u32_e32 v0, s3, v2
	v_lshlrev_b32_e32 v14, 8, v16
	v_lshl_add_u32 v18, v16, 5, 0x1800
	v_cndmask_b32_e64 v15, 0, 1, s4
	v_lshl_add_u32 v12, v2, 2, v17
	v_cmp_gt_u64_e64 s1, s[6:7], v[0:1]
	v_lshl_add_u32 v13, v2, 3, v14
	v_add_nc_u32_e32 v16, v18, v2
	s_wait_loadcnt 0x1
	ds_store_b32 v12, v3
	s_wait_loadcnt 0x0
	ds_store_b64 v13, v[6:7]
	ds_store_b8 v16, v15
	s_and_b32 s4, vcc_lo, s1
	s_wait_alu 0xfffe
	s_and_saveexec_b32 s5, s4
	s_cbranch_execz .LBB54_21
; %bb.20:
	v_mad_co_u64_u32 v[3:4], null, s8, v0, 0
	v_mad_co_u64_u32 v[5:6], null, s10, v0, 0
	s_delay_alu instid0(VALU_DEP_1) | instskip(NEXT) | instid1(VALU_DEP_1)
	v_dual_mov_b32 v1, v4 :: v_dual_mov_b32 v4, v6
	v_mad_co_u64_u32 v[6:7], null, s9, v0, v[1:2]
	s_delay_alu instid0(VALU_DEP_2) | instskip(NEXT) | instid1(VALU_DEP_2)
	v_mad_co_u64_u32 v[15:16], null, s11, v0, v[4:5]
	v_mov_b32_e32 v4, v6
	s_delay_alu instid0(VALU_DEP_2) | instskip(NEXT) | instid1(VALU_DEP_2)
	v_mov_b32_e32 v6, v15
	v_lshlrev_b64_e32 v[3:4], 2, v[3:4]
	s_delay_alu instid0(VALU_DEP_2) | instskip(NEXT) | instid1(VALU_DEP_2)
	v_lshlrev_b64_e32 v[5:6], 3, v[5:6]
	v_add_co_u32 v3, s2, v8, v3
	s_wait_alu 0xf1ff
	s_delay_alu instid0(VALU_DEP_3) | instskip(NEXT) | instid1(VALU_DEP_3)
	v_add_co_ci_u32_e64 v4, null, v9, v4, s2
	v_add_co_u32 v5, s2, v10, v5
	s_wait_alu 0xf1ff
	v_add_co_ci_u32_e64 v6, null, v11, v6, s2
	global_load_b32 v1, v[3:4], off
	global_load_b64 v[4:5], v[5:6], off
.LBB54_21:
	s_wait_alu 0xfffe
	s_or_b32 exec_lo, exec_lo, s5
	v_lshl_add_u32 v6, s3, 2, v12
	v_lshlrev_b32_e32 v16, 2, v2
	v_lshl_add_u32 v7, s3, 3, v13
	v_lshlrev_b32_e32 v20, 1, v2
	v_cndmask_b32_e64 v3, 0, 1, s4
	v_add_nc_u32_e32 v15, v18, v0
	s_wait_loadcnt 0x1
	ds_store_b32 v6, v1
	s_wait_loadcnt 0x0
	ds_store_b64 v7, v[4:5]
	ds_store_b8 v15, v3
	v_add_nc_u32_e32 v1, v12, v16
	v_add_nc_u32_e32 v5, v18, v20
	s_wait_dscnt 0x0
	s_barrier_signal -1
	s_barrier_wait -1
	global_inv scope:SCOPE_SE
	ds_load_b64 v[3:4], v1
	ds_load_u16 v19, v5
	v_and_b32_e32 v15, 1, v2
	s_wait_dscnt 0x1
	v_cmp_u_f32_e64 s2, v4, v4
	v_cmp_o_f32_e64 s3, v3, v3
	s_wait_dscnt 0x0
	v_lshrrev_b16 v16, 8, v19
	v_and_b32_e32 v21, 1, v19
	v_cmp_lt_f32_e64 s4, v3, v4
	s_and_b32 s5, s2, s3
	v_cmp_ne_u16_e64 s3, v16, v15
	v_cmp_eq_u32_e64 s2, 1, v21
	s_wait_alu 0xf1ff
	s_delay_alu instid0(VALU_DEP_2)
	v_cndmask_b32_e64 v21, 0, 1, s3
	s_wait_alu 0xfffe
	s_or_b32 s3, s5, s4
	s_wait_alu 0xfffe
	s_and_b32 s2, s3, s2
	s_wait_alu 0xfffe
	v_cndmask_b32_e64 v21, v21, v2, s2
	s_delay_alu instid0(VALU_DEP_1) | instskip(NEXT) | instid1(VALU_DEP_1)
	v_and_b32_e32 v21, 1, v21
	v_cmp_eq_u32_e64 s2, 1, v21
	v_lshl_add_u32 v21, v2, 3, v13
	s_and_saveexec_b32 s3, s2
	s_wait_alu 0xfffe
	s_xor_b32 s2, exec_lo, s3
	s_cbranch_execz .LBB54_23
; %bb.22:
	ds_load_b128 v[22:25], v21
	v_mov_b32_e32 v28, v4
	v_lshlrev_b16 v4, 8, v19
	v_mov_b32_e32 v29, v3
	s_delay_alu instid0(VALU_DEP_2)
	v_or_b32_e32 v3, v16, v4
	s_wait_dscnt 0x0
	v_dual_mov_b32 v26, v22 :: v_dual_mov_b32 v27, v23
	ds_store_b128 v21, v[24:27]
	ds_store_b64 v1, v[28:29]
	ds_store_b16 v5, v3
.LBB54_23:
	s_wait_alu 0xfffe
	s_or_b32 exec_lo, exec_lo, s2
	v_sub_nc_u32_e32 v19, v20, v15
	s_wait_loadcnt_dscnt 0x0
	s_barrier_signal -1
	s_barrier_wait -1
	global_inv scope:SCOPE_SE
	v_lshl_add_u32 v16, v19, 2, v17
	v_add_nc_u32_e32 v15, v18, v19
	v_bfe_u32 v23, v2, 1, 1
	v_lshl_add_u32 v19, v19, 3, v14
	ds_load_2addr_b32 v[3:4], v16 offset1:2
	ds_load_u8 v22, v15
	ds_load_u8 v24, v15 offset:2
	s_wait_dscnt 0x2
	v_cmp_u_f32_e64 s2, v4, v4
	s_wait_dscnt 0x1
	v_and_b32_e32 v25, 1, v22
	s_wait_dscnt 0x0
	v_cmp_ne_u16_e64 s5, v24, v23
	v_cmp_o_f32_e64 s3, v3, v3
	v_cmp_lt_f32_e64 s4, v3, v4
	s_wait_alu 0xf1ff
	s_delay_alu instid0(VALU_DEP_3)
	v_cndmask_b32_e64 v26, 0, 1, s5
	v_cmp_eq_u32_e64 s5, 1, v25
	s_and_b32 s2, s2, s3
	s_wait_alu 0xfffe
	s_or_b32 s2, s2, s4
	s_wait_alu 0xfffe
	s_and_b32 s2, s2, s5
	s_wait_alu 0xfffe
	v_cndmask_b32_e64 v25, v26, v23, s2
	v_and_b32_e32 v23, 2, v2
	s_delay_alu instid0(VALU_DEP_2) | instskip(NEXT) | instid1(VALU_DEP_2)
	v_and_b32_e32 v25, 1, v25
	v_cmp_ne_u32_e64 s2, 0, v23
	s_delay_alu instid0(VALU_DEP_2)
	v_cmp_eq_u32_e64 s3, 1, v25
	s_and_saveexec_b32 s4, s3
	s_wait_alu 0xfffe
	s_xor_b32 s3, exec_lo, s4
	s_cbranch_execz .LBB54_25
; %bb.24:
	ds_load_2addr_b64 v[25:28], v19 offset1:2
	ds_store_2addr_b32 v16, v4, v3 offset1:2
	s_wait_dscnt 0x1
	ds_store_2addr_b64 v19, v[27:28], v[25:26] offset1:2
	ds_store_b8 v15, v24
	ds_store_b8 v15, v22 offset:2
.LBB54_25:
	s_wait_alu 0xfffe
	s_or_b32 exec_lo, exec_lo, s3
	s_wait_loadcnt_dscnt 0x0
	s_barrier_signal -1
	s_barrier_wait -1
	global_inv scope:SCOPE_SE
	ds_load_u16 v22, v5
	ds_load_b64 v[3:4], v1
	v_lshrrev_b32_e32 v24, 1, v23
	v_cndmask_b32_e64 v25, 0, 1, s2
	s_wait_dscnt 0x1
	v_lshrrev_b16 v23, 8, v22
	v_and_b32_e32 v26, 1, v22
	s_wait_dscnt 0x0
	v_cmp_u_f32_e64 s2, v4, v4
	v_cmp_o_f32_e64 s3, v3, v3
	v_cmp_lt_f32_e64 s4, v3, v4
	v_cmp_ne_u16_e64 s6, v23, v24
	v_cmp_eq_u32_e64 s5, 1, v26
	s_and_b32 s2, s2, s3
	s_mov_b32 s3, exec_lo
	v_cndmask_b32_e64 v24, 0, 1, s6
	s_wait_alu 0xfffe
	s_or_b32 s2, s2, s4
	s_wait_alu 0xfffe
	s_and_b32 s2, s2, s5
	s_wait_alu 0xfffe
	v_cndmask_b32_e64 v24, v24, v25, s2
	s_delay_alu instid0(VALU_DEP_1) | instskip(NEXT) | instid1(VALU_DEP_1)
	v_and_b32_e32 v24, 1, v24
	v_cmpx_eq_u32_e32 1, v24
	s_cbranch_execz .LBB54_27
; %bb.26:
	ds_load_b128 v[24:27], v21
	v_mov_b32_e32 v30, v4
	v_lshlrev_b16 v4, 8, v22
	v_mov_b32_e32 v31, v3
	s_delay_alu instid0(VALU_DEP_2)
	v_or_b32_e32 v3, v23, v4
	s_wait_dscnt 0x0
	v_dual_mov_b32 v28, v24 :: v_dual_mov_b32 v29, v25
	ds_store_b128 v21, v[26:29]
	ds_store_b64 v1, v[30:31]
	ds_store_b16 v5, v3
.LBB54_27:
	s_or_b32 exec_lo, exec_lo, s3
	v_and_b32_e32 v3, 3, v2
	s_wait_loadcnt_dscnt 0x0
	s_barrier_signal -1
	s_barrier_wait -1
	global_inv scope:SCOPE_SE
	v_sub_nc_u32_e32 v24, v20, v3
	v_bfe_u32 v23, v2, 2, 1
	s_delay_alu instid0(VALU_DEP_2)
	v_lshl_add_u32 v22, v24, 2, v17
	v_add_nc_u32_e32 v21, v18, v24
	v_lshl_add_u32 v24, v24, 3, v14
	ds_load_2addr_b32 v[3:4], v22 offset1:4
	ds_load_u8 v25, v21
	ds_load_u8 v26, v21 offset:4
	s_wait_dscnt 0x2
	v_cmp_u_f32_e64 s2, v4, v4
	s_wait_dscnt 0x1
	v_and_b32_e32 v27, 1, v25
	s_wait_dscnt 0x0
	v_cmp_ne_u16_e64 s5, v26, v23
	v_cmp_o_f32_e64 s3, v3, v3
	v_cmp_lt_f32_e64 s4, v3, v4
	s_wait_alu 0xf1ff
	s_delay_alu instid0(VALU_DEP_3)
	v_cndmask_b32_e64 v28, 0, 1, s5
	v_cmp_eq_u32_e64 s5, 1, v27
	s_and_b32 s2, s2, s3
	s_wait_alu 0xfffe
	s_or_b32 s2, s2, s4
	s_mov_b32 s4, exec_lo
	s_wait_alu 0xfffe
	s_and_b32 s2, s2, s5
	s_wait_alu 0xfffe
	v_cndmask_b32_e64 v27, v28, v23, s2
	v_and_b32_e32 v23, 4, v2
	s_delay_alu instid0(VALU_DEP_2) | instskip(NEXT) | instid1(VALU_DEP_2)
	v_and_b32_e32 v27, 1, v27
	v_cmp_ne_u32_e64 s2, 0, v23
	s_delay_alu instid0(VALU_DEP_2)
	v_cmpx_eq_u32_e32 1, v27
	s_cbranch_execz .LBB54_29
; %bb.28:
	ds_load_2addr_b64 v[27:30], v24 offset1:4
	ds_store_2addr_b32 v22, v4, v3 offset1:4
	s_wait_dscnt 0x1
	ds_store_2addr_b64 v24, v[29:30], v[27:28] offset1:4
	ds_store_b8 v21, v26
	ds_store_b8 v21, v25 offset:4
.LBB54_29:
	s_or_b32 exec_lo, exec_lo, s4
	s_wait_loadcnt_dscnt 0x0
	s_barrier_signal -1
	s_barrier_wait -1
	global_inv scope:SCOPE_SE
	ds_load_2addr_b32 v[3:4], v16 offset1:2
	ds_load_u8 v26, v15
	ds_load_u8 v27, v15 offset:2
	v_lshrrev_b32_e32 v23, 2, v23
	v_cndmask_b32_e64 v25, 0, 1, s2
	s_wait_dscnt 0x2
	v_cmp_u_f32_e64 s2, v4, v4
	s_wait_dscnt 0x1
	v_and_b32_e32 v28, 1, v26
	s_wait_dscnt 0x0
	v_cmp_ne_u16_e64 s5, v27, v23
	v_cmp_o_f32_e64 s3, v3, v3
	v_cmp_lt_f32_e64 s4, v3, v4
	s_wait_alu 0xf1ff
	s_delay_alu instid0(VALU_DEP_3)
	v_cndmask_b32_e64 v29, 0, 1, s5
	v_cmp_eq_u32_e64 s5, 1, v28
	s_and_b32 s2, s2, s3
	s_mov_b32 s3, exec_lo
	s_wait_alu 0xfffe
	s_or_b32 s2, s2, s4
	s_wait_alu 0xfffe
	s_and_b32 s2, s2, s5
	s_wait_alu 0xfffe
	v_cndmask_b32_e64 v28, v29, v25, s2
	s_delay_alu instid0(VALU_DEP_1) | instskip(NEXT) | instid1(VALU_DEP_1)
	v_and_b32_e32 v28, 1, v28
	v_cmpx_eq_u32_e32 1, v28
	s_cbranch_execz .LBB54_31
; %bb.30:
	ds_load_2addr_b64 v[28:31], v19 offset1:2
	ds_store_2addr_b32 v16, v4, v3 offset1:2
	s_wait_dscnt 0x1
	ds_store_2addr_b64 v19, v[30:31], v[28:29] offset1:2
	ds_store_b8 v15, v27
	ds_store_b8 v15, v26 offset:2
.LBB54_31:
	s_or_b32 exec_lo, exec_lo, s3
	s_wait_loadcnt_dscnt 0x0
	s_barrier_signal -1
	s_barrier_wait -1
	global_inv scope:SCOPE_SE
	ds_load_b64 v[3:4], v1
	ds_load_u16 v27, v5
	s_wait_dscnt 0x1
	v_cmp_u_f32_e64 s2, v4, v4
	v_cmp_o_f32_e64 s3, v3, v3
	s_wait_dscnt 0x0
	v_lshrrev_b16 v26, 8, v27
	v_and_b32_e32 v28, 1, v27
	v_cmp_lt_f32_e64 s4, v3, v4
	s_and_b32 s5, s2, s3
	v_cmp_ne_u16_e64 s3, v26, v23
	v_cmp_eq_u32_e64 s2, 1, v28
	s_wait_alu 0xf1ff
	s_delay_alu instid0(VALU_DEP_2)
	v_cndmask_b32_e64 v23, 0, 1, s3
	s_wait_alu 0xfffe
	s_or_b32 s3, s5, s4
	s_wait_alu 0xfffe
	s_and_b32 s2, s3, s2
	s_wait_alu 0xfffe
	v_cndmask_b32_e64 v23, v23, v25, s2
	s_delay_alu instid0(VALU_DEP_1) | instskip(NEXT) | instid1(VALU_DEP_1)
	v_and_b32_e32 v23, 1, v23
	v_cmp_eq_u32_e64 s2, 1, v23
	v_lshl_add_u32 v23, v20, 3, v14
	s_and_saveexec_b32 s3, s2
	s_cbranch_execz .LBB54_33
; %bb.32:
	ds_load_b128 v[28:31], v23
	v_mov_b32_e32 v34, v4
	v_lshlrev_b16 v4, 8, v27
	v_mov_b32_e32 v35, v3
	s_delay_alu instid0(VALU_DEP_2)
	v_or_b32_e32 v3, v26, v4
	s_wait_dscnt 0x0
	v_dual_mov_b32 v32, v28 :: v_dual_mov_b32 v33, v29
	ds_store_b128 v23, v[30:33]
	ds_store_b64 v1, v[34:35]
	ds_store_b16 v5, v3
.LBB54_33:
	s_wait_alu 0xfffe
	s_or_b32 exec_lo, exec_lo, s3
	v_and_b32_e32 v3, 7, v2
	s_wait_loadcnt_dscnt 0x0
	s_barrier_signal -1
	s_barrier_wait -1
	global_inv scope:SCOPE_SE
	v_sub_nc_u32_e32 v27, v20, v3
	v_bfe_u32 v28, v2, 3, 1
	s_delay_alu instid0(VALU_DEP_2)
	v_lshl_add_u32 v26, v27, 2, v17
	v_add_nc_u32_e32 v25, v18, v27
	v_lshl_add_u32 v27, v27, 3, v14
	ds_load_2addr_b32 v[3:4], v26 offset1:8
	ds_load_u8 v29, v25
	ds_load_u8 v30, v25 offset:8
	s_wait_dscnt 0x2
	v_cmp_u_f32_e64 s2, v4, v4
	s_wait_dscnt 0x1
	v_and_b32_e32 v31, 1, v29
	s_wait_dscnt 0x0
	v_cmp_ne_u16_e64 s5, v30, v28
	v_cmp_o_f32_e64 s3, v3, v3
	v_cmp_lt_f32_e64 s4, v3, v4
	s_wait_alu 0xf1ff
	s_delay_alu instid0(VALU_DEP_3)
	v_cndmask_b32_e64 v32, 0, 1, s5
	v_cmp_eq_u32_e64 s5, 1, v31
	s_and_b32 s2, s2, s3
	s_wait_alu 0xfffe
	s_or_b32 s2, s2, s4
	s_mov_b32 s4, exec_lo
	s_wait_alu 0xfffe
	s_and_b32 s2, s2, s5
	s_wait_alu 0xfffe
	v_cndmask_b32_e64 v31, v32, v28, s2
	v_and_b32_e32 v28, 8, v2
	s_delay_alu instid0(VALU_DEP_2) | instskip(NEXT) | instid1(VALU_DEP_2)
	v_and_b32_e32 v31, 1, v31
	v_cmp_ne_u32_e64 s2, 0, v28
	s_delay_alu instid0(VALU_DEP_2)
	v_cmpx_eq_u32_e32 1, v31
	s_cbranch_execz .LBB54_35
; %bb.34:
	ds_load_2addr_b64 v[31:34], v27 offset1:8
	ds_store_2addr_b32 v26, v4, v3 offset1:8
	s_wait_dscnt 0x1
	ds_store_2addr_b64 v27, v[33:34], v[31:32] offset1:8
	ds_store_b8 v25, v30
	ds_store_b8 v25, v29 offset:8
.LBB54_35:
	s_or_b32 exec_lo, exec_lo, s4
	s_wait_loadcnt_dscnt 0x0
	s_barrier_signal -1
	s_barrier_wait -1
	global_inv scope:SCOPE_SE
	ds_load_2addr_b32 v[3:4], v22 offset1:4
	ds_load_u8 v30, v21
	ds_load_u8 v31, v21 offset:4
	v_lshrrev_b32_e32 v28, 3, v28
	v_cndmask_b32_e64 v29, 0, 1, s2
	s_wait_dscnt 0x2
	v_cmp_u_f32_e64 s2, v4, v4
	s_wait_dscnt 0x1
	v_and_b32_e32 v32, 1, v30
	s_wait_dscnt 0x0
	v_cmp_ne_u16_e64 s5, v31, v28
	v_cmp_o_f32_e64 s3, v3, v3
	v_cmp_lt_f32_e64 s4, v3, v4
	s_wait_alu 0xf1ff
	s_delay_alu instid0(VALU_DEP_3)
	v_cndmask_b32_e64 v33, 0, 1, s5
	v_cmp_eq_u32_e64 s5, 1, v32
	s_and_b32 s2, s2, s3
	s_mov_b32 s3, exec_lo
	s_wait_alu 0xfffe
	s_or_b32 s2, s2, s4
	s_wait_alu 0xfffe
	s_and_b32 s2, s2, s5
	s_wait_alu 0xfffe
	v_cndmask_b32_e64 v32, v33, v29, s2
	s_delay_alu instid0(VALU_DEP_1) | instskip(NEXT) | instid1(VALU_DEP_1)
	v_and_b32_e32 v32, 1, v32
	v_cmpx_eq_u32_e32 1, v32
	s_cbranch_execz .LBB54_37
; %bb.36:
	ds_load_2addr_b64 v[32:35], v24 offset1:4
	ds_store_2addr_b32 v22, v4, v3 offset1:4
	s_wait_dscnt 0x1
	ds_store_2addr_b64 v24, v[34:35], v[32:33] offset1:4
	ds_store_b8 v21, v31
	ds_store_b8 v21, v30 offset:4
.LBB54_37:
	s_or_b32 exec_lo, exec_lo, s3
	s_wait_loadcnt_dscnt 0x0
	s_barrier_signal -1
	s_barrier_wait -1
	global_inv scope:SCOPE_SE
	ds_load_2addr_b32 v[3:4], v16 offset1:2
	ds_load_u8 v30, v15
	ds_load_u8 v31, v15 offset:2
	s_wait_dscnt 0x2
	v_cmp_u_f32_e64 s2, v4, v4
	s_wait_dscnt 0x1
	v_and_b32_e32 v32, 1, v30
	s_wait_dscnt 0x0
	v_cmp_ne_u16_e64 s5, v31, v28
	v_cmp_o_f32_e64 s3, v3, v3
	v_cmp_lt_f32_e64 s4, v3, v4
	s_wait_alu 0xf1ff
	s_delay_alu instid0(VALU_DEP_3)
	v_cndmask_b32_e64 v33, 0, 1, s5
	v_cmp_eq_u32_e64 s5, 1, v32
	s_and_b32 s2, s2, s3
	s_mov_b32 s3, exec_lo
	s_wait_alu 0xfffe
	s_or_b32 s2, s2, s4
	s_wait_alu 0xfffe
	s_and_b32 s2, s2, s5
	s_wait_alu 0xfffe
	v_cndmask_b32_e64 v32, v33, v29, s2
	s_delay_alu instid0(VALU_DEP_1) | instskip(NEXT) | instid1(VALU_DEP_1)
	v_and_b32_e32 v32, 1, v32
	v_cmpx_eq_u32_e32 1, v32
	s_cbranch_execz .LBB54_39
; %bb.38:
	ds_load_2addr_b64 v[32:35], v19 offset1:2
	ds_store_2addr_b32 v16, v4, v3 offset1:2
	s_wait_dscnt 0x1
	ds_store_2addr_b64 v19, v[34:35], v[32:33] offset1:2
	ds_store_b8 v15, v31
	ds_store_b8 v15, v30 offset:2
.LBB54_39:
	s_or_b32 exec_lo, exec_lo, s3
	s_wait_loadcnt_dscnt 0x0
	s_barrier_signal -1
	s_barrier_wait -1
	global_inv scope:SCOPE_SE
	ds_load_u16 v31, v5
	ds_load_b64 v[3:4], v1
	s_wait_dscnt 0x1
	v_lshrrev_b16 v30, 8, v31
	v_and_b32_e32 v32, 1, v31
	s_wait_dscnt 0x0
	v_cmp_u_f32_e64 s2, v4, v4
	v_cmp_o_f32_e64 s3, v3, v3
	v_cmp_lt_f32_e64 s4, v3, v4
	v_cmp_ne_u16_e64 s6, v30, v28
	v_cmp_eq_u32_e64 s5, 1, v32
	s_and_b32 s2, s2, s3
	s_mov_b32 s3, exec_lo
	v_cndmask_b32_e64 v28, 0, 1, s6
	s_wait_alu 0xfffe
	s_or_b32 s2, s2, s4
	s_wait_alu 0xfffe
	s_and_b32 s2, s2, s5
	s_wait_alu 0xfffe
	v_cndmask_b32_e64 v28, v28, v29, s2
	s_delay_alu instid0(VALU_DEP_1) | instskip(NEXT) | instid1(VALU_DEP_1)
	v_and_b32_e32 v28, 1, v28
	v_cmpx_eq_u32_e32 1, v28
	s_cbranch_execz .LBB54_41
; %bb.40:
	ds_load_b128 v[32:35], v23
	v_mov_b32_e32 v28, v4
	v_lshlrev_b16 v4, 8, v31
	v_mov_b32_e32 v29, v3
	s_delay_alu instid0(VALU_DEP_2)
	v_or_b32_e32 v3, v30, v4
	s_wait_dscnt 0x0
	v_dual_mov_b32 v36, v32 :: v_dual_mov_b32 v37, v33
	ds_store_b128 v23, v[34:37]
	ds_store_b64 v1, v[28:29]
	ds_store_b16 v5, v3
.LBB54_41:
	s_or_b32 exec_lo, exec_lo, s3
	v_and_b32_e32 v3, 15, v2
	s_wait_loadcnt_dscnt 0x0
	s_barrier_signal -1
	s_barrier_wait -1
	global_inv scope:SCOPE_SE
	v_sub_nc_u32_e32 v28, v20, v3
	s_delay_alu instid0(VALU_DEP_1)
	v_lshl_add_u32 v20, v28, 2, v17
	v_add_nc_u32_e32 v17, v18, v28
	ds_load_2addr_b32 v[3:4], v20 offset1:16
	ds_load_u8 v18, v17
	ds_load_u8 v29, v17 offset:16
	s_wait_dscnt 0x2
	v_cmp_u_f32_e64 s2, v4, v4
	s_wait_dscnt 0x1
	v_and_b32_e32 v30, 1, v18
	v_cmp_o_f32_e64 s3, v3, v3
	v_cmp_lt_f32_e64 s4, v3, v4
	s_wait_dscnt 0x0
	v_and_b32_e32 v29, 0xff, v29
	v_cmp_eq_u32_e64 s5, 1, v30
	s_and_b32 s2, s2, s3
	s_wait_alu 0xfffe
	s_or_b32 s3, s2, s4
	v_cmp_ne_u16_e64 s2, 0, v29
	s_wait_alu 0xfffe
	s_and_b32 s3, s3, s5
	s_wait_alu 0xfffe
	s_xor_b32 s3, s3, -1
	s_wait_alu 0xfffe
	s_and_b32 s3, s3, s2
	s_wait_alu 0xfffe
	s_and_saveexec_b32 s2, s3
	s_cbranch_execz .LBB54_43
; %bb.42:
	v_lshl_add_u32 v14, v28, 3, v14
	v_mov_b32_e32 v32, 1
	ds_load_2addr_b64 v[28:31], v14 offset1:16
	ds_store_2addr_b32 v20, v4, v3 offset1:16
	s_wait_dscnt 0x1
	ds_store_2addr_b64 v14, v[30:31], v[28:29] offset1:16
	ds_store_b8 v17, v32
	ds_store_b8 v17, v18 offset:16
.LBB54_43:
	s_wait_alu 0xfffe
	s_or_b32 exec_lo, exec_lo, s2
	s_wait_loadcnt_dscnt 0x0
	s_barrier_signal -1
	s_barrier_wait -1
	global_inv scope:SCOPE_SE
	ds_load_2addr_b32 v[3:4], v26 offset1:8
	ds_load_u8 v14, v25
	ds_load_u8 v17, v25 offset:8
	s_wait_dscnt 0x2
	v_cmp_u_f32_e64 s2, v4, v4
	s_wait_dscnt 0x1
	v_and_b32_e32 v18, 1, v14
	v_cmp_o_f32_e64 s3, v3, v3
	v_cmp_lt_f32_e64 s4, v3, v4
	s_wait_dscnt 0x0
	v_and_b32_e32 v17, 0xff, v17
	v_cmp_eq_u32_e64 s5, 1, v18
	s_and_b32 s2, s2, s3
	s_wait_alu 0xfffe
	s_or_b32 s3, s2, s4
	v_cmp_ne_u16_e64 s2, 0, v17
	s_wait_alu 0xfffe
	s_and_b32 s3, s3, s5
	s_wait_alu 0xfffe
	s_xor_b32 s3, s3, -1
	s_wait_alu 0xfffe
	s_and_b32 s3, s3, s2
	s_wait_alu 0xfffe
	s_and_saveexec_b32 s2, s3
	s_cbranch_execz .LBB54_45
; %bb.44:
	ds_load_2addr_b64 v[28:31], v27 offset1:8
	v_mov_b32_e32 v17, 1
	ds_store_2addr_b32 v26, v4, v3 offset1:8
	s_wait_dscnt 0x1
	ds_store_2addr_b64 v27, v[30:31], v[28:29] offset1:8
	ds_store_b8 v25, v17
	ds_store_b8 v25, v14 offset:8
.LBB54_45:
	s_wait_alu 0xfffe
	s_or_b32 exec_lo, exec_lo, s2
	s_wait_loadcnt_dscnt 0x0
	s_barrier_signal -1
	s_barrier_wait -1
	global_inv scope:SCOPE_SE
	ds_load_2addr_b32 v[3:4], v22 offset1:4
	ds_load_u8 v14, v21
	ds_load_u8 v17, v21 offset:4
	s_wait_dscnt 0x2
	v_cmp_u_f32_e64 s2, v4, v4
	s_wait_dscnt 0x1
	v_and_b32_e32 v18, 1, v14
	v_cmp_o_f32_e64 s3, v3, v3
	v_cmp_lt_f32_e64 s4, v3, v4
	s_wait_dscnt 0x0
	v_and_b32_e32 v17, 0xff, v17
	v_cmp_eq_u32_e64 s5, 1, v18
	s_and_b32 s2, s2, s3
	s_wait_alu 0xfffe
	s_or_b32 s3, s2, s4
	v_cmp_ne_u16_e64 s2, 0, v17
	s_wait_alu 0xfffe
	s_and_b32 s3, s3, s5
	s_wait_alu 0xfffe
	s_xor_b32 s3, s3, -1
	s_wait_alu 0xfffe
	s_and_b32 s3, s3, s2
	s_wait_alu 0xfffe
	s_and_saveexec_b32 s2, s3
	s_cbranch_execz .LBB54_47
; %bb.46:
	ds_load_2addr_b64 v[25:28], v24 offset1:4
	v_mov_b32_e32 v17, 1
	ds_store_2addr_b32 v22, v4, v3 offset1:4
	s_wait_dscnt 0x1
	ds_store_2addr_b64 v24, v[27:28], v[25:26] offset1:4
	ds_store_b8 v21, v17
	ds_store_b8 v21, v14 offset:4
.LBB54_47:
	;; [unrolled: 40-line block ×3, first 2 shown]
	s_wait_alu 0xfffe
	s_or_b32 exec_lo, exec_lo, s2
	s_wait_loadcnt_dscnt 0x0
	s_barrier_signal -1
	s_barrier_wait -1
	global_inv scope:SCOPE_SE
	ds_load_b64 v[3:4], v1
	ds_load_u16 v14, v5
	s_wait_dscnt 0x1
	v_cmp_u_f32_e64 s2, v4, v4
	s_wait_dscnt 0x0
	v_and_b32_e32 v15, 1, v14
	v_cmp_o_f32_e64 s3, v3, v3
	v_cmp_lt_f32_e64 s4, v3, v4
	v_lshrrev_b16 v16, 8, v14
	s_delay_alu instid0(VALU_DEP_4)
	v_cmp_eq_u32_e64 s5, 1, v15
	s_and_b32 s2, s2, s3
	s_wait_alu 0xfffe
	s_or_b32 s3, s2, s4
	v_cmp_ne_u16_e64 s2, 0, v16
	s_wait_alu 0xfffe
	s_and_b32 s3, s3, s5
	s_wait_alu 0xfffe
	s_xor_b32 s3, s3, -1
	s_wait_alu 0xfffe
	s_and_b32 s3, s3, s2
	s_wait_alu 0xfffe
	s_and_saveexec_b32 s2, s3
	s_cbranch_execz .LBB54_51
; %bb.50:
	ds_load_b128 v[15:18], v23
	v_mov_b32_e32 v21, v4
	v_lshlrev_b16 v4, 8, v14
	v_mov_b32_e32 v22, v3
	s_delay_alu instid0(VALU_DEP_2)
	v_or_b32_e32 v3, 1, v4
	s_wait_dscnt 0x0
	v_dual_mov_b32 v19, v15 :: v_dual_mov_b32 v20, v16
	ds_store_b128 v23, v[17:20]
	ds_store_b64 v1, v[21:22]
	ds_store_b16 v5, v3
.LBB54_51:
	s_wait_alu 0xfffe
	s_or_b32 exec_lo, exec_lo, s2
	s_wait_loadcnt_dscnt 0x0
	s_barrier_signal -1
	s_barrier_wait -1
	global_inv scope:SCOPE_SE
	s_and_saveexec_b32 s2, vcc_lo
	s_cbranch_execz .LBB54_56
; %bb.52:
	s_and_saveexec_b32 s2, s0
	s_cbranch_execz .LBB54_54
; %bb.53:
	v_mad_co_u64_u32 v[3:4], null, s8, v2, 0
	v_mad_co_u64_u32 v[14:15], null, s10, v2, 0
	s_delay_alu instid0(VALU_DEP_1) | instskip(NEXT) | instid1(VALU_DEP_1)
	v_dual_mov_b32 v1, v4 :: v_dual_mov_b32 v4, v15
	v_mad_co_u64_u32 v[15:16], null, s9, v2, v[1:2]
	s_delay_alu instid0(VALU_DEP_2) | instskip(SKIP_3) | instid1(VALU_DEP_1)
	v_mad_co_u64_u32 v[1:2], null, s11, v2, v[4:5]
	ds_load_b32 v5, v12
	ds_load_b64 v[12:13], v13
	v_dual_mov_b32 v4, v15 :: v_dual_mov_b32 v15, v1
	v_lshlrev_b64_e32 v[1:2], 2, v[3:4]
	s_delay_alu instid0(VALU_DEP_2) | instskip(NEXT) | instid1(VALU_DEP_2)
	v_lshlrev_b64_e32 v[3:4], 3, v[14:15]
	v_add_co_u32 v1, vcc_lo, v8, v1
	s_wait_alu 0xfffd
	s_delay_alu instid0(VALU_DEP_3) | instskip(NEXT) | instid1(VALU_DEP_3)
	v_add_co_ci_u32_e64 v2, null, v9, v2, vcc_lo
	v_add_co_u32 v3, vcc_lo, v10, v3
	s_wait_alu 0xfffd
	v_add_co_ci_u32_e64 v4, null, v11, v4, vcc_lo
	s_wait_dscnt 0x1
	global_store_b32 v[1:2], v5, off
	s_wait_dscnt 0x0
	global_store_b64 v[3:4], v[12:13], off
.LBB54_54:
	s_wait_alu 0xfffe
	s_or_b32 exec_lo, exec_lo, s2
	s_delay_alu instid0(SALU_CYCLE_1)
	s_and_b32 exec_lo, exec_lo, s1
	s_cbranch_execz .LBB54_56
; %bb.55:
	v_mad_co_u64_u32 v[1:2], null, s8, v0, 0
	v_mad_co_u64_u32 v[3:4], null, s10, v0, 0
	s_delay_alu instid0(VALU_DEP_1) | instskip(NEXT) | instid1(VALU_DEP_2)
	v_mad_co_u64_u32 v[12:13], null, s9, v0, v[2:3]
	v_mad_co_u64_u32 v[4:5], null, s11, v0, v[4:5]
	s_delay_alu instid0(VALU_DEP_2) | instskip(SKIP_4) | instid1(VALU_DEP_2)
	v_mov_b32_e32 v2, v12
	ds_load_b32 v12, v6
	ds_load_b64 v[5:6], v7
	v_lshlrev_b64_e32 v[0:1], 2, v[1:2]
	v_lshlrev_b64_e32 v[2:3], 3, v[3:4]
	v_add_co_u32 v0, vcc_lo, v8, v0
	s_wait_alu 0xfffd
	s_delay_alu instid0(VALU_DEP_3) | instskip(NEXT) | instid1(VALU_DEP_3)
	v_add_co_ci_u32_e64 v1, null, v9, v1, vcc_lo
	v_add_co_u32 v2, vcc_lo, v10, v2
	s_wait_alu 0xfffd
	v_add_co_ci_u32_e64 v3, null, v11, v3, vcc_lo
	s_wait_dscnt 0x1
	global_store_b32 v[0:1], v12, off
	s_wait_dscnt 0x0
	global_store_b64 v[2:3], v[5:6], off
.LBB54_56:
	s_endpgm
	.section	.rodata,"a",@progbits
	.p2align	6, 0x0
	.amdhsa_kernel _ZN2at6native20bitonicSortKVInPlaceILin1ELin1ELi16ELi16EflNS0_4LTOpIfLb1EEEmEEvNS_4cuda6detail10TensorInfoIT3_T6_EES8_S8_S8_NS6_IT4_S8_EES8_T5_
		.amdhsa_group_segment_fixed_size 6656
		.amdhsa_private_segment_fixed_size 0
		.amdhsa_kernarg_size 1128
		.amdhsa_user_sgpr_count 2
		.amdhsa_user_sgpr_dispatch_ptr 0
		.amdhsa_user_sgpr_queue_ptr 0
		.amdhsa_user_sgpr_kernarg_segment_ptr 1
		.amdhsa_user_sgpr_dispatch_id 0
		.amdhsa_user_sgpr_private_segment_size 0
		.amdhsa_wavefront_size32 1
		.amdhsa_uses_dynamic_stack 0
		.amdhsa_enable_private_segment 0
		.amdhsa_system_sgpr_workgroup_id_x 1
		.amdhsa_system_sgpr_workgroup_id_y 1
		.amdhsa_system_sgpr_workgroup_id_z 1
		.amdhsa_system_sgpr_workgroup_info 0
		.amdhsa_system_vgpr_workitem_id 1
		.amdhsa_next_free_vgpr 38
		.amdhsa_next_free_sgpr 31
		.amdhsa_reserve_vcc 1
		.amdhsa_float_round_mode_32 0
		.amdhsa_float_round_mode_16_64 0
		.amdhsa_float_denorm_mode_32 3
		.amdhsa_float_denorm_mode_16_64 3
		.amdhsa_fp16_overflow 0
		.amdhsa_workgroup_processor_mode 1
		.amdhsa_memory_ordered 1
		.amdhsa_forward_progress 1
		.amdhsa_inst_pref_size 57
		.amdhsa_round_robin_scheduling 0
		.amdhsa_exception_fp_ieee_invalid_op 0
		.amdhsa_exception_fp_denorm_src 0
		.amdhsa_exception_fp_ieee_div_zero 0
		.amdhsa_exception_fp_ieee_overflow 0
		.amdhsa_exception_fp_ieee_underflow 0
		.amdhsa_exception_fp_ieee_inexact 0
		.amdhsa_exception_int_div_zero 0
	.end_amdhsa_kernel
	.section	.text._ZN2at6native20bitonicSortKVInPlaceILin1ELin1ELi16ELi16EflNS0_4LTOpIfLb1EEEmEEvNS_4cuda6detail10TensorInfoIT3_T6_EES8_S8_S8_NS6_IT4_S8_EES8_T5_,"axG",@progbits,_ZN2at6native20bitonicSortKVInPlaceILin1ELin1ELi16ELi16EflNS0_4LTOpIfLb1EEEmEEvNS_4cuda6detail10TensorInfoIT3_T6_EES8_S8_S8_NS6_IT4_S8_EES8_T5_,comdat
.Lfunc_end54:
	.size	_ZN2at6native20bitonicSortKVInPlaceILin1ELin1ELi16ELi16EflNS0_4LTOpIfLb1EEEmEEvNS_4cuda6detail10TensorInfoIT3_T6_EES8_S8_S8_NS6_IT4_S8_EES8_T5_, .Lfunc_end54-_ZN2at6native20bitonicSortKVInPlaceILin1ELin1ELi16ELi16EflNS0_4LTOpIfLb1EEEmEEvNS_4cuda6detail10TensorInfoIT3_T6_EES8_S8_S8_NS6_IT4_S8_EES8_T5_
                                        ; -- End function
	.set _ZN2at6native20bitonicSortKVInPlaceILin1ELin1ELi16ELi16EflNS0_4LTOpIfLb1EEEmEEvNS_4cuda6detail10TensorInfoIT3_T6_EES8_S8_S8_NS6_IT4_S8_EES8_T5_.num_vgpr, 38
	.set _ZN2at6native20bitonicSortKVInPlaceILin1ELin1ELi16ELi16EflNS0_4LTOpIfLb1EEEmEEvNS_4cuda6detail10TensorInfoIT3_T6_EES8_S8_S8_NS6_IT4_S8_EES8_T5_.num_agpr, 0
	.set _ZN2at6native20bitonicSortKVInPlaceILin1ELin1ELi16ELi16EflNS0_4LTOpIfLb1EEEmEEvNS_4cuda6detail10TensorInfoIT3_T6_EES8_S8_S8_NS6_IT4_S8_EES8_T5_.numbered_sgpr, 31
	.set _ZN2at6native20bitonicSortKVInPlaceILin1ELin1ELi16ELi16EflNS0_4LTOpIfLb1EEEmEEvNS_4cuda6detail10TensorInfoIT3_T6_EES8_S8_S8_NS6_IT4_S8_EES8_T5_.num_named_barrier, 0
	.set _ZN2at6native20bitonicSortKVInPlaceILin1ELin1ELi16ELi16EflNS0_4LTOpIfLb1EEEmEEvNS_4cuda6detail10TensorInfoIT3_T6_EES8_S8_S8_NS6_IT4_S8_EES8_T5_.private_seg_size, 0
	.set _ZN2at6native20bitonicSortKVInPlaceILin1ELin1ELi16ELi16EflNS0_4LTOpIfLb1EEEmEEvNS_4cuda6detail10TensorInfoIT3_T6_EES8_S8_S8_NS6_IT4_S8_EES8_T5_.uses_vcc, 1
	.set _ZN2at6native20bitonicSortKVInPlaceILin1ELin1ELi16ELi16EflNS0_4LTOpIfLb1EEEmEEvNS_4cuda6detail10TensorInfoIT3_T6_EES8_S8_S8_NS6_IT4_S8_EES8_T5_.uses_flat_scratch, 0
	.set _ZN2at6native20bitonicSortKVInPlaceILin1ELin1ELi16ELi16EflNS0_4LTOpIfLb1EEEmEEvNS_4cuda6detail10TensorInfoIT3_T6_EES8_S8_S8_NS6_IT4_S8_EES8_T5_.has_dyn_sized_stack, 0
	.set _ZN2at6native20bitonicSortKVInPlaceILin1ELin1ELi16ELi16EflNS0_4LTOpIfLb1EEEmEEvNS_4cuda6detail10TensorInfoIT3_T6_EES8_S8_S8_NS6_IT4_S8_EES8_T5_.has_recursion, 0
	.set _ZN2at6native20bitonicSortKVInPlaceILin1ELin1ELi16ELi16EflNS0_4LTOpIfLb1EEEmEEvNS_4cuda6detail10TensorInfoIT3_T6_EES8_S8_S8_NS6_IT4_S8_EES8_T5_.has_indirect_call, 0
	.section	.AMDGPU.csdata,"",@progbits
; Kernel info:
; codeLenInByte = 7204
; TotalNumSgprs: 33
; NumVgprs: 38
; ScratchSize: 0
; MemoryBound: 0
; FloatMode: 240
; IeeeMode: 1
; LDSByteSize: 6656 bytes/workgroup (compile time only)
; SGPRBlocks: 0
; VGPRBlocks: 4
; NumSGPRsForWavesPerEU: 33
; NumVGPRsForWavesPerEU: 38
; Occupancy: 16
; WaveLimiterHint : 1
; COMPUTE_PGM_RSRC2:SCRATCH_EN: 0
; COMPUTE_PGM_RSRC2:USER_SGPR: 2
; COMPUTE_PGM_RSRC2:TRAP_HANDLER: 0
; COMPUTE_PGM_RSRC2:TGID_X_EN: 1
; COMPUTE_PGM_RSRC2:TGID_Y_EN: 1
; COMPUTE_PGM_RSRC2:TGID_Z_EN: 1
; COMPUTE_PGM_RSRC2:TIDIG_COMP_CNT: 1
	.section	.text._ZN2at6native20bitonicSortKVInPlaceILin1ELin1ELi16ELi16EflNS0_4GTOpIfLb1EEEmEEvNS_4cuda6detail10TensorInfoIT3_T6_EES8_S8_S8_NS6_IT4_S8_EES8_T5_,"axG",@progbits,_ZN2at6native20bitonicSortKVInPlaceILin1ELin1ELi16ELi16EflNS0_4GTOpIfLb1EEEmEEvNS_4cuda6detail10TensorInfoIT3_T6_EES8_S8_S8_NS6_IT4_S8_EES8_T5_,comdat
	.protected	_ZN2at6native20bitonicSortKVInPlaceILin1ELin1ELi16ELi16EflNS0_4GTOpIfLb1EEEmEEvNS_4cuda6detail10TensorInfoIT3_T6_EES8_S8_S8_NS6_IT4_S8_EES8_T5_ ; -- Begin function _ZN2at6native20bitonicSortKVInPlaceILin1ELin1ELi16ELi16EflNS0_4GTOpIfLb1EEEmEEvNS_4cuda6detail10TensorInfoIT3_T6_EES8_S8_S8_NS6_IT4_S8_EES8_T5_
	.globl	_ZN2at6native20bitonicSortKVInPlaceILin1ELin1ELi16ELi16EflNS0_4GTOpIfLb1EEEmEEvNS_4cuda6detail10TensorInfoIT3_T6_EES8_S8_S8_NS6_IT4_S8_EES8_T5_
	.p2align	8
	.type	_ZN2at6native20bitonicSortKVInPlaceILin1ELin1ELi16ELi16EflNS0_4GTOpIfLb1EEEmEEvNS_4cuda6detail10TensorInfoIT3_T6_EES8_S8_S8_NS6_IT4_S8_EES8_T5_,@function
_ZN2at6native20bitonicSortKVInPlaceILin1ELin1ELi16ELi16EflNS0_4GTOpIfLb1EEEmEEvNS_4cuda6detail10TensorInfoIT3_T6_EES8_S8_S8_NS6_IT4_S8_EES8_T5_: ; @_ZN2at6native20bitonicSortKVInPlaceILin1ELin1ELi16ELi16EflNS0_4GTOpIfLb1EEEmEEvNS_4cuda6detail10TensorInfoIT3_T6_EES8_S8_S8_NS6_IT4_S8_EES8_T5_
; %bb.0:
	v_mov_b32_e32 v1, 0
	s_lshr_b32 s8, ttmp7, 16
	s_and_b32 s9, ttmp7, 0xffff
	global_load_u16 v1, v1, s[0:1] offset:886
	s_clause 0x1
	s_load_b64 s[2:3], s[0:1], 0x368
	s_load_b128 s[4:7], s[0:1], 0x1a0
	s_wait_kmcnt 0x0
	s_mul_i32 s3, s3, s8
	s_delay_alu instid0(SALU_CYCLE_1) | instskip(NEXT) | instid1(SALU_CYCLE_1)
	s_add_co_i32 s3, s3, s9
	s_mul_i32 s2, s3, s2
	s_delay_alu instid0(SALU_CYCLE_1) | instskip(SKIP_2) | instid1(VALU_DEP_1)
	s_add_co_i32 s2, s2, ttmp9
	s_wait_loadcnt 0x0
	v_and_b32_e32 v1, 0xffff, v1
	v_mul_hi_u32 v2, v1, s2
	v_mul_lo_u32 v1, v1, s2
	s_delay_alu instid0(VALU_DEP_1)
	v_cmp_le_u64_e32 vcc_lo, s[4:5], v[1:2]
	s_cbranch_vccnz .LBB55_56
; %bb.1:
	s_clause 0x1
	s_load_b32 s10, s[0:1], 0x198
	s_load_b64 s[8:9], s[0:1], 0x1b0
	v_bfe_u32 v16, v0, 10, 10
	s_delay_alu instid0(VALU_DEP_1) | instskip(NEXT) | instid1(VALU_DEP_1)
	v_add_co_u32 v4, vcc_lo, v1, v16
	v_add_co_ci_u32_e64 v5, null, 0, v2, vcc_lo
	v_mov_b32_e32 v2, 0
	v_mov_b32_e32 v3, 0
	s_delay_alu instid0(VALU_DEP_3)
	v_dual_mov_b32 v7, v5 :: v_dual_mov_b32 v6, v4
	s_wait_kmcnt 0x0
	s_cmp_lt_i32 s10, 2
	s_cbranch_scc1 .LBB55_9
; %bb.2:
	s_add_co_i32 s2, s10, -1
	s_mov_b32 s3, 0
	v_dual_mov_b32 v2, 0 :: v_dual_mov_b32 v11, v5
	s_wait_alu 0xfffe
	s_lshl_b64 s[12:13], s[2:3], 3
	v_dual_mov_b32 v3, 0 :: v_dual_mov_b32 v8, 0
	v_mov_b32_e32 v10, v4
	s_add_nc_u64 s[12:13], s[0:1], s[12:13]
	s_add_co_i32 s14, s10, 1
	s_add_nc_u64 s[10:11], s[12:13], 8
.LBB55_3:                               ; =>This Inner Loop Header: Depth=1
	s_load_b64 s[12:13], s[10:11], 0x0
                                        ; implicit-def: $vgpr6_vgpr7
	s_mov_b32 s2, exec_lo
	s_wait_kmcnt 0x0
	v_or_b32_e32 v9, s13, v11
	s_delay_alu instid0(VALU_DEP_1)
	v_cmpx_ne_u64_e32 0, v[8:9]
	s_wait_alu 0xfffe
	s_xor_b32 s15, exec_lo, s2
	s_cbranch_execz .LBB55_5
; %bb.4:                                ;   in Loop: Header=BB55_3 Depth=1
	s_cvt_f32_u32 s2, s12
	s_cvt_f32_u32 s16, s13
	s_sub_nc_u64 s[18:19], 0, s[12:13]
	s_wait_alu 0xfffe
	s_delay_alu instid0(SALU_CYCLE_1) | instskip(SKIP_1) | instid1(SALU_CYCLE_2)
	s_fmamk_f32 s2, s16, 0x4f800000, s2
	s_wait_alu 0xfffe
	v_s_rcp_f32 s2, s2
	s_delay_alu instid0(TRANS32_DEP_1) | instskip(SKIP_1) | instid1(SALU_CYCLE_2)
	s_mul_f32 s2, s2, 0x5f7ffffc
	s_wait_alu 0xfffe
	s_mul_f32 s16, s2, 0x2f800000
	s_wait_alu 0xfffe
	s_delay_alu instid0(SALU_CYCLE_2) | instskip(SKIP_1) | instid1(SALU_CYCLE_2)
	s_trunc_f32 s16, s16
	s_wait_alu 0xfffe
	s_fmamk_f32 s2, s16, 0xcf800000, s2
	s_cvt_u32_f32 s17, s16
	s_wait_alu 0xfffe
	s_delay_alu instid0(SALU_CYCLE_1) | instskip(SKIP_1) | instid1(SALU_CYCLE_2)
	s_cvt_u32_f32 s16, s2
	s_wait_alu 0xfffe
	s_mul_u64 s[20:21], s[18:19], s[16:17]
	s_delay_alu instid0(SALU_CYCLE_1)
	s_mul_hi_u32 s23, s16, s21
	s_mul_i32 s22, s16, s21
	s_mul_hi_u32 s2, s16, s20
	s_mul_i32 s25, s17, s20
	s_wait_alu 0xfffe
	s_add_nc_u64 s[22:23], s[2:3], s[22:23]
	s_mul_hi_u32 s24, s17, s20
	s_mul_hi_u32 s26, s17, s21
	s_add_co_u32 s2, s22, s25
	s_add_co_ci_u32 s2, s23, s24
	s_mul_i32 s20, s17, s21
	s_add_co_ci_u32 s21, s26, 0
	s_wait_alu 0xfffe
	s_add_nc_u64 s[20:21], s[2:3], s[20:21]
	s_delay_alu instid0(SALU_CYCLE_1)
	s_add_co_u32 s16, s16, s20
	s_cselect_b32 s2, -1, 0
	s_wait_alu 0xfffe
	s_cmp_lg_u32 s2, 0
	s_add_co_ci_u32 s17, s17, s21
	s_wait_alu 0xfffe
	s_mul_u64 s[18:19], s[18:19], s[16:17]
	s_delay_alu instid0(SALU_CYCLE_1)
	s_mul_hi_u32 s21, s16, s19
	s_mul_i32 s20, s16, s19
	s_mul_hi_u32 s2, s16, s18
	s_mul_i32 s23, s17, s18
	s_wait_alu 0xfffe
	s_add_nc_u64 s[20:21], s[2:3], s[20:21]
	s_mul_hi_u32 s22, s17, s18
	s_mul_hi_u32 s24, s17, s19
	s_add_co_u32 s2, s20, s23
	s_add_co_ci_u32 s2, s21, s22
	s_mul_i32 s18, s17, s19
	s_add_co_ci_u32 s19, s24, 0
	s_wait_alu 0xfffe
	s_add_nc_u64 s[18:19], s[2:3], s[18:19]
	s_delay_alu instid0(SALU_CYCLE_1)
	s_add_co_u32 s2, s16, s18
	s_cselect_b32 s16, -1, 0
	s_wait_alu 0xfffe
	v_mul_hi_u32 v1, v10, s2
	s_cmp_lg_u32 s16, 0
	v_mad_co_u64_u32 v[12:13], null, v11, s2, 0
	s_add_co_ci_u32 s16, s17, s19
	s_wait_alu 0xfffe
	v_mad_co_u64_u32 v[6:7], null, v10, s16, 0
	v_mad_co_u64_u32 v[14:15], null, v11, s16, 0
	s_delay_alu instid0(VALU_DEP_2) | instskip(SKIP_1) | instid1(VALU_DEP_3)
	v_add_co_u32 v1, vcc_lo, v1, v6
	s_wait_alu 0xfffd
	v_add_co_ci_u32_e64 v6, null, 0, v7, vcc_lo
	s_delay_alu instid0(VALU_DEP_2) | instskip(SKIP_1) | instid1(VALU_DEP_2)
	v_add_co_u32 v1, vcc_lo, v1, v12
	s_wait_alu 0xfffd
	v_add_co_ci_u32_e32 v1, vcc_lo, v6, v13, vcc_lo
	s_wait_alu 0xfffd
	v_add_co_ci_u32_e32 v6, vcc_lo, 0, v15, vcc_lo
	s_delay_alu instid0(VALU_DEP_2) | instskip(SKIP_1) | instid1(VALU_DEP_2)
	v_add_co_u32 v1, vcc_lo, v1, v14
	s_wait_alu 0xfffd
	v_add_co_ci_u32_e64 v9, null, 0, v6, vcc_lo
	s_delay_alu instid0(VALU_DEP_2) | instskip(SKIP_1) | instid1(VALU_DEP_3)
	v_mul_lo_u32 v12, s13, v1
	v_mad_co_u64_u32 v[6:7], null, s12, v1, 0
	v_mul_lo_u32 v13, s12, v9
	s_delay_alu instid0(VALU_DEP_2) | instskip(NEXT) | instid1(VALU_DEP_2)
	v_sub_co_u32 v6, vcc_lo, v10, v6
	v_add3_u32 v7, v7, v13, v12
	v_add_co_u32 v13, s2, v1, 2
	s_wait_alu 0xf1ff
	v_add_co_ci_u32_e64 v14, null, 0, v9, s2
	s_delay_alu instid0(VALU_DEP_3) | instskip(SKIP_3) | instid1(VALU_DEP_3)
	v_sub_nc_u32_e32 v12, v11, v7
	v_sub_co_u32 v15, s2, v6, s12
	s_wait_alu 0xfffd
	v_sub_co_ci_u32_e64 v7, null, v11, v7, vcc_lo
	v_subrev_co_ci_u32_e64 v12, null, s13, v12, vcc_lo
	s_delay_alu instid0(VALU_DEP_3) | instskip(SKIP_1) | instid1(VALU_DEP_2)
	v_cmp_le_u32_e32 vcc_lo, s12, v15
	s_wait_alu 0xf1ff
	v_subrev_co_ci_u32_e64 v12, null, 0, v12, s2
	s_wait_alu 0xfffd
	v_cndmask_b32_e64 v15, 0, -1, vcc_lo
	v_cmp_eq_u32_e64 s2, s13, v7
	s_delay_alu instid0(VALU_DEP_3)
	v_cmp_le_u32_e32 vcc_lo, s13, v12
	s_wait_alu 0xfffd
	v_cndmask_b32_e64 v17, 0, -1, vcc_lo
	v_cmp_le_u32_e32 vcc_lo, s12, v6
	s_wait_alu 0xfffd
	v_cndmask_b32_e64 v6, 0, -1, vcc_lo
	;; [unrolled: 3-line block ×3, first 2 shown]
	v_cmp_eq_u32_e32 vcc_lo, s13, v12
	s_wait_alu 0xf1ff
	s_delay_alu instid0(VALU_DEP_2)
	v_cndmask_b32_e64 v6, v18, v6, s2
	s_wait_alu 0xfffd
	v_cndmask_b32_e32 v12, v17, v15, vcc_lo
	v_add_co_u32 v15, vcc_lo, v1, 1
	s_wait_alu 0xfffd
	v_add_co_ci_u32_e64 v17, null, 0, v9, vcc_lo
	s_delay_alu instid0(VALU_DEP_3) | instskip(SKIP_1) | instid1(VALU_DEP_2)
	v_cmp_ne_u32_e32 vcc_lo, 0, v12
	s_wait_alu 0xfffd
	v_dual_cndmask_b32 v7, v17, v14 :: v_dual_cndmask_b32 v12, v15, v13
	v_cmp_ne_u32_e32 vcc_lo, 0, v6
	s_wait_alu 0xfffd
	s_delay_alu instid0(VALU_DEP_2) | instskip(NEXT) | instid1(VALU_DEP_3)
	v_cndmask_b32_e32 v7, v9, v7, vcc_lo
	v_cndmask_b32_e32 v6, v1, v12, vcc_lo
.LBB55_5:                               ;   in Loop: Header=BB55_3 Depth=1
	s_wait_alu 0xfffe
	s_and_not1_saveexec_b32 s2, s15
	s_cbranch_execz .LBB55_7
; %bb.6:                                ;   in Loop: Header=BB55_3 Depth=1
	v_cvt_f32_u32_e32 v1, s12
	s_sub_co_i32 s15, 0, s12
	s_delay_alu instid0(VALU_DEP_1) | instskip(NEXT) | instid1(TRANS32_DEP_1)
	v_rcp_iflag_f32_e32 v1, v1
	v_mul_f32_e32 v1, 0x4f7ffffe, v1
	s_delay_alu instid0(VALU_DEP_1) | instskip(SKIP_1) | instid1(VALU_DEP_1)
	v_cvt_u32_f32_e32 v1, v1
	s_wait_alu 0xfffe
	v_mul_lo_u32 v6, s15, v1
	s_delay_alu instid0(VALU_DEP_1) | instskip(NEXT) | instid1(VALU_DEP_1)
	v_mul_hi_u32 v6, v1, v6
	v_add_nc_u32_e32 v1, v1, v6
	s_delay_alu instid0(VALU_DEP_1) | instskip(NEXT) | instid1(VALU_DEP_1)
	v_mul_hi_u32 v1, v10, v1
	v_mul_lo_u32 v6, v1, s12
	v_add_nc_u32_e32 v7, 1, v1
	s_delay_alu instid0(VALU_DEP_2) | instskip(NEXT) | instid1(VALU_DEP_1)
	v_sub_nc_u32_e32 v6, v10, v6
	v_subrev_nc_u32_e32 v9, s12, v6
	v_cmp_le_u32_e32 vcc_lo, s12, v6
	s_wait_alu 0xfffd
	s_delay_alu instid0(VALU_DEP_2) | instskip(NEXT) | instid1(VALU_DEP_1)
	v_dual_cndmask_b32 v6, v6, v9 :: v_dual_cndmask_b32 v1, v1, v7
	v_cmp_le_u32_e32 vcc_lo, s12, v6
	s_delay_alu instid0(VALU_DEP_2) | instskip(SKIP_1) | instid1(VALU_DEP_1)
	v_add_nc_u32_e32 v7, 1, v1
	s_wait_alu 0xfffd
	v_dual_cndmask_b32 v6, v1, v7 :: v_dual_mov_b32 v7, v8
.LBB55_7:                               ;   in Loop: Header=BB55_3 Depth=1
	s_wait_alu 0xfffe
	s_or_b32 exec_lo, exec_lo, s2
	s_load_b64 s[16:17], s[10:11], 0xc8
	s_delay_alu instid0(VALU_DEP_1)
	v_mul_lo_u32 v1, v7, s12
	v_mul_lo_u32 v9, v6, s13
	v_mad_co_u64_u32 v[12:13], null, v6, s12, 0
	s_add_co_i32 s14, s14, -1
	s_add_nc_u64 s[10:11], s[10:11], -8
	s_wait_alu 0xfffe
	s_cmp_gt_u32 s14, 2
	v_add3_u32 v1, v13, v9, v1
	v_sub_co_u32 v9, vcc_lo, v10, v12
	s_wait_alu 0xfffd
	s_delay_alu instid0(VALU_DEP_2) | instskip(SKIP_1) | instid1(VALU_DEP_2)
	v_sub_co_ci_u32_e64 v1, null, v11, v1, vcc_lo
	s_wait_kmcnt 0x0
	v_mul_lo_u32 v10, s17, v9
	s_delay_alu instid0(VALU_DEP_2) | instskip(SKIP_1) | instid1(VALU_DEP_1)
	v_mul_lo_u32 v1, s16, v1
	v_mad_co_u64_u32 v[2:3], null, s16, v9, v[2:3]
	v_add3_u32 v3, v10, v3, v1
	s_cbranch_scc0 .LBB55_9
; %bb.8:                                ;   in Loop: Header=BB55_3 Depth=1
	v_dual_mov_b32 v11, v7 :: v_dual_mov_b32 v10, v6
	s_branch .LBB55_3
.LBB55_9:
	s_clause 0x1
	s_load_b32 s14, s[0:1], 0x350
	s_load_b64 s[10:11], s[0:1], 0xd0
	v_dual_mov_b32 v8, 0 :: v_dual_mov_b32 v15, v5
	v_dual_mov_b32 v9, 0 :: v_dual_mov_b32 v14, v4
	s_add_nc_u64 s[12:13], s[0:1], 0x368
	s_wait_kmcnt 0x0
	s_cmp_lt_i32 s14, 2
	s_cbranch_scc1 .LBB55_17
; %bb.10:
	s_add_co_i32 s2, s14, -1
	s_mov_b32 s3, 0
	v_dual_mov_b32 v8, 0 :: v_dual_mov_b32 v13, v5
	s_wait_alu 0xfffe
	s_lshl_b64 s[16:17], s[2:3], 3
	v_dual_mov_b32 v9, 0 :: v_dual_mov_b32 v10, 0
	v_mov_b32_e32 v12, v4
	s_wait_alu 0xfffe
	s_add_nc_u64 s[16:17], s[0:1], s[16:17]
	s_add_co_i32 s18, s14, 1
	s_wait_alu 0xfffe
	s_add_nc_u64 s[14:15], s[16:17], 0x1c0
.LBB55_11:                              ; =>This Inner Loop Header: Depth=1
	s_load_b64 s[16:17], s[14:15], 0x0
                                        ; implicit-def: $vgpr14_vgpr15
	s_mov_b32 s2, exec_lo
	s_wait_kmcnt 0x0
	v_or_b32_e32 v11, s17, v13
	s_delay_alu instid0(VALU_DEP_1)
	v_cmpx_ne_u64_e32 0, v[10:11]
	s_wait_alu 0xfffe
	s_xor_b32 s19, exec_lo, s2
	s_cbranch_execz .LBB55_13
; %bb.12:                               ;   in Loop: Header=BB55_11 Depth=1
	s_cvt_f32_u32 s2, s16
	s_cvt_f32_u32 s20, s17
	s_sub_nc_u64 s[22:23], 0, s[16:17]
	s_wait_alu 0xfffe
	s_delay_alu instid0(SALU_CYCLE_1) | instskip(SKIP_1) | instid1(SALU_CYCLE_2)
	s_fmamk_f32 s2, s20, 0x4f800000, s2
	s_wait_alu 0xfffe
	v_s_rcp_f32 s2, s2
	s_delay_alu instid0(TRANS32_DEP_1) | instskip(SKIP_1) | instid1(SALU_CYCLE_2)
	s_mul_f32 s2, s2, 0x5f7ffffc
	s_wait_alu 0xfffe
	s_mul_f32 s20, s2, 0x2f800000
	s_wait_alu 0xfffe
	s_delay_alu instid0(SALU_CYCLE_2) | instskip(SKIP_1) | instid1(SALU_CYCLE_2)
	s_trunc_f32 s20, s20
	s_wait_alu 0xfffe
	s_fmamk_f32 s2, s20, 0xcf800000, s2
	s_cvt_u32_f32 s21, s20
	s_wait_alu 0xfffe
	s_delay_alu instid0(SALU_CYCLE_1) | instskip(SKIP_1) | instid1(SALU_CYCLE_2)
	s_cvt_u32_f32 s20, s2
	s_wait_alu 0xfffe
	s_mul_u64 s[24:25], s[22:23], s[20:21]
	s_delay_alu instid0(SALU_CYCLE_1)
	s_mul_hi_u32 s27, s20, s25
	s_mul_i32 s26, s20, s25
	s_mul_hi_u32 s2, s20, s24
	s_mul_i32 s29, s21, s24
	s_wait_alu 0xfffe
	s_add_nc_u64 s[26:27], s[2:3], s[26:27]
	s_mul_hi_u32 s28, s21, s24
	s_mul_hi_u32 s30, s21, s25
	s_add_co_u32 s2, s26, s29
	s_add_co_ci_u32 s2, s27, s28
	s_mul_i32 s24, s21, s25
	s_add_co_ci_u32 s25, s30, 0
	s_wait_alu 0xfffe
	s_add_nc_u64 s[24:25], s[2:3], s[24:25]
	s_delay_alu instid0(SALU_CYCLE_1)
	s_add_co_u32 s20, s20, s24
	s_cselect_b32 s2, -1, 0
	s_wait_alu 0xfffe
	s_cmp_lg_u32 s2, 0
	s_add_co_ci_u32 s21, s21, s25
	s_wait_alu 0xfffe
	s_mul_u64 s[22:23], s[22:23], s[20:21]
	s_delay_alu instid0(SALU_CYCLE_1)
	s_mul_hi_u32 s25, s20, s23
	s_mul_i32 s24, s20, s23
	s_mul_hi_u32 s2, s20, s22
	s_mul_i32 s27, s21, s22
	s_wait_alu 0xfffe
	s_add_nc_u64 s[24:25], s[2:3], s[24:25]
	s_mul_hi_u32 s26, s21, s22
	s_mul_hi_u32 s28, s21, s23
	s_add_co_u32 s2, s24, s27
	s_add_co_ci_u32 s2, s25, s26
	s_mul_i32 s22, s21, s23
	s_add_co_ci_u32 s23, s28, 0
	s_wait_alu 0xfffe
	s_add_nc_u64 s[22:23], s[2:3], s[22:23]
	s_delay_alu instid0(SALU_CYCLE_1)
	s_add_co_u32 s2, s20, s22
	s_cselect_b32 s20, -1, 0
	s_wait_alu 0xfffe
	v_mul_hi_u32 v1, v12, s2
	s_cmp_lg_u32 s20, 0
	v_mad_co_u64_u32 v[17:18], null, v13, s2, 0
	s_add_co_ci_u32 s20, s21, s23
	s_wait_alu 0xfffe
	v_mad_co_u64_u32 v[14:15], null, v12, s20, 0
	v_mad_co_u64_u32 v[19:20], null, v13, s20, 0
	s_delay_alu instid0(VALU_DEP_2) | instskip(SKIP_1) | instid1(VALU_DEP_3)
	v_add_co_u32 v1, vcc_lo, v1, v14
	s_wait_alu 0xfffd
	v_add_co_ci_u32_e64 v11, null, 0, v15, vcc_lo
	s_delay_alu instid0(VALU_DEP_2) | instskip(SKIP_1) | instid1(VALU_DEP_2)
	v_add_co_u32 v1, vcc_lo, v1, v17
	s_wait_alu 0xfffd
	v_add_co_ci_u32_e32 v1, vcc_lo, v11, v18, vcc_lo
	s_wait_alu 0xfffd
	v_add_co_ci_u32_e32 v11, vcc_lo, 0, v20, vcc_lo
	s_delay_alu instid0(VALU_DEP_2) | instskip(SKIP_1) | instid1(VALU_DEP_2)
	v_add_co_u32 v1, vcc_lo, v1, v19
	s_wait_alu 0xfffd
	v_add_co_ci_u32_e64 v11, null, 0, v11, vcc_lo
	s_delay_alu instid0(VALU_DEP_2) | instskip(SKIP_1) | instid1(VALU_DEP_3)
	v_mul_lo_u32 v17, s17, v1
	v_mad_co_u64_u32 v[14:15], null, s16, v1, 0
	v_mul_lo_u32 v18, s16, v11
	s_delay_alu instid0(VALU_DEP_2) | instskip(NEXT) | instid1(VALU_DEP_2)
	v_sub_co_u32 v14, vcc_lo, v12, v14
	v_add3_u32 v15, v15, v18, v17
	v_add_co_u32 v18, s2, v1, 2
	s_wait_alu 0xf1ff
	v_add_co_ci_u32_e64 v19, null, 0, v11, s2
	s_delay_alu instid0(VALU_DEP_3) | instskip(SKIP_3) | instid1(VALU_DEP_3)
	v_sub_nc_u32_e32 v17, v13, v15
	v_sub_co_u32 v20, s2, v14, s16
	s_wait_alu 0xfffd
	v_sub_co_ci_u32_e64 v15, null, v13, v15, vcc_lo
	v_subrev_co_ci_u32_e64 v17, null, s17, v17, vcc_lo
	s_delay_alu instid0(VALU_DEP_3) | instskip(SKIP_1) | instid1(VALU_DEP_2)
	v_cmp_le_u32_e32 vcc_lo, s16, v20
	s_wait_alu 0xf1ff
	v_subrev_co_ci_u32_e64 v17, null, 0, v17, s2
	s_wait_alu 0xfffd
	v_cndmask_b32_e64 v20, 0, -1, vcc_lo
	v_cmp_eq_u32_e64 s2, s17, v15
	s_delay_alu instid0(VALU_DEP_3)
	v_cmp_le_u32_e32 vcc_lo, s17, v17
	s_wait_alu 0xfffd
	v_cndmask_b32_e64 v21, 0, -1, vcc_lo
	v_cmp_le_u32_e32 vcc_lo, s16, v14
	s_wait_alu 0xfffd
	v_cndmask_b32_e64 v14, 0, -1, vcc_lo
	;; [unrolled: 3-line block ×3, first 2 shown]
	v_cmp_eq_u32_e32 vcc_lo, s17, v17
	s_wait_alu 0xf1ff
	s_delay_alu instid0(VALU_DEP_2)
	v_cndmask_b32_e64 v14, v22, v14, s2
	s_wait_alu 0xfffd
	v_cndmask_b32_e32 v17, v21, v20, vcc_lo
	v_add_co_u32 v20, vcc_lo, v1, 1
	s_wait_alu 0xfffd
	v_add_co_ci_u32_e64 v21, null, 0, v11, vcc_lo
	s_delay_alu instid0(VALU_DEP_3) | instskip(SKIP_1) | instid1(VALU_DEP_2)
	v_cmp_ne_u32_e32 vcc_lo, 0, v17
	s_wait_alu 0xfffd
	v_cndmask_b32_e32 v15, v21, v19, vcc_lo
	v_cndmask_b32_e32 v17, v20, v18, vcc_lo
	v_cmp_ne_u32_e32 vcc_lo, 0, v14
	s_wait_alu 0xfffd
	s_delay_alu instid0(VALU_DEP_2)
	v_dual_cndmask_b32 v15, v11, v15 :: v_dual_cndmask_b32 v14, v1, v17
.LBB55_13:                              ;   in Loop: Header=BB55_11 Depth=1
	s_wait_alu 0xfffe
	s_and_not1_saveexec_b32 s2, s19
	s_cbranch_execz .LBB55_15
; %bb.14:                               ;   in Loop: Header=BB55_11 Depth=1
	v_cvt_f32_u32_e32 v1, s16
	s_sub_co_i32 s19, 0, s16
	s_delay_alu instid0(VALU_DEP_1) | instskip(NEXT) | instid1(TRANS32_DEP_1)
	v_rcp_iflag_f32_e32 v1, v1
	v_mul_f32_e32 v1, 0x4f7ffffe, v1
	s_delay_alu instid0(VALU_DEP_1) | instskip(SKIP_1) | instid1(VALU_DEP_1)
	v_cvt_u32_f32_e32 v1, v1
	s_wait_alu 0xfffe
	v_mul_lo_u32 v11, s19, v1
	s_delay_alu instid0(VALU_DEP_1) | instskip(NEXT) | instid1(VALU_DEP_1)
	v_mul_hi_u32 v11, v1, v11
	v_add_nc_u32_e32 v1, v1, v11
	s_delay_alu instid0(VALU_DEP_1) | instskip(NEXT) | instid1(VALU_DEP_1)
	v_mul_hi_u32 v1, v12, v1
	v_mul_lo_u32 v11, v1, s16
	s_delay_alu instid0(VALU_DEP_1) | instskip(NEXT) | instid1(VALU_DEP_1)
	v_sub_nc_u32_e32 v11, v12, v11
	v_subrev_nc_u32_e32 v15, s16, v11
	v_cmp_le_u32_e32 vcc_lo, s16, v11
	s_wait_alu 0xfffd
	s_delay_alu instid0(VALU_DEP_2) | instskip(NEXT) | instid1(VALU_DEP_1)
	v_dual_cndmask_b32 v11, v11, v15 :: v_dual_add_nc_u32 v14, 1, v1
	v_cndmask_b32_e32 v1, v1, v14, vcc_lo
	v_mov_b32_e32 v15, v10
	s_delay_alu instid0(VALU_DEP_3) | instskip(NEXT) | instid1(VALU_DEP_3)
	v_cmp_le_u32_e32 vcc_lo, s16, v11
	v_add_nc_u32_e32 v14, 1, v1
	s_wait_alu 0xfffd
	s_delay_alu instid0(VALU_DEP_1)
	v_cndmask_b32_e32 v14, v1, v14, vcc_lo
.LBB55_15:                              ;   in Loop: Header=BB55_11 Depth=1
	s_wait_alu 0xfffe
	s_or_b32 exec_lo, exec_lo, s2
	s_load_b64 s[20:21], s[14:15], 0xc8
	v_mul_lo_u32 v1, v15, s16
	v_mul_lo_u32 v11, v14, s17
	v_mad_co_u64_u32 v[17:18], null, v14, s16, 0
	s_add_co_i32 s18, s18, -1
	s_add_nc_u64 s[14:15], s[14:15], -8
	s_wait_alu 0xfffe
	s_cmp_gt_u32 s18, 2
	v_add3_u32 v1, v18, v11, v1
	v_sub_co_u32 v11, vcc_lo, v12, v17
	s_wait_alu 0xfffd
	s_delay_alu instid0(VALU_DEP_2) | instskip(SKIP_1) | instid1(VALU_DEP_2)
	v_sub_co_ci_u32_e64 v1, null, v13, v1, vcc_lo
	s_wait_kmcnt 0x0
	v_mul_lo_u32 v12, s21, v11
	s_delay_alu instid0(VALU_DEP_2) | instskip(SKIP_1) | instid1(VALU_DEP_1)
	v_mul_lo_u32 v1, s20, v1
	v_mad_co_u64_u32 v[8:9], null, s20, v11, v[8:9]
	v_add3_u32 v9, v12, v9, v1
	s_cbranch_scc0 .LBB55_17
; %bb.16:                               ;   in Loop: Header=BB55_11 Depth=1
	v_dual_mov_b32 v12, v14 :: v_dual_mov_b32 v13, v15
	s_branch .LBB55_11
.LBB55_17:
	s_load_b64 s[2:3], s[0:1], 0x288
	v_mul_lo_u32 v17, s11, v6
	v_mul_lo_u32 v18, s10, v7
	v_mad_co_u64_u32 v[6:7], null, s10, v6, 0
	v_cmp_gt_u64_e32 vcc_lo, s[4:5], v[4:5]
	s_clause 0x2
	s_load_b64 s[10:11], s[0:1], 0x358
	s_load_b64 s[4:5], s[0:1], 0x0
	;; [unrolled: 1-line block ×3, first 2 shown]
	v_mov_b32_e32 v1, 0
	v_lshlrev_b64_e32 v[12:13], 2, v[2:3]
	v_and_b32_e32 v2, 0x3ff, v0
	v_add3_u32 v7, v7, v18, v17
	s_delay_alu instid0(VALU_DEP_4)
	v_mov_b32_e32 v3, v1
	s_wait_kmcnt 0x0
	v_mul_lo_u32 v4, s3, v14
	v_mul_lo_u32 v5, s2, v15
	v_mad_co_u64_u32 v[10:11], null, s2, v14, 0
	s_load_b32 s2, s[12:13], 0xc
	v_lshlrev_b64_e32 v[14:15], 3, v[8:9]
	v_lshlrev_b64_e32 v[8:9], 2, v[6:7]
	v_mov_b32_e32 v6, 0
	v_mov_b32_e32 v7, 0
	v_add3_u32 v11, v11, v5, v4
	v_mov_b32_e32 v4, 0
	v_add_co_u32 v0, s1, s4, v8
	v_cmp_gt_u64_e64 s0, s[6:7], v[2:3]
	s_delay_alu instid0(VALU_DEP_4) | instskip(SKIP_2) | instid1(VALU_DEP_4)
	v_lshlrev_b64_e32 v[10:11], 3, v[10:11]
	v_add_co_ci_u32_e64 v3, null, s5, v9, s1
	v_mov_b32_e32 v5, 0
	s_and_b32 s4, vcc_lo, s0
	s_delay_alu instid0(VALU_DEP_3)
	v_add_co_u32 v10, s1, s14, v10
	s_wait_alu 0xf1ff
	v_add_co_ci_u32_e64 v11, null, s15, v11, s1
	v_add_co_u32 v8, s1, v0, v12
	s_wait_alu 0xf1ff
	v_add_co_ci_u32_e64 v9, null, v3, v13, s1
	v_add_co_u32 v10, s1, v10, v14
	s_wait_alu 0xf1ff
	v_add_co_ci_u32_e64 v11, null, v11, v15, s1
	v_mov_b32_e32 v3, 0
	s_wait_alu 0xfffe
	s_and_saveexec_b32 s3, s4
	s_cbranch_execz .LBB55_19
; %bb.18:
	v_mad_co_u64_u32 v[6:7], null, s8, v2, 0
	v_mad_co_u64_u32 v[12:13], null, s10, v2, 0
	s_delay_alu instid0(VALU_DEP_1) | instskip(NEXT) | instid1(VALU_DEP_1)
	v_dual_mov_b32 v0, v7 :: v_dual_mov_b32 v3, v13
	v_mad_co_u64_u32 v[13:14], null, s9, v2, v[0:1]
	s_delay_alu instid0(VALU_DEP_2) | instskip(NEXT) | instid1(VALU_DEP_2)
	v_mad_co_u64_u32 v[14:15], null, s11, v2, v[3:4]
	v_mov_b32_e32 v7, v13
	s_delay_alu instid0(VALU_DEP_2) | instskip(NEXT) | instid1(VALU_DEP_2)
	v_mov_b32_e32 v13, v14
	v_lshlrev_b64_e32 v[6:7], 2, v[6:7]
	s_delay_alu instid0(VALU_DEP_2) | instskip(NEXT) | instid1(VALU_DEP_2)
	v_lshlrev_b64_e32 v[12:13], 3, v[12:13]
	v_add_co_u32 v6, s1, v8, v6
	s_wait_alu 0xf1ff
	s_delay_alu instid0(VALU_DEP_3) | instskip(NEXT) | instid1(VALU_DEP_3)
	v_add_co_ci_u32_e64 v7, null, v9, v7, s1
	v_add_co_u32 v12, s1, v10, v12
	s_wait_alu 0xf1ff
	v_add_co_ci_u32_e64 v13, null, v11, v13, s1
	global_load_b32 v3, v[6:7], off
	global_load_b64 v[6:7], v[12:13], off
.LBB55_19:
	s_wait_alu 0xfffe
	s_or_b32 exec_lo, exec_lo, s3
	s_wait_kmcnt 0x0
	s_and_b32 s3, 0xffff, s2
	v_lshl_add_u32 v17, v16, 7, 0x1000
	s_wait_alu 0xfffe
	v_add_nc_u32_e32 v0, s3, v2
	v_lshlrev_b32_e32 v14, 8, v16
	v_lshl_add_u32 v18, v16, 5, 0x1800
	v_cndmask_b32_e64 v15, 0, 1, s4
	v_lshl_add_u32 v12, v2, 2, v17
	v_cmp_gt_u64_e64 s1, s[6:7], v[0:1]
	v_lshl_add_u32 v13, v2, 3, v14
	v_add_nc_u32_e32 v16, v18, v2
	s_wait_loadcnt 0x1
	ds_store_b32 v12, v3
	s_wait_loadcnt 0x0
	ds_store_b64 v13, v[6:7]
	ds_store_b8 v16, v15
	s_and_b32 s4, vcc_lo, s1
	s_wait_alu 0xfffe
	s_and_saveexec_b32 s5, s4
	s_cbranch_execz .LBB55_21
; %bb.20:
	v_mad_co_u64_u32 v[3:4], null, s8, v0, 0
	v_mad_co_u64_u32 v[5:6], null, s10, v0, 0
	s_delay_alu instid0(VALU_DEP_1) | instskip(NEXT) | instid1(VALU_DEP_1)
	v_dual_mov_b32 v1, v4 :: v_dual_mov_b32 v4, v6
	v_mad_co_u64_u32 v[6:7], null, s9, v0, v[1:2]
	s_delay_alu instid0(VALU_DEP_2) | instskip(NEXT) | instid1(VALU_DEP_2)
	v_mad_co_u64_u32 v[15:16], null, s11, v0, v[4:5]
	v_mov_b32_e32 v4, v6
	s_delay_alu instid0(VALU_DEP_2) | instskip(NEXT) | instid1(VALU_DEP_2)
	v_mov_b32_e32 v6, v15
	v_lshlrev_b64_e32 v[3:4], 2, v[3:4]
	s_delay_alu instid0(VALU_DEP_2) | instskip(NEXT) | instid1(VALU_DEP_2)
	v_lshlrev_b64_e32 v[5:6], 3, v[5:6]
	v_add_co_u32 v3, s2, v8, v3
	s_wait_alu 0xf1ff
	s_delay_alu instid0(VALU_DEP_3) | instskip(NEXT) | instid1(VALU_DEP_3)
	v_add_co_ci_u32_e64 v4, null, v9, v4, s2
	v_add_co_u32 v5, s2, v10, v5
	s_wait_alu 0xf1ff
	v_add_co_ci_u32_e64 v6, null, v11, v6, s2
	global_load_b32 v1, v[3:4], off
	global_load_b64 v[4:5], v[5:6], off
.LBB55_21:
	s_wait_alu 0xfffe
	s_or_b32 exec_lo, exec_lo, s5
	v_lshl_add_u32 v6, s3, 2, v12
	v_lshlrev_b32_e32 v16, 2, v2
	v_lshl_add_u32 v7, s3, 3, v13
	v_lshlrev_b32_e32 v20, 1, v2
	v_cndmask_b32_e64 v3, 0, 1, s4
	v_add_nc_u32_e32 v15, v18, v0
	s_wait_loadcnt 0x1
	ds_store_b32 v6, v1
	s_wait_loadcnt 0x0
	ds_store_b64 v7, v[4:5]
	ds_store_b8 v15, v3
	v_add_nc_u32_e32 v1, v12, v16
	v_add_nc_u32_e32 v5, v18, v20
	s_wait_dscnt 0x0
	s_barrier_signal -1
	s_barrier_wait -1
	global_inv scope:SCOPE_SE
	ds_load_b64 v[3:4], v1
	ds_load_u16 v19, v5
	v_and_b32_e32 v15, 1, v2
	s_wait_dscnt 0x1
	v_cmp_u_f32_e64 s2, v3, v3
	v_cmp_o_f32_e64 s3, v4, v4
	s_wait_dscnt 0x0
	v_lshrrev_b16 v16, 8, v19
	v_and_b32_e32 v21, 1, v19
	v_cmp_gt_f32_e64 s4, v3, v4
	s_and_b32 s5, s2, s3
	v_cmp_ne_u16_e64 s3, v16, v15
	v_cmp_eq_u32_e64 s2, 1, v21
	s_wait_alu 0xf1ff
	s_delay_alu instid0(VALU_DEP_2)
	v_cndmask_b32_e64 v21, 0, 1, s3
	s_wait_alu 0xfffe
	s_or_b32 s3, s5, s4
	s_wait_alu 0xfffe
	s_and_b32 s2, s3, s2
	s_wait_alu 0xfffe
	v_cndmask_b32_e64 v21, v21, v2, s2
	s_delay_alu instid0(VALU_DEP_1) | instskip(NEXT) | instid1(VALU_DEP_1)
	v_and_b32_e32 v21, 1, v21
	v_cmp_eq_u32_e64 s2, 1, v21
	v_lshl_add_u32 v21, v2, 3, v13
	s_and_saveexec_b32 s3, s2
	s_wait_alu 0xfffe
	s_xor_b32 s2, exec_lo, s3
	s_cbranch_execz .LBB55_23
; %bb.22:
	ds_load_b128 v[22:25], v21
	v_mov_b32_e32 v28, v4
	v_lshlrev_b16 v4, 8, v19
	v_mov_b32_e32 v29, v3
	s_delay_alu instid0(VALU_DEP_2)
	v_or_b32_e32 v3, v16, v4
	s_wait_dscnt 0x0
	v_dual_mov_b32 v26, v22 :: v_dual_mov_b32 v27, v23
	ds_store_b128 v21, v[24:27]
	ds_store_b64 v1, v[28:29]
	ds_store_b16 v5, v3
.LBB55_23:
	s_wait_alu 0xfffe
	s_or_b32 exec_lo, exec_lo, s2
	v_sub_nc_u32_e32 v19, v20, v15
	s_wait_loadcnt_dscnt 0x0
	s_barrier_signal -1
	s_barrier_wait -1
	global_inv scope:SCOPE_SE
	v_lshl_add_u32 v16, v19, 2, v17
	v_add_nc_u32_e32 v15, v18, v19
	v_bfe_u32 v23, v2, 1, 1
	v_lshl_add_u32 v19, v19, 3, v14
	ds_load_2addr_b32 v[3:4], v16 offset1:2
	ds_load_u8 v22, v15
	ds_load_u8 v24, v15 offset:2
	s_wait_dscnt 0x2
	v_cmp_u_f32_e64 s2, v3, v3
	s_wait_dscnt 0x1
	v_and_b32_e32 v25, 1, v22
	s_wait_dscnt 0x0
	v_cmp_ne_u16_e64 s5, v24, v23
	v_cmp_o_f32_e64 s3, v4, v4
	v_cmp_gt_f32_e64 s4, v3, v4
	s_wait_alu 0xf1ff
	s_delay_alu instid0(VALU_DEP_3)
	v_cndmask_b32_e64 v26, 0, 1, s5
	v_cmp_eq_u32_e64 s5, 1, v25
	s_and_b32 s2, s2, s3
	s_wait_alu 0xfffe
	s_or_b32 s2, s2, s4
	s_wait_alu 0xfffe
	s_and_b32 s2, s2, s5
	s_wait_alu 0xfffe
	v_cndmask_b32_e64 v25, v26, v23, s2
	v_and_b32_e32 v23, 2, v2
	s_delay_alu instid0(VALU_DEP_2) | instskip(NEXT) | instid1(VALU_DEP_2)
	v_and_b32_e32 v25, 1, v25
	v_cmp_ne_u32_e64 s2, 0, v23
	s_delay_alu instid0(VALU_DEP_2)
	v_cmp_eq_u32_e64 s3, 1, v25
	s_and_saveexec_b32 s4, s3
	s_wait_alu 0xfffe
	s_xor_b32 s3, exec_lo, s4
	s_cbranch_execz .LBB55_25
; %bb.24:
	ds_load_2addr_b64 v[25:28], v19 offset1:2
	ds_store_2addr_b32 v16, v4, v3 offset1:2
	s_wait_dscnt 0x1
	ds_store_2addr_b64 v19, v[27:28], v[25:26] offset1:2
	ds_store_b8 v15, v24
	ds_store_b8 v15, v22 offset:2
.LBB55_25:
	s_wait_alu 0xfffe
	s_or_b32 exec_lo, exec_lo, s3
	s_wait_loadcnt_dscnt 0x0
	s_barrier_signal -1
	s_barrier_wait -1
	global_inv scope:SCOPE_SE
	ds_load_u16 v22, v5
	ds_load_b64 v[3:4], v1
	v_lshrrev_b32_e32 v24, 1, v23
	v_cndmask_b32_e64 v25, 0, 1, s2
	s_wait_dscnt 0x1
	v_lshrrev_b16 v23, 8, v22
	v_and_b32_e32 v26, 1, v22
	s_wait_dscnt 0x0
	v_cmp_u_f32_e64 s2, v3, v3
	v_cmp_o_f32_e64 s3, v4, v4
	v_cmp_gt_f32_e64 s4, v3, v4
	v_cmp_ne_u16_e64 s6, v23, v24
	v_cmp_eq_u32_e64 s5, 1, v26
	s_and_b32 s2, s2, s3
	s_mov_b32 s3, exec_lo
	v_cndmask_b32_e64 v24, 0, 1, s6
	s_wait_alu 0xfffe
	s_or_b32 s2, s2, s4
	s_wait_alu 0xfffe
	s_and_b32 s2, s2, s5
	s_wait_alu 0xfffe
	v_cndmask_b32_e64 v24, v24, v25, s2
	s_delay_alu instid0(VALU_DEP_1) | instskip(NEXT) | instid1(VALU_DEP_1)
	v_and_b32_e32 v24, 1, v24
	v_cmpx_eq_u32_e32 1, v24
	s_cbranch_execz .LBB55_27
; %bb.26:
	ds_load_b128 v[24:27], v21
	v_mov_b32_e32 v30, v4
	v_lshlrev_b16 v4, 8, v22
	v_mov_b32_e32 v31, v3
	s_delay_alu instid0(VALU_DEP_2)
	v_or_b32_e32 v3, v23, v4
	s_wait_dscnt 0x0
	v_dual_mov_b32 v28, v24 :: v_dual_mov_b32 v29, v25
	ds_store_b128 v21, v[26:29]
	ds_store_b64 v1, v[30:31]
	ds_store_b16 v5, v3
.LBB55_27:
	s_or_b32 exec_lo, exec_lo, s3
	v_and_b32_e32 v3, 3, v2
	s_wait_loadcnt_dscnt 0x0
	s_barrier_signal -1
	s_barrier_wait -1
	global_inv scope:SCOPE_SE
	v_sub_nc_u32_e32 v24, v20, v3
	v_bfe_u32 v23, v2, 2, 1
	s_delay_alu instid0(VALU_DEP_2)
	v_lshl_add_u32 v22, v24, 2, v17
	v_add_nc_u32_e32 v21, v18, v24
	v_lshl_add_u32 v24, v24, 3, v14
	ds_load_2addr_b32 v[3:4], v22 offset1:4
	ds_load_u8 v25, v21
	ds_load_u8 v26, v21 offset:4
	s_wait_dscnt 0x2
	v_cmp_u_f32_e64 s2, v3, v3
	s_wait_dscnt 0x1
	v_and_b32_e32 v27, 1, v25
	s_wait_dscnt 0x0
	v_cmp_ne_u16_e64 s5, v26, v23
	v_cmp_o_f32_e64 s3, v4, v4
	v_cmp_gt_f32_e64 s4, v3, v4
	s_wait_alu 0xf1ff
	s_delay_alu instid0(VALU_DEP_3)
	v_cndmask_b32_e64 v28, 0, 1, s5
	v_cmp_eq_u32_e64 s5, 1, v27
	s_and_b32 s2, s2, s3
	s_wait_alu 0xfffe
	s_or_b32 s2, s2, s4
	s_mov_b32 s4, exec_lo
	s_wait_alu 0xfffe
	s_and_b32 s2, s2, s5
	s_wait_alu 0xfffe
	v_cndmask_b32_e64 v27, v28, v23, s2
	v_and_b32_e32 v23, 4, v2
	s_delay_alu instid0(VALU_DEP_2) | instskip(NEXT) | instid1(VALU_DEP_2)
	v_and_b32_e32 v27, 1, v27
	v_cmp_ne_u32_e64 s2, 0, v23
	s_delay_alu instid0(VALU_DEP_2)
	v_cmpx_eq_u32_e32 1, v27
	s_cbranch_execz .LBB55_29
; %bb.28:
	ds_load_2addr_b64 v[27:30], v24 offset1:4
	ds_store_2addr_b32 v22, v4, v3 offset1:4
	s_wait_dscnt 0x1
	ds_store_2addr_b64 v24, v[29:30], v[27:28] offset1:4
	ds_store_b8 v21, v26
	ds_store_b8 v21, v25 offset:4
.LBB55_29:
	s_or_b32 exec_lo, exec_lo, s4
	s_wait_loadcnt_dscnt 0x0
	s_barrier_signal -1
	s_barrier_wait -1
	global_inv scope:SCOPE_SE
	ds_load_2addr_b32 v[3:4], v16 offset1:2
	ds_load_u8 v26, v15
	ds_load_u8 v27, v15 offset:2
	v_lshrrev_b32_e32 v23, 2, v23
	v_cndmask_b32_e64 v25, 0, 1, s2
	s_wait_dscnt 0x2
	v_cmp_u_f32_e64 s2, v3, v3
	s_wait_dscnt 0x1
	v_and_b32_e32 v28, 1, v26
	s_wait_dscnt 0x0
	v_cmp_ne_u16_e64 s5, v27, v23
	v_cmp_o_f32_e64 s3, v4, v4
	v_cmp_gt_f32_e64 s4, v3, v4
	s_wait_alu 0xf1ff
	s_delay_alu instid0(VALU_DEP_3)
	v_cndmask_b32_e64 v29, 0, 1, s5
	v_cmp_eq_u32_e64 s5, 1, v28
	s_and_b32 s2, s2, s3
	s_mov_b32 s3, exec_lo
	s_wait_alu 0xfffe
	s_or_b32 s2, s2, s4
	s_wait_alu 0xfffe
	s_and_b32 s2, s2, s5
	s_wait_alu 0xfffe
	v_cndmask_b32_e64 v28, v29, v25, s2
	s_delay_alu instid0(VALU_DEP_1) | instskip(NEXT) | instid1(VALU_DEP_1)
	v_and_b32_e32 v28, 1, v28
	v_cmpx_eq_u32_e32 1, v28
	s_cbranch_execz .LBB55_31
; %bb.30:
	ds_load_2addr_b64 v[28:31], v19 offset1:2
	ds_store_2addr_b32 v16, v4, v3 offset1:2
	s_wait_dscnt 0x1
	ds_store_2addr_b64 v19, v[30:31], v[28:29] offset1:2
	ds_store_b8 v15, v27
	ds_store_b8 v15, v26 offset:2
.LBB55_31:
	s_or_b32 exec_lo, exec_lo, s3
	s_wait_loadcnt_dscnt 0x0
	s_barrier_signal -1
	s_barrier_wait -1
	global_inv scope:SCOPE_SE
	ds_load_b64 v[3:4], v1
	ds_load_u16 v27, v5
	s_wait_dscnt 0x1
	v_cmp_u_f32_e64 s2, v3, v3
	v_cmp_o_f32_e64 s3, v4, v4
	s_wait_dscnt 0x0
	v_lshrrev_b16 v26, 8, v27
	v_and_b32_e32 v28, 1, v27
	v_cmp_gt_f32_e64 s4, v3, v4
	s_and_b32 s5, s2, s3
	v_cmp_ne_u16_e64 s3, v26, v23
	v_cmp_eq_u32_e64 s2, 1, v28
	s_wait_alu 0xf1ff
	s_delay_alu instid0(VALU_DEP_2)
	v_cndmask_b32_e64 v23, 0, 1, s3
	s_wait_alu 0xfffe
	s_or_b32 s3, s5, s4
	s_wait_alu 0xfffe
	s_and_b32 s2, s3, s2
	s_wait_alu 0xfffe
	v_cndmask_b32_e64 v23, v23, v25, s2
	s_delay_alu instid0(VALU_DEP_1) | instskip(NEXT) | instid1(VALU_DEP_1)
	v_and_b32_e32 v23, 1, v23
	v_cmp_eq_u32_e64 s2, 1, v23
	v_lshl_add_u32 v23, v20, 3, v14
	s_and_saveexec_b32 s3, s2
	s_cbranch_execz .LBB55_33
; %bb.32:
	ds_load_b128 v[28:31], v23
	v_mov_b32_e32 v34, v4
	v_lshlrev_b16 v4, 8, v27
	v_mov_b32_e32 v35, v3
	s_delay_alu instid0(VALU_DEP_2)
	v_or_b32_e32 v3, v26, v4
	s_wait_dscnt 0x0
	v_dual_mov_b32 v32, v28 :: v_dual_mov_b32 v33, v29
	ds_store_b128 v23, v[30:33]
	ds_store_b64 v1, v[34:35]
	ds_store_b16 v5, v3
.LBB55_33:
	s_wait_alu 0xfffe
	s_or_b32 exec_lo, exec_lo, s3
	v_and_b32_e32 v3, 7, v2
	s_wait_loadcnt_dscnt 0x0
	s_barrier_signal -1
	s_barrier_wait -1
	global_inv scope:SCOPE_SE
	v_sub_nc_u32_e32 v27, v20, v3
	v_bfe_u32 v28, v2, 3, 1
	s_delay_alu instid0(VALU_DEP_2)
	v_lshl_add_u32 v26, v27, 2, v17
	v_add_nc_u32_e32 v25, v18, v27
	v_lshl_add_u32 v27, v27, 3, v14
	ds_load_2addr_b32 v[3:4], v26 offset1:8
	ds_load_u8 v29, v25
	ds_load_u8 v30, v25 offset:8
	s_wait_dscnt 0x2
	v_cmp_u_f32_e64 s2, v3, v3
	s_wait_dscnt 0x1
	v_and_b32_e32 v31, 1, v29
	s_wait_dscnt 0x0
	v_cmp_ne_u16_e64 s5, v30, v28
	v_cmp_o_f32_e64 s3, v4, v4
	v_cmp_gt_f32_e64 s4, v3, v4
	s_wait_alu 0xf1ff
	s_delay_alu instid0(VALU_DEP_3)
	v_cndmask_b32_e64 v32, 0, 1, s5
	v_cmp_eq_u32_e64 s5, 1, v31
	s_and_b32 s2, s2, s3
	s_wait_alu 0xfffe
	s_or_b32 s2, s2, s4
	s_mov_b32 s4, exec_lo
	s_wait_alu 0xfffe
	s_and_b32 s2, s2, s5
	s_wait_alu 0xfffe
	v_cndmask_b32_e64 v31, v32, v28, s2
	v_and_b32_e32 v28, 8, v2
	s_delay_alu instid0(VALU_DEP_2) | instskip(NEXT) | instid1(VALU_DEP_2)
	v_and_b32_e32 v31, 1, v31
	v_cmp_ne_u32_e64 s2, 0, v28
	s_delay_alu instid0(VALU_DEP_2)
	v_cmpx_eq_u32_e32 1, v31
	s_cbranch_execz .LBB55_35
; %bb.34:
	ds_load_2addr_b64 v[31:34], v27 offset1:8
	ds_store_2addr_b32 v26, v4, v3 offset1:8
	s_wait_dscnt 0x1
	ds_store_2addr_b64 v27, v[33:34], v[31:32] offset1:8
	ds_store_b8 v25, v30
	ds_store_b8 v25, v29 offset:8
.LBB55_35:
	s_or_b32 exec_lo, exec_lo, s4
	s_wait_loadcnt_dscnt 0x0
	s_barrier_signal -1
	s_barrier_wait -1
	global_inv scope:SCOPE_SE
	ds_load_2addr_b32 v[3:4], v22 offset1:4
	ds_load_u8 v30, v21
	ds_load_u8 v31, v21 offset:4
	v_lshrrev_b32_e32 v28, 3, v28
	v_cndmask_b32_e64 v29, 0, 1, s2
	s_wait_dscnt 0x2
	v_cmp_u_f32_e64 s2, v3, v3
	s_wait_dscnt 0x1
	v_and_b32_e32 v32, 1, v30
	s_wait_dscnt 0x0
	v_cmp_ne_u16_e64 s5, v31, v28
	v_cmp_o_f32_e64 s3, v4, v4
	v_cmp_gt_f32_e64 s4, v3, v4
	s_wait_alu 0xf1ff
	s_delay_alu instid0(VALU_DEP_3)
	v_cndmask_b32_e64 v33, 0, 1, s5
	v_cmp_eq_u32_e64 s5, 1, v32
	s_and_b32 s2, s2, s3
	s_mov_b32 s3, exec_lo
	s_wait_alu 0xfffe
	s_or_b32 s2, s2, s4
	s_wait_alu 0xfffe
	s_and_b32 s2, s2, s5
	s_wait_alu 0xfffe
	v_cndmask_b32_e64 v32, v33, v29, s2
	s_delay_alu instid0(VALU_DEP_1) | instskip(NEXT) | instid1(VALU_DEP_1)
	v_and_b32_e32 v32, 1, v32
	v_cmpx_eq_u32_e32 1, v32
	s_cbranch_execz .LBB55_37
; %bb.36:
	ds_load_2addr_b64 v[32:35], v24 offset1:4
	ds_store_2addr_b32 v22, v4, v3 offset1:4
	s_wait_dscnt 0x1
	ds_store_2addr_b64 v24, v[34:35], v[32:33] offset1:4
	ds_store_b8 v21, v31
	ds_store_b8 v21, v30 offset:4
.LBB55_37:
	s_or_b32 exec_lo, exec_lo, s3
	s_wait_loadcnt_dscnt 0x0
	s_barrier_signal -1
	s_barrier_wait -1
	global_inv scope:SCOPE_SE
	ds_load_2addr_b32 v[3:4], v16 offset1:2
	ds_load_u8 v30, v15
	ds_load_u8 v31, v15 offset:2
	s_wait_dscnt 0x2
	v_cmp_u_f32_e64 s2, v3, v3
	s_wait_dscnt 0x1
	v_and_b32_e32 v32, 1, v30
	s_wait_dscnt 0x0
	v_cmp_ne_u16_e64 s5, v31, v28
	v_cmp_o_f32_e64 s3, v4, v4
	v_cmp_gt_f32_e64 s4, v3, v4
	s_wait_alu 0xf1ff
	s_delay_alu instid0(VALU_DEP_3)
	v_cndmask_b32_e64 v33, 0, 1, s5
	v_cmp_eq_u32_e64 s5, 1, v32
	s_and_b32 s2, s2, s3
	s_mov_b32 s3, exec_lo
	s_wait_alu 0xfffe
	s_or_b32 s2, s2, s4
	s_wait_alu 0xfffe
	s_and_b32 s2, s2, s5
	s_wait_alu 0xfffe
	v_cndmask_b32_e64 v32, v33, v29, s2
	s_delay_alu instid0(VALU_DEP_1) | instskip(NEXT) | instid1(VALU_DEP_1)
	v_and_b32_e32 v32, 1, v32
	v_cmpx_eq_u32_e32 1, v32
	s_cbranch_execz .LBB55_39
; %bb.38:
	ds_load_2addr_b64 v[32:35], v19 offset1:2
	ds_store_2addr_b32 v16, v4, v3 offset1:2
	s_wait_dscnt 0x1
	ds_store_2addr_b64 v19, v[34:35], v[32:33] offset1:2
	ds_store_b8 v15, v31
	ds_store_b8 v15, v30 offset:2
.LBB55_39:
	s_or_b32 exec_lo, exec_lo, s3
	s_wait_loadcnt_dscnt 0x0
	s_barrier_signal -1
	s_barrier_wait -1
	global_inv scope:SCOPE_SE
	ds_load_u16 v31, v5
	ds_load_b64 v[3:4], v1
	s_wait_dscnt 0x1
	v_lshrrev_b16 v30, 8, v31
	v_and_b32_e32 v32, 1, v31
	s_wait_dscnt 0x0
	v_cmp_u_f32_e64 s2, v3, v3
	v_cmp_o_f32_e64 s3, v4, v4
	v_cmp_gt_f32_e64 s4, v3, v4
	v_cmp_ne_u16_e64 s6, v30, v28
	v_cmp_eq_u32_e64 s5, 1, v32
	s_and_b32 s2, s2, s3
	s_mov_b32 s3, exec_lo
	v_cndmask_b32_e64 v28, 0, 1, s6
	s_wait_alu 0xfffe
	s_or_b32 s2, s2, s4
	s_wait_alu 0xfffe
	s_and_b32 s2, s2, s5
	s_wait_alu 0xfffe
	v_cndmask_b32_e64 v28, v28, v29, s2
	s_delay_alu instid0(VALU_DEP_1) | instskip(NEXT) | instid1(VALU_DEP_1)
	v_and_b32_e32 v28, 1, v28
	v_cmpx_eq_u32_e32 1, v28
	s_cbranch_execz .LBB55_41
; %bb.40:
	ds_load_b128 v[32:35], v23
	v_mov_b32_e32 v28, v4
	v_lshlrev_b16 v4, 8, v31
	v_mov_b32_e32 v29, v3
	s_delay_alu instid0(VALU_DEP_2)
	v_or_b32_e32 v3, v30, v4
	s_wait_dscnt 0x0
	v_dual_mov_b32 v36, v32 :: v_dual_mov_b32 v37, v33
	ds_store_b128 v23, v[34:37]
	ds_store_b64 v1, v[28:29]
	ds_store_b16 v5, v3
.LBB55_41:
	s_or_b32 exec_lo, exec_lo, s3
	v_and_b32_e32 v3, 15, v2
	s_wait_loadcnt_dscnt 0x0
	s_barrier_signal -1
	s_barrier_wait -1
	global_inv scope:SCOPE_SE
	v_sub_nc_u32_e32 v28, v20, v3
	s_delay_alu instid0(VALU_DEP_1)
	v_lshl_add_u32 v20, v28, 2, v17
	v_add_nc_u32_e32 v17, v18, v28
	ds_load_2addr_b32 v[3:4], v20 offset1:16
	ds_load_u8 v18, v17
	ds_load_u8 v29, v17 offset:16
	s_wait_dscnt 0x2
	v_cmp_u_f32_e64 s2, v3, v3
	s_wait_dscnt 0x1
	v_and_b32_e32 v30, 1, v18
	v_cmp_o_f32_e64 s3, v4, v4
	v_cmp_gt_f32_e64 s4, v3, v4
	s_wait_dscnt 0x0
	v_and_b32_e32 v29, 0xff, v29
	v_cmp_eq_u32_e64 s5, 1, v30
	s_and_b32 s2, s2, s3
	s_wait_alu 0xfffe
	s_or_b32 s3, s2, s4
	v_cmp_ne_u16_e64 s2, 0, v29
	s_wait_alu 0xfffe
	s_and_b32 s3, s3, s5
	s_wait_alu 0xfffe
	s_xor_b32 s3, s3, -1
	s_wait_alu 0xfffe
	s_and_b32 s3, s3, s2
	s_wait_alu 0xfffe
	s_and_saveexec_b32 s2, s3
	s_cbranch_execz .LBB55_43
; %bb.42:
	v_lshl_add_u32 v14, v28, 3, v14
	v_mov_b32_e32 v32, 1
	ds_load_2addr_b64 v[28:31], v14 offset1:16
	ds_store_2addr_b32 v20, v4, v3 offset1:16
	s_wait_dscnt 0x1
	ds_store_2addr_b64 v14, v[30:31], v[28:29] offset1:16
	ds_store_b8 v17, v32
	ds_store_b8 v17, v18 offset:16
.LBB55_43:
	s_wait_alu 0xfffe
	s_or_b32 exec_lo, exec_lo, s2
	s_wait_loadcnt_dscnt 0x0
	s_barrier_signal -1
	s_barrier_wait -1
	global_inv scope:SCOPE_SE
	ds_load_2addr_b32 v[3:4], v26 offset1:8
	ds_load_u8 v14, v25
	ds_load_u8 v17, v25 offset:8
	s_wait_dscnt 0x2
	v_cmp_u_f32_e64 s2, v3, v3
	s_wait_dscnt 0x1
	v_and_b32_e32 v18, 1, v14
	v_cmp_o_f32_e64 s3, v4, v4
	v_cmp_gt_f32_e64 s4, v3, v4
	s_wait_dscnt 0x0
	v_and_b32_e32 v17, 0xff, v17
	v_cmp_eq_u32_e64 s5, 1, v18
	s_and_b32 s2, s2, s3
	s_wait_alu 0xfffe
	s_or_b32 s3, s2, s4
	v_cmp_ne_u16_e64 s2, 0, v17
	s_wait_alu 0xfffe
	s_and_b32 s3, s3, s5
	s_wait_alu 0xfffe
	s_xor_b32 s3, s3, -1
	s_wait_alu 0xfffe
	s_and_b32 s3, s3, s2
	s_wait_alu 0xfffe
	s_and_saveexec_b32 s2, s3
	s_cbranch_execz .LBB55_45
; %bb.44:
	ds_load_2addr_b64 v[28:31], v27 offset1:8
	v_mov_b32_e32 v17, 1
	ds_store_2addr_b32 v26, v4, v3 offset1:8
	s_wait_dscnt 0x1
	ds_store_2addr_b64 v27, v[30:31], v[28:29] offset1:8
	ds_store_b8 v25, v17
	ds_store_b8 v25, v14 offset:8
.LBB55_45:
	s_wait_alu 0xfffe
	s_or_b32 exec_lo, exec_lo, s2
	s_wait_loadcnt_dscnt 0x0
	s_barrier_signal -1
	s_barrier_wait -1
	global_inv scope:SCOPE_SE
	ds_load_2addr_b32 v[3:4], v22 offset1:4
	ds_load_u8 v14, v21
	ds_load_u8 v17, v21 offset:4
	s_wait_dscnt 0x2
	v_cmp_u_f32_e64 s2, v3, v3
	s_wait_dscnt 0x1
	v_and_b32_e32 v18, 1, v14
	v_cmp_o_f32_e64 s3, v4, v4
	v_cmp_gt_f32_e64 s4, v3, v4
	s_wait_dscnt 0x0
	v_and_b32_e32 v17, 0xff, v17
	v_cmp_eq_u32_e64 s5, 1, v18
	s_and_b32 s2, s2, s3
	s_wait_alu 0xfffe
	s_or_b32 s3, s2, s4
	v_cmp_ne_u16_e64 s2, 0, v17
	s_wait_alu 0xfffe
	s_and_b32 s3, s3, s5
	s_wait_alu 0xfffe
	s_xor_b32 s3, s3, -1
	s_wait_alu 0xfffe
	s_and_b32 s3, s3, s2
	s_wait_alu 0xfffe
	s_and_saveexec_b32 s2, s3
	s_cbranch_execz .LBB55_47
; %bb.46:
	ds_load_2addr_b64 v[25:28], v24 offset1:4
	v_mov_b32_e32 v17, 1
	ds_store_2addr_b32 v22, v4, v3 offset1:4
	s_wait_dscnt 0x1
	ds_store_2addr_b64 v24, v[27:28], v[25:26] offset1:4
	ds_store_b8 v21, v17
	ds_store_b8 v21, v14 offset:4
.LBB55_47:
	;; [unrolled: 40-line block ×3, first 2 shown]
	s_wait_alu 0xfffe
	s_or_b32 exec_lo, exec_lo, s2
	s_wait_loadcnt_dscnt 0x0
	s_barrier_signal -1
	s_barrier_wait -1
	global_inv scope:SCOPE_SE
	ds_load_b64 v[3:4], v1
	ds_load_u16 v14, v5
	s_wait_dscnt 0x1
	v_cmp_u_f32_e64 s2, v3, v3
	s_wait_dscnt 0x0
	v_and_b32_e32 v15, 1, v14
	v_cmp_o_f32_e64 s3, v4, v4
	v_cmp_gt_f32_e64 s4, v3, v4
	v_lshrrev_b16 v16, 8, v14
	s_delay_alu instid0(VALU_DEP_4)
	v_cmp_eq_u32_e64 s5, 1, v15
	s_and_b32 s2, s2, s3
	s_wait_alu 0xfffe
	s_or_b32 s3, s2, s4
	v_cmp_ne_u16_e64 s2, 0, v16
	s_wait_alu 0xfffe
	s_and_b32 s3, s3, s5
	s_wait_alu 0xfffe
	s_xor_b32 s3, s3, -1
	s_wait_alu 0xfffe
	s_and_b32 s3, s3, s2
	s_wait_alu 0xfffe
	s_and_saveexec_b32 s2, s3
	s_cbranch_execz .LBB55_51
; %bb.50:
	ds_load_b128 v[15:18], v23
	v_mov_b32_e32 v21, v4
	v_lshlrev_b16 v4, 8, v14
	v_mov_b32_e32 v22, v3
	s_delay_alu instid0(VALU_DEP_2)
	v_or_b32_e32 v3, 1, v4
	s_wait_dscnt 0x0
	v_dual_mov_b32 v19, v15 :: v_dual_mov_b32 v20, v16
	ds_store_b128 v23, v[17:20]
	ds_store_b64 v1, v[21:22]
	ds_store_b16 v5, v3
.LBB55_51:
	s_wait_alu 0xfffe
	s_or_b32 exec_lo, exec_lo, s2
	s_wait_loadcnt_dscnt 0x0
	s_barrier_signal -1
	s_barrier_wait -1
	global_inv scope:SCOPE_SE
	s_and_saveexec_b32 s2, vcc_lo
	s_cbranch_execz .LBB55_56
; %bb.52:
	s_and_saveexec_b32 s2, s0
	s_cbranch_execz .LBB55_54
; %bb.53:
	v_mad_co_u64_u32 v[3:4], null, s8, v2, 0
	v_mad_co_u64_u32 v[14:15], null, s10, v2, 0
	s_delay_alu instid0(VALU_DEP_1) | instskip(NEXT) | instid1(VALU_DEP_1)
	v_dual_mov_b32 v1, v4 :: v_dual_mov_b32 v4, v15
	v_mad_co_u64_u32 v[15:16], null, s9, v2, v[1:2]
	s_delay_alu instid0(VALU_DEP_2) | instskip(SKIP_3) | instid1(VALU_DEP_1)
	v_mad_co_u64_u32 v[1:2], null, s11, v2, v[4:5]
	ds_load_b32 v5, v12
	ds_load_b64 v[12:13], v13
	v_dual_mov_b32 v4, v15 :: v_dual_mov_b32 v15, v1
	v_lshlrev_b64_e32 v[1:2], 2, v[3:4]
	s_delay_alu instid0(VALU_DEP_2) | instskip(NEXT) | instid1(VALU_DEP_2)
	v_lshlrev_b64_e32 v[3:4], 3, v[14:15]
	v_add_co_u32 v1, vcc_lo, v8, v1
	s_wait_alu 0xfffd
	s_delay_alu instid0(VALU_DEP_3) | instskip(NEXT) | instid1(VALU_DEP_3)
	v_add_co_ci_u32_e64 v2, null, v9, v2, vcc_lo
	v_add_co_u32 v3, vcc_lo, v10, v3
	s_wait_alu 0xfffd
	v_add_co_ci_u32_e64 v4, null, v11, v4, vcc_lo
	s_wait_dscnt 0x1
	global_store_b32 v[1:2], v5, off
	s_wait_dscnt 0x0
	global_store_b64 v[3:4], v[12:13], off
.LBB55_54:
	s_wait_alu 0xfffe
	s_or_b32 exec_lo, exec_lo, s2
	s_delay_alu instid0(SALU_CYCLE_1)
	s_and_b32 exec_lo, exec_lo, s1
	s_cbranch_execz .LBB55_56
; %bb.55:
	v_mad_co_u64_u32 v[1:2], null, s8, v0, 0
	v_mad_co_u64_u32 v[3:4], null, s10, v0, 0
	s_delay_alu instid0(VALU_DEP_1) | instskip(NEXT) | instid1(VALU_DEP_2)
	v_mad_co_u64_u32 v[12:13], null, s9, v0, v[2:3]
	v_mad_co_u64_u32 v[4:5], null, s11, v0, v[4:5]
	s_delay_alu instid0(VALU_DEP_2) | instskip(SKIP_4) | instid1(VALU_DEP_2)
	v_mov_b32_e32 v2, v12
	ds_load_b32 v12, v6
	ds_load_b64 v[5:6], v7
	v_lshlrev_b64_e32 v[0:1], 2, v[1:2]
	v_lshlrev_b64_e32 v[2:3], 3, v[3:4]
	v_add_co_u32 v0, vcc_lo, v8, v0
	s_wait_alu 0xfffd
	s_delay_alu instid0(VALU_DEP_3) | instskip(NEXT) | instid1(VALU_DEP_3)
	v_add_co_ci_u32_e64 v1, null, v9, v1, vcc_lo
	v_add_co_u32 v2, vcc_lo, v10, v2
	s_wait_alu 0xfffd
	v_add_co_ci_u32_e64 v3, null, v11, v3, vcc_lo
	s_wait_dscnt 0x1
	global_store_b32 v[0:1], v12, off
	s_wait_dscnt 0x0
	global_store_b64 v[2:3], v[5:6], off
.LBB55_56:
	s_endpgm
	.section	.rodata,"a",@progbits
	.p2align	6, 0x0
	.amdhsa_kernel _ZN2at6native20bitonicSortKVInPlaceILin1ELin1ELi16ELi16EflNS0_4GTOpIfLb1EEEmEEvNS_4cuda6detail10TensorInfoIT3_T6_EES8_S8_S8_NS6_IT4_S8_EES8_T5_
		.amdhsa_group_segment_fixed_size 6656
		.amdhsa_private_segment_fixed_size 0
		.amdhsa_kernarg_size 1128
		.amdhsa_user_sgpr_count 2
		.amdhsa_user_sgpr_dispatch_ptr 0
		.amdhsa_user_sgpr_queue_ptr 0
		.amdhsa_user_sgpr_kernarg_segment_ptr 1
		.amdhsa_user_sgpr_dispatch_id 0
		.amdhsa_user_sgpr_private_segment_size 0
		.amdhsa_wavefront_size32 1
		.amdhsa_uses_dynamic_stack 0
		.amdhsa_enable_private_segment 0
		.amdhsa_system_sgpr_workgroup_id_x 1
		.amdhsa_system_sgpr_workgroup_id_y 1
		.amdhsa_system_sgpr_workgroup_id_z 1
		.amdhsa_system_sgpr_workgroup_info 0
		.amdhsa_system_vgpr_workitem_id 1
		.amdhsa_next_free_vgpr 38
		.amdhsa_next_free_sgpr 31
		.amdhsa_reserve_vcc 1
		.amdhsa_float_round_mode_32 0
		.amdhsa_float_round_mode_16_64 0
		.amdhsa_float_denorm_mode_32 3
		.amdhsa_float_denorm_mode_16_64 3
		.amdhsa_fp16_overflow 0
		.amdhsa_workgroup_processor_mode 1
		.amdhsa_memory_ordered 1
		.amdhsa_forward_progress 1
		.amdhsa_inst_pref_size 57
		.amdhsa_round_robin_scheduling 0
		.amdhsa_exception_fp_ieee_invalid_op 0
		.amdhsa_exception_fp_denorm_src 0
		.amdhsa_exception_fp_ieee_div_zero 0
		.amdhsa_exception_fp_ieee_overflow 0
		.amdhsa_exception_fp_ieee_underflow 0
		.amdhsa_exception_fp_ieee_inexact 0
		.amdhsa_exception_int_div_zero 0
	.end_amdhsa_kernel
	.section	.text._ZN2at6native20bitonicSortKVInPlaceILin1ELin1ELi16ELi16EflNS0_4GTOpIfLb1EEEmEEvNS_4cuda6detail10TensorInfoIT3_T6_EES8_S8_S8_NS6_IT4_S8_EES8_T5_,"axG",@progbits,_ZN2at6native20bitonicSortKVInPlaceILin1ELin1ELi16ELi16EflNS0_4GTOpIfLb1EEEmEEvNS_4cuda6detail10TensorInfoIT3_T6_EES8_S8_S8_NS6_IT4_S8_EES8_T5_,comdat
.Lfunc_end55:
	.size	_ZN2at6native20bitonicSortKVInPlaceILin1ELin1ELi16ELi16EflNS0_4GTOpIfLb1EEEmEEvNS_4cuda6detail10TensorInfoIT3_T6_EES8_S8_S8_NS6_IT4_S8_EES8_T5_, .Lfunc_end55-_ZN2at6native20bitonicSortKVInPlaceILin1ELin1ELi16ELi16EflNS0_4GTOpIfLb1EEEmEEvNS_4cuda6detail10TensorInfoIT3_T6_EES8_S8_S8_NS6_IT4_S8_EES8_T5_
                                        ; -- End function
	.set _ZN2at6native20bitonicSortKVInPlaceILin1ELin1ELi16ELi16EflNS0_4GTOpIfLb1EEEmEEvNS_4cuda6detail10TensorInfoIT3_T6_EES8_S8_S8_NS6_IT4_S8_EES8_T5_.num_vgpr, 38
	.set _ZN2at6native20bitonicSortKVInPlaceILin1ELin1ELi16ELi16EflNS0_4GTOpIfLb1EEEmEEvNS_4cuda6detail10TensorInfoIT3_T6_EES8_S8_S8_NS6_IT4_S8_EES8_T5_.num_agpr, 0
	.set _ZN2at6native20bitonicSortKVInPlaceILin1ELin1ELi16ELi16EflNS0_4GTOpIfLb1EEEmEEvNS_4cuda6detail10TensorInfoIT3_T6_EES8_S8_S8_NS6_IT4_S8_EES8_T5_.numbered_sgpr, 31
	.set _ZN2at6native20bitonicSortKVInPlaceILin1ELin1ELi16ELi16EflNS0_4GTOpIfLb1EEEmEEvNS_4cuda6detail10TensorInfoIT3_T6_EES8_S8_S8_NS6_IT4_S8_EES8_T5_.num_named_barrier, 0
	.set _ZN2at6native20bitonicSortKVInPlaceILin1ELin1ELi16ELi16EflNS0_4GTOpIfLb1EEEmEEvNS_4cuda6detail10TensorInfoIT3_T6_EES8_S8_S8_NS6_IT4_S8_EES8_T5_.private_seg_size, 0
	.set _ZN2at6native20bitonicSortKVInPlaceILin1ELin1ELi16ELi16EflNS0_4GTOpIfLb1EEEmEEvNS_4cuda6detail10TensorInfoIT3_T6_EES8_S8_S8_NS6_IT4_S8_EES8_T5_.uses_vcc, 1
	.set _ZN2at6native20bitonicSortKVInPlaceILin1ELin1ELi16ELi16EflNS0_4GTOpIfLb1EEEmEEvNS_4cuda6detail10TensorInfoIT3_T6_EES8_S8_S8_NS6_IT4_S8_EES8_T5_.uses_flat_scratch, 0
	.set _ZN2at6native20bitonicSortKVInPlaceILin1ELin1ELi16ELi16EflNS0_4GTOpIfLb1EEEmEEvNS_4cuda6detail10TensorInfoIT3_T6_EES8_S8_S8_NS6_IT4_S8_EES8_T5_.has_dyn_sized_stack, 0
	.set _ZN2at6native20bitonicSortKVInPlaceILin1ELin1ELi16ELi16EflNS0_4GTOpIfLb1EEEmEEvNS_4cuda6detail10TensorInfoIT3_T6_EES8_S8_S8_NS6_IT4_S8_EES8_T5_.has_recursion, 0
	.set _ZN2at6native20bitonicSortKVInPlaceILin1ELin1ELi16ELi16EflNS0_4GTOpIfLb1EEEmEEvNS_4cuda6detail10TensorInfoIT3_T6_EES8_S8_S8_NS6_IT4_S8_EES8_T5_.has_indirect_call, 0
	.section	.AMDGPU.csdata,"",@progbits
; Kernel info:
; codeLenInByte = 7204
; TotalNumSgprs: 33
; NumVgprs: 38
; ScratchSize: 0
; MemoryBound: 0
; FloatMode: 240
; IeeeMode: 1
; LDSByteSize: 6656 bytes/workgroup (compile time only)
; SGPRBlocks: 0
; VGPRBlocks: 4
; NumSGPRsForWavesPerEU: 33
; NumVGPRsForWavesPerEU: 38
; Occupancy: 16
; WaveLimiterHint : 1
; COMPUTE_PGM_RSRC2:SCRATCH_EN: 0
; COMPUTE_PGM_RSRC2:USER_SGPR: 2
; COMPUTE_PGM_RSRC2:TRAP_HANDLER: 0
; COMPUTE_PGM_RSRC2:TGID_X_EN: 1
; COMPUTE_PGM_RSRC2:TGID_Y_EN: 1
; COMPUTE_PGM_RSRC2:TGID_Z_EN: 1
; COMPUTE_PGM_RSRC2:TIDIG_COMP_CNT: 1
	.section	.text._ZN2at6native20bitonicSortKVInPlaceILin2ELin1ELi16ELi16EN3c104HalfElNS0_4LTOpIS3_Lb1EEEjEEvNS_4cuda6detail10TensorInfoIT3_T6_EESA_SA_SA_NS8_IT4_SA_EESA_T5_,"axG",@progbits,_ZN2at6native20bitonicSortKVInPlaceILin2ELin1ELi16ELi16EN3c104HalfElNS0_4LTOpIS3_Lb1EEEjEEvNS_4cuda6detail10TensorInfoIT3_T6_EESA_SA_SA_NS8_IT4_SA_EESA_T5_,comdat
	.protected	_ZN2at6native20bitonicSortKVInPlaceILin2ELin1ELi16ELi16EN3c104HalfElNS0_4LTOpIS3_Lb1EEEjEEvNS_4cuda6detail10TensorInfoIT3_T6_EESA_SA_SA_NS8_IT4_SA_EESA_T5_ ; -- Begin function _ZN2at6native20bitonicSortKVInPlaceILin2ELin1ELi16ELi16EN3c104HalfElNS0_4LTOpIS3_Lb1EEEjEEvNS_4cuda6detail10TensorInfoIT3_T6_EESA_SA_SA_NS8_IT4_SA_EESA_T5_
	.globl	_ZN2at6native20bitonicSortKVInPlaceILin2ELin1ELi16ELi16EN3c104HalfElNS0_4LTOpIS3_Lb1EEEjEEvNS_4cuda6detail10TensorInfoIT3_T6_EESA_SA_SA_NS8_IT4_SA_EESA_T5_
	.p2align	8
	.type	_ZN2at6native20bitonicSortKVInPlaceILin2ELin1ELi16ELi16EN3c104HalfElNS0_4LTOpIS3_Lb1EEEjEEvNS_4cuda6detail10TensorInfoIT3_T6_EESA_SA_SA_NS8_IT4_SA_EESA_T5_,@function
_ZN2at6native20bitonicSortKVInPlaceILin2ELin1ELi16ELi16EN3c104HalfElNS0_4LTOpIS3_Lb1EEEjEEvNS_4cuda6detail10TensorInfoIT3_T6_EESA_SA_SA_NS8_IT4_SA_EESA_T5_: ; @_ZN2at6native20bitonicSortKVInPlaceILin2ELin1ELi16ELi16EN3c104HalfElNS0_4LTOpIS3_Lb1EEEjEEvNS_4cuda6detail10TensorInfoIT3_T6_EESA_SA_SA_NS8_IT4_SA_EESA_T5_
; %bb.0:
	s_clause 0x2
	s_load_b64 s[2:3], s[0:1], 0x1c8
	s_load_u16 s4, s[0:1], 0x1d6
	s_load_b96 s[8:10], s[0:1], 0xd8
	s_lshr_b32 s5, ttmp7, 16
	s_wait_kmcnt 0x0
	s_mul_i32 s3, s3, s5
	s_and_b32 s5, ttmp7, 0xffff
	s_delay_alu instid0(SALU_CYCLE_1) | instskip(NEXT) | instid1(SALU_CYCLE_1)
	s_add_co_i32 s3, s3, s5
	s_mul_i32 s2, s3, s2
	s_delay_alu instid0(SALU_CYCLE_1) | instskip(NEXT) | instid1(SALU_CYCLE_1)
	s_add_co_i32 s2, s2, ttmp9
	s_mul_i32 s2, s2, s4
	s_delay_alu instid0(SALU_CYCLE_1)
	s_cmp_ge_u32 s2, s8
	s_cbranch_scc1 .LBB56_43
; %bb.1:
	s_clause 0x1
	s_load_b32 s4, s[0:1], 0x1b8
	s_load_b64 s[12:13], s[0:1], 0x0
	v_bfe_u32 v8, v0, 10, 10
	s_delay_alu instid0(VALU_DEP_1) | instskip(SKIP_2) | instid1(VALU_DEP_2)
	v_add_nc_u32_e32 v3, s2, v8
	v_mov_b32_e32 v1, 0
	s_add_nc_u64 s[2:3], s[0:1], 0xe8
	v_mov_b32_e32 v4, v3
	s_wait_kmcnt 0x0
	s_cmp_lt_i32 s4, 2
	s_cbranch_scc1 .LBB56_4
; %bb.2:
	s_add_co_i32 s6, s4, -1
	s_mov_b32 s7, 0
	v_dual_mov_b32 v1, 0 :: v_dual_mov_b32 v4, v3
	s_lshl_b64 s[6:7], s[6:7], 2
	s_wait_alu 0xfffe
	s_add_nc_u64 s[14:15], s[2:3], s[6:7]
	s_add_co_i32 s6, s4, 1
	s_add_nc_u64 s[4:5], s[14:15], 8
.LBB56_3:                               ; =>This Inner Loop Header: Depth=1
	s_clause 0x1
	s_load_b32 s7, s[4:5], 0x0
	s_load_b32 s11, s[4:5], 0x64
	s_add_co_i32 s6, s6, -1
	s_add_nc_u64 s[4:5], s[4:5], -4
	s_wait_kmcnt 0x0
	s_cvt_f32_u32 s14, s7
	s_sub_co_i32 s15, 0, s7
	s_wait_alu 0xfffe
	s_delay_alu instid0(SALU_CYCLE_1) | instskip(NEXT) | instid1(TRANS32_DEP_1)
	v_rcp_iflag_f32_e32 v2, s14
	v_readfirstlane_b32 s14, v2
	v_mov_b32_e32 v2, v4
	s_mul_f32 s14, s14, 0x4f7ffffe
	s_wait_alu 0xfffe
	s_delay_alu instid0(SALU_CYCLE_2) | instskip(SKIP_1) | instid1(SALU_CYCLE_2)
	s_cvt_u32_f32 s14, s14
	s_wait_alu 0xfffe
	s_mul_i32 s15, s15, s14
	s_wait_alu 0xfffe
	s_mul_hi_u32 s15, s14, s15
	s_wait_alu 0xfffe
	s_add_co_i32 s14, s14, s15
	s_cmp_gt_u32 s6, 2
	s_wait_alu 0xfffe
	v_mul_hi_u32 v4, v2, s14
	s_delay_alu instid0(VALU_DEP_1) | instskip(SKIP_1) | instid1(VALU_DEP_2)
	v_mul_lo_u32 v5, v4, s7
	v_add_nc_u32_e32 v6, 1, v4
	v_sub_nc_u32_e32 v5, v2, v5
	s_delay_alu instid0(VALU_DEP_1) | instskip(SKIP_2) | instid1(VALU_DEP_2)
	v_subrev_nc_u32_e32 v7, s7, v5
	v_cmp_le_u32_e32 vcc_lo, s7, v5
	s_wait_alu 0xfffd
	v_dual_cndmask_b32 v4, v4, v6 :: v_dual_cndmask_b32 v5, v5, v7
	s_delay_alu instid0(VALU_DEP_1) | instskip(NEXT) | instid1(VALU_DEP_2)
	v_add_nc_u32_e32 v6, 1, v4
	v_cmp_le_u32_e32 vcc_lo, s7, v5
	s_wait_alu 0xfffd
	s_delay_alu instid0(VALU_DEP_2) | instskip(NEXT) | instid1(VALU_DEP_1)
	v_cndmask_b32_e32 v4, v4, v6, vcc_lo
	v_mul_lo_u32 v5, v4, s7
	s_delay_alu instid0(VALU_DEP_1) | instskip(NEXT) | instid1(VALU_DEP_1)
	v_sub_nc_u32_e32 v2, v2, v5
	v_mad_co_u64_u32 v[1:2], null, s11, v2, v[1:2]
	s_cbranch_scc1 .LBB56_3
.LBB56_4:
	s_load_b32 s6, s[0:1], 0x6c
	s_add_nc_u64 s[4:5], s[0:1], 0x1c8
	s_load_b32 s11, s[2:3], 0x6c
	s_load_b32 s4, s[4:5], 0xc
	s_clause 0x1
	s_load_b32 s7, s[0:1], 0x1c0
	s_load_b64 s[14:15], s[2:3], 0x0
	v_and_b32_e32 v7, 0x3ff, v0
	v_cmp_gt_u32_e64 s0, s8, v3
	v_mov_b32_e32 v5, 0
	v_dual_mov_b32 v6, 0 :: v_dual_mov_b32 v11, 0
	v_mov_b32_e32 v10, 0
	s_wait_kmcnt 0x0
	v_mul_lo_u32 v2, s6, v3
	s_delay_alu instid0(VALU_DEP_1)
	v_mad_co_u64_u32 v[0:1], null, s11, v4, v[1:2]
	v_mov_b32_e32 v3, 0
	v_mov_b32_e32 v4, 0
	v_cmp_gt_u32_e32 vcc_lo, s9, v7
	s_and_b32 s2, s0, vcc_lo
	s_wait_alu 0xfffe
	s_and_saveexec_b32 s3, s2
	s_cbranch_execz .LBB56_6
; %bb.5:
	v_mad_co_u64_u32 v[5:6], null, v7, s10, v[2:3]
	v_mov_b32_e32 v6, 0
	v_mad_co_u64_u32 v[11:12], null, v7, s7, v[0:1]
	s_delay_alu instid0(VALU_DEP_2) | instskip(NEXT) | instid1(VALU_DEP_4)
	v_mov_b32_e32 v12, v6
	v_lshlrev_b64_e32 v[5:6], 1, v[5:6]
	s_delay_alu instid0(VALU_DEP_2) | instskip(NEXT) | instid1(VALU_DEP_2)
	v_lshlrev_b64_e32 v[11:12], 3, v[11:12]
	v_add_co_u32 v5, s1, s12, v5
	s_delay_alu instid0(VALU_DEP_1) | instskip(NEXT) | instid1(VALU_DEP_3)
	v_add_co_ci_u32_e64 v6, null, s13, v6, s1
	v_add_co_u32 v13, s1, s14, v11
	s_wait_alu 0xf1ff
	s_delay_alu instid0(VALU_DEP_4)
	v_add_co_ci_u32_e64 v14, null, s15, v12, s1
	global_load_u16 v11, v[5:6], off
	global_load_b64 v[5:6], v[13:14], off
.LBB56_6:
	s_wait_alu 0xfffe
	s_or_b32 exec_lo, exec_lo, s3
	s_and_b32 s3, 0xffff, s4
	v_lshl_add_u32 v14, v8, 6, 0x1000
	s_wait_alu 0xfffe
	v_add_nc_u32_e32 v1, s3, v7
	v_lshlrev_b32_e32 v12, 8, v8
	v_lshl_add_u32 v15, v8, 5, 0x1400
	v_cndmask_b32_e64 v13, 0, 1, s2
	v_lshl_add_u32 v8, v7, 1, v14
	v_cmp_gt_u32_e64 s1, s9, v1
	v_lshl_add_u32 v9, v7, 3, v12
	v_add_nc_u32_e32 v16, v15, v7
	s_wait_loadcnt 0x1
	ds_store_b16 v8, v11
	s_wait_loadcnt 0x0
	ds_store_b64 v9, v[5:6]
	ds_store_b8 v16, v13
	s_and_b32 s4, s0, s1
	s_delay_alu instid0(SALU_CYCLE_1)
	s_and_saveexec_b32 s5, s4
	s_cbranch_execz .LBB56_8
; %bb.7:
	v_mad_co_u64_u32 v[3:4], null, v1, s10, v[2:3]
	v_mov_b32_e32 v4, 0
	v_mad_co_u64_u32 v[5:6], null, v1, s7, v[0:1]
	s_delay_alu instid0(VALU_DEP_2) | instskip(NEXT) | instid1(VALU_DEP_4)
	v_mov_b32_e32 v6, v4
	v_lshlrev_b64_e32 v[3:4], 1, v[3:4]
	s_delay_alu instid0(VALU_DEP_2) | instskip(NEXT) | instid1(VALU_DEP_2)
	v_lshlrev_b64_e32 v[5:6], 3, v[5:6]
	v_add_co_u32 v3, s2, s12, v3
	s_wait_alu 0xf1ff
	s_delay_alu instid0(VALU_DEP_3) | instskip(NEXT) | instid1(VALU_DEP_3)
	v_add_co_ci_u32_e64 v4, null, s13, v4, s2
	v_add_co_u32 v5, s2, s14, v5
	s_wait_alu 0xf1ff
	v_add_co_ci_u32_e64 v6, null, s15, v6, s2
	global_load_u16 v10, v[3:4], off
	global_load_b64 v[3:4], v[5:6], off
.LBB56_8:
	s_or_b32 exec_lo, exec_lo, s5
	v_lshl_add_u32 v5, s3, 1, v8
	v_lshlrev_b32_e32 v16, 1, v7
	v_lshl_add_u32 v6, s3, 3, v9
	v_cndmask_b32_e64 v11, 0, 1, s4
	v_add_nc_u32_e32 v13, v15, v1
	s_wait_loadcnt 0x1
	ds_store_b16 v5, v10
	s_wait_loadcnt 0x0
	ds_store_b64 v6, v[3:4]
	ds_store_b8 v13, v11
	v_add_nc_u32_e32 v3, v8, v16
	v_add_nc_u32_e32 v4, v15, v16
	s_wait_dscnt 0x0
	s_barrier_signal -1
	s_barrier_wait -1
	global_inv scope:SCOPE_SE
	ds_load_b32 v11, v3
	ds_load_u16 v18, v4
	v_and_b32_e32 v10, 1, v7
	s_wait_dscnt 0x1
	v_lshrrev_b32_e32 v17, 16, v11
	s_wait_dscnt 0x0
	v_lshrrev_b16 v13, 8, v18
	v_and_b32_e32 v19, 1, v18
	v_cmp_o_f16_e64 s2, v11, v11
	v_cmp_u_f16_e64 s3, v17, v17
	s_delay_alu instid0(VALU_DEP_4)
	v_cmp_ne_u16_e64 s6, v13, v10
	v_cmp_lt_f16_e64 s4, v11, v17
	v_cmp_eq_u32_e64 s5, 1, v19
	s_and_b32 s2, s3, s2
	v_cndmask_b32_e64 v17, 0, 1, s6
	s_wait_alu 0xfffe
	s_or_b32 s2, s2, s4
	s_wait_alu 0xfffe
	s_and_b32 s2, s2, s5
	s_wait_alu 0xfffe
	v_cndmask_b32_e64 v17, v17, v7, s2
	s_delay_alu instid0(VALU_DEP_1) | instskip(NEXT) | instid1(VALU_DEP_1)
	v_and_b32_e32 v17, 1, v17
	v_cmp_eq_u32_e64 s2, 1, v17
	v_lshl_add_u32 v17, v7, 3, v9
	s_and_saveexec_b32 s3, s2
	s_wait_alu 0xfffe
	s_xor_b32 s2, exec_lo, s3
	s_cbranch_execz .LBB56_10
; %bb.9:
	ds_load_b128 v[19:22], v17
	v_lshlrev_b16 v18, 8, v18
	v_alignbit_b32 v11, v11, v11, 16
	s_delay_alu instid0(VALU_DEP_2)
	v_or_b32_e32 v13, v13, v18
	s_wait_dscnt 0x0
	v_dual_mov_b32 v23, v19 :: v_dual_mov_b32 v24, v20
	ds_store_b32 v3, v11
	ds_store_b128 v17, v[21:24]
	ds_store_b16 v4, v13
.LBB56_10:
	s_wait_alu 0xfffe
	s_or_b32 exec_lo, exec_lo, s2
	v_sub_nc_u32_e32 v13, v16, v10
	s_wait_loadcnt_dscnt 0x0
	s_barrier_signal -1
	s_barrier_wait -1
	global_inv scope:SCOPE_SE
	v_lshl_add_u32 v11, v13, 1, v14
	v_add_nc_u32_e32 v10, v15, v13
	v_bfe_u32 v20, v7, 1, 1
	v_lshl_add_u32 v13, v13, 3, v12
	ds_load_u16 v18, v11 offset:4
	ds_load_u8 v19, v10
	ds_load_u16 v22, v11
	ds_load_u8 v21, v10 offset:2
	s_wait_dscnt 0x3
	v_cmp_u_f16_e64 s2, v18, v18
	s_wait_dscnt 0x2
	v_and_b32_e32 v23, 1, v19
	s_wait_dscnt 0x1
	v_cmp_o_f16_e64 s3, v22, v22
	s_wait_dscnt 0x0
	v_cmp_ne_u16_e64 s5, v21, v20
	v_cmp_lt_f16_e64 s4, v22, v18
	s_and_b32 s2, s2, s3
	v_cndmask_b32_e64 v24, 0, 1, s5
	v_cmp_eq_u32_e64 s5, 1, v23
	s_wait_alu 0xfffe
	s_or_b32 s2, s2, s4
	s_wait_alu 0xfffe
	s_and_b32 s2, s2, s5
	s_wait_alu 0xfffe
	v_cndmask_b32_e64 v23, v24, v20, s2
	v_and_b32_e32 v20, 2, v7
	s_delay_alu instid0(VALU_DEP_2) | instskip(NEXT) | instid1(VALU_DEP_2)
	v_and_b32_e32 v23, 1, v23
	v_cmp_ne_u32_e64 s2, 0, v20
	s_delay_alu instid0(VALU_DEP_2)
	v_cmp_eq_u32_e64 s3, 1, v23
	s_and_saveexec_b32 s4, s3
	s_wait_alu 0xfffe
	s_xor_b32 s3, exec_lo, s4
	s_cbranch_execz .LBB56_12
; %bb.11:
	ds_load_2addr_b64 v[23:26], v13 offset1:2
	s_wait_dscnt 0x0
	ds_store_2addr_b64 v13, v[25:26], v[23:24] offset1:2
	ds_store_b16 v11, v18
	ds_store_b16 v11, v22 offset:4
	ds_store_b8 v10, v21
	ds_store_b8 v10, v19 offset:2
.LBB56_12:
	s_wait_alu 0xfffe
	s_or_b32 exec_lo, exec_lo, s3
	s_wait_loadcnt_dscnt 0x0
	s_barrier_signal -1
	s_barrier_wait -1
	global_inv scope:SCOPE_SE
	ds_load_b32 v18, v3
	ds_load_u16 v19, v4
	v_lshrrev_b32_e32 v21, 1, v20
	v_cndmask_b32_e64 v23, 0, 1, s2
	s_wait_dscnt 0x1
	v_lshrrev_b32_e32 v22, 16, v18
	s_wait_dscnt 0x0
	v_lshrrev_b16 v20, 8, v19
	v_and_b32_e32 v24, 1, v19
	v_cmp_o_f16_e64 s2, v18, v18
	v_cmp_u_f16_e64 s3, v22, v22
	s_delay_alu instid0(VALU_DEP_4)
	v_cmp_ne_u16_e64 s6, v20, v21
	v_cmp_lt_f16_e64 s4, v18, v22
	v_cmp_eq_u32_e64 s5, 1, v24
	s_and_b32 s2, s3, s2
	v_cndmask_b32_e64 v21, 0, 1, s6
	s_wait_alu 0xfffe
	s_or_b32 s2, s2, s4
	s_mov_b32 s3, exec_lo
	s_wait_alu 0xfffe
	s_and_b32 s2, s2, s5
	s_wait_alu 0xfffe
	v_cndmask_b32_e64 v21, v21, v23, s2
	s_delay_alu instid0(VALU_DEP_1) | instskip(NEXT) | instid1(VALU_DEP_1)
	v_and_b32_e32 v21, 1, v21
	v_cmpx_eq_u32_e32 1, v21
	s_cbranch_execz .LBB56_14
; %bb.13:
	ds_load_b128 v[21:24], v17
	v_lshlrev_b16 v19, 8, v19
	v_alignbit_b32 v18, v18, v18, 16
	s_delay_alu instid0(VALU_DEP_2)
	v_or_b32_e32 v19, v20, v19
	s_wait_dscnt 0x0
	v_dual_mov_b32 v25, v21 :: v_dual_mov_b32 v26, v22
	ds_store_b32 v3, v18
	ds_store_b128 v17, v[23:26]
	ds_store_b16 v4, v19
.LBB56_14:
	s_or_b32 exec_lo, exec_lo, s3
	v_and_b32_e32 v17, 3, v7
	s_wait_loadcnt_dscnt 0x0
	s_barrier_signal -1
	s_barrier_wait -1
	global_inv scope:SCOPE_SE
	v_sub_nc_u32_e32 v20, v16, v17
	v_bfe_u32 v21, v7, 2, 1
	s_delay_alu instid0(VALU_DEP_2)
	v_lshl_add_u32 v18, v20, 1, v14
	v_add_nc_u32_e32 v17, v15, v20
	v_lshl_add_u32 v20, v20, 3, v12
	ds_load_u16 v19, v18 offset:8
	ds_load_u8 v22, v17
	ds_load_u16 v24, v18
	ds_load_u8 v23, v17 offset:4
	s_wait_dscnt 0x3
	v_cmp_u_f16_e64 s2, v19, v19
	s_wait_dscnt 0x2
	v_and_b32_e32 v25, 1, v22
	s_wait_dscnt 0x1
	v_cmp_o_f16_e64 s3, v24, v24
	s_wait_dscnt 0x0
	v_cmp_ne_u16_e64 s5, v23, v21
	v_cmp_lt_f16_e64 s4, v24, v19
	s_and_b32 s2, s2, s3
	v_cndmask_b32_e64 v26, 0, 1, s5
	v_cmp_eq_u32_e64 s5, 1, v25
	s_wait_alu 0xfffe
	s_or_b32 s2, s2, s4
	s_mov_b32 s4, exec_lo
	s_wait_alu 0xfffe
	s_and_b32 s2, s2, s5
	s_wait_alu 0xfffe
	v_cndmask_b32_e64 v25, v26, v21, s2
	v_and_b32_e32 v21, 4, v7
	s_delay_alu instid0(VALU_DEP_2) | instskip(NEXT) | instid1(VALU_DEP_2)
	v_and_b32_e32 v25, 1, v25
	v_cmp_ne_u32_e64 s2, 0, v21
	s_delay_alu instid0(VALU_DEP_2)
	v_cmpx_eq_u32_e32 1, v25
	s_cbranch_execz .LBB56_16
; %bb.15:
	ds_load_2addr_b64 v[25:28], v20 offset1:4
	s_wait_dscnt 0x0
	ds_store_2addr_b64 v20, v[27:28], v[25:26] offset1:4
	ds_store_b16 v18, v19
	ds_store_b16 v18, v24 offset:8
	ds_store_b8 v17, v23
	ds_store_b8 v17, v22 offset:4
.LBB56_16:
	s_or_b32 exec_lo, exec_lo, s4
	s_wait_loadcnt_dscnt 0x0
	s_barrier_signal -1
	s_barrier_wait -1
	global_inv scope:SCOPE_SE
	ds_load_u16 v22, v11 offset:4
	ds_load_u8 v23, v10
	ds_load_u16 v25, v11
	ds_load_u8 v24, v10 offset:2
	v_lshrrev_b32_e32 v19, 2, v21
	v_cndmask_b32_e64 v21, 0, 1, s2
	s_wait_dscnt 0x3
	v_cmp_u_f16_e64 s2, v22, v22
	s_wait_dscnt 0x2
	v_and_b32_e32 v26, 1, v23
	s_wait_dscnt 0x1
	v_cmp_o_f16_e64 s3, v25, v25
	s_wait_dscnt 0x0
	v_cmp_ne_u16_e64 s5, v24, v19
	v_cmp_lt_f16_e64 s4, v25, v22
	s_and_b32 s2, s2, s3
	v_cndmask_b32_e64 v27, 0, 1, s5
	v_cmp_eq_u32_e64 s5, 1, v26
	s_wait_alu 0xfffe
	s_or_b32 s2, s2, s4
	s_mov_b32 s3, exec_lo
	s_wait_alu 0xfffe
	s_and_b32 s2, s2, s5
	s_wait_alu 0xfffe
	v_cndmask_b32_e64 v26, v27, v21, s2
	s_delay_alu instid0(VALU_DEP_1) | instskip(NEXT) | instid1(VALU_DEP_1)
	v_and_b32_e32 v26, 1, v26
	v_cmpx_eq_u32_e32 1, v26
	s_cbranch_execz .LBB56_18
; %bb.17:
	ds_load_2addr_b64 v[26:29], v13 offset1:2
	s_wait_dscnt 0x0
	ds_store_2addr_b64 v13, v[28:29], v[26:27] offset1:2
	ds_store_b16 v11, v22
	ds_store_b16 v11, v25 offset:4
	ds_store_b8 v10, v24
	ds_store_b8 v10, v23 offset:2
.LBB56_18:
	s_or_b32 exec_lo, exec_lo, s3
	s_wait_loadcnt_dscnt 0x0
	s_barrier_signal -1
	s_barrier_wait -1
	global_inv scope:SCOPE_SE
	ds_load_b32 v23, v3
	ds_load_u16 v24, v4
	s_wait_dscnt 0x1
	v_lshrrev_b32_e32 v25, 16, v23
	s_wait_dscnt 0x0
	v_lshrrev_b16 v22, 8, v24
	v_and_b32_e32 v26, 1, v24
	v_cmp_o_f16_e64 s2, v23, v23
	v_cmp_u_f16_e64 s3, v25, v25
	s_delay_alu instid0(VALU_DEP_4)
	v_cmp_ne_u16_e64 s6, v22, v19
	v_cmp_lt_f16_e64 s4, v23, v25
	v_cmp_eq_u32_e64 s5, 1, v26
	s_and_b32 s2, s3, s2
	v_cndmask_b32_e64 v19, 0, 1, s6
	s_wait_alu 0xfffe
	s_or_b32 s2, s2, s4
	s_wait_alu 0xfffe
	s_and_b32 s2, s2, s5
	s_wait_alu 0xfffe
	v_cndmask_b32_e64 v19, v19, v21, s2
	s_delay_alu instid0(VALU_DEP_1) | instskip(NEXT) | instid1(VALU_DEP_1)
	v_and_b32_e32 v19, 1, v19
	v_cmp_eq_u32_e64 s2, 1, v19
	v_lshl_add_u32 v19, v16, 3, v12
	s_and_saveexec_b32 s3, s2
	s_cbranch_execz .LBB56_20
; %bb.19:
	ds_load_b128 v[25:28], v19
	v_lshlrev_b16 v29, 8, v24
	v_alignbit_b32 v21, v23, v23, 16
	s_delay_alu instid0(VALU_DEP_2)
	v_or_b32_e32 v22, v22, v29
	s_wait_dscnt 0x0
	v_dual_mov_b32 v23, v27 :: v_dual_mov_b32 v24, v28
	ds_store_b32 v3, v21
	ds_store_b128 v19, v[23:26]
	ds_store_b16 v4, v22
.LBB56_20:
	s_wait_alu 0xfffe
	s_or_b32 exec_lo, exec_lo, s3
	v_and_b32_e32 v21, 7, v7
	s_wait_loadcnt_dscnt 0x0
	s_barrier_signal -1
	s_barrier_wait -1
	global_inv scope:SCOPE_SE
	v_sub_nc_u32_e32 v23, v16, v21
	v_bfe_u32 v25, v7, 3, 1
	s_delay_alu instid0(VALU_DEP_2)
	v_lshl_add_u32 v22, v23, 1, v14
	v_add_nc_u32_e32 v21, v15, v23
	v_lshl_add_u32 v23, v23, 3, v12
	ds_load_u16 v24, v22 offset:16
	ds_load_u8 v26, v21
	ds_load_u16 v28, v22
	ds_load_u8 v27, v21 offset:8
	s_wait_dscnt 0x3
	v_cmp_u_f16_e64 s2, v24, v24
	s_wait_dscnt 0x2
	v_and_b32_e32 v29, 1, v26
	s_wait_dscnt 0x1
	v_cmp_o_f16_e64 s3, v28, v28
	s_wait_dscnt 0x0
	v_cmp_ne_u16_e64 s5, v27, v25
	v_cmp_lt_f16_e64 s4, v28, v24
	s_and_b32 s2, s2, s3
	v_cndmask_b32_e64 v30, 0, 1, s5
	v_cmp_eq_u32_e64 s5, 1, v29
	s_wait_alu 0xfffe
	s_or_b32 s2, s2, s4
	s_mov_b32 s4, exec_lo
	s_wait_alu 0xfffe
	s_and_b32 s2, s2, s5
	s_wait_alu 0xfffe
	v_cndmask_b32_e64 v29, v30, v25, s2
	v_and_b32_e32 v25, 8, v7
	s_delay_alu instid0(VALU_DEP_2) | instskip(NEXT) | instid1(VALU_DEP_2)
	v_and_b32_e32 v29, 1, v29
	v_cmp_ne_u32_e64 s2, 0, v25
	s_delay_alu instid0(VALU_DEP_2)
	v_cmpx_eq_u32_e32 1, v29
	s_cbranch_execz .LBB56_22
; %bb.21:
	ds_load_2addr_b64 v[29:32], v23 offset1:8
	s_wait_dscnt 0x0
	ds_store_2addr_b64 v23, v[31:32], v[29:30] offset1:8
	ds_store_b16 v22, v24
	ds_store_b16 v22, v28 offset:16
	ds_store_b8 v21, v27
	ds_store_b8 v21, v26 offset:8
.LBB56_22:
	s_or_b32 exec_lo, exec_lo, s4
	s_wait_loadcnt_dscnt 0x0
	s_barrier_signal -1
	s_barrier_wait -1
	global_inv scope:SCOPE_SE
	ds_load_u16 v26, v18 offset:8
	ds_load_u8 v27, v17
	ds_load_u16 v29, v18
	ds_load_u8 v28, v17 offset:4
	v_lshrrev_b32_e32 v24, 3, v25
	v_cndmask_b32_e64 v25, 0, 1, s2
	s_wait_dscnt 0x3
	v_cmp_u_f16_e64 s2, v26, v26
	s_wait_dscnt 0x2
	v_and_b32_e32 v30, 1, v27
	s_wait_dscnt 0x1
	v_cmp_o_f16_e64 s3, v29, v29
	s_wait_dscnt 0x0
	v_cmp_ne_u16_e64 s5, v28, v24
	v_cmp_lt_f16_e64 s4, v29, v26
	s_and_b32 s2, s2, s3
	v_cndmask_b32_e64 v31, 0, 1, s5
	v_cmp_eq_u32_e64 s5, 1, v30
	s_wait_alu 0xfffe
	s_or_b32 s2, s2, s4
	s_mov_b32 s3, exec_lo
	s_wait_alu 0xfffe
	s_and_b32 s2, s2, s5
	s_wait_alu 0xfffe
	v_cndmask_b32_e64 v30, v31, v25, s2
	s_delay_alu instid0(VALU_DEP_1) | instskip(NEXT) | instid1(VALU_DEP_1)
	v_and_b32_e32 v30, 1, v30
	v_cmpx_eq_u32_e32 1, v30
	s_cbranch_execz .LBB56_24
; %bb.23:
	ds_load_2addr_b64 v[30:33], v20 offset1:4
	s_wait_dscnt 0x0
	ds_store_2addr_b64 v20, v[32:33], v[30:31] offset1:4
	ds_store_b16 v18, v26
	ds_store_b16 v18, v29 offset:8
	ds_store_b8 v17, v28
	ds_store_b8 v17, v27 offset:4
.LBB56_24:
	s_or_b32 exec_lo, exec_lo, s3
	s_wait_loadcnt_dscnt 0x0
	s_barrier_signal -1
	s_barrier_wait -1
	global_inv scope:SCOPE_SE
	ds_load_u16 v26, v11 offset:4
	ds_load_u8 v27, v10
	ds_load_u16 v29, v11
	ds_load_u8 v28, v10 offset:2
	s_wait_dscnt 0x3
	v_cmp_u_f16_e64 s2, v26, v26
	s_wait_dscnt 0x2
	v_and_b32_e32 v30, 1, v27
	s_wait_dscnt 0x1
	v_cmp_o_f16_e64 s3, v29, v29
	s_wait_dscnt 0x0
	v_cmp_ne_u16_e64 s5, v28, v24
	v_cmp_lt_f16_e64 s4, v29, v26
	s_and_b32 s2, s2, s3
	v_cndmask_b32_e64 v31, 0, 1, s5
	v_cmp_eq_u32_e64 s5, 1, v30
	s_wait_alu 0xfffe
	s_or_b32 s2, s2, s4
	s_mov_b32 s3, exec_lo
	s_wait_alu 0xfffe
	s_and_b32 s2, s2, s5
	s_wait_alu 0xfffe
	v_cndmask_b32_e64 v30, v31, v25, s2
	s_delay_alu instid0(VALU_DEP_1) | instskip(NEXT) | instid1(VALU_DEP_1)
	v_and_b32_e32 v30, 1, v30
	v_cmpx_eq_u32_e32 1, v30
	s_cbranch_execz .LBB56_26
; %bb.25:
	ds_load_2addr_b64 v[30:33], v13 offset1:2
	s_wait_dscnt 0x0
	ds_store_2addr_b64 v13, v[32:33], v[30:31] offset1:2
	ds_store_b16 v11, v26
	ds_store_b16 v11, v29 offset:4
	ds_store_b8 v10, v28
	ds_store_b8 v10, v27 offset:2
.LBB56_26:
	s_or_b32 exec_lo, exec_lo, s3
	s_wait_loadcnt_dscnt 0x0
	s_barrier_signal -1
	s_barrier_wait -1
	global_inv scope:SCOPE_SE
	ds_load_b32 v27, v3
	ds_load_u16 v28, v4
	s_wait_dscnt 0x1
	v_lshrrev_b32_e32 v29, 16, v27
	s_wait_dscnt 0x0
	v_lshrrev_b16 v26, 8, v28
	v_and_b32_e32 v30, 1, v28
	v_cmp_o_f16_e64 s2, v27, v27
	v_cmp_u_f16_e64 s3, v29, v29
	s_delay_alu instid0(VALU_DEP_4)
	v_cmp_ne_u16_e64 s6, v26, v24
	v_cmp_lt_f16_e64 s4, v27, v29
	v_cmp_eq_u32_e64 s5, 1, v30
	s_and_b32 s2, s3, s2
	v_cndmask_b32_e64 v24, 0, 1, s6
	s_wait_alu 0xfffe
	s_or_b32 s2, s2, s4
	s_mov_b32 s3, exec_lo
	s_wait_alu 0xfffe
	s_and_b32 s2, s2, s5
	s_wait_alu 0xfffe
	v_cndmask_b32_e64 v24, v24, v25, s2
	s_delay_alu instid0(VALU_DEP_1) | instskip(NEXT) | instid1(VALU_DEP_1)
	v_and_b32_e32 v24, 1, v24
	v_cmpx_eq_u32_e32 1, v24
	s_cbranch_execz .LBB56_28
; %bb.27:
	ds_load_b128 v[29:32], v19
	v_lshlrev_b16 v25, 8, v28
	v_alignbit_b32 v24, v27, v27, 16
	s_delay_alu instid0(VALU_DEP_2)
	v_or_b32_e32 v25, v26, v25
	s_wait_dscnt 0x0
	v_dual_mov_b32 v27, v31 :: v_dual_mov_b32 v28, v32
	ds_store_b32 v3, v24
	ds_store_b128 v19, v[27:30]
	ds_store_b16 v4, v25
.LBB56_28:
	s_or_b32 exec_lo, exec_lo, s3
	v_and_b32_e32 v24, 15, v7
	s_wait_loadcnt_dscnt 0x0
	s_barrier_signal -1
	s_barrier_wait -1
	global_inv scope:SCOPE_SE
	v_sub_nc_u32_e32 v24, v16, v24
	s_delay_alu instid0(VALU_DEP_1)
	v_lshl_add_u32 v16, v24, 1, v14
	v_add_nc_u32_e32 v14, v15, v24
	ds_load_u16 v15, v16 offset:32
	ds_load_u8 v25, v14
	ds_load_u16 v26, v16
	ds_load_u8 v27, v14 offset:16
	s_wait_dscnt 0x3
	v_cmp_u_f16_e64 s2, v15, v15
	s_wait_dscnt 0x2
	v_and_b32_e32 v28, 1, v25
	s_wait_dscnt 0x1
	v_cmp_o_f16_e64 s3, v26, v26
	v_cmp_lt_f16_e64 s4, v26, v15
	s_wait_dscnt 0x0
	v_and_b32_e32 v27, 0xff, v27
	v_cmp_eq_u32_e64 s5, 1, v28
	s_and_b32 s2, s2, s3
	s_wait_alu 0xfffe
	s_or_b32 s3, s2, s4
	v_cmp_ne_u16_e64 s2, 0, v27
	s_wait_alu 0xfffe
	s_and_b32 s3, s3, s5
	s_wait_alu 0xfffe
	s_xor_b32 s3, s3, -1
	s_wait_alu 0xfffe
	s_and_b32 s3, s3, s2
	s_wait_alu 0xfffe
	s_and_saveexec_b32 s2, s3
	s_cbranch_execz .LBB56_30
; %bb.29:
	v_lshl_add_u32 v12, v24, 3, v12
	v_mov_b32_e32 v24, 1
	ds_load_2addr_b64 v[27:30], v12 offset1:16
	s_wait_dscnt 0x0
	ds_store_2addr_b64 v12, v[29:30], v[27:28] offset1:16
	ds_store_b16 v16, v15
	ds_store_b16 v16, v26 offset:32
	ds_store_b8 v14, v24
	ds_store_b8 v14, v25 offset:16
.LBB56_30:
	s_wait_alu 0xfffe
	s_or_b32 exec_lo, exec_lo, s2
	s_wait_loadcnt_dscnt 0x0
	s_barrier_signal -1
	s_barrier_wait -1
	global_inv scope:SCOPE_SE
	ds_load_u16 v12, v22 offset:16
	ds_load_u8 v14, v21
	ds_load_u16 v15, v22
	ds_load_u8 v16, v21 offset:8
	s_wait_dscnt 0x3
	v_cmp_u_f16_e64 s2, v12, v12
	s_wait_dscnt 0x2
	v_and_b32_e32 v24, 1, v14
	s_wait_dscnt 0x1
	v_cmp_o_f16_e64 s3, v15, v15
	v_cmp_lt_f16_e64 s4, v15, v12
	s_wait_dscnt 0x0
	v_and_b32_e32 v16, 0xff, v16
	v_cmp_eq_u32_e64 s5, 1, v24
	s_and_b32 s2, s2, s3
	s_wait_alu 0xfffe
	s_or_b32 s3, s2, s4
	v_cmp_ne_u16_e64 s2, 0, v16
	s_wait_alu 0xfffe
	s_and_b32 s3, s3, s5
	s_wait_alu 0xfffe
	s_xor_b32 s3, s3, -1
	s_wait_alu 0xfffe
	s_and_b32 s3, s3, s2
	s_wait_alu 0xfffe
	s_and_saveexec_b32 s2, s3
	s_cbranch_execz .LBB56_32
; %bb.31:
	ds_load_2addr_b64 v[24:27], v23 offset1:8
	v_mov_b32_e32 v16, 1
	s_wait_dscnt 0x0
	ds_store_2addr_b64 v23, v[26:27], v[24:25] offset1:8
	ds_store_b16 v22, v12
	ds_store_b16 v22, v15 offset:16
	ds_store_b8 v21, v16
	ds_store_b8 v21, v14 offset:8
.LBB56_32:
	s_wait_alu 0xfffe
	s_or_b32 exec_lo, exec_lo, s2
	s_wait_loadcnt_dscnt 0x0
	s_barrier_signal -1
	s_barrier_wait -1
	global_inv scope:SCOPE_SE
	ds_load_u16 v12, v18 offset:8
	ds_load_u8 v14, v17
	ds_load_u16 v15, v18
	ds_load_u8 v16, v17 offset:4
	s_wait_dscnt 0x3
	v_cmp_u_f16_e64 s2, v12, v12
	s_wait_dscnt 0x2
	v_and_b32_e32 v21, 1, v14
	s_wait_dscnt 0x1
	v_cmp_o_f16_e64 s3, v15, v15
	v_cmp_lt_f16_e64 s4, v15, v12
	s_wait_dscnt 0x0
	v_and_b32_e32 v16, 0xff, v16
	v_cmp_eq_u32_e64 s5, 1, v21
	s_and_b32 s2, s2, s3
	s_wait_alu 0xfffe
	s_or_b32 s3, s2, s4
	v_cmp_ne_u16_e64 s2, 0, v16
	s_wait_alu 0xfffe
	s_and_b32 s3, s3, s5
	s_wait_alu 0xfffe
	s_xor_b32 s3, s3, -1
	s_wait_alu 0xfffe
	s_and_b32 s3, s3, s2
	s_wait_alu 0xfffe
	s_and_saveexec_b32 s2, s3
	s_cbranch_execz .LBB56_34
; %bb.33:
	ds_load_2addr_b64 v[21:24], v20 offset1:4
	v_mov_b32_e32 v16, 1
	s_wait_dscnt 0x0
	ds_store_2addr_b64 v20, v[23:24], v[21:22] offset1:4
	ds_store_b16 v18, v12
	ds_store_b16 v18, v15 offset:8
	ds_store_b8 v17, v16
	ds_store_b8 v17, v14 offset:4
.LBB56_34:
	;; [unrolled: 43-line block ×3, first 2 shown]
	s_wait_alu 0xfffe
	s_or_b32 exec_lo, exec_lo, s2
	s_wait_loadcnt_dscnt 0x0
	s_barrier_signal -1
	s_barrier_wait -1
	global_inv scope:SCOPE_SE
	ds_load_b32 v10, v3
	ds_load_u16 v11, v4
	s_wait_dscnt 0x1
	v_lshrrev_b32_e32 v12, 16, v10
	s_wait_dscnt 0x0
	v_and_b32_e32 v13, 1, v11
	v_cmp_o_f16_e64 s3, v10, v10
	s_delay_alu instid0(VALU_DEP_3)
	v_cmp_u_f16_e64 s2, v12, v12
	v_cmp_lt_f16_e64 s4, v10, v12
	v_lshrrev_b16 v12, 8, v11
	v_cmp_eq_u32_e64 s5, 1, v13
	s_and_b32 s2, s2, s3
	s_wait_alu 0xfffe
	s_or_b32 s3, s2, s4
	v_cmp_ne_u16_e64 s2, 0, v12
	s_wait_alu 0xfffe
	s_and_b32 s3, s3, s5
	s_wait_alu 0xfffe
	s_xor_b32 s3, s3, -1
	s_wait_alu 0xfffe
	s_and_b32 s3, s3, s2
	s_wait_alu 0xfffe
	s_and_saveexec_b32 s2, s3
	s_cbranch_execz .LBB56_38
; %bb.37:
	ds_load_b128 v[12:15], v19
	v_lshlrev_b16 v17, 8, v11
	v_alignbit_b32 v16, v10, v10, 16
	s_wait_dscnt 0x0
	v_dual_mov_b32 v10, v14 :: v_dual_mov_b32 v11, v15
	s_delay_alu instid0(VALU_DEP_3)
	v_or_b32_e32 v14, 1, v17
	ds_store_b32 v3, v16
	ds_store_b128 v19, v[10:13]
	ds_store_b16 v4, v14
.LBB56_38:
	s_wait_alu 0xfffe
	s_or_b32 exec_lo, exec_lo, s2
	s_wait_loadcnt_dscnt 0x0
	s_barrier_signal -1
	s_barrier_wait -1
	global_inv scope:SCOPE_SE
	s_and_saveexec_b32 s2, s0
	s_cbranch_execz .LBB56_43
; %bb.39:
	s_and_saveexec_b32 s0, vcc_lo
	s_cbranch_execz .LBB56_41
; %bb.40:
	v_mad_co_u64_u32 v[3:4], null, v7, s10, v[2:3]
	v_mov_b32_e32 v4, 0
	v_mad_co_u64_u32 v[10:11], null, v7, s7, v[0:1]
	ds_load_u16 v12, v8
	ds_load_b64 v[7:8], v9
	v_mov_b32_e32 v11, v4
	v_lshlrev_b64_e32 v[3:4], 1, v[3:4]
	s_delay_alu instid0(VALU_DEP_2) | instskip(NEXT) | instid1(VALU_DEP_2)
	v_lshlrev_b64_e32 v[9:10], 3, v[10:11]
	v_add_co_u32 v3, vcc_lo, s12, v3
	s_wait_alu 0xfffd
	s_delay_alu instid0(VALU_DEP_3) | instskip(NEXT) | instid1(VALU_DEP_3)
	v_add_co_ci_u32_e64 v4, null, s13, v4, vcc_lo
	v_add_co_u32 v9, vcc_lo, s14, v9
	s_wait_alu 0xfffd
	v_add_co_ci_u32_e64 v10, null, s15, v10, vcc_lo
	s_wait_dscnt 0x1
	global_store_b16 v[3:4], v12, off
	s_wait_dscnt 0x0
	global_store_b64 v[9:10], v[7:8], off
.LBB56_41:
	s_wait_alu 0xfffe
	s_or_b32 exec_lo, exec_lo, s0
	s_delay_alu instid0(SALU_CYCLE_1)
	s_and_b32 exec_lo, exec_lo, s1
	s_cbranch_execz .LBB56_43
; %bb.42:
	v_mad_co_u64_u32 v[2:3], null, v1, s10, v[2:3]
	v_mov_b32_e32 v3, 0
	v_mad_co_u64_u32 v[0:1], null, v1, s7, v[0:1]
	ds_load_u16 v7, v5
	ds_load_b64 v[4:5], v6
	v_mov_b32_e32 v1, v3
	v_lshlrev_b64_e32 v[2:3], 1, v[2:3]
	s_delay_alu instid0(VALU_DEP_2) | instskip(NEXT) | instid1(VALU_DEP_2)
	v_lshlrev_b64_e32 v[0:1], 3, v[0:1]
	v_add_co_u32 v2, vcc_lo, s12, v2
	s_wait_alu 0xfffd
	s_delay_alu instid0(VALU_DEP_3) | instskip(NEXT) | instid1(VALU_DEP_3)
	v_add_co_ci_u32_e64 v3, null, s13, v3, vcc_lo
	v_add_co_u32 v0, vcc_lo, s14, v0
	s_wait_alu 0xfffd
	v_add_co_ci_u32_e64 v1, null, s15, v1, vcc_lo
	s_wait_dscnt 0x1
	global_store_b16 v[2:3], v7, off
	s_wait_dscnt 0x0
	global_store_b64 v[0:1], v[4:5], off
.LBB56_43:
	s_endpgm
	.section	.rodata,"a",@progbits
	.p2align	6, 0x0
	.amdhsa_kernel _ZN2at6native20bitonicSortKVInPlaceILin2ELin1ELi16ELi16EN3c104HalfElNS0_4LTOpIS3_Lb1EEEjEEvNS_4cuda6detail10TensorInfoIT3_T6_EESA_SA_SA_NS8_IT4_SA_EESA_T5_
		.amdhsa_group_segment_fixed_size 5632
		.amdhsa_private_segment_fixed_size 0
		.amdhsa_kernarg_size 712
		.amdhsa_user_sgpr_count 2
		.amdhsa_user_sgpr_dispatch_ptr 0
		.amdhsa_user_sgpr_queue_ptr 0
		.amdhsa_user_sgpr_kernarg_segment_ptr 1
		.amdhsa_user_sgpr_dispatch_id 0
		.amdhsa_user_sgpr_private_segment_size 0
		.amdhsa_wavefront_size32 1
		.amdhsa_uses_dynamic_stack 0
		.amdhsa_enable_private_segment 0
		.amdhsa_system_sgpr_workgroup_id_x 1
		.amdhsa_system_sgpr_workgroup_id_y 1
		.amdhsa_system_sgpr_workgroup_id_z 1
		.amdhsa_system_sgpr_workgroup_info 0
		.amdhsa_system_vgpr_workitem_id 1
		.amdhsa_next_free_vgpr 34
		.amdhsa_next_free_sgpr 16
		.amdhsa_reserve_vcc 1
		.amdhsa_float_round_mode_32 0
		.amdhsa_float_round_mode_16_64 0
		.amdhsa_float_denorm_mode_32 3
		.amdhsa_float_denorm_mode_16_64 3
		.amdhsa_fp16_overflow 0
		.amdhsa_workgroup_processor_mode 1
		.amdhsa_memory_ordered 1
		.amdhsa_forward_progress 1
		.amdhsa_inst_pref_size 40
		.amdhsa_round_robin_scheduling 0
		.amdhsa_exception_fp_ieee_invalid_op 0
		.amdhsa_exception_fp_denorm_src 0
		.amdhsa_exception_fp_ieee_div_zero 0
		.amdhsa_exception_fp_ieee_overflow 0
		.amdhsa_exception_fp_ieee_underflow 0
		.amdhsa_exception_fp_ieee_inexact 0
		.amdhsa_exception_int_div_zero 0
	.end_amdhsa_kernel
	.section	.text._ZN2at6native20bitonicSortKVInPlaceILin2ELin1ELi16ELi16EN3c104HalfElNS0_4LTOpIS3_Lb1EEEjEEvNS_4cuda6detail10TensorInfoIT3_T6_EESA_SA_SA_NS8_IT4_SA_EESA_T5_,"axG",@progbits,_ZN2at6native20bitonicSortKVInPlaceILin2ELin1ELi16ELi16EN3c104HalfElNS0_4LTOpIS3_Lb1EEEjEEvNS_4cuda6detail10TensorInfoIT3_T6_EESA_SA_SA_NS8_IT4_SA_EESA_T5_,comdat
.Lfunc_end56:
	.size	_ZN2at6native20bitonicSortKVInPlaceILin2ELin1ELi16ELi16EN3c104HalfElNS0_4LTOpIS3_Lb1EEEjEEvNS_4cuda6detail10TensorInfoIT3_T6_EESA_SA_SA_NS8_IT4_SA_EESA_T5_, .Lfunc_end56-_ZN2at6native20bitonicSortKVInPlaceILin2ELin1ELi16ELi16EN3c104HalfElNS0_4LTOpIS3_Lb1EEEjEEvNS_4cuda6detail10TensorInfoIT3_T6_EESA_SA_SA_NS8_IT4_SA_EESA_T5_
                                        ; -- End function
	.set _ZN2at6native20bitonicSortKVInPlaceILin2ELin1ELi16ELi16EN3c104HalfElNS0_4LTOpIS3_Lb1EEEjEEvNS_4cuda6detail10TensorInfoIT3_T6_EESA_SA_SA_NS8_IT4_SA_EESA_T5_.num_vgpr, 34
	.set _ZN2at6native20bitonicSortKVInPlaceILin2ELin1ELi16ELi16EN3c104HalfElNS0_4LTOpIS3_Lb1EEEjEEvNS_4cuda6detail10TensorInfoIT3_T6_EESA_SA_SA_NS8_IT4_SA_EESA_T5_.num_agpr, 0
	.set _ZN2at6native20bitonicSortKVInPlaceILin2ELin1ELi16ELi16EN3c104HalfElNS0_4LTOpIS3_Lb1EEEjEEvNS_4cuda6detail10TensorInfoIT3_T6_EESA_SA_SA_NS8_IT4_SA_EESA_T5_.numbered_sgpr, 16
	.set _ZN2at6native20bitonicSortKVInPlaceILin2ELin1ELi16ELi16EN3c104HalfElNS0_4LTOpIS3_Lb1EEEjEEvNS_4cuda6detail10TensorInfoIT3_T6_EESA_SA_SA_NS8_IT4_SA_EESA_T5_.num_named_barrier, 0
	.set _ZN2at6native20bitonicSortKVInPlaceILin2ELin1ELi16ELi16EN3c104HalfElNS0_4LTOpIS3_Lb1EEEjEEvNS_4cuda6detail10TensorInfoIT3_T6_EESA_SA_SA_NS8_IT4_SA_EESA_T5_.private_seg_size, 0
	.set _ZN2at6native20bitonicSortKVInPlaceILin2ELin1ELi16ELi16EN3c104HalfElNS0_4LTOpIS3_Lb1EEEjEEvNS_4cuda6detail10TensorInfoIT3_T6_EESA_SA_SA_NS8_IT4_SA_EESA_T5_.uses_vcc, 1
	.set _ZN2at6native20bitonicSortKVInPlaceILin2ELin1ELi16ELi16EN3c104HalfElNS0_4LTOpIS3_Lb1EEEjEEvNS_4cuda6detail10TensorInfoIT3_T6_EESA_SA_SA_NS8_IT4_SA_EESA_T5_.uses_flat_scratch, 0
	.set _ZN2at6native20bitonicSortKVInPlaceILin2ELin1ELi16ELi16EN3c104HalfElNS0_4LTOpIS3_Lb1EEEjEEvNS_4cuda6detail10TensorInfoIT3_T6_EESA_SA_SA_NS8_IT4_SA_EESA_T5_.has_dyn_sized_stack, 0
	.set _ZN2at6native20bitonicSortKVInPlaceILin2ELin1ELi16ELi16EN3c104HalfElNS0_4LTOpIS3_Lb1EEEjEEvNS_4cuda6detail10TensorInfoIT3_T6_EESA_SA_SA_NS8_IT4_SA_EESA_T5_.has_recursion, 0
	.set _ZN2at6native20bitonicSortKVInPlaceILin2ELin1ELi16ELi16EN3c104HalfElNS0_4LTOpIS3_Lb1EEEjEEvNS_4cuda6detail10TensorInfoIT3_T6_EESA_SA_SA_NS8_IT4_SA_EESA_T5_.has_indirect_call, 0
	.section	.AMDGPU.csdata,"",@progbits
; Kernel info:
; codeLenInByte = 5100
; TotalNumSgprs: 18
; NumVgprs: 34
; ScratchSize: 0
; MemoryBound: 0
; FloatMode: 240
; IeeeMode: 1
; LDSByteSize: 5632 bytes/workgroup (compile time only)
; SGPRBlocks: 0
; VGPRBlocks: 4
; NumSGPRsForWavesPerEU: 18
; NumVGPRsForWavesPerEU: 34
; Occupancy: 16
; WaveLimiterHint : 1
; COMPUTE_PGM_RSRC2:SCRATCH_EN: 0
; COMPUTE_PGM_RSRC2:USER_SGPR: 2
; COMPUTE_PGM_RSRC2:TRAP_HANDLER: 0
; COMPUTE_PGM_RSRC2:TGID_X_EN: 1
; COMPUTE_PGM_RSRC2:TGID_Y_EN: 1
; COMPUTE_PGM_RSRC2:TGID_Z_EN: 1
; COMPUTE_PGM_RSRC2:TIDIG_COMP_CNT: 1
	.section	.text._ZN2at6native20bitonicSortKVInPlaceILin2ELin1ELi16ELi16EN3c104HalfElNS0_4GTOpIS3_Lb1EEEjEEvNS_4cuda6detail10TensorInfoIT3_T6_EESA_SA_SA_NS8_IT4_SA_EESA_T5_,"axG",@progbits,_ZN2at6native20bitonicSortKVInPlaceILin2ELin1ELi16ELi16EN3c104HalfElNS0_4GTOpIS3_Lb1EEEjEEvNS_4cuda6detail10TensorInfoIT3_T6_EESA_SA_SA_NS8_IT4_SA_EESA_T5_,comdat
	.protected	_ZN2at6native20bitonicSortKVInPlaceILin2ELin1ELi16ELi16EN3c104HalfElNS0_4GTOpIS3_Lb1EEEjEEvNS_4cuda6detail10TensorInfoIT3_T6_EESA_SA_SA_NS8_IT4_SA_EESA_T5_ ; -- Begin function _ZN2at6native20bitonicSortKVInPlaceILin2ELin1ELi16ELi16EN3c104HalfElNS0_4GTOpIS3_Lb1EEEjEEvNS_4cuda6detail10TensorInfoIT3_T6_EESA_SA_SA_NS8_IT4_SA_EESA_T5_
	.globl	_ZN2at6native20bitonicSortKVInPlaceILin2ELin1ELi16ELi16EN3c104HalfElNS0_4GTOpIS3_Lb1EEEjEEvNS_4cuda6detail10TensorInfoIT3_T6_EESA_SA_SA_NS8_IT4_SA_EESA_T5_
	.p2align	8
	.type	_ZN2at6native20bitonicSortKVInPlaceILin2ELin1ELi16ELi16EN3c104HalfElNS0_4GTOpIS3_Lb1EEEjEEvNS_4cuda6detail10TensorInfoIT3_T6_EESA_SA_SA_NS8_IT4_SA_EESA_T5_,@function
_ZN2at6native20bitonicSortKVInPlaceILin2ELin1ELi16ELi16EN3c104HalfElNS0_4GTOpIS3_Lb1EEEjEEvNS_4cuda6detail10TensorInfoIT3_T6_EESA_SA_SA_NS8_IT4_SA_EESA_T5_: ; @_ZN2at6native20bitonicSortKVInPlaceILin2ELin1ELi16ELi16EN3c104HalfElNS0_4GTOpIS3_Lb1EEEjEEvNS_4cuda6detail10TensorInfoIT3_T6_EESA_SA_SA_NS8_IT4_SA_EESA_T5_
; %bb.0:
	s_clause 0x2
	s_load_b64 s[2:3], s[0:1], 0x1c8
	s_load_u16 s4, s[0:1], 0x1d6
	s_load_b96 s[8:10], s[0:1], 0xd8
	s_lshr_b32 s5, ttmp7, 16
	s_wait_kmcnt 0x0
	s_mul_i32 s3, s3, s5
	s_and_b32 s5, ttmp7, 0xffff
	s_delay_alu instid0(SALU_CYCLE_1) | instskip(NEXT) | instid1(SALU_CYCLE_1)
	s_add_co_i32 s3, s3, s5
	s_mul_i32 s2, s3, s2
	s_delay_alu instid0(SALU_CYCLE_1) | instskip(NEXT) | instid1(SALU_CYCLE_1)
	s_add_co_i32 s2, s2, ttmp9
	s_mul_i32 s2, s2, s4
	s_delay_alu instid0(SALU_CYCLE_1)
	s_cmp_ge_u32 s2, s8
	s_cbranch_scc1 .LBB57_43
; %bb.1:
	s_clause 0x1
	s_load_b32 s4, s[0:1], 0x1b8
	s_load_b64 s[12:13], s[0:1], 0x0
	v_bfe_u32 v8, v0, 10, 10
	s_delay_alu instid0(VALU_DEP_1) | instskip(SKIP_2) | instid1(VALU_DEP_2)
	v_add_nc_u32_e32 v3, s2, v8
	v_mov_b32_e32 v1, 0
	s_add_nc_u64 s[2:3], s[0:1], 0xe8
	v_mov_b32_e32 v4, v3
	s_wait_kmcnt 0x0
	s_cmp_lt_i32 s4, 2
	s_cbranch_scc1 .LBB57_4
; %bb.2:
	s_add_co_i32 s6, s4, -1
	s_mov_b32 s7, 0
	v_dual_mov_b32 v1, 0 :: v_dual_mov_b32 v4, v3
	s_lshl_b64 s[6:7], s[6:7], 2
	s_wait_alu 0xfffe
	s_add_nc_u64 s[14:15], s[2:3], s[6:7]
	s_add_co_i32 s6, s4, 1
	s_add_nc_u64 s[4:5], s[14:15], 8
.LBB57_3:                               ; =>This Inner Loop Header: Depth=1
	s_clause 0x1
	s_load_b32 s7, s[4:5], 0x0
	s_load_b32 s11, s[4:5], 0x64
	s_add_co_i32 s6, s6, -1
	s_add_nc_u64 s[4:5], s[4:5], -4
	s_wait_kmcnt 0x0
	s_cvt_f32_u32 s14, s7
	s_sub_co_i32 s15, 0, s7
	s_wait_alu 0xfffe
	s_delay_alu instid0(SALU_CYCLE_1) | instskip(NEXT) | instid1(TRANS32_DEP_1)
	v_rcp_iflag_f32_e32 v2, s14
	v_readfirstlane_b32 s14, v2
	v_mov_b32_e32 v2, v4
	s_mul_f32 s14, s14, 0x4f7ffffe
	s_wait_alu 0xfffe
	s_delay_alu instid0(SALU_CYCLE_2) | instskip(SKIP_1) | instid1(SALU_CYCLE_2)
	s_cvt_u32_f32 s14, s14
	s_wait_alu 0xfffe
	s_mul_i32 s15, s15, s14
	s_wait_alu 0xfffe
	s_mul_hi_u32 s15, s14, s15
	s_wait_alu 0xfffe
	s_add_co_i32 s14, s14, s15
	s_cmp_gt_u32 s6, 2
	s_wait_alu 0xfffe
	v_mul_hi_u32 v4, v2, s14
	s_delay_alu instid0(VALU_DEP_1) | instskip(SKIP_1) | instid1(VALU_DEP_2)
	v_mul_lo_u32 v5, v4, s7
	v_add_nc_u32_e32 v6, 1, v4
	v_sub_nc_u32_e32 v5, v2, v5
	s_delay_alu instid0(VALU_DEP_1) | instskip(SKIP_2) | instid1(VALU_DEP_2)
	v_subrev_nc_u32_e32 v7, s7, v5
	v_cmp_le_u32_e32 vcc_lo, s7, v5
	s_wait_alu 0xfffd
	v_dual_cndmask_b32 v4, v4, v6 :: v_dual_cndmask_b32 v5, v5, v7
	s_delay_alu instid0(VALU_DEP_1) | instskip(NEXT) | instid1(VALU_DEP_2)
	v_add_nc_u32_e32 v6, 1, v4
	v_cmp_le_u32_e32 vcc_lo, s7, v5
	s_wait_alu 0xfffd
	s_delay_alu instid0(VALU_DEP_2) | instskip(NEXT) | instid1(VALU_DEP_1)
	v_cndmask_b32_e32 v4, v4, v6, vcc_lo
	v_mul_lo_u32 v5, v4, s7
	s_delay_alu instid0(VALU_DEP_1) | instskip(NEXT) | instid1(VALU_DEP_1)
	v_sub_nc_u32_e32 v2, v2, v5
	v_mad_co_u64_u32 v[1:2], null, s11, v2, v[1:2]
	s_cbranch_scc1 .LBB57_3
.LBB57_4:
	s_load_b32 s6, s[0:1], 0x6c
	s_add_nc_u64 s[4:5], s[0:1], 0x1c8
	s_load_b32 s11, s[2:3], 0x6c
	s_load_b32 s4, s[4:5], 0xc
	s_clause 0x1
	s_load_b32 s7, s[0:1], 0x1c0
	s_load_b64 s[14:15], s[2:3], 0x0
	v_and_b32_e32 v7, 0x3ff, v0
	v_cmp_gt_u32_e64 s0, s8, v3
	v_mov_b32_e32 v5, 0
	v_dual_mov_b32 v6, 0 :: v_dual_mov_b32 v11, 0
	v_mov_b32_e32 v10, 0
	s_wait_kmcnt 0x0
	v_mul_lo_u32 v2, s6, v3
	s_delay_alu instid0(VALU_DEP_1)
	v_mad_co_u64_u32 v[0:1], null, s11, v4, v[1:2]
	v_mov_b32_e32 v3, 0
	v_mov_b32_e32 v4, 0
	v_cmp_gt_u32_e32 vcc_lo, s9, v7
	s_and_b32 s2, s0, vcc_lo
	s_wait_alu 0xfffe
	s_and_saveexec_b32 s3, s2
	s_cbranch_execz .LBB57_6
; %bb.5:
	v_mad_co_u64_u32 v[5:6], null, v7, s10, v[2:3]
	v_mov_b32_e32 v6, 0
	v_mad_co_u64_u32 v[11:12], null, v7, s7, v[0:1]
	s_delay_alu instid0(VALU_DEP_2) | instskip(NEXT) | instid1(VALU_DEP_4)
	v_mov_b32_e32 v12, v6
	v_lshlrev_b64_e32 v[5:6], 1, v[5:6]
	s_delay_alu instid0(VALU_DEP_2) | instskip(NEXT) | instid1(VALU_DEP_2)
	v_lshlrev_b64_e32 v[11:12], 3, v[11:12]
	v_add_co_u32 v5, s1, s12, v5
	s_delay_alu instid0(VALU_DEP_1) | instskip(NEXT) | instid1(VALU_DEP_3)
	v_add_co_ci_u32_e64 v6, null, s13, v6, s1
	v_add_co_u32 v13, s1, s14, v11
	s_wait_alu 0xf1ff
	s_delay_alu instid0(VALU_DEP_4)
	v_add_co_ci_u32_e64 v14, null, s15, v12, s1
	global_load_u16 v11, v[5:6], off
	global_load_b64 v[5:6], v[13:14], off
.LBB57_6:
	s_wait_alu 0xfffe
	s_or_b32 exec_lo, exec_lo, s3
	s_and_b32 s3, 0xffff, s4
	v_lshl_add_u32 v14, v8, 6, 0x1000
	s_wait_alu 0xfffe
	v_add_nc_u32_e32 v1, s3, v7
	v_lshlrev_b32_e32 v12, 8, v8
	v_lshl_add_u32 v15, v8, 5, 0x1400
	v_cndmask_b32_e64 v13, 0, 1, s2
	v_lshl_add_u32 v8, v7, 1, v14
	v_cmp_gt_u32_e64 s1, s9, v1
	v_lshl_add_u32 v9, v7, 3, v12
	v_add_nc_u32_e32 v16, v15, v7
	s_wait_loadcnt 0x1
	ds_store_b16 v8, v11
	s_wait_loadcnt 0x0
	ds_store_b64 v9, v[5:6]
	ds_store_b8 v16, v13
	s_and_b32 s4, s0, s1
	s_delay_alu instid0(SALU_CYCLE_1)
	s_and_saveexec_b32 s5, s4
	s_cbranch_execz .LBB57_8
; %bb.7:
	v_mad_co_u64_u32 v[3:4], null, v1, s10, v[2:3]
	v_mov_b32_e32 v4, 0
	v_mad_co_u64_u32 v[5:6], null, v1, s7, v[0:1]
	s_delay_alu instid0(VALU_DEP_2) | instskip(NEXT) | instid1(VALU_DEP_4)
	v_mov_b32_e32 v6, v4
	v_lshlrev_b64_e32 v[3:4], 1, v[3:4]
	s_delay_alu instid0(VALU_DEP_2) | instskip(NEXT) | instid1(VALU_DEP_2)
	v_lshlrev_b64_e32 v[5:6], 3, v[5:6]
	v_add_co_u32 v3, s2, s12, v3
	s_wait_alu 0xf1ff
	s_delay_alu instid0(VALU_DEP_3) | instskip(NEXT) | instid1(VALU_DEP_3)
	v_add_co_ci_u32_e64 v4, null, s13, v4, s2
	v_add_co_u32 v5, s2, s14, v5
	s_wait_alu 0xf1ff
	v_add_co_ci_u32_e64 v6, null, s15, v6, s2
	global_load_u16 v10, v[3:4], off
	global_load_b64 v[3:4], v[5:6], off
.LBB57_8:
	s_or_b32 exec_lo, exec_lo, s5
	v_lshl_add_u32 v5, s3, 1, v8
	v_lshlrev_b32_e32 v16, 1, v7
	v_lshl_add_u32 v6, s3, 3, v9
	v_cndmask_b32_e64 v11, 0, 1, s4
	v_add_nc_u32_e32 v13, v15, v1
	s_wait_loadcnt 0x1
	ds_store_b16 v5, v10
	s_wait_loadcnt 0x0
	ds_store_b64 v6, v[3:4]
	ds_store_b8 v13, v11
	v_add_nc_u32_e32 v3, v8, v16
	v_add_nc_u32_e32 v4, v15, v16
	s_wait_dscnt 0x0
	s_barrier_signal -1
	s_barrier_wait -1
	global_inv scope:SCOPE_SE
	ds_load_b32 v11, v3
	ds_load_u16 v18, v4
	v_and_b32_e32 v10, 1, v7
	s_wait_dscnt 0x1
	v_lshrrev_b32_e32 v17, 16, v11
	s_wait_dscnt 0x0
	v_lshrrev_b16 v13, 8, v18
	v_and_b32_e32 v19, 1, v18
	v_cmp_u_f16_e64 s2, v11, v11
	v_cmp_o_f16_e64 s3, v17, v17
	s_delay_alu instid0(VALU_DEP_4)
	v_cmp_ne_u16_e64 s6, v13, v10
	v_cmp_gt_f16_e64 s4, v11, v17
	v_cmp_eq_u32_e64 s5, 1, v19
	s_and_b32 s2, s2, s3
	v_cndmask_b32_e64 v17, 0, 1, s6
	s_wait_alu 0xfffe
	s_or_b32 s2, s2, s4
	s_wait_alu 0xfffe
	s_and_b32 s2, s2, s5
	s_wait_alu 0xfffe
	v_cndmask_b32_e64 v17, v17, v7, s2
	s_delay_alu instid0(VALU_DEP_1) | instskip(NEXT) | instid1(VALU_DEP_1)
	v_and_b32_e32 v17, 1, v17
	v_cmp_eq_u32_e64 s2, 1, v17
	v_lshl_add_u32 v17, v7, 3, v9
	s_and_saveexec_b32 s3, s2
	s_wait_alu 0xfffe
	s_xor_b32 s2, exec_lo, s3
	s_cbranch_execz .LBB57_10
; %bb.9:
	ds_load_b128 v[19:22], v17
	v_lshlrev_b16 v18, 8, v18
	v_alignbit_b32 v11, v11, v11, 16
	s_delay_alu instid0(VALU_DEP_2)
	v_or_b32_e32 v13, v13, v18
	s_wait_dscnt 0x0
	v_dual_mov_b32 v23, v19 :: v_dual_mov_b32 v24, v20
	ds_store_b32 v3, v11
	ds_store_b128 v17, v[21:24]
	ds_store_b16 v4, v13
.LBB57_10:
	s_wait_alu 0xfffe
	s_or_b32 exec_lo, exec_lo, s2
	v_sub_nc_u32_e32 v13, v16, v10
	s_wait_loadcnt_dscnt 0x0
	s_barrier_signal -1
	s_barrier_wait -1
	global_inv scope:SCOPE_SE
	v_lshl_add_u32 v11, v13, 1, v14
	v_add_nc_u32_e32 v10, v15, v13
	v_bfe_u32 v20, v7, 1, 1
	v_lshl_add_u32 v13, v13, 3, v12
	ds_load_u16 v18, v11
	ds_load_u8 v19, v10
	ds_load_u16 v22, v11 offset:4
	ds_load_u8 v21, v10 offset:2
	s_wait_dscnt 0x3
	v_cmp_u_f16_e64 s2, v18, v18
	s_wait_dscnt 0x2
	v_and_b32_e32 v23, 1, v19
	s_wait_dscnt 0x1
	v_cmp_o_f16_e64 s3, v22, v22
	s_wait_dscnt 0x0
	v_cmp_ne_u16_e64 s5, v21, v20
	v_cmp_gt_f16_e64 s4, v18, v22
	s_and_b32 s2, s2, s3
	v_cndmask_b32_e64 v24, 0, 1, s5
	v_cmp_eq_u32_e64 s5, 1, v23
	s_wait_alu 0xfffe
	s_or_b32 s2, s2, s4
	s_wait_alu 0xfffe
	s_and_b32 s2, s2, s5
	s_wait_alu 0xfffe
	v_cndmask_b32_e64 v23, v24, v20, s2
	v_and_b32_e32 v20, 2, v7
	s_delay_alu instid0(VALU_DEP_2) | instskip(NEXT) | instid1(VALU_DEP_2)
	v_and_b32_e32 v23, 1, v23
	v_cmp_ne_u32_e64 s2, 0, v20
	s_delay_alu instid0(VALU_DEP_2)
	v_cmp_eq_u32_e64 s3, 1, v23
	s_and_saveexec_b32 s4, s3
	s_wait_alu 0xfffe
	s_xor_b32 s3, exec_lo, s4
	s_cbranch_execz .LBB57_12
; %bb.11:
	ds_load_2addr_b64 v[23:26], v13 offset1:2
	s_wait_dscnt 0x0
	ds_store_2addr_b64 v13, v[25:26], v[23:24] offset1:2
	ds_store_b16 v11, v22
	ds_store_b16 v11, v18 offset:4
	ds_store_b8 v10, v21
	ds_store_b8 v10, v19 offset:2
.LBB57_12:
	s_wait_alu 0xfffe
	s_or_b32 exec_lo, exec_lo, s3
	s_wait_loadcnt_dscnt 0x0
	s_barrier_signal -1
	s_barrier_wait -1
	global_inv scope:SCOPE_SE
	ds_load_b32 v18, v3
	ds_load_u16 v19, v4
	v_lshrrev_b32_e32 v21, 1, v20
	v_cndmask_b32_e64 v23, 0, 1, s2
	s_wait_dscnt 0x1
	v_lshrrev_b32_e32 v22, 16, v18
	s_wait_dscnt 0x0
	v_lshrrev_b16 v20, 8, v19
	v_and_b32_e32 v24, 1, v19
	v_cmp_u_f16_e64 s2, v18, v18
	v_cmp_o_f16_e64 s3, v22, v22
	s_delay_alu instid0(VALU_DEP_4)
	v_cmp_ne_u16_e64 s6, v20, v21
	v_cmp_gt_f16_e64 s4, v18, v22
	v_cmp_eq_u32_e64 s5, 1, v24
	s_and_b32 s2, s2, s3
	v_cndmask_b32_e64 v21, 0, 1, s6
	s_wait_alu 0xfffe
	s_or_b32 s2, s2, s4
	s_mov_b32 s3, exec_lo
	s_wait_alu 0xfffe
	s_and_b32 s2, s2, s5
	s_wait_alu 0xfffe
	v_cndmask_b32_e64 v21, v21, v23, s2
	s_delay_alu instid0(VALU_DEP_1) | instskip(NEXT) | instid1(VALU_DEP_1)
	v_and_b32_e32 v21, 1, v21
	v_cmpx_eq_u32_e32 1, v21
	s_cbranch_execz .LBB57_14
; %bb.13:
	ds_load_b128 v[21:24], v17
	v_lshlrev_b16 v19, 8, v19
	v_alignbit_b32 v18, v18, v18, 16
	s_delay_alu instid0(VALU_DEP_2)
	v_or_b32_e32 v19, v20, v19
	s_wait_dscnt 0x0
	v_dual_mov_b32 v25, v21 :: v_dual_mov_b32 v26, v22
	ds_store_b32 v3, v18
	ds_store_b128 v17, v[23:26]
	ds_store_b16 v4, v19
.LBB57_14:
	s_or_b32 exec_lo, exec_lo, s3
	v_and_b32_e32 v17, 3, v7
	s_wait_loadcnt_dscnt 0x0
	s_barrier_signal -1
	s_barrier_wait -1
	global_inv scope:SCOPE_SE
	v_sub_nc_u32_e32 v20, v16, v17
	v_bfe_u32 v21, v7, 2, 1
	s_delay_alu instid0(VALU_DEP_2)
	v_lshl_add_u32 v18, v20, 1, v14
	v_add_nc_u32_e32 v17, v15, v20
	v_lshl_add_u32 v20, v20, 3, v12
	ds_load_u16 v19, v18
	ds_load_u8 v22, v17
	ds_load_u16 v24, v18 offset:8
	ds_load_u8 v23, v17 offset:4
	s_wait_dscnt 0x3
	v_cmp_u_f16_e64 s2, v19, v19
	s_wait_dscnt 0x2
	v_and_b32_e32 v25, 1, v22
	s_wait_dscnt 0x1
	v_cmp_o_f16_e64 s3, v24, v24
	s_wait_dscnt 0x0
	v_cmp_ne_u16_e64 s5, v23, v21
	v_cmp_gt_f16_e64 s4, v19, v24
	s_and_b32 s2, s2, s3
	v_cndmask_b32_e64 v26, 0, 1, s5
	v_cmp_eq_u32_e64 s5, 1, v25
	s_wait_alu 0xfffe
	s_or_b32 s2, s2, s4
	s_mov_b32 s4, exec_lo
	s_wait_alu 0xfffe
	s_and_b32 s2, s2, s5
	s_wait_alu 0xfffe
	v_cndmask_b32_e64 v25, v26, v21, s2
	v_and_b32_e32 v21, 4, v7
	s_delay_alu instid0(VALU_DEP_2) | instskip(NEXT) | instid1(VALU_DEP_2)
	v_and_b32_e32 v25, 1, v25
	v_cmp_ne_u32_e64 s2, 0, v21
	s_delay_alu instid0(VALU_DEP_2)
	v_cmpx_eq_u32_e32 1, v25
	s_cbranch_execz .LBB57_16
; %bb.15:
	ds_load_2addr_b64 v[25:28], v20 offset1:4
	s_wait_dscnt 0x0
	ds_store_2addr_b64 v20, v[27:28], v[25:26] offset1:4
	ds_store_b16 v18, v24
	ds_store_b16 v18, v19 offset:8
	ds_store_b8 v17, v23
	ds_store_b8 v17, v22 offset:4
.LBB57_16:
	s_or_b32 exec_lo, exec_lo, s4
	s_wait_loadcnt_dscnt 0x0
	s_barrier_signal -1
	s_barrier_wait -1
	global_inv scope:SCOPE_SE
	ds_load_u16 v22, v11
	ds_load_u8 v23, v10
	ds_load_u16 v25, v11 offset:4
	ds_load_u8 v24, v10 offset:2
	v_lshrrev_b32_e32 v19, 2, v21
	v_cndmask_b32_e64 v21, 0, 1, s2
	s_wait_dscnt 0x3
	v_cmp_u_f16_e64 s2, v22, v22
	s_wait_dscnt 0x2
	v_and_b32_e32 v26, 1, v23
	s_wait_dscnt 0x1
	v_cmp_o_f16_e64 s3, v25, v25
	s_wait_dscnt 0x0
	v_cmp_ne_u16_e64 s5, v24, v19
	v_cmp_gt_f16_e64 s4, v22, v25
	s_and_b32 s2, s2, s3
	v_cndmask_b32_e64 v27, 0, 1, s5
	v_cmp_eq_u32_e64 s5, 1, v26
	s_wait_alu 0xfffe
	s_or_b32 s2, s2, s4
	s_mov_b32 s3, exec_lo
	s_wait_alu 0xfffe
	s_and_b32 s2, s2, s5
	s_wait_alu 0xfffe
	v_cndmask_b32_e64 v26, v27, v21, s2
	s_delay_alu instid0(VALU_DEP_1) | instskip(NEXT) | instid1(VALU_DEP_1)
	v_and_b32_e32 v26, 1, v26
	v_cmpx_eq_u32_e32 1, v26
	s_cbranch_execz .LBB57_18
; %bb.17:
	ds_load_2addr_b64 v[26:29], v13 offset1:2
	s_wait_dscnt 0x0
	ds_store_2addr_b64 v13, v[28:29], v[26:27] offset1:2
	ds_store_b16 v11, v25
	ds_store_b16 v11, v22 offset:4
	ds_store_b8 v10, v24
	ds_store_b8 v10, v23 offset:2
.LBB57_18:
	s_or_b32 exec_lo, exec_lo, s3
	s_wait_loadcnt_dscnt 0x0
	s_barrier_signal -1
	s_barrier_wait -1
	global_inv scope:SCOPE_SE
	ds_load_b32 v23, v3
	ds_load_u16 v24, v4
	s_wait_dscnt 0x1
	v_lshrrev_b32_e32 v25, 16, v23
	s_wait_dscnt 0x0
	v_lshrrev_b16 v22, 8, v24
	v_and_b32_e32 v26, 1, v24
	v_cmp_u_f16_e64 s2, v23, v23
	v_cmp_o_f16_e64 s3, v25, v25
	s_delay_alu instid0(VALU_DEP_4)
	v_cmp_ne_u16_e64 s6, v22, v19
	v_cmp_gt_f16_e64 s4, v23, v25
	v_cmp_eq_u32_e64 s5, 1, v26
	s_and_b32 s2, s2, s3
	v_cndmask_b32_e64 v19, 0, 1, s6
	s_wait_alu 0xfffe
	s_or_b32 s2, s2, s4
	s_wait_alu 0xfffe
	s_and_b32 s2, s2, s5
	s_wait_alu 0xfffe
	v_cndmask_b32_e64 v19, v19, v21, s2
	s_delay_alu instid0(VALU_DEP_1) | instskip(NEXT) | instid1(VALU_DEP_1)
	v_and_b32_e32 v19, 1, v19
	v_cmp_eq_u32_e64 s2, 1, v19
	v_lshl_add_u32 v19, v16, 3, v12
	s_and_saveexec_b32 s3, s2
	s_cbranch_execz .LBB57_20
; %bb.19:
	ds_load_b128 v[25:28], v19
	v_lshlrev_b16 v29, 8, v24
	v_alignbit_b32 v21, v23, v23, 16
	s_delay_alu instid0(VALU_DEP_2)
	v_or_b32_e32 v22, v22, v29
	s_wait_dscnt 0x0
	v_dual_mov_b32 v23, v27 :: v_dual_mov_b32 v24, v28
	ds_store_b32 v3, v21
	ds_store_b128 v19, v[23:26]
	ds_store_b16 v4, v22
.LBB57_20:
	s_wait_alu 0xfffe
	s_or_b32 exec_lo, exec_lo, s3
	v_and_b32_e32 v21, 7, v7
	s_wait_loadcnt_dscnt 0x0
	s_barrier_signal -1
	s_barrier_wait -1
	global_inv scope:SCOPE_SE
	v_sub_nc_u32_e32 v23, v16, v21
	v_bfe_u32 v25, v7, 3, 1
	s_delay_alu instid0(VALU_DEP_2)
	v_lshl_add_u32 v22, v23, 1, v14
	v_add_nc_u32_e32 v21, v15, v23
	v_lshl_add_u32 v23, v23, 3, v12
	ds_load_u16 v24, v22
	ds_load_u8 v26, v21
	ds_load_u16 v28, v22 offset:16
	ds_load_u8 v27, v21 offset:8
	s_wait_dscnt 0x3
	v_cmp_u_f16_e64 s2, v24, v24
	s_wait_dscnt 0x2
	v_and_b32_e32 v29, 1, v26
	s_wait_dscnt 0x1
	v_cmp_o_f16_e64 s3, v28, v28
	s_wait_dscnt 0x0
	v_cmp_ne_u16_e64 s5, v27, v25
	v_cmp_gt_f16_e64 s4, v24, v28
	s_and_b32 s2, s2, s3
	v_cndmask_b32_e64 v30, 0, 1, s5
	v_cmp_eq_u32_e64 s5, 1, v29
	s_wait_alu 0xfffe
	s_or_b32 s2, s2, s4
	s_mov_b32 s4, exec_lo
	s_wait_alu 0xfffe
	s_and_b32 s2, s2, s5
	s_wait_alu 0xfffe
	v_cndmask_b32_e64 v29, v30, v25, s2
	v_and_b32_e32 v25, 8, v7
	s_delay_alu instid0(VALU_DEP_2) | instskip(NEXT) | instid1(VALU_DEP_2)
	v_and_b32_e32 v29, 1, v29
	v_cmp_ne_u32_e64 s2, 0, v25
	s_delay_alu instid0(VALU_DEP_2)
	v_cmpx_eq_u32_e32 1, v29
	s_cbranch_execz .LBB57_22
; %bb.21:
	ds_load_2addr_b64 v[29:32], v23 offset1:8
	s_wait_dscnt 0x0
	ds_store_2addr_b64 v23, v[31:32], v[29:30] offset1:8
	ds_store_b16 v22, v28
	ds_store_b16 v22, v24 offset:16
	ds_store_b8 v21, v27
	ds_store_b8 v21, v26 offset:8
.LBB57_22:
	s_or_b32 exec_lo, exec_lo, s4
	s_wait_loadcnt_dscnt 0x0
	s_barrier_signal -1
	s_barrier_wait -1
	global_inv scope:SCOPE_SE
	ds_load_u16 v26, v18
	ds_load_u8 v27, v17
	ds_load_u16 v29, v18 offset:8
	ds_load_u8 v28, v17 offset:4
	v_lshrrev_b32_e32 v24, 3, v25
	v_cndmask_b32_e64 v25, 0, 1, s2
	s_wait_dscnt 0x3
	v_cmp_u_f16_e64 s2, v26, v26
	s_wait_dscnt 0x2
	v_and_b32_e32 v30, 1, v27
	s_wait_dscnt 0x1
	v_cmp_o_f16_e64 s3, v29, v29
	s_wait_dscnt 0x0
	v_cmp_ne_u16_e64 s5, v28, v24
	v_cmp_gt_f16_e64 s4, v26, v29
	s_and_b32 s2, s2, s3
	v_cndmask_b32_e64 v31, 0, 1, s5
	v_cmp_eq_u32_e64 s5, 1, v30
	s_wait_alu 0xfffe
	s_or_b32 s2, s2, s4
	s_mov_b32 s3, exec_lo
	s_wait_alu 0xfffe
	s_and_b32 s2, s2, s5
	s_wait_alu 0xfffe
	v_cndmask_b32_e64 v30, v31, v25, s2
	s_delay_alu instid0(VALU_DEP_1) | instskip(NEXT) | instid1(VALU_DEP_1)
	v_and_b32_e32 v30, 1, v30
	v_cmpx_eq_u32_e32 1, v30
	s_cbranch_execz .LBB57_24
; %bb.23:
	ds_load_2addr_b64 v[30:33], v20 offset1:4
	s_wait_dscnt 0x0
	ds_store_2addr_b64 v20, v[32:33], v[30:31] offset1:4
	ds_store_b16 v18, v29
	ds_store_b16 v18, v26 offset:8
	ds_store_b8 v17, v28
	ds_store_b8 v17, v27 offset:4
.LBB57_24:
	s_or_b32 exec_lo, exec_lo, s3
	s_wait_loadcnt_dscnt 0x0
	s_barrier_signal -1
	s_barrier_wait -1
	global_inv scope:SCOPE_SE
	ds_load_u16 v26, v11
	ds_load_u8 v27, v10
	ds_load_u16 v29, v11 offset:4
	ds_load_u8 v28, v10 offset:2
	s_wait_dscnt 0x3
	v_cmp_u_f16_e64 s2, v26, v26
	s_wait_dscnt 0x2
	v_and_b32_e32 v30, 1, v27
	s_wait_dscnt 0x1
	v_cmp_o_f16_e64 s3, v29, v29
	s_wait_dscnt 0x0
	v_cmp_ne_u16_e64 s5, v28, v24
	v_cmp_gt_f16_e64 s4, v26, v29
	s_and_b32 s2, s2, s3
	v_cndmask_b32_e64 v31, 0, 1, s5
	v_cmp_eq_u32_e64 s5, 1, v30
	s_wait_alu 0xfffe
	s_or_b32 s2, s2, s4
	s_mov_b32 s3, exec_lo
	s_wait_alu 0xfffe
	s_and_b32 s2, s2, s5
	s_wait_alu 0xfffe
	v_cndmask_b32_e64 v30, v31, v25, s2
	s_delay_alu instid0(VALU_DEP_1) | instskip(NEXT) | instid1(VALU_DEP_1)
	v_and_b32_e32 v30, 1, v30
	v_cmpx_eq_u32_e32 1, v30
	s_cbranch_execz .LBB57_26
; %bb.25:
	ds_load_2addr_b64 v[30:33], v13 offset1:2
	s_wait_dscnt 0x0
	ds_store_2addr_b64 v13, v[32:33], v[30:31] offset1:2
	ds_store_b16 v11, v29
	ds_store_b16 v11, v26 offset:4
	ds_store_b8 v10, v28
	ds_store_b8 v10, v27 offset:2
.LBB57_26:
	s_or_b32 exec_lo, exec_lo, s3
	s_wait_loadcnt_dscnt 0x0
	s_barrier_signal -1
	s_barrier_wait -1
	global_inv scope:SCOPE_SE
	ds_load_b32 v27, v3
	ds_load_u16 v28, v4
	s_wait_dscnt 0x1
	v_lshrrev_b32_e32 v29, 16, v27
	s_wait_dscnt 0x0
	v_lshrrev_b16 v26, 8, v28
	v_and_b32_e32 v30, 1, v28
	v_cmp_u_f16_e64 s2, v27, v27
	v_cmp_o_f16_e64 s3, v29, v29
	s_delay_alu instid0(VALU_DEP_4)
	v_cmp_ne_u16_e64 s6, v26, v24
	v_cmp_gt_f16_e64 s4, v27, v29
	v_cmp_eq_u32_e64 s5, 1, v30
	s_and_b32 s2, s2, s3
	v_cndmask_b32_e64 v24, 0, 1, s6
	s_wait_alu 0xfffe
	s_or_b32 s2, s2, s4
	s_mov_b32 s3, exec_lo
	s_wait_alu 0xfffe
	s_and_b32 s2, s2, s5
	s_wait_alu 0xfffe
	v_cndmask_b32_e64 v24, v24, v25, s2
	s_delay_alu instid0(VALU_DEP_1) | instskip(NEXT) | instid1(VALU_DEP_1)
	v_and_b32_e32 v24, 1, v24
	v_cmpx_eq_u32_e32 1, v24
	s_cbranch_execz .LBB57_28
; %bb.27:
	ds_load_b128 v[29:32], v19
	v_lshlrev_b16 v25, 8, v28
	v_alignbit_b32 v24, v27, v27, 16
	s_delay_alu instid0(VALU_DEP_2)
	v_or_b32_e32 v25, v26, v25
	s_wait_dscnt 0x0
	v_dual_mov_b32 v27, v31 :: v_dual_mov_b32 v28, v32
	ds_store_b32 v3, v24
	ds_store_b128 v19, v[27:30]
	ds_store_b16 v4, v25
.LBB57_28:
	s_or_b32 exec_lo, exec_lo, s3
	v_and_b32_e32 v24, 15, v7
	s_wait_loadcnt_dscnt 0x0
	s_barrier_signal -1
	s_barrier_wait -1
	global_inv scope:SCOPE_SE
	v_sub_nc_u32_e32 v24, v16, v24
	s_delay_alu instid0(VALU_DEP_1)
	v_lshl_add_u32 v16, v24, 1, v14
	v_add_nc_u32_e32 v14, v15, v24
	ds_load_u16 v15, v16
	ds_load_u8 v25, v14
	ds_load_u16 v26, v16 offset:32
	ds_load_u8 v27, v14 offset:16
	s_wait_dscnt 0x3
	v_cmp_u_f16_e64 s2, v15, v15
	s_wait_dscnt 0x2
	v_and_b32_e32 v28, 1, v25
	s_wait_dscnt 0x1
	v_cmp_o_f16_e64 s3, v26, v26
	v_cmp_gt_f16_e64 s4, v15, v26
	s_wait_dscnt 0x0
	v_and_b32_e32 v27, 0xff, v27
	v_cmp_eq_u32_e64 s5, 1, v28
	s_and_b32 s2, s2, s3
	s_wait_alu 0xfffe
	s_or_b32 s3, s2, s4
	v_cmp_ne_u16_e64 s2, 0, v27
	s_wait_alu 0xfffe
	s_and_b32 s3, s3, s5
	s_wait_alu 0xfffe
	s_xor_b32 s3, s3, -1
	s_wait_alu 0xfffe
	s_and_b32 s3, s3, s2
	s_wait_alu 0xfffe
	s_and_saveexec_b32 s2, s3
	s_cbranch_execz .LBB57_30
; %bb.29:
	v_lshl_add_u32 v12, v24, 3, v12
	v_mov_b32_e32 v24, 1
	ds_load_2addr_b64 v[27:30], v12 offset1:16
	s_wait_dscnt 0x0
	ds_store_2addr_b64 v12, v[29:30], v[27:28] offset1:16
	ds_store_b16 v16, v26
	ds_store_b16 v16, v15 offset:32
	ds_store_b8 v14, v24
	ds_store_b8 v14, v25 offset:16
.LBB57_30:
	s_wait_alu 0xfffe
	s_or_b32 exec_lo, exec_lo, s2
	s_wait_loadcnt_dscnt 0x0
	s_barrier_signal -1
	s_barrier_wait -1
	global_inv scope:SCOPE_SE
	ds_load_u16 v12, v22
	ds_load_u8 v14, v21
	ds_load_u16 v15, v22 offset:16
	ds_load_u8 v16, v21 offset:8
	s_wait_dscnt 0x3
	v_cmp_u_f16_e64 s2, v12, v12
	s_wait_dscnt 0x2
	v_and_b32_e32 v24, 1, v14
	s_wait_dscnt 0x1
	v_cmp_o_f16_e64 s3, v15, v15
	v_cmp_gt_f16_e64 s4, v12, v15
	s_wait_dscnt 0x0
	v_and_b32_e32 v16, 0xff, v16
	v_cmp_eq_u32_e64 s5, 1, v24
	s_and_b32 s2, s2, s3
	s_wait_alu 0xfffe
	s_or_b32 s3, s2, s4
	v_cmp_ne_u16_e64 s2, 0, v16
	s_wait_alu 0xfffe
	s_and_b32 s3, s3, s5
	s_wait_alu 0xfffe
	s_xor_b32 s3, s3, -1
	s_wait_alu 0xfffe
	s_and_b32 s3, s3, s2
	s_wait_alu 0xfffe
	s_and_saveexec_b32 s2, s3
	s_cbranch_execz .LBB57_32
; %bb.31:
	ds_load_2addr_b64 v[24:27], v23 offset1:8
	v_mov_b32_e32 v16, 1
	s_wait_dscnt 0x0
	ds_store_2addr_b64 v23, v[26:27], v[24:25] offset1:8
	ds_store_b16 v22, v15
	ds_store_b16 v22, v12 offset:16
	ds_store_b8 v21, v16
	ds_store_b8 v21, v14 offset:8
.LBB57_32:
	s_wait_alu 0xfffe
	s_or_b32 exec_lo, exec_lo, s2
	s_wait_loadcnt_dscnt 0x0
	s_barrier_signal -1
	s_barrier_wait -1
	global_inv scope:SCOPE_SE
	ds_load_u16 v12, v18
	ds_load_u8 v14, v17
	ds_load_u16 v15, v18 offset:8
	ds_load_u8 v16, v17 offset:4
	s_wait_dscnt 0x3
	v_cmp_u_f16_e64 s2, v12, v12
	s_wait_dscnt 0x2
	v_and_b32_e32 v21, 1, v14
	s_wait_dscnt 0x1
	v_cmp_o_f16_e64 s3, v15, v15
	v_cmp_gt_f16_e64 s4, v12, v15
	s_wait_dscnt 0x0
	v_and_b32_e32 v16, 0xff, v16
	v_cmp_eq_u32_e64 s5, 1, v21
	s_and_b32 s2, s2, s3
	s_wait_alu 0xfffe
	s_or_b32 s3, s2, s4
	v_cmp_ne_u16_e64 s2, 0, v16
	s_wait_alu 0xfffe
	s_and_b32 s3, s3, s5
	s_wait_alu 0xfffe
	s_xor_b32 s3, s3, -1
	s_wait_alu 0xfffe
	s_and_b32 s3, s3, s2
	s_wait_alu 0xfffe
	s_and_saveexec_b32 s2, s3
	s_cbranch_execz .LBB57_34
; %bb.33:
	ds_load_2addr_b64 v[21:24], v20 offset1:4
	v_mov_b32_e32 v16, 1
	s_wait_dscnt 0x0
	ds_store_2addr_b64 v20, v[23:24], v[21:22] offset1:4
	ds_store_b16 v18, v15
	ds_store_b16 v18, v12 offset:8
	ds_store_b8 v17, v16
	ds_store_b8 v17, v14 offset:4
.LBB57_34:
	;; [unrolled: 43-line block ×3, first 2 shown]
	s_wait_alu 0xfffe
	s_or_b32 exec_lo, exec_lo, s2
	s_wait_loadcnt_dscnt 0x0
	s_barrier_signal -1
	s_barrier_wait -1
	global_inv scope:SCOPE_SE
	ds_load_b32 v10, v3
	ds_load_u16 v11, v4
	s_wait_dscnt 0x1
	v_lshrrev_b32_e32 v12, 16, v10
	s_wait_dscnt 0x0
	v_and_b32_e32 v13, 1, v11
	v_cmp_u_f16_e64 s2, v10, v10
	s_delay_alu instid0(VALU_DEP_3)
	v_cmp_o_f16_e64 s3, v12, v12
	v_cmp_gt_f16_e64 s4, v10, v12
	v_lshrrev_b16 v12, 8, v11
	v_cmp_eq_u32_e64 s5, 1, v13
	s_and_b32 s2, s2, s3
	s_wait_alu 0xfffe
	s_or_b32 s3, s2, s4
	v_cmp_ne_u16_e64 s2, 0, v12
	s_wait_alu 0xfffe
	s_and_b32 s3, s3, s5
	s_wait_alu 0xfffe
	s_xor_b32 s3, s3, -1
	s_wait_alu 0xfffe
	s_and_b32 s3, s3, s2
	s_wait_alu 0xfffe
	s_and_saveexec_b32 s2, s3
	s_cbranch_execz .LBB57_38
; %bb.37:
	ds_load_b128 v[12:15], v19
	v_lshlrev_b16 v17, 8, v11
	v_alignbit_b32 v16, v10, v10, 16
	s_wait_dscnt 0x0
	v_dual_mov_b32 v10, v14 :: v_dual_mov_b32 v11, v15
	s_delay_alu instid0(VALU_DEP_3)
	v_or_b32_e32 v14, 1, v17
	ds_store_b32 v3, v16
	ds_store_b128 v19, v[10:13]
	ds_store_b16 v4, v14
.LBB57_38:
	s_wait_alu 0xfffe
	s_or_b32 exec_lo, exec_lo, s2
	s_wait_loadcnt_dscnt 0x0
	s_barrier_signal -1
	s_barrier_wait -1
	global_inv scope:SCOPE_SE
	s_and_saveexec_b32 s2, s0
	s_cbranch_execz .LBB57_43
; %bb.39:
	s_and_saveexec_b32 s0, vcc_lo
	s_cbranch_execz .LBB57_41
; %bb.40:
	v_mad_co_u64_u32 v[3:4], null, v7, s10, v[2:3]
	v_mov_b32_e32 v4, 0
	v_mad_co_u64_u32 v[10:11], null, v7, s7, v[0:1]
	ds_load_u16 v12, v8
	ds_load_b64 v[7:8], v9
	v_mov_b32_e32 v11, v4
	v_lshlrev_b64_e32 v[3:4], 1, v[3:4]
	s_delay_alu instid0(VALU_DEP_2) | instskip(NEXT) | instid1(VALU_DEP_2)
	v_lshlrev_b64_e32 v[9:10], 3, v[10:11]
	v_add_co_u32 v3, vcc_lo, s12, v3
	s_wait_alu 0xfffd
	s_delay_alu instid0(VALU_DEP_3) | instskip(NEXT) | instid1(VALU_DEP_3)
	v_add_co_ci_u32_e64 v4, null, s13, v4, vcc_lo
	v_add_co_u32 v9, vcc_lo, s14, v9
	s_wait_alu 0xfffd
	v_add_co_ci_u32_e64 v10, null, s15, v10, vcc_lo
	s_wait_dscnt 0x1
	global_store_b16 v[3:4], v12, off
	s_wait_dscnt 0x0
	global_store_b64 v[9:10], v[7:8], off
.LBB57_41:
	s_wait_alu 0xfffe
	s_or_b32 exec_lo, exec_lo, s0
	s_delay_alu instid0(SALU_CYCLE_1)
	s_and_b32 exec_lo, exec_lo, s1
	s_cbranch_execz .LBB57_43
; %bb.42:
	v_mad_co_u64_u32 v[2:3], null, v1, s10, v[2:3]
	v_mov_b32_e32 v3, 0
	v_mad_co_u64_u32 v[0:1], null, v1, s7, v[0:1]
	ds_load_u16 v7, v5
	ds_load_b64 v[4:5], v6
	v_mov_b32_e32 v1, v3
	v_lshlrev_b64_e32 v[2:3], 1, v[2:3]
	s_delay_alu instid0(VALU_DEP_2) | instskip(NEXT) | instid1(VALU_DEP_2)
	v_lshlrev_b64_e32 v[0:1], 3, v[0:1]
	v_add_co_u32 v2, vcc_lo, s12, v2
	s_wait_alu 0xfffd
	s_delay_alu instid0(VALU_DEP_3) | instskip(NEXT) | instid1(VALU_DEP_3)
	v_add_co_ci_u32_e64 v3, null, s13, v3, vcc_lo
	v_add_co_u32 v0, vcc_lo, s14, v0
	s_wait_alu 0xfffd
	v_add_co_ci_u32_e64 v1, null, s15, v1, vcc_lo
	s_wait_dscnt 0x1
	global_store_b16 v[2:3], v7, off
	s_wait_dscnt 0x0
	global_store_b64 v[0:1], v[4:5], off
.LBB57_43:
	s_endpgm
	.section	.rodata,"a",@progbits
	.p2align	6, 0x0
	.amdhsa_kernel _ZN2at6native20bitonicSortKVInPlaceILin2ELin1ELi16ELi16EN3c104HalfElNS0_4GTOpIS3_Lb1EEEjEEvNS_4cuda6detail10TensorInfoIT3_T6_EESA_SA_SA_NS8_IT4_SA_EESA_T5_
		.amdhsa_group_segment_fixed_size 5632
		.amdhsa_private_segment_fixed_size 0
		.amdhsa_kernarg_size 712
		.amdhsa_user_sgpr_count 2
		.amdhsa_user_sgpr_dispatch_ptr 0
		.amdhsa_user_sgpr_queue_ptr 0
		.amdhsa_user_sgpr_kernarg_segment_ptr 1
		.amdhsa_user_sgpr_dispatch_id 0
		.amdhsa_user_sgpr_private_segment_size 0
		.amdhsa_wavefront_size32 1
		.amdhsa_uses_dynamic_stack 0
		.amdhsa_enable_private_segment 0
		.amdhsa_system_sgpr_workgroup_id_x 1
		.amdhsa_system_sgpr_workgroup_id_y 1
		.amdhsa_system_sgpr_workgroup_id_z 1
		.amdhsa_system_sgpr_workgroup_info 0
		.amdhsa_system_vgpr_workitem_id 1
		.amdhsa_next_free_vgpr 34
		.amdhsa_next_free_sgpr 16
		.amdhsa_reserve_vcc 1
		.amdhsa_float_round_mode_32 0
		.amdhsa_float_round_mode_16_64 0
		.amdhsa_float_denorm_mode_32 3
		.amdhsa_float_denorm_mode_16_64 3
		.amdhsa_fp16_overflow 0
		.amdhsa_workgroup_processor_mode 1
		.amdhsa_memory_ordered 1
		.amdhsa_forward_progress 1
		.amdhsa_inst_pref_size 40
		.amdhsa_round_robin_scheduling 0
		.amdhsa_exception_fp_ieee_invalid_op 0
		.amdhsa_exception_fp_denorm_src 0
		.amdhsa_exception_fp_ieee_div_zero 0
		.amdhsa_exception_fp_ieee_overflow 0
		.amdhsa_exception_fp_ieee_underflow 0
		.amdhsa_exception_fp_ieee_inexact 0
		.amdhsa_exception_int_div_zero 0
	.end_amdhsa_kernel
	.section	.text._ZN2at6native20bitonicSortKVInPlaceILin2ELin1ELi16ELi16EN3c104HalfElNS0_4GTOpIS3_Lb1EEEjEEvNS_4cuda6detail10TensorInfoIT3_T6_EESA_SA_SA_NS8_IT4_SA_EESA_T5_,"axG",@progbits,_ZN2at6native20bitonicSortKVInPlaceILin2ELin1ELi16ELi16EN3c104HalfElNS0_4GTOpIS3_Lb1EEEjEEvNS_4cuda6detail10TensorInfoIT3_T6_EESA_SA_SA_NS8_IT4_SA_EESA_T5_,comdat
.Lfunc_end57:
	.size	_ZN2at6native20bitonicSortKVInPlaceILin2ELin1ELi16ELi16EN3c104HalfElNS0_4GTOpIS3_Lb1EEEjEEvNS_4cuda6detail10TensorInfoIT3_T6_EESA_SA_SA_NS8_IT4_SA_EESA_T5_, .Lfunc_end57-_ZN2at6native20bitonicSortKVInPlaceILin2ELin1ELi16ELi16EN3c104HalfElNS0_4GTOpIS3_Lb1EEEjEEvNS_4cuda6detail10TensorInfoIT3_T6_EESA_SA_SA_NS8_IT4_SA_EESA_T5_
                                        ; -- End function
	.set _ZN2at6native20bitonicSortKVInPlaceILin2ELin1ELi16ELi16EN3c104HalfElNS0_4GTOpIS3_Lb1EEEjEEvNS_4cuda6detail10TensorInfoIT3_T6_EESA_SA_SA_NS8_IT4_SA_EESA_T5_.num_vgpr, 34
	.set _ZN2at6native20bitonicSortKVInPlaceILin2ELin1ELi16ELi16EN3c104HalfElNS0_4GTOpIS3_Lb1EEEjEEvNS_4cuda6detail10TensorInfoIT3_T6_EESA_SA_SA_NS8_IT4_SA_EESA_T5_.num_agpr, 0
	.set _ZN2at6native20bitonicSortKVInPlaceILin2ELin1ELi16ELi16EN3c104HalfElNS0_4GTOpIS3_Lb1EEEjEEvNS_4cuda6detail10TensorInfoIT3_T6_EESA_SA_SA_NS8_IT4_SA_EESA_T5_.numbered_sgpr, 16
	.set _ZN2at6native20bitonicSortKVInPlaceILin2ELin1ELi16ELi16EN3c104HalfElNS0_4GTOpIS3_Lb1EEEjEEvNS_4cuda6detail10TensorInfoIT3_T6_EESA_SA_SA_NS8_IT4_SA_EESA_T5_.num_named_barrier, 0
	.set _ZN2at6native20bitonicSortKVInPlaceILin2ELin1ELi16ELi16EN3c104HalfElNS0_4GTOpIS3_Lb1EEEjEEvNS_4cuda6detail10TensorInfoIT3_T6_EESA_SA_SA_NS8_IT4_SA_EESA_T5_.private_seg_size, 0
	.set _ZN2at6native20bitonicSortKVInPlaceILin2ELin1ELi16ELi16EN3c104HalfElNS0_4GTOpIS3_Lb1EEEjEEvNS_4cuda6detail10TensorInfoIT3_T6_EESA_SA_SA_NS8_IT4_SA_EESA_T5_.uses_vcc, 1
	.set _ZN2at6native20bitonicSortKVInPlaceILin2ELin1ELi16ELi16EN3c104HalfElNS0_4GTOpIS3_Lb1EEEjEEvNS_4cuda6detail10TensorInfoIT3_T6_EESA_SA_SA_NS8_IT4_SA_EESA_T5_.uses_flat_scratch, 0
	.set _ZN2at6native20bitonicSortKVInPlaceILin2ELin1ELi16ELi16EN3c104HalfElNS0_4GTOpIS3_Lb1EEEjEEvNS_4cuda6detail10TensorInfoIT3_T6_EESA_SA_SA_NS8_IT4_SA_EESA_T5_.has_dyn_sized_stack, 0
	.set _ZN2at6native20bitonicSortKVInPlaceILin2ELin1ELi16ELi16EN3c104HalfElNS0_4GTOpIS3_Lb1EEEjEEvNS_4cuda6detail10TensorInfoIT3_T6_EESA_SA_SA_NS8_IT4_SA_EESA_T5_.has_recursion, 0
	.set _ZN2at6native20bitonicSortKVInPlaceILin2ELin1ELi16ELi16EN3c104HalfElNS0_4GTOpIS3_Lb1EEEjEEvNS_4cuda6detail10TensorInfoIT3_T6_EESA_SA_SA_NS8_IT4_SA_EESA_T5_.has_indirect_call, 0
	.section	.AMDGPU.csdata,"",@progbits
; Kernel info:
; codeLenInByte = 5100
; TotalNumSgprs: 18
; NumVgprs: 34
; ScratchSize: 0
; MemoryBound: 0
; FloatMode: 240
; IeeeMode: 1
; LDSByteSize: 5632 bytes/workgroup (compile time only)
; SGPRBlocks: 0
; VGPRBlocks: 4
; NumSGPRsForWavesPerEU: 18
; NumVGPRsForWavesPerEU: 34
; Occupancy: 16
; WaveLimiterHint : 1
; COMPUTE_PGM_RSRC2:SCRATCH_EN: 0
; COMPUTE_PGM_RSRC2:USER_SGPR: 2
; COMPUTE_PGM_RSRC2:TRAP_HANDLER: 0
; COMPUTE_PGM_RSRC2:TGID_X_EN: 1
; COMPUTE_PGM_RSRC2:TGID_Y_EN: 1
; COMPUTE_PGM_RSRC2:TGID_Z_EN: 1
; COMPUTE_PGM_RSRC2:TIDIG_COMP_CNT: 1
	.section	.text._ZN2at6native20bitonicSortKVInPlaceILi2ELin1ELi16ELi16EN3c104HalfElNS0_4LTOpIS3_Lb1EEEjEEvNS_4cuda6detail10TensorInfoIT3_T6_EESA_SA_SA_NS8_IT4_SA_EESA_T5_,"axG",@progbits,_ZN2at6native20bitonicSortKVInPlaceILi2ELin1ELi16ELi16EN3c104HalfElNS0_4LTOpIS3_Lb1EEEjEEvNS_4cuda6detail10TensorInfoIT3_T6_EESA_SA_SA_NS8_IT4_SA_EESA_T5_,comdat
	.protected	_ZN2at6native20bitonicSortKVInPlaceILi2ELin1ELi16ELi16EN3c104HalfElNS0_4LTOpIS3_Lb1EEEjEEvNS_4cuda6detail10TensorInfoIT3_T6_EESA_SA_SA_NS8_IT4_SA_EESA_T5_ ; -- Begin function _ZN2at6native20bitonicSortKVInPlaceILi2ELin1ELi16ELi16EN3c104HalfElNS0_4LTOpIS3_Lb1EEEjEEvNS_4cuda6detail10TensorInfoIT3_T6_EESA_SA_SA_NS8_IT4_SA_EESA_T5_
	.globl	_ZN2at6native20bitonicSortKVInPlaceILi2ELin1ELi16ELi16EN3c104HalfElNS0_4LTOpIS3_Lb1EEEjEEvNS_4cuda6detail10TensorInfoIT3_T6_EESA_SA_SA_NS8_IT4_SA_EESA_T5_
	.p2align	8
	.type	_ZN2at6native20bitonicSortKVInPlaceILi2ELin1ELi16ELi16EN3c104HalfElNS0_4LTOpIS3_Lb1EEEjEEvNS_4cuda6detail10TensorInfoIT3_T6_EESA_SA_SA_NS8_IT4_SA_EESA_T5_,@function
_ZN2at6native20bitonicSortKVInPlaceILi2ELin1ELi16ELi16EN3c104HalfElNS0_4LTOpIS3_Lb1EEEjEEvNS_4cuda6detail10TensorInfoIT3_T6_EESA_SA_SA_NS8_IT4_SA_EESA_T5_: ; @_ZN2at6native20bitonicSortKVInPlaceILi2ELin1ELi16ELi16EN3c104HalfElNS0_4LTOpIS3_Lb1EEEjEEvNS_4cuda6detail10TensorInfoIT3_T6_EESA_SA_SA_NS8_IT4_SA_EESA_T5_
; %bb.0:
	s_clause 0x2
	s_load_b64 s[2:3], s[0:1], 0x1c8
	s_load_u16 s4, s[0:1], 0x1d6
	s_load_b96 s[8:10], s[0:1], 0xd8
	s_lshr_b32 s5, ttmp7, 16
	s_wait_kmcnt 0x0
	s_mul_i32 s3, s3, s5
	s_and_b32 s5, ttmp7, 0xffff
	s_delay_alu instid0(SALU_CYCLE_1) | instskip(NEXT) | instid1(SALU_CYCLE_1)
	s_add_co_i32 s3, s3, s5
	s_mul_i32 s2, s3, s2
	s_delay_alu instid0(SALU_CYCLE_1) | instskip(NEXT) | instid1(SALU_CYCLE_1)
	s_add_co_i32 s2, s2, ttmp9
	s_mul_i32 s4, s2, s4
	s_delay_alu instid0(SALU_CYCLE_1)
	s_cmp_ge_u32 s4, s8
	s_cbranch_scc1 .LBB58_44
; %bb.1:
	s_clause 0x3
	s_load_b32 s11, s[0:1], 0xc
	s_load_b64 s[2:3], s[0:1], 0x6c
	s_load_b32 s14, s[0:1], 0x1b8
	s_load_b64 s[12:13], s[0:1], 0x0
	v_bfe_u32 v8, v0, 10, 10
	s_mov_b32 s7, 0
	s_delay_alu instid0(VALU_DEP_1) | instskip(SKIP_4) | instid1(SALU_CYCLE_1)
	v_add_nc_u32_e32 v4, s4, v8
	s_wait_kmcnt 0x0
	s_cvt_f32_u32 s5, s11
	s_sub_co_i32 s6, 0, s11
	s_wait_alu 0xfffe
	v_rcp_iflag_f32_e32 v1, s5
	s_delay_alu instid0(TRANS32_DEP_1) | instskip(SKIP_3) | instid1(SALU_CYCLE_2)
	v_readfirstlane_b32 s5, v1
	v_mov_b32_e32 v1, 0
	s_mul_f32 s5, s5, 0x4f7ffffe
	s_wait_alu 0xfffe
	s_cvt_u32_f32 s5, s5
	s_wait_alu 0xfffe
	s_delay_alu instid0(SALU_CYCLE_2) | instskip(NEXT) | instid1(SALU_CYCLE_1)
	s_mul_i32 s6, s6, s5
	s_mul_hi_u32 s4, s5, s6
	s_wait_alu 0xfffe
	s_add_co_i32 s5, s5, s4
	s_cmp_lt_i32 s14, 2
	s_wait_alu 0xfffe
	v_mad_co_u64_u32 v[2:3], null, v4, s5, 0
	s_add_nc_u64 s[4:5], s[0:1], 0xe8
	s_cbranch_scc1 .LBB58_4
; %bb.2:
	s_add_co_i32 s6, s14, -1
	v_mov_b32_e32 v1, 0
	s_lshl_b64 s[6:7], s[6:7], 2
	v_mov_b32_e32 v5, v4
	s_wait_alu 0xfffe
	s_add_nc_u64 s[6:7], s[4:5], s[6:7]
	s_add_co_i32 s14, s14, 1
	s_add_nc_u64 s[6:7], s[6:7], 8
.LBB58_3:                               ; =>This Inner Loop Header: Depth=1
	s_clause 0x1
	s_load_b32 s15, s[6:7], 0x0
	s_load_b32 s16, s[6:7], 0x64
	s_add_co_i32 s14, s14, -1
	s_add_nc_u64 s[6:7], s[6:7], -4
	s_wait_kmcnt 0x0
	s_cvt_f32_u32 s17, s15
	s_sub_co_i32 s18, 0, s15
	s_wait_alu 0xfffe
	s_delay_alu instid0(SALU_CYCLE_1) | instskip(NEXT) | instid1(TRANS32_DEP_1)
	v_rcp_iflag_f32_e32 v2, s17
	v_readfirstlane_b32 s17, v2
	v_mov_b32_e32 v2, v5
	s_mul_f32 s17, s17, 0x4f7ffffe
	s_wait_alu 0xfffe
	s_delay_alu instid0(SALU_CYCLE_2) | instskip(SKIP_1) | instid1(SALU_CYCLE_2)
	s_cvt_u32_f32 s17, s17
	s_wait_alu 0xfffe
	s_mul_i32 s18, s18, s17
	s_delay_alu instid0(SALU_CYCLE_1) | instskip(NEXT) | instid1(SALU_CYCLE_1)
	s_mul_hi_u32 s18, s17, s18
	s_add_co_i32 s17, s17, s18
	s_cmp_gt_u32 s14, 2
	s_wait_alu 0xfffe
	v_mul_hi_u32 v5, v2, s17
	s_delay_alu instid0(VALU_DEP_1) | instskip(SKIP_1) | instid1(VALU_DEP_2)
	v_mul_lo_u32 v6, v5, s15
	v_add_nc_u32_e32 v7, 1, v5
	v_sub_nc_u32_e32 v6, v2, v6
	s_delay_alu instid0(VALU_DEP_1) | instskip(SKIP_2) | instid1(VALU_DEP_2)
	v_subrev_nc_u32_e32 v9, s15, v6
	v_cmp_le_u32_e32 vcc_lo, s15, v6
	s_wait_alu 0xfffd
	v_dual_cndmask_b32 v5, v5, v7 :: v_dual_cndmask_b32 v6, v6, v9
	s_delay_alu instid0(VALU_DEP_1) | instskip(NEXT) | instid1(VALU_DEP_2)
	v_add_nc_u32_e32 v7, 1, v5
	v_cmp_le_u32_e32 vcc_lo, s15, v6
	s_wait_alu 0xfffd
	s_delay_alu instid0(VALU_DEP_2) | instskip(NEXT) | instid1(VALU_DEP_1)
	v_cndmask_b32_e32 v5, v5, v7, vcc_lo
	v_mul_lo_u32 v6, v5, s15
	s_delay_alu instid0(VALU_DEP_1) | instskip(NEXT) | instid1(VALU_DEP_1)
	v_sub_nc_u32_e32 v2, v2, v6
	v_mad_co_u64_u32 v[1:2], null, s16, v2, v[1:2]
	s_cbranch_scc1 .LBB58_3
	s_branch .LBB58_5
.LBB58_4:
	v_mov_b32_e32 v5, v4
.LBB58_5:
	v_mul_lo_u32 v2, v3, s11
	v_add_nc_u32_e32 v6, 1, v3
	s_load_b32 s16, s[4:5], 0x6c
	s_add_nc_u64 s[6:7], s[0:1], 0x1c8
	v_mov_b32_e32 v10, 0
	s_load_b32 s6, s[6:7], 0xc
	s_clause 0x1
	s_load_b32 s7, s[0:1], 0x1c0
	s_load_b64 s[14:15], s[4:5], 0x0
	v_cmp_gt_u32_e64 s0, s8, v4
	v_sub_nc_u32_e32 v2, v4, v2
	v_mov_b32_e32 v11, 0
	s_delay_alu instid0(VALU_DEP_2) | instskip(SKIP_2) | instid1(VALU_DEP_2)
	v_subrev_nc_u32_e32 v7, s11, v2
	v_cmp_le_u32_e32 vcc_lo, s11, v2
	s_wait_alu 0xfffd
	v_dual_cndmask_b32 v3, v3, v6 :: v_dual_cndmask_b32 v2, v2, v7
	s_delay_alu instid0(VALU_DEP_1) | instskip(NEXT) | instid1(VALU_DEP_2)
	v_add_nc_u32_e32 v6, 1, v3
	v_cmp_le_u32_e32 vcc_lo, s11, v2
	s_wait_alu 0xfffd
	s_delay_alu instid0(VALU_DEP_2) | instskip(NEXT) | instid1(VALU_DEP_1)
	v_dual_cndmask_b32 v3, v3, v6 :: v_dual_and_b32 v6, 0x3ff, v0
	v_mul_lo_u32 v2, v3, s11
	s_delay_alu instid0(VALU_DEP_2) | instskip(NEXT) | instid1(VALU_DEP_2)
	v_cmp_gt_u32_e32 vcc_lo, s9, v6
	v_sub_nc_u32_e32 v2, v4, v2
	s_delay_alu instid0(VALU_DEP_1) | instskip(SKIP_1) | instid1(VALU_DEP_1)
	v_mul_lo_u32 v2, v2, s3
	s_wait_kmcnt 0x0
	v_mad_co_u64_u32 v[0:1], null, s16, v5, v[1:2]
	v_mad_co_u64_u32 v[1:2], null, v3, s2, v[2:3]
	v_mov_b32_e32 v2, 0
	v_dual_mov_b32 v4, 0 :: v_dual_mov_b32 v3, 0
	v_mov_b32_e32 v5, 0
	s_and_b32 s2, s0, vcc_lo
	s_wait_alu 0xfffe
	s_and_saveexec_b32 s3, s2
	s_cbranch_execz .LBB58_7
; %bb.6:
	v_mad_co_u64_u32 v[4:5], null, v6, s10, v[1:2]
	v_mov_b32_e32 v5, 0
	v_mad_co_u64_u32 v[11:12], null, v6, s7, v[0:1]
	s_delay_alu instid0(VALU_DEP_2) | instskip(NEXT) | instid1(VALU_DEP_4)
	v_mov_b32_e32 v12, v5
	v_lshlrev_b64_e32 v[4:5], 1, v[4:5]
	s_delay_alu instid0(VALU_DEP_2) | instskip(NEXT) | instid1(VALU_DEP_2)
	v_lshlrev_b64_e32 v[11:12], 3, v[11:12]
	v_add_co_u32 v4, s1, s12, v4
	s_delay_alu instid0(VALU_DEP_1) | instskip(NEXT) | instid1(VALU_DEP_3)
	v_add_co_ci_u32_e64 v5, null, s13, v5, s1
	v_add_co_u32 v13, s1, s14, v11
	s_wait_alu 0xf1ff
	s_delay_alu instid0(VALU_DEP_4)
	v_add_co_ci_u32_e64 v14, null, s15, v12, s1
	global_load_u16 v11, v[4:5], off
	global_load_b64 v[4:5], v[13:14], off
.LBB58_7:
	s_wait_alu 0xfffe
	s_or_b32 exec_lo, exec_lo, s3
	s_and_b32 s3, 0xffff, s6
	v_lshl_add_u32 v14, v8, 6, 0x1000
	s_wait_alu 0xfffe
	v_add_nc_u32_e32 v7, s3, v6
	v_lshlrev_b32_e32 v12, 8, v8
	v_lshl_add_u32 v15, v8, 5, 0x1400
	v_cndmask_b32_e64 v13, 0, 1, s2
	v_lshl_add_u32 v8, v6, 1, v14
	v_cmp_gt_u32_e64 s1, s9, v7
	v_lshl_add_u32 v9, v6, 3, v12
	v_add_nc_u32_e32 v16, v15, v6
	s_wait_loadcnt 0x1
	ds_store_b16 v8, v11
	s_wait_loadcnt 0x0
	ds_store_b64 v9, v[4:5]
	ds_store_b8 v16, v13
	s_and_b32 s4, s0, s1
	s_wait_alu 0xfffe
	s_and_saveexec_b32 s5, s4
	s_cbranch_execz .LBB58_9
; %bb.8:
	v_mad_co_u64_u32 v[2:3], null, v7, s10, v[1:2]
	v_mov_b32_e32 v3, 0
	v_mad_co_u64_u32 v[4:5], null, v7, s7, v[0:1]
	s_delay_alu instid0(VALU_DEP_2) | instskip(NEXT) | instid1(VALU_DEP_4)
	v_mov_b32_e32 v5, v3
	v_lshlrev_b64_e32 v[2:3], 1, v[2:3]
	s_delay_alu instid0(VALU_DEP_2) | instskip(NEXT) | instid1(VALU_DEP_2)
	v_lshlrev_b64_e32 v[4:5], 3, v[4:5]
	v_add_co_u32 v2, s2, s12, v2
	s_wait_alu 0xf1ff
	s_delay_alu instid0(VALU_DEP_3) | instskip(NEXT) | instid1(VALU_DEP_3)
	v_add_co_ci_u32_e64 v3, null, s13, v3, s2
	v_add_co_u32 v4, s2, s14, v4
	s_wait_alu 0xf1ff
	v_add_co_ci_u32_e64 v5, null, s15, v5, s2
	global_load_u16 v10, v[2:3], off
	global_load_b64 v[2:3], v[4:5], off
.LBB58_9:
	s_wait_alu 0xfffe
	s_or_b32 exec_lo, exec_lo, s5
	v_lshl_add_u32 v4, s3, 1, v8
	v_lshlrev_b32_e32 v16, 1, v6
	v_lshl_add_u32 v5, s3, 3, v9
	v_cndmask_b32_e64 v11, 0, 1, s4
	v_add_nc_u32_e32 v13, v15, v7
	s_wait_loadcnt 0x1
	ds_store_b16 v4, v10
	s_wait_loadcnt 0x0
	ds_store_b64 v5, v[2:3]
	ds_store_b8 v13, v11
	v_add_nc_u32_e32 v2, v8, v16
	v_add_nc_u32_e32 v3, v15, v16
	s_wait_dscnt 0x0
	s_barrier_signal -1
	s_barrier_wait -1
	global_inv scope:SCOPE_SE
	ds_load_b32 v11, v2
	ds_load_u16 v18, v3
	v_and_b32_e32 v10, 1, v6
	s_wait_dscnt 0x1
	v_lshrrev_b32_e32 v17, 16, v11
	s_wait_dscnt 0x0
	v_lshrrev_b16 v13, 8, v18
	v_and_b32_e32 v19, 1, v18
	v_cmp_o_f16_e64 s2, v11, v11
	v_cmp_u_f16_e64 s3, v17, v17
	s_delay_alu instid0(VALU_DEP_4)
	v_cmp_ne_u16_e64 s6, v13, v10
	v_cmp_lt_f16_e64 s4, v11, v17
	v_cmp_eq_u32_e64 s5, 1, v19
	s_and_b32 s2, s3, s2
	v_cndmask_b32_e64 v17, 0, 1, s6
	s_wait_alu 0xfffe
	s_or_b32 s2, s2, s4
	s_wait_alu 0xfffe
	s_and_b32 s2, s2, s5
	s_wait_alu 0xfffe
	v_cndmask_b32_e64 v17, v17, v6, s2
	s_delay_alu instid0(VALU_DEP_1) | instskip(NEXT) | instid1(VALU_DEP_1)
	v_and_b32_e32 v17, 1, v17
	v_cmp_eq_u32_e64 s2, 1, v17
	v_lshl_add_u32 v17, v6, 3, v9
	s_and_saveexec_b32 s3, s2
	s_wait_alu 0xfffe
	s_xor_b32 s2, exec_lo, s3
	s_cbranch_execz .LBB58_11
; %bb.10:
	ds_load_b128 v[19:22], v17
	v_lshlrev_b16 v18, 8, v18
	v_alignbit_b32 v11, v11, v11, 16
	s_delay_alu instid0(VALU_DEP_2)
	v_or_b32_e32 v13, v13, v18
	s_wait_dscnt 0x0
	v_dual_mov_b32 v23, v19 :: v_dual_mov_b32 v24, v20
	ds_store_b32 v2, v11
	ds_store_b128 v17, v[21:24]
	ds_store_b16 v3, v13
.LBB58_11:
	s_wait_alu 0xfffe
	s_or_b32 exec_lo, exec_lo, s2
	v_sub_nc_u32_e32 v13, v16, v10
	s_wait_loadcnt_dscnt 0x0
	s_barrier_signal -1
	s_barrier_wait -1
	global_inv scope:SCOPE_SE
	v_lshl_add_u32 v11, v13, 1, v14
	v_add_nc_u32_e32 v10, v15, v13
	v_bfe_u32 v20, v6, 1, 1
	v_lshl_add_u32 v13, v13, 3, v12
	ds_load_u16 v18, v11 offset:4
	ds_load_u8 v19, v10
	ds_load_u16 v22, v11
	ds_load_u8 v21, v10 offset:2
	s_wait_dscnt 0x3
	v_cmp_u_f16_e64 s2, v18, v18
	s_wait_dscnt 0x2
	v_and_b32_e32 v23, 1, v19
	s_wait_dscnt 0x1
	v_cmp_o_f16_e64 s3, v22, v22
	s_wait_dscnt 0x0
	v_cmp_ne_u16_e64 s5, v21, v20
	v_cmp_lt_f16_e64 s4, v22, v18
	s_and_b32 s2, s2, s3
	v_cndmask_b32_e64 v24, 0, 1, s5
	v_cmp_eq_u32_e64 s5, 1, v23
	s_wait_alu 0xfffe
	s_or_b32 s2, s2, s4
	s_wait_alu 0xfffe
	s_and_b32 s2, s2, s5
	s_wait_alu 0xfffe
	v_cndmask_b32_e64 v23, v24, v20, s2
	v_and_b32_e32 v20, 2, v6
	s_delay_alu instid0(VALU_DEP_2) | instskip(NEXT) | instid1(VALU_DEP_2)
	v_and_b32_e32 v23, 1, v23
	v_cmp_ne_u32_e64 s2, 0, v20
	s_delay_alu instid0(VALU_DEP_2)
	v_cmp_eq_u32_e64 s3, 1, v23
	s_and_saveexec_b32 s4, s3
	s_wait_alu 0xfffe
	s_xor_b32 s3, exec_lo, s4
	s_cbranch_execz .LBB58_13
; %bb.12:
	ds_load_2addr_b64 v[23:26], v13 offset1:2
	s_wait_dscnt 0x0
	ds_store_2addr_b64 v13, v[25:26], v[23:24] offset1:2
	ds_store_b16 v11, v18
	ds_store_b16 v11, v22 offset:4
	ds_store_b8 v10, v21
	ds_store_b8 v10, v19 offset:2
.LBB58_13:
	s_wait_alu 0xfffe
	s_or_b32 exec_lo, exec_lo, s3
	s_wait_loadcnt_dscnt 0x0
	s_barrier_signal -1
	s_barrier_wait -1
	global_inv scope:SCOPE_SE
	ds_load_b32 v18, v2
	ds_load_u16 v19, v3
	v_lshrrev_b32_e32 v21, 1, v20
	v_cndmask_b32_e64 v23, 0, 1, s2
	s_wait_dscnt 0x1
	v_lshrrev_b32_e32 v22, 16, v18
	s_wait_dscnt 0x0
	v_lshrrev_b16 v20, 8, v19
	v_and_b32_e32 v24, 1, v19
	v_cmp_o_f16_e64 s2, v18, v18
	v_cmp_u_f16_e64 s3, v22, v22
	s_delay_alu instid0(VALU_DEP_4)
	v_cmp_ne_u16_e64 s6, v20, v21
	v_cmp_lt_f16_e64 s4, v18, v22
	v_cmp_eq_u32_e64 s5, 1, v24
	s_and_b32 s2, s3, s2
	v_cndmask_b32_e64 v21, 0, 1, s6
	s_wait_alu 0xfffe
	s_or_b32 s2, s2, s4
	s_mov_b32 s3, exec_lo
	s_wait_alu 0xfffe
	s_and_b32 s2, s2, s5
	s_wait_alu 0xfffe
	v_cndmask_b32_e64 v21, v21, v23, s2
	s_delay_alu instid0(VALU_DEP_1) | instskip(NEXT) | instid1(VALU_DEP_1)
	v_and_b32_e32 v21, 1, v21
	v_cmpx_eq_u32_e32 1, v21
	s_cbranch_execz .LBB58_15
; %bb.14:
	ds_load_b128 v[21:24], v17
	v_lshlrev_b16 v19, 8, v19
	v_alignbit_b32 v18, v18, v18, 16
	s_delay_alu instid0(VALU_DEP_2)
	v_or_b32_e32 v19, v20, v19
	s_wait_dscnt 0x0
	v_dual_mov_b32 v25, v21 :: v_dual_mov_b32 v26, v22
	ds_store_b32 v2, v18
	ds_store_b128 v17, v[23:26]
	ds_store_b16 v3, v19
.LBB58_15:
	s_or_b32 exec_lo, exec_lo, s3
	v_and_b32_e32 v17, 3, v6
	s_wait_loadcnt_dscnt 0x0
	s_barrier_signal -1
	s_barrier_wait -1
	global_inv scope:SCOPE_SE
	v_sub_nc_u32_e32 v20, v16, v17
	v_bfe_u32 v21, v6, 2, 1
	s_delay_alu instid0(VALU_DEP_2)
	v_lshl_add_u32 v18, v20, 1, v14
	v_add_nc_u32_e32 v17, v15, v20
	v_lshl_add_u32 v20, v20, 3, v12
	ds_load_u16 v19, v18 offset:8
	ds_load_u8 v22, v17
	ds_load_u16 v24, v18
	ds_load_u8 v23, v17 offset:4
	s_wait_dscnt 0x3
	v_cmp_u_f16_e64 s2, v19, v19
	s_wait_dscnt 0x2
	v_and_b32_e32 v25, 1, v22
	s_wait_dscnt 0x1
	v_cmp_o_f16_e64 s3, v24, v24
	s_wait_dscnt 0x0
	v_cmp_ne_u16_e64 s5, v23, v21
	v_cmp_lt_f16_e64 s4, v24, v19
	s_and_b32 s2, s2, s3
	v_cndmask_b32_e64 v26, 0, 1, s5
	v_cmp_eq_u32_e64 s5, 1, v25
	s_wait_alu 0xfffe
	s_or_b32 s2, s2, s4
	s_mov_b32 s4, exec_lo
	s_wait_alu 0xfffe
	s_and_b32 s2, s2, s5
	s_wait_alu 0xfffe
	v_cndmask_b32_e64 v25, v26, v21, s2
	v_and_b32_e32 v21, 4, v6
	s_delay_alu instid0(VALU_DEP_2) | instskip(NEXT) | instid1(VALU_DEP_2)
	v_and_b32_e32 v25, 1, v25
	v_cmp_ne_u32_e64 s2, 0, v21
	s_delay_alu instid0(VALU_DEP_2)
	v_cmpx_eq_u32_e32 1, v25
	s_cbranch_execz .LBB58_17
; %bb.16:
	ds_load_2addr_b64 v[25:28], v20 offset1:4
	s_wait_dscnt 0x0
	ds_store_2addr_b64 v20, v[27:28], v[25:26] offset1:4
	ds_store_b16 v18, v19
	ds_store_b16 v18, v24 offset:8
	ds_store_b8 v17, v23
	ds_store_b8 v17, v22 offset:4
.LBB58_17:
	s_or_b32 exec_lo, exec_lo, s4
	s_wait_loadcnt_dscnt 0x0
	s_barrier_signal -1
	s_barrier_wait -1
	global_inv scope:SCOPE_SE
	ds_load_u16 v22, v11 offset:4
	ds_load_u8 v23, v10
	ds_load_u16 v25, v11
	ds_load_u8 v24, v10 offset:2
	v_lshrrev_b32_e32 v19, 2, v21
	v_cndmask_b32_e64 v21, 0, 1, s2
	s_wait_dscnt 0x3
	v_cmp_u_f16_e64 s2, v22, v22
	s_wait_dscnt 0x2
	v_and_b32_e32 v26, 1, v23
	s_wait_dscnt 0x1
	v_cmp_o_f16_e64 s3, v25, v25
	s_wait_dscnt 0x0
	v_cmp_ne_u16_e64 s5, v24, v19
	v_cmp_lt_f16_e64 s4, v25, v22
	s_and_b32 s2, s2, s3
	v_cndmask_b32_e64 v27, 0, 1, s5
	v_cmp_eq_u32_e64 s5, 1, v26
	s_wait_alu 0xfffe
	s_or_b32 s2, s2, s4
	s_mov_b32 s3, exec_lo
	s_wait_alu 0xfffe
	s_and_b32 s2, s2, s5
	s_wait_alu 0xfffe
	v_cndmask_b32_e64 v26, v27, v21, s2
	s_delay_alu instid0(VALU_DEP_1) | instskip(NEXT) | instid1(VALU_DEP_1)
	v_and_b32_e32 v26, 1, v26
	v_cmpx_eq_u32_e32 1, v26
	s_cbranch_execz .LBB58_19
; %bb.18:
	ds_load_2addr_b64 v[26:29], v13 offset1:2
	s_wait_dscnt 0x0
	ds_store_2addr_b64 v13, v[28:29], v[26:27] offset1:2
	ds_store_b16 v11, v22
	ds_store_b16 v11, v25 offset:4
	ds_store_b8 v10, v24
	ds_store_b8 v10, v23 offset:2
.LBB58_19:
	s_or_b32 exec_lo, exec_lo, s3
	s_wait_loadcnt_dscnt 0x0
	s_barrier_signal -1
	s_barrier_wait -1
	global_inv scope:SCOPE_SE
	ds_load_b32 v23, v2
	ds_load_u16 v24, v3
	s_wait_dscnt 0x1
	v_lshrrev_b32_e32 v25, 16, v23
	s_wait_dscnt 0x0
	v_lshrrev_b16 v22, 8, v24
	v_and_b32_e32 v26, 1, v24
	v_cmp_o_f16_e64 s2, v23, v23
	v_cmp_u_f16_e64 s3, v25, v25
	s_delay_alu instid0(VALU_DEP_4)
	v_cmp_ne_u16_e64 s6, v22, v19
	v_cmp_lt_f16_e64 s4, v23, v25
	v_cmp_eq_u32_e64 s5, 1, v26
	s_and_b32 s2, s3, s2
	v_cndmask_b32_e64 v19, 0, 1, s6
	s_wait_alu 0xfffe
	s_or_b32 s2, s2, s4
	s_wait_alu 0xfffe
	s_and_b32 s2, s2, s5
	s_wait_alu 0xfffe
	v_cndmask_b32_e64 v19, v19, v21, s2
	s_delay_alu instid0(VALU_DEP_1) | instskip(NEXT) | instid1(VALU_DEP_1)
	v_and_b32_e32 v19, 1, v19
	v_cmp_eq_u32_e64 s2, 1, v19
	v_lshl_add_u32 v19, v16, 3, v12
	s_and_saveexec_b32 s3, s2
	s_cbranch_execz .LBB58_21
; %bb.20:
	ds_load_b128 v[25:28], v19
	v_lshlrev_b16 v29, 8, v24
	v_alignbit_b32 v21, v23, v23, 16
	s_delay_alu instid0(VALU_DEP_2)
	v_or_b32_e32 v22, v22, v29
	s_wait_dscnt 0x0
	v_dual_mov_b32 v23, v27 :: v_dual_mov_b32 v24, v28
	ds_store_b32 v2, v21
	ds_store_b128 v19, v[23:26]
	ds_store_b16 v3, v22
.LBB58_21:
	s_wait_alu 0xfffe
	s_or_b32 exec_lo, exec_lo, s3
	v_and_b32_e32 v21, 7, v6
	s_wait_loadcnt_dscnt 0x0
	s_barrier_signal -1
	s_barrier_wait -1
	global_inv scope:SCOPE_SE
	v_sub_nc_u32_e32 v23, v16, v21
	v_bfe_u32 v25, v6, 3, 1
	s_delay_alu instid0(VALU_DEP_2)
	v_lshl_add_u32 v22, v23, 1, v14
	v_add_nc_u32_e32 v21, v15, v23
	v_lshl_add_u32 v23, v23, 3, v12
	ds_load_u16 v24, v22 offset:16
	ds_load_u8 v26, v21
	ds_load_u16 v28, v22
	ds_load_u8 v27, v21 offset:8
	s_wait_dscnt 0x3
	v_cmp_u_f16_e64 s2, v24, v24
	s_wait_dscnt 0x2
	v_and_b32_e32 v29, 1, v26
	s_wait_dscnt 0x1
	v_cmp_o_f16_e64 s3, v28, v28
	s_wait_dscnt 0x0
	v_cmp_ne_u16_e64 s5, v27, v25
	v_cmp_lt_f16_e64 s4, v28, v24
	s_and_b32 s2, s2, s3
	v_cndmask_b32_e64 v30, 0, 1, s5
	v_cmp_eq_u32_e64 s5, 1, v29
	s_wait_alu 0xfffe
	s_or_b32 s2, s2, s4
	s_mov_b32 s4, exec_lo
	s_wait_alu 0xfffe
	s_and_b32 s2, s2, s5
	s_wait_alu 0xfffe
	v_cndmask_b32_e64 v29, v30, v25, s2
	v_and_b32_e32 v25, 8, v6
	s_delay_alu instid0(VALU_DEP_2) | instskip(NEXT) | instid1(VALU_DEP_2)
	v_and_b32_e32 v29, 1, v29
	v_cmp_ne_u32_e64 s2, 0, v25
	s_delay_alu instid0(VALU_DEP_2)
	v_cmpx_eq_u32_e32 1, v29
	s_cbranch_execz .LBB58_23
; %bb.22:
	ds_load_2addr_b64 v[29:32], v23 offset1:8
	s_wait_dscnt 0x0
	ds_store_2addr_b64 v23, v[31:32], v[29:30] offset1:8
	ds_store_b16 v22, v24
	ds_store_b16 v22, v28 offset:16
	ds_store_b8 v21, v27
	ds_store_b8 v21, v26 offset:8
.LBB58_23:
	s_or_b32 exec_lo, exec_lo, s4
	s_wait_loadcnt_dscnt 0x0
	s_barrier_signal -1
	s_barrier_wait -1
	global_inv scope:SCOPE_SE
	ds_load_u16 v26, v18 offset:8
	ds_load_u8 v27, v17
	ds_load_u16 v29, v18
	ds_load_u8 v28, v17 offset:4
	v_lshrrev_b32_e32 v24, 3, v25
	v_cndmask_b32_e64 v25, 0, 1, s2
	s_wait_dscnt 0x3
	v_cmp_u_f16_e64 s2, v26, v26
	s_wait_dscnt 0x2
	v_and_b32_e32 v30, 1, v27
	s_wait_dscnt 0x1
	v_cmp_o_f16_e64 s3, v29, v29
	s_wait_dscnt 0x0
	v_cmp_ne_u16_e64 s5, v28, v24
	v_cmp_lt_f16_e64 s4, v29, v26
	s_and_b32 s2, s2, s3
	v_cndmask_b32_e64 v31, 0, 1, s5
	v_cmp_eq_u32_e64 s5, 1, v30
	s_wait_alu 0xfffe
	s_or_b32 s2, s2, s4
	s_mov_b32 s3, exec_lo
	s_wait_alu 0xfffe
	s_and_b32 s2, s2, s5
	s_wait_alu 0xfffe
	v_cndmask_b32_e64 v30, v31, v25, s2
	s_delay_alu instid0(VALU_DEP_1) | instskip(NEXT) | instid1(VALU_DEP_1)
	v_and_b32_e32 v30, 1, v30
	v_cmpx_eq_u32_e32 1, v30
	s_cbranch_execz .LBB58_25
; %bb.24:
	ds_load_2addr_b64 v[30:33], v20 offset1:4
	s_wait_dscnt 0x0
	ds_store_2addr_b64 v20, v[32:33], v[30:31] offset1:4
	ds_store_b16 v18, v26
	ds_store_b16 v18, v29 offset:8
	ds_store_b8 v17, v28
	ds_store_b8 v17, v27 offset:4
.LBB58_25:
	s_or_b32 exec_lo, exec_lo, s3
	s_wait_loadcnt_dscnt 0x0
	s_barrier_signal -1
	s_barrier_wait -1
	global_inv scope:SCOPE_SE
	ds_load_u16 v26, v11 offset:4
	ds_load_u8 v27, v10
	ds_load_u16 v29, v11
	ds_load_u8 v28, v10 offset:2
	s_wait_dscnt 0x3
	v_cmp_u_f16_e64 s2, v26, v26
	s_wait_dscnt 0x2
	v_and_b32_e32 v30, 1, v27
	s_wait_dscnt 0x1
	v_cmp_o_f16_e64 s3, v29, v29
	s_wait_dscnt 0x0
	v_cmp_ne_u16_e64 s5, v28, v24
	v_cmp_lt_f16_e64 s4, v29, v26
	s_and_b32 s2, s2, s3
	v_cndmask_b32_e64 v31, 0, 1, s5
	v_cmp_eq_u32_e64 s5, 1, v30
	s_wait_alu 0xfffe
	s_or_b32 s2, s2, s4
	s_mov_b32 s3, exec_lo
	s_wait_alu 0xfffe
	s_and_b32 s2, s2, s5
	s_wait_alu 0xfffe
	v_cndmask_b32_e64 v30, v31, v25, s2
	s_delay_alu instid0(VALU_DEP_1) | instskip(NEXT) | instid1(VALU_DEP_1)
	v_and_b32_e32 v30, 1, v30
	v_cmpx_eq_u32_e32 1, v30
	s_cbranch_execz .LBB58_27
; %bb.26:
	ds_load_2addr_b64 v[30:33], v13 offset1:2
	s_wait_dscnt 0x0
	ds_store_2addr_b64 v13, v[32:33], v[30:31] offset1:2
	ds_store_b16 v11, v26
	ds_store_b16 v11, v29 offset:4
	ds_store_b8 v10, v28
	ds_store_b8 v10, v27 offset:2
.LBB58_27:
	s_or_b32 exec_lo, exec_lo, s3
	s_wait_loadcnt_dscnt 0x0
	s_barrier_signal -1
	s_barrier_wait -1
	global_inv scope:SCOPE_SE
	ds_load_b32 v27, v2
	ds_load_u16 v28, v3
	s_wait_dscnt 0x1
	v_lshrrev_b32_e32 v29, 16, v27
	s_wait_dscnt 0x0
	v_lshrrev_b16 v26, 8, v28
	v_and_b32_e32 v30, 1, v28
	v_cmp_o_f16_e64 s2, v27, v27
	v_cmp_u_f16_e64 s3, v29, v29
	s_delay_alu instid0(VALU_DEP_4)
	v_cmp_ne_u16_e64 s6, v26, v24
	v_cmp_lt_f16_e64 s4, v27, v29
	v_cmp_eq_u32_e64 s5, 1, v30
	s_and_b32 s2, s3, s2
	v_cndmask_b32_e64 v24, 0, 1, s6
	s_wait_alu 0xfffe
	s_or_b32 s2, s2, s4
	s_mov_b32 s3, exec_lo
	s_wait_alu 0xfffe
	s_and_b32 s2, s2, s5
	s_wait_alu 0xfffe
	v_cndmask_b32_e64 v24, v24, v25, s2
	s_delay_alu instid0(VALU_DEP_1) | instskip(NEXT) | instid1(VALU_DEP_1)
	v_and_b32_e32 v24, 1, v24
	v_cmpx_eq_u32_e32 1, v24
	s_cbranch_execz .LBB58_29
; %bb.28:
	ds_load_b128 v[29:32], v19
	v_lshlrev_b16 v25, 8, v28
	v_alignbit_b32 v24, v27, v27, 16
	s_delay_alu instid0(VALU_DEP_2)
	v_or_b32_e32 v25, v26, v25
	s_wait_dscnt 0x0
	v_dual_mov_b32 v27, v31 :: v_dual_mov_b32 v28, v32
	ds_store_b32 v2, v24
	ds_store_b128 v19, v[27:30]
	ds_store_b16 v3, v25
.LBB58_29:
	s_or_b32 exec_lo, exec_lo, s3
	v_and_b32_e32 v24, 15, v6
	s_wait_loadcnt_dscnt 0x0
	s_barrier_signal -1
	s_barrier_wait -1
	global_inv scope:SCOPE_SE
	v_sub_nc_u32_e32 v24, v16, v24
	s_delay_alu instid0(VALU_DEP_1)
	v_lshl_add_u32 v16, v24, 1, v14
	v_add_nc_u32_e32 v14, v15, v24
	ds_load_u16 v15, v16 offset:32
	ds_load_u8 v25, v14
	ds_load_u16 v26, v16
	ds_load_u8 v27, v14 offset:16
	s_wait_dscnt 0x3
	v_cmp_u_f16_e64 s2, v15, v15
	s_wait_dscnt 0x2
	v_and_b32_e32 v28, 1, v25
	s_wait_dscnt 0x1
	v_cmp_o_f16_e64 s3, v26, v26
	v_cmp_lt_f16_e64 s4, v26, v15
	s_wait_dscnt 0x0
	v_and_b32_e32 v27, 0xff, v27
	v_cmp_eq_u32_e64 s5, 1, v28
	s_and_b32 s2, s2, s3
	s_wait_alu 0xfffe
	s_or_b32 s3, s2, s4
	v_cmp_ne_u16_e64 s2, 0, v27
	s_wait_alu 0xfffe
	s_and_b32 s3, s3, s5
	s_wait_alu 0xfffe
	s_xor_b32 s3, s3, -1
	s_wait_alu 0xfffe
	s_and_b32 s3, s3, s2
	s_wait_alu 0xfffe
	s_and_saveexec_b32 s2, s3
	s_cbranch_execz .LBB58_31
; %bb.30:
	v_lshl_add_u32 v12, v24, 3, v12
	v_mov_b32_e32 v24, 1
	ds_load_2addr_b64 v[27:30], v12 offset1:16
	s_wait_dscnt 0x0
	ds_store_2addr_b64 v12, v[29:30], v[27:28] offset1:16
	ds_store_b16 v16, v15
	ds_store_b16 v16, v26 offset:32
	ds_store_b8 v14, v24
	ds_store_b8 v14, v25 offset:16
.LBB58_31:
	s_wait_alu 0xfffe
	s_or_b32 exec_lo, exec_lo, s2
	s_wait_loadcnt_dscnt 0x0
	s_barrier_signal -1
	s_barrier_wait -1
	global_inv scope:SCOPE_SE
	ds_load_u16 v12, v22 offset:16
	ds_load_u8 v14, v21
	ds_load_u16 v15, v22
	ds_load_u8 v16, v21 offset:8
	s_wait_dscnt 0x3
	v_cmp_u_f16_e64 s2, v12, v12
	s_wait_dscnt 0x2
	v_and_b32_e32 v24, 1, v14
	s_wait_dscnt 0x1
	v_cmp_o_f16_e64 s3, v15, v15
	v_cmp_lt_f16_e64 s4, v15, v12
	s_wait_dscnt 0x0
	v_and_b32_e32 v16, 0xff, v16
	v_cmp_eq_u32_e64 s5, 1, v24
	s_and_b32 s2, s2, s3
	s_wait_alu 0xfffe
	s_or_b32 s3, s2, s4
	v_cmp_ne_u16_e64 s2, 0, v16
	s_wait_alu 0xfffe
	s_and_b32 s3, s3, s5
	s_wait_alu 0xfffe
	s_xor_b32 s3, s3, -1
	s_wait_alu 0xfffe
	s_and_b32 s3, s3, s2
	s_wait_alu 0xfffe
	s_and_saveexec_b32 s2, s3
	s_cbranch_execz .LBB58_33
; %bb.32:
	ds_load_2addr_b64 v[24:27], v23 offset1:8
	v_mov_b32_e32 v16, 1
	s_wait_dscnt 0x0
	ds_store_2addr_b64 v23, v[26:27], v[24:25] offset1:8
	ds_store_b16 v22, v12
	ds_store_b16 v22, v15 offset:16
	ds_store_b8 v21, v16
	ds_store_b8 v21, v14 offset:8
.LBB58_33:
	s_wait_alu 0xfffe
	s_or_b32 exec_lo, exec_lo, s2
	s_wait_loadcnt_dscnt 0x0
	s_barrier_signal -1
	s_barrier_wait -1
	global_inv scope:SCOPE_SE
	ds_load_u16 v12, v18 offset:8
	ds_load_u8 v14, v17
	ds_load_u16 v15, v18
	ds_load_u8 v16, v17 offset:4
	s_wait_dscnt 0x3
	v_cmp_u_f16_e64 s2, v12, v12
	s_wait_dscnt 0x2
	v_and_b32_e32 v21, 1, v14
	s_wait_dscnt 0x1
	v_cmp_o_f16_e64 s3, v15, v15
	v_cmp_lt_f16_e64 s4, v15, v12
	s_wait_dscnt 0x0
	v_and_b32_e32 v16, 0xff, v16
	v_cmp_eq_u32_e64 s5, 1, v21
	s_and_b32 s2, s2, s3
	s_wait_alu 0xfffe
	s_or_b32 s3, s2, s4
	v_cmp_ne_u16_e64 s2, 0, v16
	s_wait_alu 0xfffe
	s_and_b32 s3, s3, s5
	s_wait_alu 0xfffe
	s_xor_b32 s3, s3, -1
	s_wait_alu 0xfffe
	s_and_b32 s3, s3, s2
	s_wait_alu 0xfffe
	s_and_saveexec_b32 s2, s3
	s_cbranch_execz .LBB58_35
; %bb.34:
	ds_load_2addr_b64 v[21:24], v20 offset1:4
	v_mov_b32_e32 v16, 1
	s_wait_dscnt 0x0
	ds_store_2addr_b64 v20, v[23:24], v[21:22] offset1:4
	ds_store_b16 v18, v12
	ds_store_b16 v18, v15 offset:8
	ds_store_b8 v17, v16
	ds_store_b8 v17, v14 offset:4
.LBB58_35:
	;; [unrolled: 43-line block ×3, first 2 shown]
	s_wait_alu 0xfffe
	s_or_b32 exec_lo, exec_lo, s2
	s_wait_loadcnt_dscnt 0x0
	s_barrier_signal -1
	s_barrier_wait -1
	global_inv scope:SCOPE_SE
	ds_load_b32 v10, v2
	ds_load_u16 v11, v3
	s_wait_dscnt 0x1
	v_lshrrev_b32_e32 v12, 16, v10
	s_wait_dscnt 0x0
	v_and_b32_e32 v13, 1, v11
	v_cmp_o_f16_e64 s3, v10, v10
	s_delay_alu instid0(VALU_DEP_3)
	v_cmp_u_f16_e64 s2, v12, v12
	v_cmp_lt_f16_e64 s4, v10, v12
	v_lshrrev_b16 v12, 8, v11
	v_cmp_eq_u32_e64 s5, 1, v13
	s_and_b32 s2, s2, s3
	s_wait_alu 0xfffe
	s_or_b32 s3, s2, s4
	v_cmp_ne_u16_e64 s2, 0, v12
	s_wait_alu 0xfffe
	s_and_b32 s3, s3, s5
	s_wait_alu 0xfffe
	s_xor_b32 s3, s3, -1
	s_wait_alu 0xfffe
	s_and_b32 s3, s3, s2
	s_wait_alu 0xfffe
	s_and_saveexec_b32 s2, s3
	s_cbranch_execz .LBB58_39
; %bb.38:
	ds_load_b128 v[12:15], v19
	v_lshlrev_b16 v17, 8, v11
	v_alignbit_b32 v16, v10, v10, 16
	s_wait_dscnt 0x0
	v_dual_mov_b32 v10, v14 :: v_dual_mov_b32 v11, v15
	s_delay_alu instid0(VALU_DEP_3)
	v_or_b32_e32 v14, 1, v17
	ds_store_b32 v2, v16
	ds_store_b128 v19, v[10:13]
	ds_store_b16 v3, v14
.LBB58_39:
	s_wait_alu 0xfffe
	s_or_b32 exec_lo, exec_lo, s2
	s_wait_loadcnt_dscnt 0x0
	s_barrier_signal -1
	s_barrier_wait -1
	global_inv scope:SCOPE_SE
	s_and_saveexec_b32 s2, s0
	s_cbranch_execz .LBB58_44
; %bb.40:
	s_and_saveexec_b32 s0, vcc_lo
	s_cbranch_execz .LBB58_42
; %bb.41:
	v_mad_co_u64_u32 v[2:3], null, v6, s10, v[1:2]
	v_mov_b32_e32 v3, 0
	v_mad_co_u64_u32 v[10:11], null, v6, s7, v[0:1]
	ds_load_u16 v6, v8
	ds_load_b64 v[8:9], v9
	v_mov_b32_e32 v11, v3
	v_lshlrev_b64_e32 v[2:3], 1, v[2:3]
	s_delay_alu instid0(VALU_DEP_2) | instskip(NEXT) | instid1(VALU_DEP_2)
	v_lshlrev_b64_e32 v[10:11], 3, v[10:11]
	v_add_co_u32 v2, vcc_lo, s12, v2
	s_wait_alu 0xfffd
	s_delay_alu instid0(VALU_DEP_3) | instskip(NEXT) | instid1(VALU_DEP_3)
	v_add_co_ci_u32_e64 v3, null, s13, v3, vcc_lo
	v_add_co_u32 v10, vcc_lo, s14, v10
	s_wait_alu 0xfffd
	v_add_co_ci_u32_e64 v11, null, s15, v11, vcc_lo
	s_wait_dscnt 0x1
	global_store_b16 v[2:3], v6, off
	s_wait_dscnt 0x0
	global_store_b64 v[10:11], v[8:9], off
.LBB58_42:
	s_wait_alu 0xfffe
	s_or_b32 exec_lo, exec_lo, s0
	s_delay_alu instid0(SALU_CYCLE_1)
	s_and_b32 exec_lo, exec_lo, s1
	s_cbranch_execz .LBB58_44
; %bb.43:
	v_mad_co_u64_u32 v[1:2], null, v7, s10, v[1:2]
	v_mov_b32_e32 v2, 0
	ds_load_u16 v8, v4
	ds_load_b64 v[3:4], v5
	v_mad_co_u64_u32 v[6:7], null, v7, s7, v[0:1]
	v_mov_b32_e32 v7, v2
	v_lshlrev_b64_e32 v[0:1], 1, v[1:2]
	s_delay_alu instid0(VALU_DEP_2) | instskip(NEXT) | instid1(VALU_DEP_2)
	v_lshlrev_b64_e32 v[5:6], 3, v[6:7]
	v_add_co_u32 v0, vcc_lo, s12, v0
	s_wait_alu 0xfffd
	s_delay_alu instid0(VALU_DEP_3) | instskip(NEXT) | instid1(VALU_DEP_3)
	v_add_co_ci_u32_e64 v1, null, s13, v1, vcc_lo
	v_add_co_u32 v5, vcc_lo, s14, v5
	s_wait_alu 0xfffd
	v_add_co_ci_u32_e64 v6, null, s15, v6, vcc_lo
	s_wait_dscnt 0x1
	global_store_b16 v[0:1], v8, off
	s_wait_dscnt 0x0
	global_store_b64 v[5:6], v[3:4], off
.LBB58_44:
	s_endpgm
	.section	.rodata,"a",@progbits
	.p2align	6, 0x0
	.amdhsa_kernel _ZN2at6native20bitonicSortKVInPlaceILi2ELin1ELi16ELi16EN3c104HalfElNS0_4LTOpIS3_Lb1EEEjEEvNS_4cuda6detail10TensorInfoIT3_T6_EESA_SA_SA_NS8_IT4_SA_EESA_T5_
		.amdhsa_group_segment_fixed_size 5632
		.amdhsa_private_segment_fixed_size 0
		.amdhsa_kernarg_size 712
		.amdhsa_user_sgpr_count 2
		.amdhsa_user_sgpr_dispatch_ptr 0
		.amdhsa_user_sgpr_queue_ptr 0
		.amdhsa_user_sgpr_kernarg_segment_ptr 1
		.amdhsa_user_sgpr_dispatch_id 0
		.amdhsa_user_sgpr_private_segment_size 0
		.amdhsa_wavefront_size32 1
		.amdhsa_uses_dynamic_stack 0
		.amdhsa_enable_private_segment 0
		.amdhsa_system_sgpr_workgroup_id_x 1
		.amdhsa_system_sgpr_workgroup_id_y 1
		.amdhsa_system_sgpr_workgroup_id_z 1
		.amdhsa_system_sgpr_workgroup_info 0
		.amdhsa_system_vgpr_workitem_id 1
		.amdhsa_next_free_vgpr 34
		.amdhsa_next_free_sgpr 19
		.amdhsa_reserve_vcc 1
		.amdhsa_float_round_mode_32 0
		.amdhsa_float_round_mode_16_64 0
		.amdhsa_float_denorm_mode_32 3
		.amdhsa_float_denorm_mode_16_64 3
		.amdhsa_fp16_overflow 0
		.amdhsa_workgroup_processor_mode 1
		.amdhsa_memory_ordered 1
		.amdhsa_forward_progress 1
		.amdhsa_inst_pref_size 42
		.amdhsa_round_robin_scheduling 0
		.amdhsa_exception_fp_ieee_invalid_op 0
		.amdhsa_exception_fp_denorm_src 0
		.amdhsa_exception_fp_ieee_div_zero 0
		.amdhsa_exception_fp_ieee_overflow 0
		.amdhsa_exception_fp_ieee_underflow 0
		.amdhsa_exception_fp_ieee_inexact 0
		.amdhsa_exception_int_div_zero 0
	.end_amdhsa_kernel
	.section	.text._ZN2at6native20bitonicSortKVInPlaceILi2ELin1ELi16ELi16EN3c104HalfElNS0_4LTOpIS3_Lb1EEEjEEvNS_4cuda6detail10TensorInfoIT3_T6_EESA_SA_SA_NS8_IT4_SA_EESA_T5_,"axG",@progbits,_ZN2at6native20bitonicSortKVInPlaceILi2ELin1ELi16ELi16EN3c104HalfElNS0_4LTOpIS3_Lb1EEEjEEvNS_4cuda6detail10TensorInfoIT3_T6_EESA_SA_SA_NS8_IT4_SA_EESA_T5_,comdat
.Lfunc_end58:
	.size	_ZN2at6native20bitonicSortKVInPlaceILi2ELin1ELi16ELi16EN3c104HalfElNS0_4LTOpIS3_Lb1EEEjEEvNS_4cuda6detail10TensorInfoIT3_T6_EESA_SA_SA_NS8_IT4_SA_EESA_T5_, .Lfunc_end58-_ZN2at6native20bitonicSortKVInPlaceILi2ELin1ELi16ELi16EN3c104HalfElNS0_4LTOpIS3_Lb1EEEjEEvNS_4cuda6detail10TensorInfoIT3_T6_EESA_SA_SA_NS8_IT4_SA_EESA_T5_
                                        ; -- End function
	.set _ZN2at6native20bitonicSortKVInPlaceILi2ELin1ELi16ELi16EN3c104HalfElNS0_4LTOpIS3_Lb1EEEjEEvNS_4cuda6detail10TensorInfoIT3_T6_EESA_SA_SA_NS8_IT4_SA_EESA_T5_.num_vgpr, 34
	.set _ZN2at6native20bitonicSortKVInPlaceILi2ELin1ELi16ELi16EN3c104HalfElNS0_4LTOpIS3_Lb1EEEjEEvNS_4cuda6detail10TensorInfoIT3_T6_EESA_SA_SA_NS8_IT4_SA_EESA_T5_.num_agpr, 0
	.set _ZN2at6native20bitonicSortKVInPlaceILi2ELin1ELi16ELi16EN3c104HalfElNS0_4LTOpIS3_Lb1EEEjEEvNS_4cuda6detail10TensorInfoIT3_T6_EESA_SA_SA_NS8_IT4_SA_EESA_T5_.numbered_sgpr, 19
	.set _ZN2at6native20bitonicSortKVInPlaceILi2ELin1ELi16ELi16EN3c104HalfElNS0_4LTOpIS3_Lb1EEEjEEvNS_4cuda6detail10TensorInfoIT3_T6_EESA_SA_SA_NS8_IT4_SA_EESA_T5_.num_named_barrier, 0
	.set _ZN2at6native20bitonicSortKVInPlaceILi2ELin1ELi16ELi16EN3c104HalfElNS0_4LTOpIS3_Lb1EEEjEEvNS_4cuda6detail10TensorInfoIT3_T6_EESA_SA_SA_NS8_IT4_SA_EESA_T5_.private_seg_size, 0
	.set _ZN2at6native20bitonicSortKVInPlaceILi2ELin1ELi16ELi16EN3c104HalfElNS0_4LTOpIS3_Lb1EEEjEEvNS_4cuda6detail10TensorInfoIT3_T6_EESA_SA_SA_NS8_IT4_SA_EESA_T5_.uses_vcc, 1
	.set _ZN2at6native20bitonicSortKVInPlaceILi2ELin1ELi16ELi16EN3c104HalfElNS0_4LTOpIS3_Lb1EEEjEEvNS_4cuda6detail10TensorInfoIT3_T6_EESA_SA_SA_NS8_IT4_SA_EESA_T5_.uses_flat_scratch, 0
	.set _ZN2at6native20bitonicSortKVInPlaceILi2ELin1ELi16ELi16EN3c104HalfElNS0_4LTOpIS3_Lb1EEEjEEvNS_4cuda6detail10TensorInfoIT3_T6_EESA_SA_SA_NS8_IT4_SA_EESA_T5_.has_dyn_sized_stack, 0
	.set _ZN2at6native20bitonicSortKVInPlaceILi2ELin1ELi16ELi16EN3c104HalfElNS0_4LTOpIS3_Lb1EEEjEEvNS_4cuda6detail10TensorInfoIT3_T6_EESA_SA_SA_NS8_IT4_SA_EESA_T5_.has_recursion, 0
	.set _ZN2at6native20bitonicSortKVInPlaceILi2ELin1ELi16ELi16EN3c104HalfElNS0_4LTOpIS3_Lb1EEEjEEvNS_4cuda6detail10TensorInfoIT3_T6_EESA_SA_SA_NS8_IT4_SA_EESA_T5_.has_indirect_call, 0
	.section	.AMDGPU.csdata,"",@progbits
; Kernel info:
; codeLenInByte = 5276
; TotalNumSgprs: 21
; NumVgprs: 34
; ScratchSize: 0
; MemoryBound: 0
; FloatMode: 240
; IeeeMode: 1
; LDSByteSize: 5632 bytes/workgroup (compile time only)
; SGPRBlocks: 0
; VGPRBlocks: 4
; NumSGPRsForWavesPerEU: 21
; NumVGPRsForWavesPerEU: 34
; Occupancy: 16
; WaveLimiterHint : 1
; COMPUTE_PGM_RSRC2:SCRATCH_EN: 0
; COMPUTE_PGM_RSRC2:USER_SGPR: 2
; COMPUTE_PGM_RSRC2:TRAP_HANDLER: 0
; COMPUTE_PGM_RSRC2:TGID_X_EN: 1
; COMPUTE_PGM_RSRC2:TGID_Y_EN: 1
; COMPUTE_PGM_RSRC2:TGID_Z_EN: 1
; COMPUTE_PGM_RSRC2:TIDIG_COMP_CNT: 1
	.section	.text._ZN2at6native20bitonicSortKVInPlaceILi2ELin1ELi16ELi16EN3c104HalfElNS0_4GTOpIS3_Lb1EEEjEEvNS_4cuda6detail10TensorInfoIT3_T6_EESA_SA_SA_NS8_IT4_SA_EESA_T5_,"axG",@progbits,_ZN2at6native20bitonicSortKVInPlaceILi2ELin1ELi16ELi16EN3c104HalfElNS0_4GTOpIS3_Lb1EEEjEEvNS_4cuda6detail10TensorInfoIT3_T6_EESA_SA_SA_NS8_IT4_SA_EESA_T5_,comdat
	.protected	_ZN2at6native20bitonicSortKVInPlaceILi2ELin1ELi16ELi16EN3c104HalfElNS0_4GTOpIS3_Lb1EEEjEEvNS_4cuda6detail10TensorInfoIT3_T6_EESA_SA_SA_NS8_IT4_SA_EESA_T5_ ; -- Begin function _ZN2at6native20bitonicSortKVInPlaceILi2ELin1ELi16ELi16EN3c104HalfElNS0_4GTOpIS3_Lb1EEEjEEvNS_4cuda6detail10TensorInfoIT3_T6_EESA_SA_SA_NS8_IT4_SA_EESA_T5_
	.globl	_ZN2at6native20bitonicSortKVInPlaceILi2ELin1ELi16ELi16EN3c104HalfElNS0_4GTOpIS3_Lb1EEEjEEvNS_4cuda6detail10TensorInfoIT3_T6_EESA_SA_SA_NS8_IT4_SA_EESA_T5_
	.p2align	8
	.type	_ZN2at6native20bitonicSortKVInPlaceILi2ELin1ELi16ELi16EN3c104HalfElNS0_4GTOpIS3_Lb1EEEjEEvNS_4cuda6detail10TensorInfoIT3_T6_EESA_SA_SA_NS8_IT4_SA_EESA_T5_,@function
_ZN2at6native20bitonicSortKVInPlaceILi2ELin1ELi16ELi16EN3c104HalfElNS0_4GTOpIS3_Lb1EEEjEEvNS_4cuda6detail10TensorInfoIT3_T6_EESA_SA_SA_NS8_IT4_SA_EESA_T5_: ; @_ZN2at6native20bitonicSortKVInPlaceILi2ELin1ELi16ELi16EN3c104HalfElNS0_4GTOpIS3_Lb1EEEjEEvNS_4cuda6detail10TensorInfoIT3_T6_EESA_SA_SA_NS8_IT4_SA_EESA_T5_
; %bb.0:
	s_clause 0x2
	s_load_b64 s[2:3], s[0:1], 0x1c8
	s_load_u16 s4, s[0:1], 0x1d6
	s_load_b96 s[8:10], s[0:1], 0xd8
	s_lshr_b32 s5, ttmp7, 16
	s_wait_kmcnt 0x0
	s_mul_i32 s3, s3, s5
	s_and_b32 s5, ttmp7, 0xffff
	s_delay_alu instid0(SALU_CYCLE_1) | instskip(NEXT) | instid1(SALU_CYCLE_1)
	s_add_co_i32 s3, s3, s5
	s_mul_i32 s2, s3, s2
	s_delay_alu instid0(SALU_CYCLE_1) | instskip(NEXT) | instid1(SALU_CYCLE_1)
	s_add_co_i32 s2, s2, ttmp9
	s_mul_i32 s4, s2, s4
	s_delay_alu instid0(SALU_CYCLE_1)
	s_cmp_ge_u32 s4, s8
	s_cbranch_scc1 .LBB59_44
; %bb.1:
	s_clause 0x3
	s_load_b32 s11, s[0:1], 0xc
	s_load_b64 s[2:3], s[0:1], 0x6c
	s_load_b32 s14, s[0:1], 0x1b8
	s_load_b64 s[12:13], s[0:1], 0x0
	v_bfe_u32 v8, v0, 10, 10
	s_mov_b32 s7, 0
	s_delay_alu instid0(VALU_DEP_1) | instskip(SKIP_4) | instid1(SALU_CYCLE_1)
	v_add_nc_u32_e32 v4, s4, v8
	s_wait_kmcnt 0x0
	s_cvt_f32_u32 s5, s11
	s_sub_co_i32 s6, 0, s11
	s_wait_alu 0xfffe
	v_rcp_iflag_f32_e32 v1, s5
	s_delay_alu instid0(TRANS32_DEP_1) | instskip(SKIP_3) | instid1(SALU_CYCLE_2)
	v_readfirstlane_b32 s5, v1
	v_mov_b32_e32 v1, 0
	s_mul_f32 s5, s5, 0x4f7ffffe
	s_wait_alu 0xfffe
	s_cvt_u32_f32 s5, s5
	s_wait_alu 0xfffe
	s_delay_alu instid0(SALU_CYCLE_2) | instskip(NEXT) | instid1(SALU_CYCLE_1)
	s_mul_i32 s6, s6, s5
	s_mul_hi_u32 s4, s5, s6
	s_wait_alu 0xfffe
	s_add_co_i32 s5, s5, s4
	s_cmp_lt_i32 s14, 2
	s_wait_alu 0xfffe
	v_mad_co_u64_u32 v[2:3], null, v4, s5, 0
	s_add_nc_u64 s[4:5], s[0:1], 0xe8
	s_cbranch_scc1 .LBB59_4
; %bb.2:
	s_add_co_i32 s6, s14, -1
	v_mov_b32_e32 v1, 0
	s_lshl_b64 s[6:7], s[6:7], 2
	v_mov_b32_e32 v5, v4
	s_wait_alu 0xfffe
	s_add_nc_u64 s[6:7], s[4:5], s[6:7]
	s_add_co_i32 s14, s14, 1
	s_add_nc_u64 s[6:7], s[6:7], 8
.LBB59_3:                               ; =>This Inner Loop Header: Depth=1
	s_clause 0x1
	s_load_b32 s15, s[6:7], 0x0
	s_load_b32 s16, s[6:7], 0x64
	s_add_co_i32 s14, s14, -1
	s_add_nc_u64 s[6:7], s[6:7], -4
	s_wait_kmcnt 0x0
	s_cvt_f32_u32 s17, s15
	s_sub_co_i32 s18, 0, s15
	s_wait_alu 0xfffe
	s_delay_alu instid0(SALU_CYCLE_1) | instskip(NEXT) | instid1(TRANS32_DEP_1)
	v_rcp_iflag_f32_e32 v2, s17
	v_readfirstlane_b32 s17, v2
	v_mov_b32_e32 v2, v5
	s_mul_f32 s17, s17, 0x4f7ffffe
	s_wait_alu 0xfffe
	s_delay_alu instid0(SALU_CYCLE_2) | instskip(SKIP_1) | instid1(SALU_CYCLE_2)
	s_cvt_u32_f32 s17, s17
	s_wait_alu 0xfffe
	s_mul_i32 s18, s18, s17
	s_delay_alu instid0(SALU_CYCLE_1) | instskip(NEXT) | instid1(SALU_CYCLE_1)
	s_mul_hi_u32 s18, s17, s18
	s_add_co_i32 s17, s17, s18
	s_cmp_gt_u32 s14, 2
	s_wait_alu 0xfffe
	v_mul_hi_u32 v5, v2, s17
	s_delay_alu instid0(VALU_DEP_1) | instskip(SKIP_1) | instid1(VALU_DEP_2)
	v_mul_lo_u32 v6, v5, s15
	v_add_nc_u32_e32 v7, 1, v5
	v_sub_nc_u32_e32 v6, v2, v6
	s_delay_alu instid0(VALU_DEP_1) | instskip(SKIP_2) | instid1(VALU_DEP_2)
	v_subrev_nc_u32_e32 v9, s15, v6
	v_cmp_le_u32_e32 vcc_lo, s15, v6
	s_wait_alu 0xfffd
	v_dual_cndmask_b32 v5, v5, v7 :: v_dual_cndmask_b32 v6, v6, v9
	s_delay_alu instid0(VALU_DEP_1) | instskip(NEXT) | instid1(VALU_DEP_2)
	v_add_nc_u32_e32 v7, 1, v5
	v_cmp_le_u32_e32 vcc_lo, s15, v6
	s_wait_alu 0xfffd
	s_delay_alu instid0(VALU_DEP_2) | instskip(NEXT) | instid1(VALU_DEP_1)
	v_cndmask_b32_e32 v5, v5, v7, vcc_lo
	v_mul_lo_u32 v6, v5, s15
	s_delay_alu instid0(VALU_DEP_1) | instskip(NEXT) | instid1(VALU_DEP_1)
	v_sub_nc_u32_e32 v2, v2, v6
	v_mad_co_u64_u32 v[1:2], null, s16, v2, v[1:2]
	s_cbranch_scc1 .LBB59_3
	s_branch .LBB59_5
.LBB59_4:
	v_mov_b32_e32 v5, v4
.LBB59_5:
	v_mul_lo_u32 v2, v3, s11
	v_add_nc_u32_e32 v6, 1, v3
	s_load_b32 s16, s[4:5], 0x6c
	s_add_nc_u64 s[6:7], s[0:1], 0x1c8
	v_mov_b32_e32 v10, 0
	s_load_b32 s6, s[6:7], 0xc
	s_clause 0x1
	s_load_b32 s7, s[0:1], 0x1c0
	s_load_b64 s[14:15], s[4:5], 0x0
	v_cmp_gt_u32_e64 s0, s8, v4
	v_sub_nc_u32_e32 v2, v4, v2
	v_mov_b32_e32 v11, 0
	s_delay_alu instid0(VALU_DEP_2) | instskip(SKIP_2) | instid1(VALU_DEP_2)
	v_subrev_nc_u32_e32 v7, s11, v2
	v_cmp_le_u32_e32 vcc_lo, s11, v2
	s_wait_alu 0xfffd
	v_dual_cndmask_b32 v3, v3, v6 :: v_dual_cndmask_b32 v2, v2, v7
	s_delay_alu instid0(VALU_DEP_1) | instskip(NEXT) | instid1(VALU_DEP_2)
	v_add_nc_u32_e32 v6, 1, v3
	v_cmp_le_u32_e32 vcc_lo, s11, v2
	s_wait_alu 0xfffd
	s_delay_alu instid0(VALU_DEP_2) | instskip(NEXT) | instid1(VALU_DEP_1)
	v_dual_cndmask_b32 v3, v3, v6 :: v_dual_and_b32 v6, 0x3ff, v0
	v_mul_lo_u32 v2, v3, s11
	s_delay_alu instid0(VALU_DEP_2) | instskip(NEXT) | instid1(VALU_DEP_2)
	v_cmp_gt_u32_e32 vcc_lo, s9, v6
	v_sub_nc_u32_e32 v2, v4, v2
	s_delay_alu instid0(VALU_DEP_1) | instskip(SKIP_1) | instid1(VALU_DEP_1)
	v_mul_lo_u32 v2, v2, s3
	s_wait_kmcnt 0x0
	v_mad_co_u64_u32 v[0:1], null, s16, v5, v[1:2]
	v_mad_co_u64_u32 v[1:2], null, v3, s2, v[2:3]
	v_mov_b32_e32 v2, 0
	v_dual_mov_b32 v4, 0 :: v_dual_mov_b32 v3, 0
	v_mov_b32_e32 v5, 0
	s_and_b32 s2, s0, vcc_lo
	s_wait_alu 0xfffe
	s_and_saveexec_b32 s3, s2
	s_cbranch_execz .LBB59_7
; %bb.6:
	v_mad_co_u64_u32 v[4:5], null, v6, s10, v[1:2]
	v_mov_b32_e32 v5, 0
	v_mad_co_u64_u32 v[11:12], null, v6, s7, v[0:1]
	s_delay_alu instid0(VALU_DEP_2) | instskip(NEXT) | instid1(VALU_DEP_4)
	v_mov_b32_e32 v12, v5
	v_lshlrev_b64_e32 v[4:5], 1, v[4:5]
	s_delay_alu instid0(VALU_DEP_2) | instskip(NEXT) | instid1(VALU_DEP_2)
	v_lshlrev_b64_e32 v[11:12], 3, v[11:12]
	v_add_co_u32 v4, s1, s12, v4
	s_delay_alu instid0(VALU_DEP_1) | instskip(NEXT) | instid1(VALU_DEP_3)
	v_add_co_ci_u32_e64 v5, null, s13, v5, s1
	v_add_co_u32 v13, s1, s14, v11
	s_wait_alu 0xf1ff
	s_delay_alu instid0(VALU_DEP_4)
	v_add_co_ci_u32_e64 v14, null, s15, v12, s1
	global_load_u16 v11, v[4:5], off
	global_load_b64 v[4:5], v[13:14], off
.LBB59_7:
	s_wait_alu 0xfffe
	s_or_b32 exec_lo, exec_lo, s3
	s_and_b32 s3, 0xffff, s6
	v_lshl_add_u32 v14, v8, 6, 0x1000
	s_wait_alu 0xfffe
	v_add_nc_u32_e32 v7, s3, v6
	v_lshlrev_b32_e32 v12, 8, v8
	v_lshl_add_u32 v15, v8, 5, 0x1400
	v_cndmask_b32_e64 v13, 0, 1, s2
	v_lshl_add_u32 v8, v6, 1, v14
	v_cmp_gt_u32_e64 s1, s9, v7
	v_lshl_add_u32 v9, v6, 3, v12
	v_add_nc_u32_e32 v16, v15, v6
	s_wait_loadcnt 0x1
	ds_store_b16 v8, v11
	s_wait_loadcnt 0x0
	ds_store_b64 v9, v[4:5]
	ds_store_b8 v16, v13
	s_and_b32 s4, s0, s1
	s_wait_alu 0xfffe
	s_and_saveexec_b32 s5, s4
	s_cbranch_execz .LBB59_9
; %bb.8:
	v_mad_co_u64_u32 v[2:3], null, v7, s10, v[1:2]
	v_mov_b32_e32 v3, 0
	v_mad_co_u64_u32 v[4:5], null, v7, s7, v[0:1]
	s_delay_alu instid0(VALU_DEP_2) | instskip(NEXT) | instid1(VALU_DEP_4)
	v_mov_b32_e32 v5, v3
	v_lshlrev_b64_e32 v[2:3], 1, v[2:3]
	s_delay_alu instid0(VALU_DEP_2) | instskip(NEXT) | instid1(VALU_DEP_2)
	v_lshlrev_b64_e32 v[4:5], 3, v[4:5]
	v_add_co_u32 v2, s2, s12, v2
	s_wait_alu 0xf1ff
	s_delay_alu instid0(VALU_DEP_3) | instskip(NEXT) | instid1(VALU_DEP_3)
	v_add_co_ci_u32_e64 v3, null, s13, v3, s2
	v_add_co_u32 v4, s2, s14, v4
	s_wait_alu 0xf1ff
	v_add_co_ci_u32_e64 v5, null, s15, v5, s2
	global_load_u16 v10, v[2:3], off
	global_load_b64 v[2:3], v[4:5], off
.LBB59_9:
	s_wait_alu 0xfffe
	s_or_b32 exec_lo, exec_lo, s5
	v_lshl_add_u32 v4, s3, 1, v8
	v_lshlrev_b32_e32 v16, 1, v6
	v_lshl_add_u32 v5, s3, 3, v9
	v_cndmask_b32_e64 v11, 0, 1, s4
	v_add_nc_u32_e32 v13, v15, v7
	s_wait_loadcnt 0x1
	ds_store_b16 v4, v10
	s_wait_loadcnt 0x0
	ds_store_b64 v5, v[2:3]
	ds_store_b8 v13, v11
	v_add_nc_u32_e32 v2, v8, v16
	v_add_nc_u32_e32 v3, v15, v16
	s_wait_dscnt 0x0
	s_barrier_signal -1
	s_barrier_wait -1
	global_inv scope:SCOPE_SE
	ds_load_b32 v11, v2
	ds_load_u16 v18, v3
	v_and_b32_e32 v10, 1, v6
	s_wait_dscnt 0x1
	v_lshrrev_b32_e32 v17, 16, v11
	s_wait_dscnt 0x0
	v_lshrrev_b16 v13, 8, v18
	v_and_b32_e32 v19, 1, v18
	v_cmp_u_f16_e64 s2, v11, v11
	v_cmp_o_f16_e64 s3, v17, v17
	s_delay_alu instid0(VALU_DEP_4)
	v_cmp_ne_u16_e64 s6, v13, v10
	v_cmp_gt_f16_e64 s4, v11, v17
	v_cmp_eq_u32_e64 s5, 1, v19
	s_and_b32 s2, s2, s3
	v_cndmask_b32_e64 v17, 0, 1, s6
	s_wait_alu 0xfffe
	s_or_b32 s2, s2, s4
	s_wait_alu 0xfffe
	s_and_b32 s2, s2, s5
	s_wait_alu 0xfffe
	v_cndmask_b32_e64 v17, v17, v6, s2
	s_delay_alu instid0(VALU_DEP_1) | instskip(NEXT) | instid1(VALU_DEP_1)
	v_and_b32_e32 v17, 1, v17
	v_cmp_eq_u32_e64 s2, 1, v17
	v_lshl_add_u32 v17, v6, 3, v9
	s_and_saveexec_b32 s3, s2
	s_wait_alu 0xfffe
	s_xor_b32 s2, exec_lo, s3
	s_cbranch_execz .LBB59_11
; %bb.10:
	ds_load_b128 v[19:22], v17
	v_lshlrev_b16 v18, 8, v18
	v_alignbit_b32 v11, v11, v11, 16
	s_delay_alu instid0(VALU_DEP_2)
	v_or_b32_e32 v13, v13, v18
	s_wait_dscnt 0x0
	v_dual_mov_b32 v23, v19 :: v_dual_mov_b32 v24, v20
	ds_store_b32 v2, v11
	ds_store_b128 v17, v[21:24]
	ds_store_b16 v3, v13
.LBB59_11:
	s_wait_alu 0xfffe
	s_or_b32 exec_lo, exec_lo, s2
	v_sub_nc_u32_e32 v13, v16, v10
	s_wait_loadcnt_dscnt 0x0
	s_barrier_signal -1
	s_barrier_wait -1
	global_inv scope:SCOPE_SE
	v_lshl_add_u32 v11, v13, 1, v14
	v_add_nc_u32_e32 v10, v15, v13
	v_bfe_u32 v20, v6, 1, 1
	v_lshl_add_u32 v13, v13, 3, v12
	ds_load_u16 v18, v11
	ds_load_u8 v19, v10
	ds_load_u16 v22, v11 offset:4
	ds_load_u8 v21, v10 offset:2
	s_wait_dscnt 0x3
	v_cmp_u_f16_e64 s2, v18, v18
	s_wait_dscnt 0x2
	v_and_b32_e32 v23, 1, v19
	s_wait_dscnt 0x1
	v_cmp_o_f16_e64 s3, v22, v22
	s_wait_dscnt 0x0
	v_cmp_ne_u16_e64 s5, v21, v20
	v_cmp_gt_f16_e64 s4, v18, v22
	s_and_b32 s2, s2, s3
	v_cndmask_b32_e64 v24, 0, 1, s5
	v_cmp_eq_u32_e64 s5, 1, v23
	s_wait_alu 0xfffe
	s_or_b32 s2, s2, s4
	s_wait_alu 0xfffe
	s_and_b32 s2, s2, s5
	s_wait_alu 0xfffe
	v_cndmask_b32_e64 v23, v24, v20, s2
	v_and_b32_e32 v20, 2, v6
	s_delay_alu instid0(VALU_DEP_2) | instskip(NEXT) | instid1(VALU_DEP_2)
	v_and_b32_e32 v23, 1, v23
	v_cmp_ne_u32_e64 s2, 0, v20
	s_delay_alu instid0(VALU_DEP_2)
	v_cmp_eq_u32_e64 s3, 1, v23
	s_and_saveexec_b32 s4, s3
	s_wait_alu 0xfffe
	s_xor_b32 s3, exec_lo, s4
	s_cbranch_execz .LBB59_13
; %bb.12:
	ds_load_2addr_b64 v[23:26], v13 offset1:2
	s_wait_dscnt 0x0
	ds_store_2addr_b64 v13, v[25:26], v[23:24] offset1:2
	ds_store_b16 v11, v22
	ds_store_b16 v11, v18 offset:4
	ds_store_b8 v10, v21
	ds_store_b8 v10, v19 offset:2
.LBB59_13:
	s_wait_alu 0xfffe
	s_or_b32 exec_lo, exec_lo, s3
	s_wait_loadcnt_dscnt 0x0
	s_barrier_signal -1
	s_barrier_wait -1
	global_inv scope:SCOPE_SE
	ds_load_b32 v18, v2
	ds_load_u16 v19, v3
	v_lshrrev_b32_e32 v21, 1, v20
	v_cndmask_b32_e64 v23, 0, 1, s2
	s_wait_dscnt 0x1
	v_lshrrev_b32_e32 v22, 16, v18
	s_wait_dscnt 0x0
	v_lshrrev_b16 v20, 8, v19
	v_and_b32_e32 v24, 1, v19
	v_cmp_u_f16_e64 s2, v18, v18
	v_cmp_o_f16_e64 s3, v22, v22
	s_delay_alu instid0(VALU_DEP_4)
	v_cmp_ne_u16_e64 s6, v20, v21
	v_cmp_gt_f16_e64 s4, v18, v22
	v_cmp_eq_u32_e64 s5, 1, v24
	s_and_b32 s2, s2, s3
	v_cndmask_b32_e64 v21, 0, 1, s6
	s_wait_alu 0xfffe
	s_or_b32 s2, s2, s4
	s_mov_b32 s3, exec_lo
	s_wait_alu 0xfffe
	s_and_b32 s2, s2, s5
	s_wait_alu 0xfffe
	v_cndmask_b32_e64 v21, v21, v23, s2
	s_delay_alu instid0(VALU_DEP_1) | instskip(NEXT) | instid1(VALU_DEP_1)
	v_and_b32_e32 v21, 1, v21
	v_cmpx_eq_u32_e32 1, v21
	s_cbranch_execz .LBB59_15
; %bb.14:
	ds_load_b128 v[21:24], v17
	v_lshlrev_b16 v19, 8, v19
	v_alignbit_b32 v18, v18, v18, 16
	s_delay_alu instid0(VALU_DEP_2)
	v_or_b32_e32 v19, v20, v19
	s_wait_dscnt 0x0
	v_dual_mov_b32 v25, v21 :: v_dual_mov_b32 v26, v22
	ds_store_b32 v2, v18
	ds_store_b128 v17, v[23:26]
	ds_store_b16 v3, v19
.LBB59_15:
	s_or_b32 exec_lo, exec_lo, s3
	v_and_b32_e32 v17, 3, v6
	s_wait_loadcnt_dscnt 0x0
	s_barrier_signal -1
	s_barrier_wait -1
	global_inv scope:SCOPE_SE
	v_sub_nc_u32_e32 v20, v16, v17
	v_bfe_u32 v21, v6, 2, 1
	s_delay_alu instid0(VALU_DEP_2)
	v_lshl_add_u32 v18, v20, 1, v14
	v_add_nc_u32_e32 v17, v15, v20
	v_lshl_add_u32 v20, v20, 3, v12
	ds_load_u16 v19, v18
	ds_load_u8 v22, v17
	ds_load_u16 v24, v18 offset:8
	ds_load_u8 v23, v17 offset:4
	s_wait_dscnt 0x3
	v_cmp_u_f16_e64 s2, v19, v19
	s_wait_dscnt 0x2
	v_and_b32_e32 v25, 1, v22
	s_wait_dscnt 0x1
	v_cmp_o_f16_e64 s3, v24, v24
	s_wait_dscnt 0x0
	v_cmp_ne_u16_e64 s5, v23, v21
	v_cmp_gt_f16_e64 s4, v19, v24
	s_and_b32 s2, s2, s3
	v_cndmask_b32_e64 v26, 0, 1, s5
	v_cmp_eq_u32_e64 s5, 1, v25
	s_wait_alu 0xfffe
	s_or_b32 s2, s2, s4
	s_mov_b32 s4, exec_lo
	s_wait_alu 0xfffe
	s_and_b32 s2, s2, s5
	s_wait_alu 0xfffe
	v_cndmask_b32_e64 v25, v26, v21, s2
	v_and_b32_e32 v21, 4, v6
	s_delay_alu instid0(VALU_DEP_2) | instskip(NEXT) | instid1(VALU_DEP_2)
	v_and_b32_e32 v25, 1, v25
	v_cmp_ne_u32_e64 s2, 0, v21
	s_delay_alu instid0(VALU_DEP_2)
	v_cmpx_eq_u32_e32 1, v25
	s_cbranch_execz .LBB59_17
; %bb.16:
	ds_load_2addr_b64 v[25:28], v20 offset1:4
	s_wait_dscnt 0x0
	ds_store_2addr_b64 v20, v[27:28], v[25:26] offset1:4
	ds_store_b16 v18, v24
	ds_store_b16 v18, v19 offset:8
	ds_store_b8 v17, v23
	ds_store_b8 v17, v22 offset:4
.LBB59_17:
	s_or_b32 exec_lo, exec_lo, s4
	s_wait_loadcnt_dscnt 0x0
	s_barrier_signal -1
	s_barrier_wait -1
	global_inv scope:SCOPE_SE
	ds_load_u16 v22, v11
	ds_load_u8 v23, v10
	ds_load_u16 v25, v11 offset:4
	ds_load_u8 v24, v10 offset:2
	v_lshrrev_b32_e32 v19, 2, v21
	v_cndmask_b32_e64 v21, 0, 1, s2
	s_wait_dscnt 0x3
	v_cmp_u_f16_e64 s2, v22, v22
	s_wait_dscnt 0x2
	v_and_b32_e32 v26, 1, v23
	s_wait_dscnt 0x1
	v_cmp_o_f16_e64 s3, v25, v25
	s_wait_dscnt 0x0
	v_cmp_ne_u16_e64 s5, v24, v19
	v_cmp_gt_f16_e64 s4, v22, v25
	s_and_b32 s2, s2, s3
	v_cndmask_b32_e64 v27, 0, 1, s5
	v_cmp_eq_u32_e64 s5, 1, v26
	s_wait_alu 0xfffe
	s_or_b32 s2, s2, s4
	s_mov_b32 s3, exec_lo
	s_wait_alu 0xfffe
	s_and_b32 s2, s2, s5
	s_wait_alu 0xfffe
	v_cndmask_b32_e64 v26, v27, v21, s2
	s_delay_alu instid0(VALU_DEP_1) | instskip(NEXT) | instid1(VALU_DEP_1)
	v_and_b32_e32 v26, 1, v26
	v_cmpx_eq_u32_e32 1, v26
	s_cbranch_execz .LBB59_19
; %bb.18:
	ds_load_2addr_b64 v[26:29], v13 offset1:2
	s_wait_dscnt 0x0
	ds_store_2addr_b64 v13, v[28:29], v[26:27] offset1:2
	ds_store_b16 v11, v25
	ds_store_b16 v11, v22 offset:4
	ds_store_b8 v10, v24
	ds_store_b8 v10, v23 offset:2
.LBB59_19:
	s_or_b32 exec_lo, exec_lo, s3
	s_wait_loadcnt_dscnt 0x0
	s_barrier_signal -1
	s_barrier_wait -1
	global_inv scope:SCOPE_SE
	ds_load_b32 v23, v2
	ds_load_u16 v24, v3
	s_wait_dscnt 0x1
	v_lshrrev_b32_e32 v25, 16, v23
	s_wait_dscnt 0x0
	v_lshrrev_b16 v22, 8, v24
	v_and_b32_e32 v26, 1, v24
	v_cmp_u_f16_e64 s2, v23, v23
	v_cmp_o_f16_e64 s3, v25, v25
	s_delay_alu instid0(VALU_DEP_4)
	v_cmp_ne_u16_e64 s6, v22, v19
	v_cmp_gt_f16_e64 s4, v23, v25
	v_cmp_eq_u32_e64 s5, 1, v26
	s_and_b32 s2, s2, s3
	v_cndmask_b32_e64 v19, 0, 1, s6
	s_wait_alu 0xfffe
	s_or_b32 s2, s2, s4
	s_wait_alu 0xfffe
	s_and_b32 s2, s2, s5
	s_wait_alu 0xfffe
	v_cndmask_b32_e64 v19, v19, v21, s2
	s_delay_alu instid0(VALU_DEP_1) | instskip(NEXT) | instid1(VALU_DEP_1)
	v_and_b32_e32 v19, 1, v19
	v_cmp_eq_u32_e64 s2, 1, v19
	v_lshl_add_u32 v19, v16, 3, v12
	s_and_saveexec_b32 s3, s2
	s_cbranch_execz .LBB59_21
; %bb.20:
	ds_load_b128 v[25:28], v19
	v_lshlrev_b16 v29, 8, v24
	v_alignbit_b32 v21, v23, v23, 16
	s_delay_alu instid0(VALU_DEP_2)
	v_or_b32_e32 v22, v22, v29
	s_wait_dscnt 0x0
	v_dual_mov_b32 v23, v27 :: v_dual_mov_b32 v24, v28
	ds_store_b32 v2, v21
	ds_store_b128 v19, v[23:26]
	ds_store_b16 v3, v22
.LBB59_21:
	s_wait_alu 0xfffe
	s_or_b32 exec_lo, exec_lo, s3
	v_and_b32_e32 v21, 7, v6
	s_wait_loadcnt_dscnt 0x0
	s_barrier_signal -1
	s_barrier_wait -1
	global_inv scope:SCOPE_SE
	v_sub_nc_u32_e32 v23, v16, v21
	v_bfe_u32 v25, v6, 3, 1
	s_delay_alu instid0(VALU_DEP_2)
	v_lshl_add_u32 v22, v23, 1, v14
	v_add_nc_u32_e32 v21, v15, v23
	v_lshl_add_u32 v23, v23, 3, v12
	ds_load_u16 v24, v22
	ds_load_u8 v26, v21
	ds_load_u16 v28, v22 offset:16
	ds_load_u8 v27, v21 offset:8
	s_wait_dscnt 0x3
	v_cmp_u_f16_e64 s2, v24, v24
	s_wait_dscnt 0x2
	v_and_b32_e32 v29, 1, v26
	s_wait_dscnt 0x1
	v_cmp_o_f16_e64 s3, v28, v28
	s_wait_dscnt 0x0
	v_cmp_ne_u16_e64 s5, v27, v25
	v_cmp_gt_f16_e64 s4, v24, v28
	s_and_b32 s2, s2, s3
	v_cndmask_b32_e64 v30, 0, 1, s5
	v_cmp_eq_u32_e64 s5, 1, v29
	s_wait_alu 0xfffe
	s_or_b32 s2, s2, s4
	s_mov_b32 s4, exec_lo
	s_wait_alu 0xfffe
	s_and_b32 s2, s2, s5
	s_wait_alu 0xfffe
	v_cndmask_b32_e64 v29, v30, v25, s2
	v_and_b32_e32 v25, 8, v6
	s_delay_alu instid0(VALU_DEP_2) | instskip(NEXT) | instid1(VALU_DEP_2)
	v_and_b32_e32 v29, 1, v29
	v_cmp_ne_u32_e64 s2, 0, v25
	s_delay_alu instid0(VALU_DEP_2)
	v_cmpx_eq_u32_e32 1, v29
	s_cbranch_execz .LBB59_23
; %bb.22:
	ds_load_2addr_b64 v[29:32], v23 offset1:8
	s_wait_dscnt 0x0
	ds_store_2addr_b64 v23, v[31:32], v[29:30] offset1:8
	ds_store_b16 v22, v28
	ds_store_b16 v22, v24 offset:16
	ds_store_b8 v21, v27
	ds_store_b8 v21, v26 offset:8
.LBB59_23:
	s_or_b32 exec_lo, exec_lo, s4
	s_wait_loadcnt_dscnt 0x0
	s_barrier_signal -1
	s_barrier_wait -1
	global_inv scope:SCOPE_SE
	ds_load_u16 v26, v18
	ds_load_u8 v27, v17
	ds_load_u16 v29, v18 offset:8
	ds_load_u8 v28, v17 offset:4
	v_lshrrev_b32_e32 v24, 3, v25
	v_cndmask_b32_e64 v25, 0, 1, s2
	s_wait_dscnt 0x3
	v_cmp_u_f16_e64 s2, v26, v26
	s_wait_dscnt 0x2
	v_and_b32_e32 v30, 1, v27
	s_wait_dscnt 0x1
	v_cmp_o_f16_e64 s3, v29, v29
	s_wait_dscnt 0x0
	v_cmp_ne_u16_e64 s5, v28, v24
	v_cmp_gt_f16_e64 s4, v26, v29
	s_and_b32 s2, s2, s3
	v_cndmask_b32_e64 v31, 0, 1, s5
	v_cmp_eq_u32_e64 s5, 1, v30
	s_wait_alu 0xfffe
	s_or_b32 s2, s2, s4
	s_mov_b32 s3, exec_lo
	s_wait_alu 0xfffe
	s_and_b32 s2, s2, s5
	s_wait_alu 0xfffe
	v_cndmask_b32_e64 v30, v31, v25, s2
	s_delay_alu instid0(VALU_DEP_1) | instskip(NEXT) | instid1(VALU_DEP_1)
	v_and_b32_e32 v30, 1, v30
	v_cmpx_eq_u32_e32 1, v30
	s_cbranch_execz .LBB59_25
; %bb.24:
	ds_load_2addr_b64 v[30:33], v20 offset1:4
	s_wait_dscnt 0x0
	ds_store_2addr_b64 v20, v[32:33], v[30:31] offset1:4
	ds_store_b16 v18, v29
	ds_store_b16 v18, v26 offset:8
	ds_store_b8 v17, v28
	ds_store_b8 v17, v27 offset:4
.LBB59_25:
	s_or_b32 exec_lo, exec_lo, s3
	s_wait_loadcnt_dscnt 0x0
	s_barrier_signal -1
	s_barrier_wait -1
	global_inv scope:SCOPE_SE
	ds_load_u16 v26, v11
	ds_load_u8 v27, v10
	ds_load_u16 v29, v11 offset:4
	ds_load_u8 v28, v10 offset:2
	s_wait_dscnt 0x3
	v_cmp_u_f16_e64 s2, v26, v26
	s_wait_dscnt 0x2
	v_and_b32_e32 v30, 1, v27
	s_wait_dscnt 0x1
	v_cmp_o_f16_e64 s3, v29, v29
	s_wait_dscnt 0x0
	v_cmp_ne_u16_e64 s5, v28, v24
	v_cmp_gt_f16_e64 s4, v26, v29
	s_and_b32 s2, s2, s3
	v_cndmask_b32_e64 v31, 0, 1, s5
	v_cmp_eq_u32_e64 s5, 1, v30
	s_wait_alu 0xfffe
	s_or_b32 s2, s2, s4
	s_mov_b32 s3, exec_lo
	s_wait_alu 0xfffe
	s_and_b32 s2, s2, s5
	s_wait_alu 0xfffe
	v_cndmask_b32_e64 v30, v31, v25, s2
	s_delay_alu instid0(VALU_DEP_1) | instskip(NEXT) | instid1(VALU_DEP_1)
	v_and_b32_e32 v30, 1, v30
	v_cmpx_eq_u32_e32 1, v30
	s_cbranch_execz .LBB59_27
; %bb.26:
	ds_load_2addr_b64 v[30:33], v13 offset1:2
	s_wait_dscnt 0x0
	ds_store_2addr_b64 v13, v[32:33], v[30:31] offset1:2
	ds_store_b16 v11, v29
	ds_store_b16 v11, v26 offset:4
	ds_store_b8 v10, v28
	ds_store_b8 v10, v27 offset:2
.LBB59_27:
	s_or_b32 exec_lo, exec_lo, s3
	s_wait_loadcnt_dscnt 0x0
	s_barrier_signal -1
	s_barrier_wait -1
	global_inv scope:SCOPE_SE
	ds_load_b32 v27, v2
	ds_load_u16 v28, v3
	s_wait_dscnt 0x1
	v_lshrrev_b32_e32 v29, 16, v27
	s_wait_dscnt 0x0
	v_lshrrev_b16 v26, 8, v28
	v_and_b32_e32 v30, 1, v28
	v_cmp_u_f16_e64 s2, v27, v27
	v_cmp_o_f16_e64 s3, v29, v29
	s_delay_alu instid0(VALU_DEP_4)
	v_cmp_ne_u16_e64 s6, v26, v24
	v_cmp_gt_f16_e64 s4, v27, v29
	v_cmp_eq_u32_e64 s5, 1, v30
	s_and_b32 s2, s2, s3
	v_cndmask_b32_e64 v24, 0, 1, s6
	s_wait_alu 0xfffe
	s_or_b32 s2, s2, s4
	s_mov_b32 s3, exec_lo
	s_wait_alu 0xfffe
	s_and_b32 s2, s2, s5
	s_wait_alu 0xfffe
	v_cndmask_b32_e64 v24, v24, v25, s2
	s_delay_alu instid0(VALU_DEP_1) | instskip(NEXT) | instid1(VALU_DEP_1)
	v_and_b32_e32 v24, 1, v24
	v_cmpx_eq_u32_e32 1, v24
	s_cbranch_execz .LBB59_29
; %bb.28:
	ds_load_b128 v[29:32], v19
	v_lshlrev_b16 v25, 8, v28
	v_alignbit_b32 v24, v27, v27, 16
	s_delay_alu instid0(VALU_DEP_2)
	v_or_b32_e32 v25, v26, v25
	s_wait_dscnt 0x0
	v_dual_mov_b32 v27, v31 :: v_dual_mov_b32 v28, v32
	ds_store_b32 v2, v24
	ds_store_b128 v19, v[27:30]
	ds_store_b16 v3, v25
.LBB59_29:
	s_or_b32 exec_lo, exec_lo, s3
	v_and_b32_e32 v24, 15, v6
	s_wait_loadcnt_dscnt 0x0
	s_barrier_signal -1
	s_barrier_wait -1
	global_inv scope:SCOPE_SE
	v_sub_nc_u32_e32 v24, v16, v24
	s_delay_alu instid0(VALU_DEP_1)
	v_lshl_add_u32 v16, v24, 1, v14
	v_add_nc_u32_e32 v14, v15, v24
	ds_load_u16 v15, v16
	ds_load_u8 v25, v14
	ds_load_u16 v26, v16 offset:32
	ds_load_u8 v27, v14 offset:16
	s_wait_dscnt 0x3
	v_cmp_u_f16_e64 s2, v15, v15
	s_wait_dscnt 0x2
	v_and_b32_e32 v28, 1, v25
	s_wait_dscnt 0x1
	v_cmp_o_f16_e64 s3, v26, v26
	v_cmp_gt_f16_e64 s4, v15, v26
	s_wait_dscnt 0x0
	v_and_b32_e32 v27, 0xff, v27
	v_cmp_eq_u32_e64 s5, 1, v28
	s_and_b32 s2, s2, s3
	s_wait_alu 0xfffe
	s_or_b32 s3, s2, s4
	v_cmp_ne_u16_e64 s2, 0, v27
	s_wait_alu 0xfffe
	s_and_b32 s3, s3, s5
	s_wait_alu 0xfffe
	s_xor_b32 s3, s3, -1
	s_wait_alu 0xfffe
	s_and_b32 s3, s3, s2
	s_wait_alu 0xfffe
	s_and_saveexec_b32 s2, s3
	s_cbranch_execz .LBB59_31
; %bb.30:
	v_lshl_add_u32 v12, v24, 3, v12
	v_mov_b32_e32 v24, 1
	ds_load_2addr_b64 v[27:30], v12 offset1:16
	s_wait_dscnt 0x0
	ds_store_2addr_b64 v12, v[29:30], v[27:28] offset1:16
	ds_store_b16 v16, v26
	ds_store_b16 v16, v15 offset:32
	ds_store_b8 v14, v24
	ds_store_b8 v14, v25 offset:16
.LBB59_31:
	s_wait_alu 0xfffe
	s_or_b32 exec_lo, exec_lo, s2
	s_wait_loadcnt_dscnt 0x0
	s_barrier_signal -1
	s_barrier_wait -1
	global_inv scope:SCOPE_SE
	ds_load_u16 v12, v22
	ds_load_u8 v14, v21
	ds_load_u16 v15, v22 offset:16
	ds_load_u8 v16, v21 offset:8
	s_wait_dscnt 0x3
	v_cmp_u_f16_e64 s2, v12, v12
	s_wait_dscnt 0x2
	v_and_b32_e32 v24, 1, v14
	s_wait_dscnt 0x1
	v_cmp_o_f16_e64 s3, v15, v15
	v_cmp_gt_f16_e64 s4, v12, v15
	s_wait_dscnt 0x0
	v_and_b32_e32 v16, 0xff, v16
	v_cmp_eq_u32_e64 s5, 1, v24
	s_and_b32 s2, s2, s3
	s_wait_alu 0xfffe
	s_or_b32 s3, s2, s4
	v_cmp_ne_u16_e64 s2, 0, v16
	s_wait_alu 0xfffe
	s_and_b32 s3, s3, s5
	s_wait_alu 0xfffe
	s_xor_b32 s3, s3, -1
	s_wait_alu 0xfffe
	s_and_b32 s3, s3, s2
	s_wait_alu 0xfffe
	s_and_saveexec_b32 s2, s3
	s_cbranch_execz .LBB59_33
; %bb.32:
	ds_load_2addr_b64 v[24:27], v23 offset1:8
	v_mov_b32_e32 v16, 1
	s_wait_dscnt 0x0
	ds_store_2addr_b64 v23, v[26:27], v[24:25] offset1:8
	ds_store_b16 v22, v15
	ds_store_b16 v22, v12 offset:16
	ds_store_b8 v21, v16
	ds_store_b8 v21, v14 offset:8
.LBB59_33:
	s_wait_alu 0xfffe
	s_or_b32 exec_lo, exec_lo, s2
	s_wait_loadcnt_dscnt 0x0
	s_barrier_signal -1
	s_barrier_wait -1
	global_inv scope:SCOPE_SE
	ds_load_u16 v12, v18
	ds_load_u8 v14, v17
	ds_load_u16 v15, v18 offset:8
	ds_load_u8 v16, v17 offset:4
	s_wait_dscnt 0x3
	v_cmp_u_f16_e64 s2, v12, v12
	s_wait_dscnt 0x2
	v_and_b32_e32 v21, 1, v14
	s_wait_dscnt 0x1
	v_cmp_o_f16_e64 s3, v15, v15
	v_cmp_gt_f16_e64 s4, v12, v15
	s_wait_dscnt 0x0
	v_and_b32_e32 v16, 0xff, v16
	v_cmp_eq_u32_e64 s5, 1, v21
	s_and_b32 s2, s2, s3
	s_wait_alu 0xfffe
	s_or_b32 s3, s2, s4
	v_cmp_ne_u16_e64 s2, 0, v16
	s_wait_alu 0xfffe
	s_and_b32 s3, s3, s5
	s_wait_alu 0xfffe
	s_xor_b32 s3, s3, -1
	s_wait_alu 0xfffe
	s_and_b32 s3, s3, s2
	s_wait_alu 0xfffe
	s_and_saveexec_b32 s2, s3
	s_cbranch_execz .LBB59_35
; %bb.34:
	ds_load_2addr_b64 v[21:24], v20 offset1:4
	v_mov_b32_e32 v16, 1
	s_wait_dscnt 0x0
	ds_store_2addr_b64 v20, v[23:24], v[21:22] offset1:4
	ds_store_b16 v18, v15
	ds_store_b16 v18, v12 offset:8
	ds_store_b8 v17, v16
	ds_store_b8 v17, v14 offset:4
.LBB59_35:
	;; [unrolled: 43-line block ×3, first 2 shown]
	s_wait_alu 0xfffe
	s_or_b32 exec_lo, exec_lo, s2
	s_wait_loadcnt_dscnt 0x0
	s_barrier_signal -1
	s_barrier_wait -1
	global_inv scope:SCOPE_SE
	ds_load_b32 v10, v2
	ds_load_u16 v11, v3
	s_wait_dscnt 0x1
	v_lshrrev_b32_e32 v12, 16, v10
	s_wait_dscnt 0x0
	v_and_b32_e32 v13, 1, v11
	v_cmp_u_f16_e64 s2, v10, v10
	s_delay_alu instid0(VALU_DEP_3)
	v_cmp_o_f16_e64 s3, v12, v12
	v_cmp_gt_f16_e64 s4, v10, v12
	v_lshrrev_b16 v12, 8, v11
	v_cmp_eq_u32_e64 s5, 1, v13
	s_and_b32 s2, s2, s3
	s_wait_alu 0xfffe
	s_or_b32 s3, s2, s4
	v_cmp_ne_u16_e64 s2, 0, v12
	s_wait_alu 0xfffe
	s_and_b32 s3, s3, s5
	s_wait_alu 0xfffe
	s_xor_b32 s3, s3, -1
	s_wait_alu 0xfffe
	s_and_b32 s3, s3, s2
	s_wait_alu 0xfffe
	s_and_saveexec_b32 s2, s3
	s_cbranch_execz .LBB59_39
; %bb.38:
	ds_load_b128 v[12:15], v19
	v_lshlrev_b16 v17, 8, v11
	v_alignbit_b32 v16, v10, v10, 16
	s_wait_dscnt 0x0
	v_dual_mov_b32 v10, v14 :: v_dual_mov_b32 v11, v15
	s_delay_alu instid0(VALU_DEP_3)
	v_or_b32_e32 v14, 1, v17
	ds_store_b32 v2, v16
	ds_store_b128 v19, v[10:13]
	ds_store_b16 v3, v14
.LBB59_39:
	s_wait_alu 0xfffe
	s_or_b32 exec_lo, exec_lo, s2
	s_wait_loadcnt_dscnt 0x0
	s_barrier_signal -1
	s_barrier_wait -1
	global_inv scope:SCOPE_SE
	s_and_saveexec_b32 s2, s0
	s_cbranch_execz .LBB59_44
; %bb.40:
	s_and_saveexec_b32 s0, vcc_lo
	s_cbranch_execz .LBB59_42
; %bb.41:
	v_mad_co_u64_u32 v[2:3], null, v6, s10, v[1:2]
	v_mov_b32_e32 v3, 0
	v_mad_co_u64_u32 v[10:11], null, v6, s7, v[0:1]
	ds_load_u16 v6, v8
	ds_load_b64 v[8:9], v9
	v_mov_b32_e32 v11, v3
	v_lshlrev_b64_e32 v[2:3], 1, v[2:3]
	s_delay_alu instid0(VALU_DEP_2) | instskip(NEXT) | instid1(VALU_DEP_2)
	v_lshlrev_b64_e32 v[10:11], 3, v[10:11]
	v_add_co_u32 v2, vcc_lo, s12, v2
	s_wait_alu 0xfffd
	s_delay_alu instid0(VALU_DEP_3) | instskip(NEXT) | instid1(VALU_DEP_3)
	v_add_co_ci_u32_e64 v3, null, s13, v3, vcc_lo
	v_add_co_u32 v10, vcc_lo, s14, v10
	s_wait_alu 0xfffd
	v_add_co_ci_u32_e64 v11, null, s15, v11, vcc_lo
	s_wait_dscnt 0x1
	global_store_b16 v[2:3], v6, off
	s_wait_dscnt 0x0
	global_store_b64 v[10:11], v[8:9], off
.LBB59_42:
	s_wait_alu 0xfffe
	s_or_b32 exec_lo, exec_lo, s0
	s_delay_alu instid0(SALU_CYCLE_1)
	s_and_b32 exec_lo, exec_lo, s1
	s_cbranch_execz .LBB59_44
; %bb.43:
	v_mad_co_u64_u32 v[1:2], null, v7, s10, v[1:2]
	v_mov_b32_e32 v2, 0
	ds_load_u16 v8, v4
	ds_load_b64 v[3:4], v5
	v_mad_co_u64_u32 v[6:7], null, v7, s7, v[0:1]
	v_mov_b32_e32 v7, v2
	v_lshlrev_b64_e32 v[0:1], 1, v[1:2]
	s_delay_alu instid0(VALU_DEP_2) | instskip(NEXT) | instid1(VALU_DEP_2)
	v_lshlrev_b64_e32 v[5:6], 3, v[6:7]
	v_add_co_u32 v0, vcc_lo, s12, v0
	s_wait_alu 0xfffd
	s_delay_alu instid0(VALU_DEP_3) | instskip(NEXT) | instid1(VALU_DEP_3)
	v_add_co_ci_u32_e64 v1, null, s13, v1, vcc_lo
	v_add_co_u32 v5, vcc_lo, s14, v5
	s_wait_alu 0xfffd
	v_add_co_ci_u32_e64 v6, null, s15, v6, vcc_lo
	s_wait_dscnt 0x1
	global_store_b16 v[0:1], v8, off
	s_wait_dscnt 0x0
	global_store_b64 v[5:6], v[3:4], off
.LBB59_44:
	s_endpgm
	.section	.rodata,"a",@progbits
	.p2align	6, 0x0
	.amdhsa_kernel _ZN2at6native20bitonicSortKVInPlaceILi2ELin1ELi16ELi16EN3c104HalfElNS0_4GTOpIS3_Lb1EEEjEEvNS_4cuda6detail10TensorInfoIT3_T6_EESA_SA_SA_NS8_IT4_SA_EESA_T5_
		.amdhsa_group_segment_fixed_size 5632
		.amdhsa_private_segment_fixed_size 0
		.amdhsa_kernarg_size 712
		.amdhsa_user_sgpr_count 2
		.amdhsa_user_sgpr_dispatch_ptr 0
		.amdhsa_user_sgpr_queue_ptr 0
		.amdhsa_user_sgpr_kernarg_segment_ptr 1
		.amdhsa_user_sgpr_dispatch_id 0
		.amdhsa_user_sgpr_private_segment_size 0
		.amdhsa_wavefront_size32 1
		.amdhsa_uses_dynamic_stack 0
		.amdhsa_enable_private_segment 0
		.amdhsa_system_sgpr_workgroup_id_x 1
		.amdhsa_system_sgpr_workgroup_id_y 1
		.amdhsa_system_sgpr_workgroup_id_z 1
		.amdhsa_system_sgpr_workgroup_info 0
		.amdhsa_system_vgpr_workitem_id 1
		.amdhsa_next_free_vgpr 34
		.amdhsa_next_free_sgpr 19
		.amdhsa_reserve_vcc 1
		.amdhsa_float_round_mode_32 0
		.amdhsa_float_round_mode_16_64 0
		.amdhsa_float_denorm_mode_32 3
		.amdhsa_float_denorm_mode_16_64 3
		.amdhsa_fp16_overflow 0
		.amdhsa_workgroup_processor_mode 1
		.amdhsa_memory_ordered 1
		.amdhsa_forward_progress 1
		.amdhsa_inst_pref_size 42
		.amdhsa_round_robin_scheduling 0
		.amdhsa_exception_fp_ieee_invalid_op 0
		.amdhsa_exception_fp_denorm_src 0
		.amdhsa_exception_fp_ieee_div_zero 0
		.amdhsa_exception_fp_ieee_overflow 0
		.amdhsa_exception_fp_ieee_underflow 0
		.amdhsa_exception_fp_ieee_inexact 0
		.amdhsa_exception_int_div_zero 0
	.end_amdhsa_kernel
	.section	.text._ZN2at6native20bitonicSortKVInPlaceILi2ELin1ELi16ELi16EN3c104HalfElNS0_4GTOpIS3_Lb1EEEjEEvNS_4cuda6detail10TensorInfoIT3_T6_EESA_SA_SA_NS8_IT4_SA_EESA_T5_,"axG",@progbits,_ZN2at6native20bitonicSortKVInPlaceILi2ELin1ELi16ELi16EN3c104HalfElNS0_4GTOpIS3_Lb1EEEjEEvNS_4cuda6detail10TensorInfoIT3_T6_EESA_SA_SA_NS8_IT4_SA_EESA_T5_,comdat
.Lfunc_end59:
	.size	_ZN2at6native20bitonicSortKVInPlaceILi2ELin1ELi16ELi16EN3c104HalfElNS0_4GTOpIS3_Lb1EEEjEEvNS_4cuda6detail10TensorInfoIT3_T6_EESA_SA_SA_NS8_IT4_SA_EESA_T5_, .Lfunc_end59-_ZN2at6native20bitonicSortKVInPlaceILi2ELin1ELi16ELi16EN3c104HalfElNS0_4GTOpIS3_Lb1EEEjEEvNS_4cuda6detail10TensorInfoIT3_T6_EESA_SA_SA_NS8_IT4_SA_EESA_T5_
                                        ; -- End function
	.set _ZN2at6native20bitonicSortKVInPlaceILi2ELin1ELi16ELi16EN3c104HalfElNS0_4GTOpIS3_Lb1EEEjEEvNS_4cuda6detail10TensorInfoIT3_T6_EESA_SA_SA_NS8_IT4_SA_EESA_T5_.num_vgpr, 34
	.set _ZN2at6native20bitonicSortKVInPlaceILi2ELin1ELi16ELi16EN3c104HalfElNS0_4GTOpIS3_Lb1EEEjEEvNS_4cuda6detail10TensorInfoIT3_T6_EESA_SA_SA_NS8_IT4_SA_EESA_T5_.num_agpr, 0
	.set _ZN2at6native20bitonicSortKVInPlaceILi2ELin1ELi16ELi16EN3c104HalfElNS0_4GTOpIS3_Lb1EEEjEEvNS_4cuda6detail10TensorInfoIT3_T6_EESA_SA_SA_NS8_IT4_SA_EESA_T5_.numbered_sgpr, 19
	.set _ZN2at6native20bitonicSortKVInPlaceILi2ELin1ELi16ELi16EN3c104HalfElNS0_4GTOpIS3_Lb1EEEjEEvNS_4cuda6detail10TensorInfoIT3_T6_EESA_SA_SA_NS8_IT4_SA_EESA_T5_.num_named_barrier, 0
	.set _ZN2at6native20bitonicSortKVInPlaceILi2ELin1ELi16ELi16EN3c104HalfElNS0_4GTOpIS3_Lb1EEEjEEvNS_4cuda6detail10TensorInfoIT3_T6_EESA_SA_SA_NS8_IT4_SA_EESA_T5_.private_seg_size, 0
	.set _ZN2at6native20bitonicSortKVInPlaceILi2ELin1ELi16ELi16EN3c104HalfElNS0_4GTOpIS3_Lb1EEEjEEvNS_4cuda6detail10TensorInfoIT3_T6_EESA_SA_SA_NS8_IT4_SA_EESA_T5_.uses_vcc, 1
	.set _ZN2at6native20bitonicSortKVInPlaceILi2ELin1ELi16ELi16EN3c104HalfElNS0_4GTOpIS3_Lb1EEEjEEvNS_4cuda6detail10TensorInfoIT3_T6_EESA_SA_SA_NS8_IT4_SA_EESA_T5_.uses_flat_scratch, 0
	.set _ZN2at6native20bitonicSortKVInPlaceILi2ELin1ELi16ELi16EN3c104HalfElNS0_4GTOpIS3_Lb1EEEjEEvNS_4cuda6detail10TensorInfoIT3_T6_EESA_SA_SA_NS8_IT4_SA_EESA_T5_.has_dyn_sized_stack, 0
	.set _ZN2at6native20bitonicSortKVInPlaceILi2ELin1ELi16ELi16EN3c104HalfElNS0_4GTOpIS3_Lb1EEEjEEvNS_4cuda6detail10TensorInfoIT3_T6_EESA_SA_SA_NS8_IT4_SA_EESA_T5_.has_recursion, 0
	.set _ZN2at6native20bitonicSortKVInPlaceILi2ELin1ELi16ELi16EN3c104HalfElNS0_4GTOpIS3_Lb1EEEjEEvNS_4cuda6detail10TensorInfoIT3_T6_EESA_SA_SA_NS8_IT4_SA_EESA_T5_.has_indirect_call, 0
	.section	.AMDGPU.csdata,"",@progbits
; Kernel info:
; codeLenInByte = 5276
; TotalNumSgprs: 21
; NumVgprs: 34
; ScratchSize: 0
; MemoryBound: 0
; FloatMode: 240
; IeeeMode: 1
; LDSByteSize: 5632 bytes/workgroup (compile time only)
; SGPRBlocks: 0
; VGPRBlocks: 4
; NumSGPRsForWavesPerEU: 21
; NumVGPRsForWavesPerEU: 34
; Occupancy: 16
; WaveLimiterHint : 1
; COMPUTE_PGM_RSRC2:SCRATCH_EN: 0
; COMPUTE_PGM_RSRC2:USER_SGPR: 2
; COMPUTE_PGM_RSRC2:TRAP_HANDLER: 0
; COMPUTE_PGM_RSRC2:TGID_X_EN: 1
; COMPUTE_PGM_RSRC2:TGID_Y_EN: 1
; COMPUTE_PGM_RSRC2:TGID_Z_EN: 1
; COMPUTE_PGM_RSRC2:TIDIG_COMP_CNT: 1
	.section	.text._ZN2at6native20bitonicSortKVInPlaceILin1ELin1ELi16ELi16EN3c104HalfElNS0_4LTOpIS3_Lb1EEEjEEvNS_4cuda6detail10TensorInfoIT3_T6_EESA_SA_SA_NS8_IT4_SA_EESA_T5_,"axG",@progbits,_ZN2at6native20bitonicSortKVInPlaceILin1ELin1ELi16ELi16EN3c104HalfElNS0_4LTOpIS3_Lb1EEEjEEvNS_4cuda6detail10TensorInfoIT3_T6_EESA_SA_SA_NS8_IT4_SA_EESA_T5_,comdat
	.protected	_ZN2at6native20bitonicSortKVInPlaceILin1ELin1ELi16ELi16EN3c104HalfElNS0_4LTOpIS3_Lb1EEEjEEvNS_4cuda6detail10TensorInfoIT3_T6_EESA_SA_SA_NS8_IT4_SA_EESA_T5_ ; -- Begin function _ZN2at6native20bitonicSortKVInPlaceILin1ELin1ELi16ELi16EN3c104HalfElNS0_4LTOpIS3_Lb1EEEjEEvNS_4cuda6detail10TensorInfoIT3_T6_EESA_SA_SA_NS8_IT4_SA_EESA_T5_
	.globl	_ZN2at6native20bitonicSortKVInPlaceILin1ELin1ELi16ELi16EN3c104HalfElNS0_4LTOpIS3_Lb1EEEjEEvNS_4cuda6detail10TensorInfoIT3_T6_EESA_SA_SA_NS8_IT4_SA_EESA_T5_
	.p2align	8
	.type	_ZN2at6native20bitonicSortKVInPlaceILin1ELin1ELi16ELi16EN3c104HalfElNS0_4LTOpIS3_Lb1EEEjEEvNS_4cuda6detail10TensorInfoIT3_T6_EESA_SA_SA_NS8_IT4_SA_EESA_T5_,@function
_ZN2at6native20bitonicSortKVInPlaceILin1ELin1ELi16ELi16EN3c104HalfElNS0_4LTOpIS3_Lb1EEEjEEvNS_4cuda6detail10TensorInfoIT3_T6_EESA_SA_SA_NS8_IT4_SA_EESA_T5_: ; @_ZN2at6native20bitonicSortKVInPlaceILin1ELin1ELi16ELi16EN3c104HalfElNS0_4LTOpIS3_Lb1EEEjEEvNS_4cuda6detail10TensorInfoIT3_T6_EESA_SA_SA_NS8_IT4_SA_EESA_T5_
; %bb.0:
	s_clause 0x2
	s_load_b64 s[2:3], s[0:1], 0x1c8
	s_load_u16 s4, s[0:1], 0x1d6
	s_load_b96 s[8:10], s[0:1], 0xd8
	s_lshr_b32 s5, ttmp7, 16
	s_wait_kmcnt 0x0
	s_mul_i32 s3, s3, s5
	s_and_b32 s5, ttmp7, 0xffff
	s_delay_alu instid0(SALU_CYCLE_1) | instskip(NEXT) | instid1(SALU_CYCLE_1)
	s_add_co_i32 s3, s3, s5
	s_mul_i32 s2, s3, s2
	s_delay_alu instid0(SALU_CYCLE_1) | instskip(NEXT) | instid1(SALU_CYCLE_1)
	s_add_co_i32 s3, s2, ttmp9
	s_mul_i32 s3, s3, s4
	s_delay_alu instid0(SALU_CYCLE_1)
	s_cmp_ge_u32 s3, s8
	s_cbranch_scc1 .LBB60_46
; %bb.1:
	s_load_b32 s2, s[0:1], 0xd0
	v_bfe_u32 v8, v0, 10, 10
	s_delay_alu instid0(VALU_DEP_1) | instskip(NEXT) | instid1(VALU_DEP_1)
	v_dual_mov_b32 v1, 0 :: v_dual_add_nc_u32 v6, s3, v8
	v_mov_b32_e32 v3, v6
	s_wait_kmcnt 0x0
	s_cmp_lt_i32 s2, 2
	s_cbranch_scc1 .LBB60_4
; %bb.2:
	s_add_co_i32 s4, s2, -1
	s_mov_b32 s5, 0
	v_mov_b32_e32 v1, 0
	s_lshl_b64 s[4:5], s[4:5], 2
	v_mov_b32_e32 v3, v6
	s_add_nc_u64 s[6:7], s[0:1], s[4:5]
	s_add_co_i32 s4, s2, 1
	s_add_nc_u64 s[2:3], s[6:7], 8
.LBB60_3:                               ; =>This Inner Loop Header: Depth=1
	s_clause 0x1
	s_load_b32 s5, s[2:3], 0x0
	s_load_b32 s6, s[2:3], 0x64
	s_add_co_i32 s4, s4, -1
	s_add_nc_u64 s[2:3], s[2:3], -4
	s_wait_kmcnt 0x0
	s_cvt_f32_u32 s7, s5
	s_sub_co_i32 s11, 0, s5
	s_wait_alu 0xfffe
	s_delay_alu instid0(SALU_CYCLE_1) | instskip(NEXT) | instid1(TRANS32_DEP_1)
	v_rcp_iflag_f32_e32 v2, s7
	v_readfirstlane_b32 s7, v2
	v_mov_b32_e32 v2, v3
	s_mul_f32 s7, s7, 0x4f7ffffe
	s_wait_alu 0xfffe
	s_delay_alu instid0(SALU_CYCLE_2) | instskip(SKIP_1) | instid1(SALU_CYCLE_2)
	s_cvt_u32_f32 s7, s7
	s_wait_alu 0xfffe
	s_mul_i32 s11, s11, s7
	s_delay_alu instid0(SALU_CYCLE_1) | instskip(NEXT) | instid1(SALU_CYCLE_1)
	s_mul_hi_u32 s11, s7, s11
	s_add_co_i32 s7, s7, s11
	s_cmp_gt_u32 s4, 2
	s_wait_alu 0xfffe
	v_mul_hi_u32 v3, v2, s7
	s_delay_alu instid0(VALU_DEP_1) | instskip(SKIP_1) | instid1(VALU_DEP_2)
	v_mul_lo_u32 v4, v3, s5
	v_add_nc_u32_e32 v5, 1, v3
	v_sub_nc_u32_e32 v4, v2, v4
	s_delay_alu instid0(VALU_DEP_1) | instskip(SKIP_2) | instid1(VALU_DEP_2)
	v_subrev_nc_u32_e32 v7, s5, v4
	v_cmp_le_u32_e32 vcc_lo, s5, v4
	s_wait_alu 0xfffd
	v_dual_cndmask_b32 v3, v3, v5 :: v_dual_cndmask_b32 v4, v4, v7
	s_delay_alu instid0(VALU_DEP_1) | instskip(NEXT) | instid1(VALU_DEP_2)
	v_add_nc_u32_e32 v5, 1, v3
	v_cmp_le_u32_e32 vcc_lo, s5, v4
	s_wait_alu 0xfffd
	s_delay_alu instid0(VALU_DEP_2) | instskip(NEXT) | instid1(VALU_DEP_1)
	v_cndmask_b32_e32 v3, v3, v5, vcc_lo
	v_mul_lo_u32 v4, v3, s5
	s_delay_alu instid0(VALU_DEP_1) | instskip(NEXT) | instid1(VALU_DEP_1)
	v_sub_nc_u32_e32 v2, v2, v4
	v_mad_co_u64_u32 v[1:2], null, s6, v2, v[1:2]
	s_cbranch_scc1 .LBB60_3
.LBB60_4:
	s_load_b32 s4, s[0:1], 0x1b8
	v_dual_mov_b32 v4, 0 :: v_dual_mov_b32 v9, v6
	s_add_nc_u64 s[2:3], s[0:1], 0x1c8
	s_wait_kmcnt 0x0
	s_cmp_lt_i32 s4, 2
	s_cbranch_scc1 .LBB60_7
; %bb.5:
	s_add_co_i32 s6, s4, -1
	s_mov_b32 s7, 0
	v_dual_mov_b32 v4, 0 :: v_dual_mov_b32 v9, v6
	s_wait_alu 0xfffe
	s_lshl_b64 s[6:7], s[6:7], 2
	s_wait_alu 0xfffe
	s_add_nc_u64 s[12:13], s[0:1], s[6:7]
	s_add_co_i32 s6, s4, 1
	s_add_nc_u64 s[4:5], s[12:13], 0xf0
.LBB60_6:                               ; =>This Inner Loop Header: Depth=1
	s_clause 0x1
	s_load_b32 s7, s[4:5], 0x0
	s_load_b32 s11, s[4:5], 0x64
	s_add_co_i32 s6, s6, -1
	s_add_nc_u64 s[4:5], s[4:5], -4
	s_wait_kmcnt 0x0
	s_cvt_f32_u32 s12, s7
	s_sub_co_i32 s13, 0, s7
	s_wait_alu 0xfffe
	s_delay_alu instid0(SALU_CYCLE_1) | instskip(NEXT) | instid1(TRANS32_DEP_1)
	v_rcp_iflag_f32_e32 v2, s12
	v_readfirstlane_b32 s12, v2
	v_mov_b32_e32 v2, v9
	s_mul_f32 s12, s12, 0x4f7ffffe
	s_wait_alu 0xfffe
	s_delay_alu instid0(SALU_CYCLE_2) | instskip(SKIP_1) | instid1(SALU_CYCLE_2)
	s_cvt_u32_f32 s12, s12
	s_wait_alu 0xfffe
	s_mul_i32 s13, s13, s12
	s_wait_alu 0xfffe
	s_mul_hi_u32 s13, s12, s13
	s_wait_alu 0xfffe
	s_add_co_i32 s12, s12, s13
	s_cmp_gt_u32 s6, 2
	s_wait_alu 0xfffe
	v_mul_hi_u32 v5, v2, s12
	s_delay_alu instid0(VALU_DEP_1) | instskip(SKIP_1) | instid1(VALU_DEP_2)
	v_mul_lo_u32 v7, v5, s7
	v_add_nc_u32_e32 v9, 1, v5
	v_sub_nc_u32_e32 v7, v2, v7
	s_delay_alu instid0(VALU_DEP_1) | instskip(SKIP_3) | instid1(VALU_DEP_3)
	v_subrev_nc_u32_e32 v10, s7, v7
	v_cmp_le_u32_e32 vcc_lo, s7, v7
	s_wait_alu 0xfffd
	v_cndmask_b32_e32 v5, v5, v9, vcc_lo
	v_cndmask_b32_e32 v7, v7, v10, vcc_lo
	s_delay_alu instid0(VALU_DEP_2) | instskip(NEXT) | instid1(VALU_DEP_2)
	v_add_nc_u32_e32 v9, 1, v5
	v_cmp_le_u32_e32 vcc_lo, s7, v7
	s_wait_alu 0xfffd
	s_delay_alu instid0(VALU_DEP_2) | instskip(NEXT) | instid1(VALU_DEP_1)
	v_cndmask_b32_e32 v9, v5, v9, vcc_lo
	v_mul_lo_u32 v5, v9, s7
	s_delay_alu instid0(VALU_DEP_1) | instskip(NEXT) | instid1(VALU_DEP_1)
	v_sub_nc_u32_e32 v2, v2, v5
	v_mad_co_u64_u32 v[4:5], null, s11, v2, v[4:5]
	s_cbranch_scc1 .LBB60_6
.LBB60_7:
	s_clause 0x1
	s_load_b32 s4, s[0:1], 0x6c
	s_load_b32 s5, s[0:1], 0x154
	;; [unrolled: 1-line block ×3, first 2 shown]
	s_clause 0x2
	s_load_b32 s7, s[0:1], 0x1c0
	s_load_b64 s[14:15], s[0:1], 0x0
	s_load_b64 s[12:13], s[0:1], 0xe8
	v_and_b32_e32 v7, 0x3ff, v0
	v_cmp_gt_u32_e64 s0, s8, v6
	v_dual_mov_b32 v10, 0 :: v_dual_mov_b32 v11, 0
	s_wait_kmcnt 0x0
	v_mad_co_u64_u32 v[2:3], null, s4, v3, v[1:2]
	v_mad_co_u64_u32 v[0:1], null, s5, v9, v[4:5]
	v_mov_b32_e32 v3, 0
	v_mov_b32_e32 v4, 0
	v_cmp_gt_u32_e32 vcc_lo, s9, v7
	v_mov_b32_e32 v5, 0
	v_mov_b32_e32 v6, 0
	s_and_b32 s4, s0, vcc_lo
	s_wait_alu 0xfffe
	s_and_saveexec_b32 s3, s4
	s_cbranch_execz .LBB60_9
; %bb.8:
	v_mad_co_u64_u32 v[5:6], null, v7, s10, v[2:3]
	v_mov_b32_e32 v6, 0
	v_mad_co_u64_u32 v[11:12], null, v7, s7, v[0:1]
	s_delay_alu instid0(VALU_DEP_2) | instskip(NEXT) | instid1(VALU_DEP_4)
	v_mov_b32_e32 v12, v6
	v_lshlrev_b64_e32 v[5:6], 1, v[5:6]
	s_delay_alu instid0(VALU_DEP_2) | instskip(NEXT) | instid1(VALU_DEP_2)
	v_lshlrev_b64_e32 v[11:12], 3, v[11:12]
	v_add_co_u32 v5, s1, s14, v5
	s_delay_alu instid0(VALU_DEP_1) | instskip(NEXT) | instid1(VALU_DEP_3)
	v_add_co_ci_u32_e64 v6, null, s15, v6, s1
	v_add_co_u32 v13, s1, s12, v11
	s_wait_alu 0xf1ff
	s_delay_alu instid0(VALU_DEP_4)
	v_add_co_ci_u32_e64 v14, null, s13, v12, s1
	global_load_u16 v11, v[5:6], off
	global_load_b64 v[5:6], v[13:14], off
.LBB60_9:
	s_wait_alu 0xfffe
	s_or_b32 exec_lo, exec_lo, s3
	s_and_b32 s3, 0xffff, s2
	v_lshl_add_u32 v14, v8, 6, 0x1000
	s_wait_alu 0xfffe
	v_add_nc_u32_e32 v1, s3, v7
	v_lshlrev_b32_e32 v12, 8, v8
	v_lshl_add_u32 v15, v8, 5, 0x1400
	v_cndmask_b32_e64 v13, 0, 1, s4
	v_lshl_add_u32 v8, v7, 1, v14
	v_cmp_gt_u32_e64 s1, s9, v1
	v_lshl_add_u32 v9, v7, 3, v12
	v_add_nc_u32_e32 v16, v15, v7
	s_wait_loadcnt 0x1
	ds_store_b16 v8, v11
	s_wait_loadcnt 0x0
	ds_store_b64 v9, v[5:6]
	ds_store_b8 v16, v13
	s_and_b32 s4, s0, s1
	s_wait_alu 0xfffe
	s_and_saveexec_b32 s5, s4
	s_cbranch_execz .LBB60_11
; %bb.10:
	v_mad_co_u64_u32 v[3:4], null, v1, s10, v[2:3]
	v_mov_b32_e32 v4, 0
	v_mad_co_u64_u32 v[5:6], null, v1, s7, v[0:1]
	s_delay_alu instid0(VALU_DEP_2) | instskip(NEXT) | instid1(VALU_DEP_4)
	v_mov_b32_e32 v6, v4
	v_lshlrev_b64_e32 v[3:4], 1, v[3:4]
	s_delay_alu instid0(VALU_DEP_2) | instskip(NEXT) | instid1(VALU_DEP_2)
	v_lshlrev_b64_e32 v[5:6], 3, v[5:6]
	v_add_co_u32 v3, s2, s14, v3
	s_wait_alu 0xf1ff
	s_delay_alu instid0(VALU_DEP_3) | instskip(NEXT) | instid1(VALU_DEP_3)
	v_add_co_ci_u32_e64 v4, null, s15, v4, s2
	v_add_co_u32 v5, s2, s12, v5
	s_wait_alu 0xf1ff
	v_add_co_ci_u32_e64 v6, null, s13, v6, s2
	global_load_u16 v10, v[3:4], off
	global_load_b64 v[3:4], v[5:6], off
.LBB60_11:
	s_wait_alu 0xfffe
	s_or_b32 exec_lo, exec_lo, s5
	v_lshl_add_u32 v5, s3, 1, v8
	v_lshlrev_b32_e32 v16, 1, v7
	v_lshl_add_u32 v6, s3, 3, v9
	v_cndmask_b32_e64 v11, 0, 1, s4
	v_add_nc_u32_e32 v13, v15, v1
	s_wait_loadcnt 0x1
	ds_store_b16 v5, v10
	s_wait_loadcnt 0x0
	ds_store_b64 v6, v[3:4]
	ds_store_b8 v13, v11
	v_add_nc_u32_e32 v3, v8, v16
	v_add_nc_u32_e32 v4, v15, v16
	s_wait_dscnt 0x0
	s_barrier_signal -1
	s_barrier_wait -1
	global_inv scope:SCOPE_SE
	ds_load_b32 v11, v3
	ds_load_u16 v18, v4
	v_and_b32_e32 v10, 1, v7
	s_wait_dscnt 0x1
	v_lshrrev_b32_e32 v17, 16, v11
	s_wait_dscnt 0x0
	v_lshrrev_b16 v13, 8, v18
	v_and_b32_e32 v19, 1, v18
	v_cmp_o_f16_e64 s2, v11, v11
	v_cmp_u_f16_e64 s3, v17, v17
	s_delay_alu instid0(VALU_DEP_4)
	v_cmp_ne_u16_e64 s6, v13, v10
	v_cmp_lt_f16_e64 s4, v11, v17
	v_cmp_eq_u32_e64 s5, 1, v19
	s_and_b32 s2, s3, s2
	v_cndmask_b32_e64 v17, 0, 1, s6
	s_wait_alu 0xfffe
	s_or_b32 s2, s2, s4
	s_wait_alu 0xfffe
	s_and_b32 s2, s2, s5
	s_wait_alu 0xfffe
	v_cndmask_b32_e64 v17, v17, v7, s2
	s_delay_alu instid0(VALU_DEP_1) | instskip(NEXT) | instid1(VALU_DEP_1)
	v_and_b32_e32 v17, 1, v17
	v_cmp_eq_u32_e64 s2, 1, v17
	v_lshl_add_u32 v17, v7, 3, v9
	s_and_saveexec_b32 s3, s2
	s_wait_alu 0xfffe
	s_xor_b32 s2, exec_lo, s3
	s_cbranch_execz .LBB60_13
; %bb.12:
	ds_load_b128 v[19:22], v17
	v_lshlrev_b16 v18, 8, v18
	v_alignbit_b32 v11, v11, v11, 16
	s_delay_alu instid0(VALU_DEP_2)
	v_or_b32_e32 v13, v13, v18
	s_wait_dscnt 0x0
	v_dual_mov_b32 v23, v19 :: v_dual_mov_b32 v24, v20
	ds_store_b32 v3, v11
	ds_store_b128 v17, v[21:24]
	ds_store_b16 v4, v13
.LBB60_13:
	s_wait_alu 0xfffe
	s_or_b32 exec_lo, exec_lo, s2
	v_sub_nc_u32_e32 v13, v16, v10
	s_wait_loadcnt_dscnt 0x0
	s_barrier_signal -1
	s_barrier_wait -1
	global_inv scope:SCOPE_SE
	v_lshl_add_u32 v11, v13, 1, v14
	v_add_nc_u32_e32 v10, v15, v13
	v_bfe_u32 v20, v7, 1, 1
	v_lshl_add_u32 v13, v13, 3, v12
	ds_load_u16 v18, v11 offset:4
	ds_load_u8 v19, v10
	ds_load_u16 v22, v11
	ds_load_u8 v21, v10 offset:2
	s_wait_dscnt 0x3
	v_cmp_u_f16_e64 s2, v18, v18
	s_wait_dscnt 0x2
	v_and_b32_e32 v23, 1, v19
	s_wait_dscnt 0x1
	v_cmp_o_f16_e64 s3, v22, v22
	s_wait_dscnt 0x0
	v_cmp_ne_u16_e64 s5, v21, v20
	v_cmp_lt_f16_e64 s4, v22, v18
	s_and_b32 s2, s2, s3
	v_cndmask_b32_e64 v24, 0, 1, s5
	v_cmp_eq_u32_e64 s5, 1, v23
	s_wait_alu 0xfffe
	s_or_b32 s2, s2, s4
	s_wait_alu 0xfffe
	s_and_b32 s2, s2, s5
	s_wait_alu 0xfffe
	v_cndmask_b32_e64 v23, v24, v20, s2
	v_and_b32_e32 v20, 2, v7
	s_delay_alu instid0(VALU_DEP_2) | instskip(NEXT) | instid1(VALU_DEP_2)
	v_and_b32_e32 v23, 1, v23
	v_cmp_ne_u32_e64 s2, 0, v20
	s_delay_alu instid0(VALU_DEP_2)
	v_cmp_eq_u32_e64 s3, 1, v23
	s_and_saveexec_b32 s4, s3
	s_wait_alu 0xfffe
	s_xor_b32 s3, exec_lo, s4
	s_cbranch_execz .LBB60_15
; %bb.14:
	ds_load_2addr_b64 v[23:26], v13 offset1:2
	s_wait_dscnt 0x0
	ds_store_2addr_b64 v13, v[25:26], v[23:24] offset1:2
	ds_store_b16 v11, v18
	ds_store_b16 v11, v22 offset:4
	ds_store_b8 v10, v21
	ds_store_b8 v10, v19 offset:2
.LBB60_15:
	s_wait_alu 0xfffe
	s_or_b32 exec_lo, exec_lo, s3
	s_wait_loadcnt_dscnt 0x0
	s_barrier_signal -1
	s_barrier_wait -1
	global_inv scope:SCOPE_SE
	ds_load_b32 v18, v3
	ds_load_u16 v19, v4
	v_lshrrev_b32_e32 v21, 1, v20
	v_cndmask_b32_e64 v23, 0, 1, s2
	s_wait_dscnt 0x1
	v_lshrrev_b32_e32 v22, 16, v18
	s_wait_dscnt 0x0
	v_lshrrev_b16 v20, 8, v19
	v_and_b32_e32 v24, 1, v19
	v_cmp_o_f16_e64 s2, v18, v18
	v_cmp_u_f16_e64 s3, v22, v22
	s_delay_alu instid0(VALU_DEP_4)
	v_cmp_ne_u16_e64 s6, v20, v21
	v_cmp_lt_f16_e64 s4, v18, v22
	v_cmp_eq_u32_e64 s5, 1, v24
	s_and_b32 s2, s3, s2
	v_cndmask_b32_e64 v21, 0, 1, s6
	s_wait_alu 0xfffe
	s_or_b32 s2, s2, s4
	s_mov_b32 s3, exec_lo
	s_wait_alu 0xfffe
	s_and_b32 s2, s2, s5
	s_wait_alu 0xfffe
	v_cndmask_b32_e64 v21, v21, v23, s2
	s_delay_alu instid0(VALU_DEP_1) | instskip(NEXT) | instid1(VALU_DEP_1)
	v_and_b32_e32 v21, 1, v21
	v_cmpx_eq_u32_e32 1, v21
	s_cbranch_execz .LBB60_17
; %bb.16:
	ds_load_b128 v[21:24], v17
	v_lshlrev_b16 v19, 8, v19
	v_alignbit_b32 v18, v18, v18, 16
	s_delay_alu instid0(VALU_DEP_2)
	v_or_b32_e32 v19, v20, v19
	s_wait_dscnt 0x0
	v_dual_mov_b32 v25, v21 :: v_dual_mov_b32 v26, v22
	ds_store_b32 v3, v18
	ds_store_b128 v17, v[23:26]
	ds_store_b16 v4, v19
.LBB60_17:
	s_or_b32 exec_lo, exec_lo, s3
	v_and_b32_e32 v17, 3, v7
	s_wait_loadcnt_dscnt 0x0
	s_barrier_signal -1
	s_barrier_wait -1
	global_inv scope:SCOPE_SE
	v_sub_nc_u32_e32 v20, v16, v17
	v_bfe_u32 v21, v7, 2, 1
	s_delay_alu instid0(VALU_DEP_2)
	v_lshl_add_u32 v18, v20, 1, v14
	v_add_nc_u32_e32 v17, v15, v20
	v_lshl_add_u32 v20, v20, 3, v12
	ds_load_u16 v19, v18 offset:8
	ds_load_u8 v22, v17
	ds_load_u16 v24, v18
	ds_load_u8 v23, v17 offset:4
	s_wait_dscnt 0x3
	v_cmp_u_f16_e64 s2, v19, v19
	s_wait_dscnt 0x2
	v_and_b32_e32 v25, 1, v22
	s_wait_dscnt 0x1
	v_cmp_o_f16_e64 s3, v24, v24
	s_wait_dscnt 0x0
	v_cmp_ne_u16_e64 s5, v23, v21
	v_cmp_lt_f16_e64 s4, v24, v19
	s_and_b32 s2, s2, s3
	v_cndmask_b32_e64 v26, 0, 1, s5
	v_cmp_eq_u32_e64 s5, 1, v25
	s_wait_alu 0xfffe
	s_or_b32 s2, s2, s4
	s_mov_b32 s4, exec_lo
	s_wait_alu 0xfffe
	s_and_b32 s2, s2, s5
	s_wait_alu 0xfffe
	v_cndmask_b32_e64 v25, v26, v21, s2
	v_and_b32_e32 v21, 4, v7
	s_delay_alu instid0(VALU_DEP_2) | instskip(NEXT) | instid1(VALU_DEP_2)
	v_and_b32_e32 v25, 1, v25
	v_cmp_ne_u32_e64 s2, 0, v21
	s_delay_alu instid0(VALU_DEP_2)
	v_cmpx_eq_u32_e32 1, v25
	s_cbranch_execz .LBB60_19
; %bb.18:
	ds_load_2addr_b64 v[25:28], v20 offset1:4
	s_wait_dscnt 0x0
	ds_store_2addr_b64 v20, v[27:28], v[25:26] offset1:4
	ds_store_b16 v18, v19
	ds_store_b16 v18, v24 offset:8
	ds_store_b8 v17, v23
	ds_store_b8 v17, v22 offset:4
.LBB60_19:
	s_or_b32 exec_lo, exec_lo, s4
	s_wait_loadcnt_dscnt 0x0
	s_barrier_signal -1
	s_barrier_wait -1
	global_inv scope:SCOPE_SE
	ds_load_u16 v22, v11 offset:4
	ds_load_u8 v23, v10
	ds_load_u16 v25, v11
	ds_load_u8 v24, v10 offset:2
	v_lshrrev_b32_e32 v19, 2, v21
	v_cndmask_b32_e64 v21, 0, 1, s2
	s_wait_dscnt 0x3
	v_cmp_u_f16_e64 s2, v22, v22
	s_wait_dscnt 0x2
	v_and_b32_e32 v26, 1, v23
	s_wait_dscnt 0x1
	v_cmp_o_f16_e64 s3, v25, v25
	s_wait_dscnt 0x0
	v_cmp_ne_u16_e64 s5, v24, v19
	v_cmp_lt_f16_e64 s4, v25, v22
	s_and_b32 s2, s2, s3
	v_cndmask_b32_e64 v27, 0, 1, s5
	v_cmp_eq_u32_e64 s5, 1, v26
	s_wait_alu 0xfffe
	s_or_b32 s2, s2, s4
	s_mov_b32 s3, exec_lo
	s_wait_alu 0xfffe
	s_and_b32 s2, s2, s5
	s_wait_alu 0xfffe
	v_cndmask_b32_e64 v26, v27, v21, s2
	s_delay_alu instid0(VALU_DEP_1) | instskip(NEXT) | instid1(VALU_DEP_1)
	v_and_b32_e32 v26, 1, v26
	v_cmpx_eq_u32_e32 1, v26
	s_cbranch_execz .LBB60_21
; %bb.20:
	ds_load_2addr_b64 v[26:29], v13 offset1:2
	s_wait_dscnt 0x0
	ds_store_2addr_b64 v13, v[28:29], v[26:27] offset1:2
	ds_store_b16 v11, v22
	ds_store_b16 v11, v25 offset:4
	ds_store_b8 v10, v24
	ds_store_b8 v10, v23 offset:2
.LBB60_21:
	s_or_b32 exec_lo, exec_lo, s3
	s_wait_loadcnt_dscnt 0x0
	s_barrier_signal -1
	s_barrier_wait -1
	global_inv scope:SCOPE_SE
	ds_load_b32 v23, v3
	ds_load_u16 v24, v4
	s_wait_dscnt 0x1
	v_lshrrev_b32_e32 v25, 16, v23
	s_wait_dscnt 0x0
	v_lshrrev_b16 v22, 8, v24
	v_and_b32_e32 v26, 1, v24
	v_cmp_o_f16_e64 s2, v23, v23
	v_cmp_u_f16_e64 s3, v25, v25
	s_delay_alu instid0(VALU_DEP_4)
	v_cmp_ne_u16_e64 s6, v22, v19
	v_cmp_lt_f16_e64 s4, v23, v25
	v_cmp_eq_u32_e64 s5, 1, v26
	s_and_b32 s2, s3, s2
	v_cndmask_b32_e64 v19, 0, 1, s6
	s_wait_alu 0xfffe
	s_or_b32 s2, s2, s4
	s_wait_alu 0xfffe
	s_and_b32 s2, s2, s5
	s_wait_alu 0xfffe
	v_cndmask_b32_e64 v19, v19, v21, s2
	s_delay_alu instid0(VALU_DEP_1) | instskip(NEXT) | instid1(VALU_DEP_1)
	v_and_b32_e32 v19, 1, v19
	v_cmp_eq_u32_e64 s2, 1, v19
	v_lshl_add_u32 v19, v16, 3, v12
	s_and_saveexec_b32 s3, s2
	s_cbranch_execz .LBB60_23
; %bb.22:
	ds_load_b128 v[25:28], v19
	v_lshlrev_b16 v29, 8, v24
	v_alignbit_b32 v21, v23, v23, 16
	s_delay_alu instid0(VALU_DEP_2)
	v_or_b32_e32 v22, v22, v29
	s_wait_dscnt 0x0
	v_dual_mov_b32 v23, v27 :: v_dual_mov_b32 v24, v28
	ds_store_b32 v3, v21
	ds_store_b128 v19, v[23:26]
	ds_store_b16 v4, v22
.LBB60_23:
	s_wait_alu 0xfffe
	s_or_b32 exec_lo, exec_lo, s3
	v_and_b32_e32 v21, 7, v7
	s_wait_loadcnt_dscnt 0x0
	s_barrier_signal -1
	s_barrier_wait -1
	global_inv scope:SCOPE_SE
	v_sub_nc_u32_e32 v23, v16, v21
	v_bfe_u32 v25, v7, 3, 1
	s_delay_alu instid0(VALU_DEP_2)
	v_lshl_add_u32 v22, v23, 1, v14
	v_add_nc_u32_e32 v21, v15, v23
	v_lshl_add_u32 v23, v23, 3, v12
	ds_load_u16 v24, v22 offset:16
	ds_load_u8 v26, v21
	ds_load_u16 v28, v22
	ds_load_u8 v27, v21 offset:8
	s_wait_dscnt 0x3
	v_cmp_u_f16_e64 s2, v24, v24
	s_wait_dscnt 0x2
	v_and_b32_e32 v29, 1, v26
	s_wait_dscnt 0x1
	v_cmp_o_f16_e64 s3, v28, v28
	s_wait_dscnt 0x0
	v_cmp_ne_u16_e64 s5, v27, v25
	v_cmp_lt_f16_e64 s4, v28, v24
	s_and_b32 s2, s2, s3
	v_cndmask_b32_e64 v30, 0, 1, s5
	v_cmp_eq_u32_e64 s5, 1, v29
	s_wait_alu 0xfffe
	s_or_b32 s2, s2, s4
	s_mov_b32 s4, exec_lo
	s_wait_alu 0xfffe
	s_and_b32 s2, s2, s5
	s_wait_alu 0xfffe
	v_cndmask_b32_e64 v29, v30, v25, s2
	v_and_b32_e32 v25, 8, v7
	s_delay_alu instid0(VALU_DEP_2) | instskip(NEXT) | instid1(VALU_DEP_2)
	v_and_b32_e32 v29, 1, v29
	v_cmp_ne_u32_e64 s2, 0, v25
	s_delay_alu instid0(VALU_DEP_2)
	v_cmpx_eq_u32_e32 1, v29
	s_cbranch_execz .LBB60_25
; %bb.24:
	ds_load_2addr_b64 v[29:32], v23 offset1:8
	s_wait_dscnt 0x0
	ds_store_2addr_b64 v23, v[31:32], v[29:30] offset1:8
	ds_store_b16 v22, v24
	ds_store_b16 v22, v28 offset:16
	ds_store_b8 v21, v27
	ds_store_b8 v21, v26 offset:8
.LBB60_25:
	s_or_b32 exec_lo, exec_lo, s4
	s_wait_loadcnt_dscnt 0x0
	s_barrier_signal -1
	s_barrier_wait -1
	global_inv scope:SCOPE_SE
	ds_load_u16 v26, v18 offset:8
	ds_load_u8 v27, v17
	ds_load_u16 v29, v18
	ds_load_u8 v28, v17 offset:4
	v_lshrrev_b32_e32 v24, 3, v25
	v_cndmask_b32_e64 v25, 0, 1, s2
	s_wait_dscnt 0x3
	v_cmp_u_f16_e64 s2, v26, v26
	s_wait_dscnt 0x2
	v_and_b32_e32 v30, 1, v27
	s_wait_dscnt 0x1
	v_cmp_o_f16_e64 s3, v29, v29
	s_wait_dscnt 0x0
	v_cmp_ne_u16_e64 s5, v28, v24
	v_cmp_lt_f16_e64 s4, v29, v26
	s_and_b32 s2, s2, s3
	v_cndmask_b32_e64 v31, 0, 1, s5
	v_cmp_eq_u32_e64 s5, 1, v30
	s_wait_alu 0xfffe
	s_or_b32 s2, s2, s4
	s_mov_b32 s3, exec_lo
	s_wait_alu 0xfffe
	s_and_b32 s2, s2, s5
	s_wait_alu 0xfffe
	v_cndmask_b32_e64 v30, v31, v25, s2
	s_delay_alu instid0(VALU_DEP_1) | instskip(NEXT) | instid1(VALU_DEP_1)
	v_and_b32_e32 v30, 1, v30
	v_cmpx_eq_u32_e32 1, v30
	s_cbranch_execz .LBB60_27
; %bb.26:
	ds_load_2addr_b64 v[30:33], v20 offset1:4
	s_wait_dscnt 0x0
	ds_store_2addr_b64 v20, v[32:33], v[30:31] offset1:4
	ds_store_b16 v18, v26
	ds_store_b16 v18, v29 offset:8
	ds_store_b8 v17, v28
	ds_store_b8 v17, v27 offset:4
.LBB60_27:
	s_or_b32 exec_lo, exec_lo, s3
	s_wait_loadcnt_dscnt 0x0
	s_barrier_signal -1
	s_barrier_wait -1
	global_inv scope:SCOPE_SE
	ds_load_u16 v26, v11 offset:4
	ds_load_u8 v27, v10
	ds_load_u16 v29, v11
	ds_load_u8 v28, v10 offset:2
	s_wait_dscnt 0x3
	v_cmp_u_f16_e64 s2, v26, v26
	s_wait_dscnt 0x2
	v_and_b32_e32 v30, 1, v27
	s_wait_dscnt 0x1
	v_cmp_o_f16_e64 s3, v29, v29
	s_wait_dscnt 0x0
	v_cmp_ne_u16_e64 s5, v28, v24
	v_cmp_lt_f16_e64 s4, v29, v26
	s_and_b32 s2, s2, s3
	v_cndmask_b32_e64 v31, 0, 1, s5
	v_cmp_eq_u32_e64 s5, 1, v30
	s_wait_alu 0xfffe
	s_or_b32 s2, s2, s4
	s_mov_b32 s3, exec_lo
	s_wait_alu 0xfffe
	s_and_b32 s2, s2, s5
	s_wait_alu 0xfffe
	v_cndmask_b32_e64 v30, v31, v25, s2
	s_delay_alu instid0(VALU_DEP_1) | instskip(NEXT) | instid1(VALU_DEP_1)
	v_and_b32_e32 v30, 1, v30
	v_cmpx_eq_u32_e32 1, v30
	s_cbranch_execz .LBB60_29
; %bb.28:
	ds_load_2addr_b64 v[30:33], v13 offset1:2
	s_wait_dscnt 0x0
	ds_store_2addr_b64 v13, v[32:33], v[30:31] offset1:2
	ds_store_b16 v11, v26
	ds_store_b16 v11, v29 offset:4
	ds_store_b8 v10, v28
	ds_store_b8 v10, v27 offset:2
.LBB60_29:
	s_or_b32 exec_lo, exec_lo, s3
	s_wait_loadcnt_dscnt 0x0
	s_barrier_signal -1
	s_barrier_wait -1
	global_inv scope:SCOPE_SE
	ds_load_b32 v27, v3
	ds_load_u16 v28, v4
	s_wait_dscnt 0x1
	v_lshrrev_b32_e32 v29, 16, v27
	s_wait_dscnt 0x0
	v_lshrrev_b16 v26, 8, v28
	v_and_b32_e32 v30, 1, v28
	v_cmp_o_f16_e64 s2, v27, v27
	v_cmp_u_f16_e64 s3, v29, v29
	s_delay_alu instid0(VALU_DEP_4)
	v_cmp_ne_u16_e64 s6, v26, v24
	v_cmp_lt_f16_e64 s4, v27, v29
	v_cmp_eq_u32_e64 s5, 1, v30
	s_and_b32 s2, s3, s2
	v_cndmask_b32_e64 v24, 0, 1, s6
	s_wait_alu 0xfffe
	s_or_b32 s2, s2, s4
	s_mov_b32 s3, exec_lo
	s_wait_alu 0xfffe
	s_and_b32 s2, s2, s5
	s_wait_alu 0xfffe
	v_cndmask_b32_e64 v24, v24, v25, s2
	s_delay_alu instid0(VALU_DEP_1) | instskip(NEXT) | instid1(VALU_DEP_1)
	v_and_b32_e32 v24, 1, v24
	v_cmpx_eq_u32_e32 1, v24
	s_cbranch_execz .LBB60_31
; %bb.30:
	ds_load_b128 v[29:32], v19
	v_lshlrev_b16 v25, 8, v28
	v_alignbit_b32 v24, v27, v27, 16
	s_delay_alu instid0(VALU_DEP_2)
	v_or_b32_e32 v25, v26, v25
	s_wait_dscnt 0x0
	v_dual_mov_b32 v27, v31 :: v_dual_mov_b32 v28, v32
	ds_store_b32 v3, v24
	ds_store_b128 v19, v[27:30]
	ds_store_b16 v4, v25
.LBB60_31:
	s_or_b32 exec_lo, exec_lo, s3
	v_and_b32_e32 v24, 15, v7
	s_wait_loadcnt_dscnt 0x0
	s_barrier_signal -1
	s_barrier_wait -1
	global_inv scope:SCOPE_SE
	v_sub_nc_u32_e32 v24, v16, v24
	s_delay_alu instid0(VALU_DEP_1)
	v_lshl_add_u32 v16, v24, 1, v14
	v_add_nc_u32_e32 v14, v15, v24
	ds_load_u16 v15, v16 offset:32
	ds_load_u8 v25, v14
	ds_load_u16 v26, v16
	ds_load_u8 v27, v14 offset:16
	s_wait_dscnt 0x3
	v_cmp_u_f16_e64 s2, v15, v15
	s_wait_dscnt 0x2
	v_and_b32_e32 v28, 1, v25
	s_wait_dscnt 0x1
	v_cmp_o_f16_e64 s3, v26, v26
	v_cmp_lt_f16_e64 s4, v26, v15
	s_wait_dscnt 0x0
	v_and_b32_e32 v27, 0xff, v27
	v_cmp_eq_u32_e64 s5, 1, v28
	s_and_b32 s2, s2, s3
	s_wait_alu 0xfffe
	s_or_b32 s3, s2, s4
	v_cmp_ne_u16_e64 s2, 0, v27
	s_wait_alu 0xfffe
	s_and_b32 s3, s3, s5
	s_wait_alu 0xfffe
	s_xor_b32 s3, s3, -1
	s_wait_alu 0xfffe
	s_and_b32 s3, s3, s2
	s_wait_alu 0xfffe
	s_and_saveexec_b32 s2, s3
	s_cbranch_execz .LBB60_33
; %bb.32:
	v_lshl_add_u32 v12, v24, 3, v12
	v_mov_b32_e32 v24, 1
	ds_load_2addr_b64 v[27:30], v12 offset1:16
	s_wait_dscnt 0x0
	ds_store_2addr_b64 v12, v[29:30], v[27:28] offset1:16
	ds_store_b16 v16, v15
	ds_store_b16 v16, v26 offset:32
	ds_store_b8 v14, v24
	ds_store_b8 v14, v25 offset:16
.LBB60_33:
	s_wait_alu 0xfffe
	s_or_b32 exec_lo, exec_lo, s2
	s_wait_loadcnt_dscnt 0x0
	s_barrier_signal -1
	s_barrier_wait -1
	global_inv scope:SCOPE_SE
	ds_load_u16 v12, v22 offset:16
	ds_load_u8 v14, v21
	ds_load_u16 v15, v22
	ds_load_u8 v16, v21 offset:8
	s_wait_dscnt 0x3
	v_cmp_u_f16_e64 s2, v12, v12
	s_wait_dscnt 0x2
	v_and_b32_e32 v24, 1, v14
	s_wait_dscnt 0x1
	v_cmp_o_f16_e64 s3, v15, v15
	v_cmp_lt_f16_e64 s4, v15, v12
	s_wait_dscnt 0x0
	v_and_b32_e32 v16, 0xff, v16
	v_cmp_eq_u32_e64 s5, 1, v24
	s_and_b32 s2, s2, s3
	s_wait_alu 0xfffe
	s_or_b32 s3, s2, s4
	v_cmp_ne_u16_e64 s2, 0, v16
	s_wait_alu 0xfffe
	s_and_b32 s3, s3, s5
	s_wait_alu 0xfffe
	s_xor_b32 s3, s3, -1
	s_wait_alu 0xfffe
	s_and_b32 s3, s3, s2
	s_wait_alu 0xfffe
	s_and_saveexec_b32 s2, s3
	s_cbranch_execz .LBB60_35
; %bb.34:
	ds_load_2addr_b64 v[24:27], v23 offset1:8
	v_mov_b32_e32 v16, 1
	s_wait_dscnt 0x0
	ds_store_2addr_b64 v23, v[26:27], v[24:25] offset1:8
	ds_store_b16 v22, v12
	ds_store_b16 v22, v15 offset:16
	ds_store_b8 v21, v16
	ds_store_b8 v21, v14 offset:8
.LBB60_35:
	s_wait_alu 0xfffe
	s_or_b32 exec_lo, exec_lo, s2
	s_wait_loadcnt_dscnt 0x0
	s_barrier_signal -1
	s_barrier_wait -1
	global_inv scope:SCOPE_SE
	ds_load_u16 v12, v18 offset:8
	ds_load_u8 v14, v17
	ds_load_u16 v15, v18
	ds_load_u8 v16, v17 offset:4
	s_wait_dscnt 0x3
	v_cmp_u_f16_e64 s2, v12, v12
	s_wait_dscnt 0x2
	v_and_b32_e32 v21, 1, v14
	s_wait_dscnt 0x1
	v_cmp_o_f16_e64 s3, v15, v15
	v_cmp_lt_f16_e64 s4, v15, v12
	s_wait_dscnt 0x0
	v_and_b32_e32 v16, 0xff, v16
	v_cmp_eq_u32_e64 s5, 1, v21
	s_and_b32 s2, s2, s3
	s_wait_alu 0xfffe
	s_or_b32 s3, s2, s4
	v_cmp_ne_u16_e64 s2, 0, v16
	s_wait_alu 0xfffe
	s_and_b32 s3, s3, s5
	s_wait_alu 0xfffe
	s_xor_b32 s3, s3, -1
	s_wait_alu 0xfffe
	s_and_b32 s3, s3, s2
	s_wait_alu 0xfffe
	s_and_saveexec_b32 s2, s3
	s_cbranch_execz .LBB60_37
; %bb.36:
	ds_load_2addr_b64 v[21:24], v20 offset1:4
	v_mov_b32_e32 v16, 1
	s_wait_dscnt 0x0
	ds_store_2addr_b64 v20, v[23:24], v[21:22] offset1:4
	ds_store_b16 v18, v12
	ds_store_b16 v18, v15 offset:8
	ds_store_b8 v17, v16
	ds_store_b8 v17, v14 offset:4
.LBB60_37:
	;; [unrolled: 43-line block ×3, first 2 shown]
	s_wait_alu 0xfffe
	s_or_b32 exec_lo, exec_lo, s2
	s_wait_loadcnt_dscnt 0x0
	s_barrier_signal -1
	s_barrier_wait -1
	global_inv scope:SCOPE_SE
	ds_load_b32 v10, v3
	ds_load_u16 v11, v4
	s_wait_dscnt 0x1
	v_lshrrev_b32_e32 v12, 16, v10
	s_wait_dscnt 0x0
	v_and_b32_e32 v13, 1, v11
	v_cmp_o_f16_e64 s3, v10, v10
	s_delay_alu instid0(VALU_DEP_3)
	v_cmp_u_f16_e64 s2, v12, v12
	v_cmp_lt_f16_e64 s4, v10, v12
	v_lshrrev_b16 v12, 8, v11
	v_cmp_eq_u32_e64 s5, 1, v13
	s_and_b32 s2, s2, s3
	s_wait_alu 0xfffe
	s_or_b32 s3, s2, s4
	v_cmp_ne_u16_e64 s2, 0, v12
	s_wait_alu 0xfffe
	s_and_b32 s3, s3, s5
	s_wait_alu 0xfffe
	s_xor_b32 s3, s3, -1
	s_wait_alu 0xfffe
	s_and_b32 s3, s3, s2
	s_wait_alu 0xfffe
	s_and_saveexec_b32 s2, s3
	s_cbranch_execz .LBB60_41
; %bb.40:
	ds_load_b128 v[12:15], v19
	v_lshlrev_b16 v17, 8, v11
	v_alignbit_b32 v16, v10, v10, 16
	s_wait_dscnt 0x0
	v_dual_mov_b32 v10, v14 :: v_dual_mov_b32 v11, v15
	s_delay_alu instid0(VALU_DEP_3)
	v_or_b32_e32 v14, 1, v17
	ds_store_b32 v3, v16
	ds_store_b128 v19, v[10:13]
	ds_store_b16 v4, v14
.LBB60_41:
	s_wait_alu 0xfffe
	s_or_b32 exec_lo, exec_lo, s2
	s_wait_loadcnt_dscnt 0x0
	s_barrier_signal -1
	s_barrier_wait -1
	global_inv scope:SCOPE_SE
	s_and_saveexec_b32 s2, s0
	s_cbranch_execz .LBB60_46
; %bb.42:
	s_and_saveexec_b32 s0, vcc_lo
	s_cbranch_execz .LBB60_44
; %bb.43:
	v_mad_co_u64_u32 v[3:4], null, v7, s10, v[2:3]
	v_mov_b32_e32 v4, 0
	v_mad_co_u64_u32 v[10:11], null, v7, s7, v[0:1]
	ds_load_u16 v12, v8
	ds_load_b64 v[7:8], v9
	v_mov_b32_e32 v11, v4
	v_lshlrev_b64_e32 v[3:4], 1, v[3:4]
	s_delay_alu instid0(VALU_DEP_2) | instskip(NEXT) | instid1(VALU_DEP_2)
	v_lshlrev_b64_e32 v[9:10], 3, v[10:11]
	v_add_co_u32 v3, vcc_lo, s14, v3
	s_wait_alu 0xfffd
	s_delay_alu instid0(VALU_DEP_3) | instskip(NEXT) | instid1(VALU_DEP_3)
	v_add_co_ci_u32_e64 v4, null, s15, v4, vcc_lo
	v_add_co_u32 v9, vcc_lo, s12, v9
	s_wait_alu 0xfffd
	v_add_co_ci_u32_e64 v10, null, s13, v10, vcc_lo
	s_wait_dscnt 0x1
	global_store_b16 v[3:4], v12, off
	s_wait_dscnt 0x0
	global_store_b64 v[9:10], v[7:8], off
.LBB60_44:
	s_wait_alu 0xfffe
	s_or_b32 exec_lo, exec_lo, s0
	s_delay_alu instid0(SALU_CYCLE_1)
	s_and_b32 exec_lo, exec_lo, s1
	s_cbranch_execz .LBB60_46
; %bb.45:
	v_mad_co_u64_u32 v[2:3], null, v1, s10, v[2:3]
	v_mov_b32_e32 v3, 0
	v_mad_co_u64_u32 v[0:1], null, v1, s7, v[0:1]
	ds_load_u16 v7, v5
	ds_load_b64 v[4:5], v6
	v_mov_b32_e32 v1, v3
	v_lshlrev_b64_e32 v[2:3], 1, v[2:3]
	s_delay_alu instid0(VALU_DEP_2) | instskip(NEXT) | instid1(VALU_DEP_2)
	v_lshlrev_b64_e32 v[0:1], 3, v[0:1]
	v_add_co_u32 v2, vcc_lo, s14, v2
	s_wait_alu 0xfffd
	s_delay_alu instid0(VALU_DEP_3) | instskip(NEXT) | instid1(VALU_DEP_3)
	v_add_co_ci_u32_e64 v3, null, s15, v3, vcc_lo
	v_add_co_u32 v0, vcc_lo, s12, v0
	s_wait_alu 0xfffd
	v_add_co_ci_u32_e64 v1, null, s13, v1, vcc_lo
	s_wait_dscnt 0x1
	global_store_b16 v[2:3], v7, off
	s_wait_dscnt 0x0
	global_store_b64 v[0:1], v[4:5], off
.LBB60_46:
	s_endpgm
	.section	.rodata,"a",@progbits
	.p2align	6, 0x0
	.amdhsa_kernel _ZN2at6native20bitonicSortKVInPlaceILin1ELin1ELi16ELi16EN3c104HalfElNS0_4LTOpIS3_Lb1EEEjEEvNS_4cuda6detail10TensorInfoIT3_T6_EESA_SA_SA_NS8_IT4_SA_EESA_T5_
		.amdhsa_group_segment_fixed_size 5632
		.amdhsa_private_segment_fixed_size 0
		.amdhsa_kernarg_size 712
		.amdhsa_user_sgpr_count 2
		.amdhsa_user_sgpr_dispatch_ptr 0
		.amdhsa_user_sgpr_queue_ptr 0
		.amdhsa_user_sgpr_kernarg_segment_ptr 1
		.amdhsa_user_sgpr_dispatch_id 0
		.amdhsa_user_sgpr_private_segment_size 0
		.amdhsa_wavefront_size32 1
		.amdhsa_uses_dynamic_stack 0
		.amdhsa_enable_private_segment 0
		.amdhsa_system_sgpr_workgroup_id_x 1
		.amdhsa_system_sgpr_workgroup_id_y 1
		.amdhsa_system_sgpr_workgroup_id_z 1
		.amdhsa_system_sgpr_workgroup_info 0
		.amdhsa_system_vgpr_workitem_id 1
		.amdhsa_next_free_vgpr 34
		.amdhsa_next_free_sgpr 16
		.amdhsa_reserve_vcc 1
		.amdhsa_float_round_mode_32 0
		.amdhsa_float_round_mode_16_64 0
		.amdhsa_float_denorm_mode_32 3
		.amdhsa_float_denorm_mode_16_64 3
		.amdhsa_fp16_overflow 0
		.amdhsa_workgroup_processor_mode 1
		.amdhsa_memory_ordered 1
		.amdhsa_forward_progress 1
		.amdhsa_inst_pref_size 42
		.amdhsa_round_robin_scheduling 0
		.amdhsa_exception_fp_ieee_invalid_op 0
		.amdhsa_exception_fp_denorm_src 0
		.amdhsa_exception_fp_ieee_div_zero 0
		.amdhsa_exception_fp_ieee_overflow 0
		.amdhsa_exception_fp_ieee_underflow 0
		.amdhsa_exception_fp_ieee_inexact 0
		.amdhsa_exception_int_div_zero 0
	.end_amdhsa_kernel
	.section	.text._ZN2at6native20bitonicSortKVInPlaceILin1ELin1ELi16ELi16EN3c104HalfElNS0_4LTOpIS3_Lb1EEEjEEvNS_4cuda6detail10TensorInfoIT3_T6_EESA_SA_SA_NS8_IT4_SA_EESA_T5_,"axG",@progbits,_ZN2at6native20bitonicSortKVInPlaceILin1ELin1ELi16ELi16EN3c104HalfElNS0_4LTOpIS3_Lb1EEEjEEvNS_4cuda6detail10TensorInfoIT3_T6_EESA_SA_SA_NS8_IT4_SA_EESA_T5_,comdat
.Lfunc_end60:
	.size	_ZN2at6native20bitonicSortKVInPlaceILin1ELin1ELi16ELi16EN3c104HalfElNS0_4LTOpIS3_Lb1EEEjEEvNS_4cuda6detail10TensorInfoIT3_T6_EESA_SA_SA_NS8_IT4_SA_EESA_T5_, .Lfunc_end60-_ZN2at6native20bitonicSortKVInPlaceILin1ELin1ELi16ELi16EN3c104HalfElNS0_4LTOpIS3_Lb1EEEjEEvNS_4cuda6detail10TensorInfoIT3_T6_EESA_SA_SA_NS8_IT4_SA_EESA_T5_
                                        ; -- End function
	.set _ZN2at6native20bitonicSortKVInPlaceILin1ELin1ELi16ELi16EN3c104HalfElNS0_4LTOpIS3_Lb1EEEjEEvNS_4cuda6detail10TensorInfoIT3_T6_EESA_SA_SA_NS8_IT4_SA_EESA_T5_.num_vgpr, 34
	.set _ZN2at6native20bitonicSortKVInPlaceILin1ELin1ELi16ELi16EN3c104HalfElNS0_4LTOpIS3_Lb1EEEjEEvNS_4cuda6detail10TensorInfoIT3_T6_EESA_SA_SA_NS8_IT4_SA_EESA_T5_.num_agpr, 0
	.set _ZN2at6native20bitonicSortKVInPlaceILin1ELin1ELi16ELi16EN3c104HalfElNS0_4LTOpIS3_Lb1EEEjEEvNS_4cuda6detail10TensorInfoIT3_T6_EESA_SA_SA_NS8_IT4_SA_EESA_T5_.numbered_sgpr, 16
	.set _ZN2at6native20bitonicSortKVInPlaceILin1ELin1ELi16ELi16EN3c104HalfElNS0_4LTOpIS3_Lb1EEEjEEvNS_4cuda6detail10TensorInfoIT3_T6_EESA_SA_SA_NS8_IT4_SA_EESA_T5_.num_named_barrier, 0
	.set _ZN2at6native20bitonicSortKVInPlaceILin1ELin1ELi16ELi16EN3c104HalfElNS0_4LTOpIS3_Lb1EEEjEEvNS_4cuda6detail10TensorInfoIT3_T6_EESA_SA_SA_NS8_IT4_SA_EESA_T5_.private_seg_size, 0
	.set _ZN2at6native20bitonicSortKVInPlaceILin1ELin1ELi16ELi16EN3c104HalfElNS0_4LTOpIS3_Lb1EEEjEEvNS_4cuda6detail10TensorInfoIT3_T6_EESA_SA_SA_NS8_IT4_SA_EESA_T5_.uses_vcc, 1
	.set _ZN2at6native20bitonicSortKVInPlaceILin1ELin1ELi16ELi16EN3c104HalfElNS0_4LTOpIS3_Lb1EEEjEEvNS_4cuda6detail10TensorInfoIT3_T6_EESA_SA_SA_NS8_IT4_SA_EESA_T5_.uses_flat_scratch, 0
	.set _ZN2at6native20bitonicSortKVInPlaceILin1ELin1ELi16ELi16EN3c104HalfElNS0_4LTOpIS3_Lb1EEEjEEvNS_4cuda6detail10TensorInfoIT3_T6_EESA_SA_SA_NS8_IT4_SA_EESA_T5_.has_dyn_sized_stack, 0
	.set _ZN2at6native20bitonicSortKVInPlaceILin1ELin1ELi16ELi16EN3c104HalfElNS0_4LTOpIS3_Lb1EEEjEEvNS_4cuda6detail10TensorInfoIT3_T6_EESA_SA_SA_NS8_IT4_SA_EESA_T5_.has_recursion, 0
	.set _ZN2at6native20bitonicSortKVInPlaceILin1ELin1ELi16ELi16EN3c104HalfElNS0_4LTOpIS3_Lb1EEEjEEvNS_4cuda6detail10TensorInfoIT3_T6_EESA_SA_SA_NS8_IT4_SA_EESA_T5_.has_indirect_call, 0
	.section	.AMDGPU.csdata,"",@progbits
; Kernel info:
; codeLenInByte = 5372
; TotalNumSgprs: 18
; NumVgprs: 34
; ScratchSize: 0
; MemoryBound: 0
; FloatMode: 240
; IeeeMode: 1
; LDSByteSize: 5632 bytes/workgroup (compile time only)
; SGPRBlocks: 0
; VGPRBlocks: 4
; NumSGPRsForWavesPerEU: 18
; NumVGPRsForWavesPerEU: 34
; Occupancy: 16
; WaveLimiterHint : 1
; COMPUTE_PGM_RSRC2:SCRATCH_EN: 0
; COMPUTE_PGM_RSRC2:USER_SGPR: 2
; COMPUTE_PGM_RSRC2:TRAP_HANDLER: 0
; COMPUTE_PGM_RSRC2:TGID_X_EN: 1
; COMPUTE_PGM_RSRC2:TGID_Y_EN: 1
; COMPUTE_PGM_RSRC2:TGID_Z_EN: 1
; COMPUTE_PGM_RSRC2:TIDIG_COMP_CNT: 1
	.section	.text._ZN2at6native20bitonicSortKVInPlaceILin1ELin1ELi16ELi16EN3c104HalfElNS0_4GTOpIS3_Lb1EEEjEEvNS_4cuda6detail10TensorInfoIT3_T6_EESA_SA_SA_NS8_IT4_SA_EESA_T5_,"axG",@progbits,_ZN2at6native20bitonicSortKVInPlaceILin1ELin1ELi16ELi16EN3c104HalfElNS0_4GTOpIS3_Lb1EEEjEEvNS_4cuda6detail10TensorInfoIT3_T6_EESA_SA_SA_NS8_IT4_SA_EESA_T5_,comdat
	.protected	_ZN2at6native20bitonicSortKVInPlaceILin1ELin1ELi16ELi16EN3c104HalfElNS0_4GTOpIS3_Lb1EEEjEEvNS_4cuda6detail10TensorInfoIT3_T6_EESA_SA_SA_NS8_IT4_SA_EESA_T5_ ; -- Begin function _ZN2at6native20bitonicSortKVInPlaceILin1ELin1ELi16ELi16EN3c104HalfElNS0_4GTOpIS3_Lb1EEEjEEvNS_4cuda6detail10TensorInfoIT3_T6_EESA_SA_SA_NS8_IT4_SA_EESA_T5_
	.globl	_ZN2at6native20bitonicSortKVInPlaceILin1ELin1ELi16ELi16EN3c104HalfElNS0_4GTOpIS3_Lb1EEEjEEvNS_4cuda6detail10TensorInfoIT3_T6_EESA_SA_SA_NS8_IT4_SA_EESA_T5_
	.p2align	8
	.type	_ZN2at6native20bitonicSortKVInPlaceILin1ELin1ELi16ELi16EN3c104HalfElNS0_4GTOpIS3_Lb1EEEjEEvNS_4cuda6detail10TensorInfoIT3_T6_EESA_SA_SA_NS8_IT4_SA_EESA_T5_,@function
_ZN2at6native20bitonicSortKVInPlaceILin1ELin1ELi16ELi16EN3c104HalfElNS0_4GTOpIS3_Lb1EEEjEEvNS_4cuda6detail10TensorInfoIT3_T6_EESA_SA_SA_NS8_IT4_SA_EESA_T5_: ; @_ZN2at6native20bitonicSortKVInPlaceILin1ELin1ELi16ELi16EN3c104HalfElNS0_4GTOpIS3_Lb1EEEjEEvNS_4cuda6detail10TensorInfoIT3_T6_EESA_SA_SA_NS8_IT4_SA_EESA_T5_
; %bb.0:
	s_clause 0x2
	s_load_b64 s[2:3], s[0:1], 0x1c8
	s_load_u16 s4, s[0:1], 0x1d6
	s_load_b96 s[8:10], s[0:1], 0xd8
	s_lshr_b32 s5, ttmp7, 16
	s_wait_kmcnt 0x0
	s_mul_i32 s3, s3, s5
	s_and_b32 s5, ttmp7, 0xffff
	s_delay_alu instid0(SALU_CYCLE_1) | instskip(NEXT) | instid1(SALU_CYCLE_1)
	s_add_co_i32 s3, s3, s5
	s_mul_i32 s2, s3, s2
	s_delay_alu instid0(SALU_CYCLE_1) | instskip(NEXT) | instid1(SALU_CYCLE_1)
	s_add_co_i32 s3, s2, ttmp9
	s_mul_i32 s3, s3, s4
	s_delay_alu instid0(SALU_CYCLE_1)
	s_cmp_ge_u32 s3, s8
	s_cbranch_scc1 .LBB61_46
; %bb.1:
	s_load_b32 s2, s[0:1], 0xd0
	v_bfe_u32 v8, v0, 10, 10
	s_delay_alu instid0(VALU_DEP_1) | instskip(NEXT) | instid1(VALU_DEP_1)
	v_dual_mov_b32 v1, 0 :: v_dual_add_nc_u32 v6, s3, v8
	v_mov_b32_e32 v3, v6
	s_wait_kmcnt 0x0
	s_cmp_lt_i32 s2, 2
	s_cbranch_scc1 .LBB61_4
; %bb.2:
	s_add_co_i32 s4, s2, -1
	s_mov_b32 s5, 0
	v_mov_b32_e32 v1, 0
	s_lshl_b64 s[4:5], s[4:5], 2
	v_mov_b32_e32 v3, v6
	s_add_nc_u64 s[6:7], s[0:1], s[4:5]
	s_add_co_i32 s4, s2, 1
	s_add_nc_u64 s[2:3], s[6:7], 8
.LBB61_3:                               ; =>This Inner Loop Header: Depth=1
	s_clause 0x1
	s_load_b32 s5, s[2:3], 0x0
	s_load_b32 s6, s[2:3], 0x64
	s_add_co_i32 s4, s4, -1
	s_add_nc_u64 s[2:3], s[2:3], -4
	s_wait_kmcnt 0x0
	s_cvt_f32_u32 s7, s5
	s_sub_co_i32 s11, 0, s5
	s_wait_alu 0xfffe
	s_delay_alu instid0(SALU_CYCLE_1) | instskip(NEXT) | instid1(TRANS32_DEP_1)
	v_rcp_iflag_f32_e32 v2, s7
	v_readfirstlane_b32 s7, v2
	v_mov_b32_e32 v2, v3
	s_mul_f32 s7, s7, 0x4f7ffffe
	s_wait_alu 0xfffe
	s_delay_alu instid0(SALU_CYCLE_2) | instskip(SKIP_1) | instid1(SALU_CYCLE_2)
	s_cvt_u32_f32 s7, s7
	s_wait_alu 0xfffe
	s_mul_i32 s11, s11, s7
	s_delay_alu instid0(SALU_CYCLE_1) | instskip(NEXT) | instid1(SALU_CYCLE_1)
	s_mul_hi_u32 s11, s7, s11
	s_add_co_i32 s7, s7, s11
	s_cmp_gt_u32 s4, 2
	s_wait_alu 0xfffe
	v_mul_hi_u32 v3, v2, s7
	s_delay_alu instid0(VALU_DEP_1) | instskip(SKIP_1) | instid1(VALU_DEP_2)
	v_mul_lo_u32 v4, v3, s5
	v_add_nc_u32_e32 v5, 1, v3
	v_sub_nc_u32_e32 v4, v2, v4
	s_delay_alu instid0(VALU_DEP_1) | instskip(SKIP_2) | instid1(VALU_DEP_2)
	v_subrev_nc_u32_e32 v7, s5, v4
	v_cmp_le_u32_e32 vcc_lo, s5, v4
	s_wait_alu 0xfffd
	v_dual_cndmask_b32 v3, v3, v5 :: v_dual_cndmask_b32 v4, v4, v7
	s_delay_alu instid0(VALU_DEP_1) | instskip(NEXT) | instid1(VALU_DEP_2)
	v_add_nc_u32_e32 v5, 1, v3
	v_cmp_le_u32_e32 vcc_lo, s5, v4
	s_wait_alu 0xfffd
	s_delay_alu instid0(VALU_DEP_2) | instskip(NEXT) | instid1(VALU_DEP_1)
	v_cndmask_b32_e32 v3, v3, v5, vcc_lo
	v_mul_lo_u32 v4, v3, s5
	s_delay_alu instid0(VALU_DEP_1) | instskip(NEXT) | instid1(VALU_DEP_1)
	v_sub_nc_u32_e32 v2, v2, v4
	v_mad_co_u64_u32 v[1:2], null, s6, v2, v[1:2]
	s_cbranch_scc1 .LBB61_3
.LBB61_4:
	s_load_b32 s4, s[0:1], 0x1b8
	v_dual_mov_b32 v4, 0 :: v_dual_mov_b32 v9, v6
	s_add_nc_u64 s[2:3], s[0:1], 0x1c8
	s_wait_kmcnt 0x0
	s_cmp_lt_i32 s4, 2
	s_cbranch_scc1 .LBB61_7
; %bb.5:
	s_add_co_i32 s6, s4, -1
	s_mov_b32 s7, 0
	v_dual_mov_b32 v4, 0 :: v_dual_mov_b32 v9, v6
	s_wait_alu 0xfffe
	s_lshl_b64 s[6:7], s[6:7], 2
	s_wait_alu 0xfffe
	s_add_nc_u64 s[12:13], s[0:1], s[6:7]
	s_add_co_i32 s6, s4, 1
	s_add_nc_u64 s[4:5], s[12:13], 0xf0
.LBB61_6:                               ; =>This Inner Loop Header: Depth=1
	s_clause 0x1
	s_load_b32 s7, s[4:5], 0x0
	s_load_b32 s11, s[4:5], 0x64
	s_add_co_i32 s6, s6, -1
	s_add_nc_u64 s[4:5], s[4:5], -4
	s_wait_kmcnt 0x0
	s_cvt_f32_u32 s12, s7
	s_sub_co_i32 s13, 0, s7
	s_wait_alu 0xfffe
	s_delay_alu instid0(SALU_CYCLE_1) | instskip(NEXT) | instid1(TRANS32_DEP_1)
	v_rcp_iflag_f32_e32 v2, s12
	v_readfirstlane_b32 s12, v2
	v_mov_b32_e32 v2, v9
	s_mul_f32 s12, s12, 0x4f7ffffe
	s_wait_alu 0xfffe
	s_delay_alu instid0(SALU_CYCLE_2) | instskip(SKIP_1) | instid1(SALU_CYCLE_2)
	s_cvt_u32_f32 s12, s12
	s_wait_alu 0xfffe
	s_mul_i32 s13, s13, s12
	s_wait_alu 0xfffe
	s_mul_hi_u32 s13, s12, s13
	s_wait_alu 0xfffe
	s_add_co_i32 s12, s12, s13
	s_cmp_gt_u32 s6, 2
	s_wait_alu 0xfffe
	v_mul_hi_u32 v5, v2, s12
	s_delay_alu instid0(VALU_DEP_1) | instskip(SKIP_1) | instid1(VALU_DEP_2)
	v_mul_lo_u32 v7, v5, s7
	v_add_nc_u32_e32 v9, 1, v5
	v_sub_nc_u32_e32 v7, v2, v7
	s_delay_alu instid0(VALU_DEP_1) | instskip(SKIP_3) | instid1(VALU_DEP_3)
	v_subrev_nc_u32_e32 v10, s7, v7
	v_cmp_le_u32_e32 vcc_lo, s7, v7
	s_wait_alu 0xfffd
	v_cndmask_b32_e32 v5, v5, v9, vcc_lo
	v_cndmask_b32_e32 v7, v7, v10, vcc_lo
	s_delay_alu instid0(VALU_DEP_2) | instskip(NEXT) | instid1(VALU_DEP_2)
	v_add_nc_u32_e32 v9, 1, v5
	v_cmp_le_u32_e32 vcc_lo, s7, v7
	s_wait_alu 0xfffd
	s_delay_alu instid0(VALU_DEP_2) | instskip(NEXT) | instid1(VALU_DEP_1)
	v_cndmask_b32_e32 v9, v5, v9, vcc_lo
	v_mul_lo_u32 v5, v9, s7
	s_delay_alu instid0(VALU_DEP_1) | instskip(NEXT) | instid1(VALU_DEP_1)
	v_sub_nc_u32_e32 v2, v2, v5
	v_mad_co_u64_u32 v[4:5], null, s11, v2, v[4:5]
	s_cbranch_scc1 .LBB61_6
.LBB61_7:
	s_clause 0x1
	s_load_b32 s4, s[0:1], 0x6c
	s_load_b32 s5, s[0:1], 0x154
	;; [unrolled: 1-line block ×3, first 2 shown]
	s_clause 0x2
	s_load_b32 s7, s[0:1], 0x1c0
	s_load_b64 s[14:15], s[0:1], 0x0
	s_load_b64 s[12:13], s[0:1], 0xe8
	v_and_b32_e32 v7, 0x3ff, v0
	v_cmp_gt_u32_e64 s0, s8, v6
	v_dual_mov_b32 v10, 0 :: v_dual_mov_b32 v11, 0
	s_wait_kmcnt 0x0
	v_mad_co_u64_u32 v[2:3], null, s4, v3, v[1:2]
	v_mad_co_u64_u32 v[0:1], null, s5, v9, v[4:5]
	v_mov_b32_e32 v3, 0
	v_mov_b32_e32 v4, 0
	v_cmp_gt_u32_e32 vcc_lo, s9, v7
	v_mov_b32_e32 v5, 0
	v_mov_b32_e32 v6, 0
	s_and_b32 s4, s0, vcc_lo
	s_wait_alu 0xfffe
	s_and_saveexec_b32 s3, s4
	s_cbranch_execz .LBB61_9
; %bb.8:
	v_mad_co_u64_u32 v[5:6], null, v7, s10, v[2:3]
	v_mov_b32_e32 v6, 0
	v_mad_co_u64_u32 v[11:12], null, v7, s7, v[0:1]
	s_delay_alu instid0(VALU_DEP_2) | instskip(NEXT) | instid1(VALU_DEP_4)
	v_mov_b32_e32 v12, v6
	v_lshlrev_b64_e32 v[5:6], 1, v[5:6]
	s_delay_alu instid0(VALU_DEP_2) | instskip(NEXT) | instid1(VALU_DEP_2)
	v_lshlrev_b64_e32 v[11:12], 3, v[11:12]
	v_add_co_u32 v5, s1, s14, v5
	s_delay_alu instid0(VALU_DEP_1) | instskip(NEXT) | instid1(VALU_DEP_3)
	v_add_co_ci_u32_e64 v6, null, s15, v6, s1
	v_add_co_u32 v13, s1, s12, v11
	s_wait_alu 0xf1ff
	s_delay_alu instid0(VALU_DEP_4)
	v_add_co_ci_u32_e64 v14, null, s13, v12, s1
	global_load_u16 v11, v[5:6], off
	global_load_b64 v[5:6], v[13:14], off
.LBB61_9:
	s_wait_alu 0xfffe
	s_or_b32 exec_lo, exec_lo, s3
	s_and_b32 s3, 0xffff, s2
	v_lshl_add_u32 v14, v8, 6, 0x1000
	s_wait_alu 0xfffe
	v_add_nc_u32_e32 v1, s3, v7
	v_lshlrev_b32_e32 v12, 8, v8
	v_lshl_add_u32 v15, v8, 5, 0x1400
	v_cndmask_b32_e64 v13, 0, 1, s4
	v_lshl_add_u32 v8, v7, 1, v14
	v_cmp_gt_u32_e64 s1, s9, v1
	v_lshl_add_u32 v9, v7, 3, v12
	v_add_nc_u32_e32 v16, v15, v7
	s_wait_loadcnt 0x1
	ds_store_b16 v8, v11
	s_wait_loadcnt 0x0
	ds_store_b64 v9, v[5:6]
	ds_store_b8 v16, v13
	s_and_b32 s4, s0, s1
	s_wait_alu 0xfffe
	s_and_saveexec_b32 s5, s4
	s_cbranch_execz .LBB61_11
; %bb.10:
	v_mad_co_u64_u32 v[3:4], null, v1, s10, v[2:3]
	v_mov_b32_e32 v4, 0
	v_mad_co_u64_u32 v[5:6], null, v1, s7, v[0:1]
	s_delay_alu instid0(VALU_DEP_2) | instskip(NEXT) | instid1(VALU_DEP_4)
	v_mov_b32_e32 v6, v4
	v_lshlrev_b64_e32 v[3:4], 1, v[3:4]
	s_delay_alu instid0(VALU_DEP_2) | instskip(NEXT) | instid1(VALU_DEP_2)
	v_lshlrev_b64_e32 v[5:6], 3, v[5:6]
	v_add_co_u32 v3, s2, s14, v3
	s_wait_alu 0xf1ff
	s_delay_alu instid0(VALU_DEP_3) | instskip(NEXT) | instid1(VALU_DEP_3)
	v_add_co_ci_u32_e64 v4, null, s15, v4, s2
	v_add_co_u32 v5, s2, s12, v5
	s_wait_alu 0xf1ff
	v_add_co_ci_u32_e64 v6, null, s13, v6, s2
	global_load_u16 v10, v[3:4], off
	global_load_b64 v[3:4], v[5:6], off
.LBB61_11:
	s_wait_alu 0xfffe
	s_or_b32 exec_lo, exec_lo, s5
	v_lshl_add_u32 v5, s3, 1, v8
	v_lshlrev_b32_e32 v16, 1, v7
	v_lshl_add_u32 v6, s3, 3, v9
	v_cndmask_b32_e64 v11, 0, 1, s4
	v_add_nc_u32_e32 v13, v15, v1
	s_wait_loadcnt 0x1
	ds_store_b16 v5, v10
	s_wait_loadcnt 0x0
	ds_store_b64 v6, v[3:4]
	ds_store_b8 v13, v11
	v_add_nc_u32_e32 v3, v8, v16
	v_add_nc_u32_e32 v4, v15, v16
	s_wait_dscnt 0x0
	s_barrier_signal -1
	s_barrier_wait -1
	global_inv scope:SCOPE_SE
	ds_load_b32 v11, v3
	ds_load_u16 v18, v4
	v_and_b32_e32 v10, 1, v7
	s_wait_dscnt 0x1
	v_lshrrev_b32_e32 v17, 16, v11
	s_wait_dscnt 0x0
	v_lshrrev_b16 v13, 8, v18
	v_and_b32_e32 v19, 1, v18
	v_cmp_u_f16_e64 s2, v11, v11
	v_cmp_o_f16_e64 s3, v17, v17
	s_delay_alu instid0(VALU_DEP_4)
	v_cmp_ne_u16_e64 s6, v13, v10
	v_cmp_gt_f16_e64 s4, v11, v17
	v_cmp_eq_u32_e64 s5, 1, v19
	s_and_b32 s2, s2, s3
	v_cndmask_b32_e64 v17, 0, 1, s6
	s_wait_alu 0xfffe
	s_or_b32 s2, s2, s4
	s_wait_alu 0xfffe
	s_and_b32 s2, s2, s5
	s_wait_alu 0xfffe
	v_cndmask_b32_e64 v17, v17, v7, s2
	s_delay_alu instid0(VALU_DEP_1) | instskip(NEXT) | instid1(VALU_DEP_1)
	v_and_b32_e32 v17, 1, v17
	v_cmp_eq_u32_e64 s2, 1, v17
	v_lshl_add_u32 v17, v7, 3, v9
	s_and_saveexec_b32 s3, s2
	s_wait_alu 0xfffe
	s_xor_b32 s2, exec_lo, s3
	s_cbranch_execz .LBB61_13
; %bb.12:
	ds_load_b128 v[19:22], v17
	v_lshlrev_b16 v18, 8, v18
	v_alignbit_b32 v11, v11, v11, 16
	s_delay_alu instid0(VALU_DEP_2)
	v_or_b32_e32 v13, v13, v18
	s_wait_dscnt 0x0
	v_dual_mov_b32 v23, v19 :: v_dual_mov_b32 v24, v20
	ds_store_b32 v3, v11
	ds_store_b128 v17, v[21:24]
	ds_store_b16 v4, v13
.LBB61_13:
	s_wait_alu 0xfffe
	s_or_b32 exec_lo, exec_lo, s2
	v_sub_nc_u32_e32 v13, v16, v10
	s_wait_loadcnt_dscnt 0x0
	s_barrier_signal -1
	s_barrier_wait -1
	global_inv scope:SCOPE_SE
	v_lshl_add_u32 v11, v13, 1, v14
	v_add_nc_u32_e32 v10, v15, v13
	v_bfe_u32 v20, v7, 1, 1
	v_lshl_add_u32 v13, v13, 3, v12
	ds_load_u16 v18, v11
	ds_load_u8 v19, v10
	ds_load_u16 v22, v11 offset:4
	ds_load_u8 v21, v10 offset:2
	s_wait_dscnt 0x3
	v_cmp_u_f16_e64 s2, v18, v18
	s_wait_dscnt 0x2
	v_and_b32_e32 v23, 1, v19
	s_wait_dscnt 0x1
	v_cmp_o_f16_e64 s3, v22, v22
	s_wait_dscnt 0x0
	v_cmp_ne_u16_e64 s5, v21, v20
	v_cmp_gt_f16_e64 s4, v18, v22
	s_and_b32 s2, s2, s3
	v_cndmask_b32_e64 v24, 0, 1, s5
	v_cmp_eq_u32_e64 s5, 1, v23
	s_wait_alu 0xfffe
	s_or_b32 s2, s2, s4
	s_wait_alu 0xfffe
	s_and_b32 s2, s2, s5
	s_wait_alu 0xfffe
	v_cndmask_b32_e64 v23, v24, v20, s2
	v_and_b32_e32 v20, 2, v7
	s_delay_alu instid0(VALU_DEP_2) | instskip(NEXT) | instid1(VALU_DEP_2)
	v_and_b32_e32 v23, 1, v23
	v_cmp_ne_u32_e64 s2, 0, v20
	s_delay_alu instid0(VALU_DEP_2)
	v_cmp_eq_u32_e64 s3, 1, v23
	s_and_saveexec_b32 s4, s3
	s_wait_alu 0xfffe
	s_xor_b32 s3, exec_lo, s4
	s_cbranch_execz .LBB61_15
; %bb.14:
	ds_load_2addr_b64 v[23:26], v13 offset1:2
	s_wait_dscnt 0x0
	ds_store_2addr_b64 v13, v[25:26], v[23:24] offset1:2
	ds_store_b16 v11, v22
	ds_store_b16 v11, v18 offset:4
	ds_store_b8 v10, v21
	ds_store_b8 v10, v19 offset:2
.LBB61_15:
	s_wait_alu 0xfffe
	s_or_b32 exec_lo, exec_lo, s3
	s_wait_loadcnt_dscnt 0x0
	s_barrier_signal -1
	s_barrier_wait -1
	global_inv scope:SCOPE_SE
	ds_load_b32 v18, v3
	ds_load_u16 v19, v4
	v_lshrrev_b32_e32 v21, 1, v20
	v_cndmask_b32_e64 v23, 0, 1, s2
	s_wait_dscnt 0x1
	v_lshrrev_b32_e32 v22, 16, v18
	s_wait_dscnt 0x0
	v_lshrrev_b16 v20, 8, v19
	v_and_b32_e32 v24, 1, v19
	v_cmp_u_f16_e64 s2, v18, v18
	v_cmp_o_f16_e64 s3, v22, v22
	s_delay_alu instid0(VALU_DEP_4)
	v_cmp_ne_u16_e64 s6, v20, v21
	v_cmp_gt_f16_e64 s4, v18, v22
	v_cmp_eq_u32_e64 s5, 1, v24
	s_and_b32 s2, s2, s3
	v_cndmask_b32_e64 v21, 0, 1, s6
	s_wait_alu 0xfffe
	s_or_b32 s2, s2, s4
	s_mov_b32 s3, exec_lo
	s_wait_alu 0xfffe
	s_and_b32 s2, s2, s5
	s_wait_alu 0xfffe
	v_cndmask_b32_e64 v21, v21, v23, s2
	s_delay_alu instid0(VALU_DEP_1) | instskip(NEXT) | instid1(VALU_DEP_1)
	v_and_b32_e32 v21, 1, v21
	v_cmpx_eq_u32_e32 1, v21
	s_cbranch_execz .LBB61_17
; %bb.16:
	ds_load_b128 v[21:24], v17
	v_lshlrev_b16 v19, 8, v19
	v_alignbit_b32 v18, v18, v18, 16
	s_delay_alu instid0(VALU_DEP_2)
	v_or_b32_e32 v19, v20, v19
	s_wait_dscnt 0x0
	v_dual_mov_b32 v25, v21 :: v_dual_mov_b32 v26, v22
	ds_store_b32 v3, v18
	ds_store_b128 v17, v[23:26]
	ds_store_b16 v4, v19
.LBB61_17:
	s_or_b32 exec_lo, exec_lo, s3
	v_and_b32_e32 v17, 3, v7
	s_wait_loadcnt_dscnt 0x0
	s_barrier_signal -1
	s_barrier_wait -1
	global_inv scope:SCOPE_SE
	v_sub_nc_u32_e32 v20, v16, v17
	v_bfe_u32 v21, v7, 2, 1
	s_delay_alu instid0(VALU_DEP_2)
	v_lshl_add_u32 v18, v20, 1, v14
	v_add_nc_u32_e32 v17, v15, v20
	v_lshl_add_u32 v20, v20, 3, v12
	ds_load_u16 v19, v18
	ds_load_u8 v22, v17
	ds_load_u16 v24, v18 offset:8
	ds_load_u8 v23, v17 offset:4
	s_wait_dscnt 0x3
	v_cmp_u_f16_e64 s2, v19, v19
	s_wait_dscnt 0x2
	v_and_b32_e32 v25, 1, v22
	s_wait_dscnt 0x1
	v_cmp_o_f16_e64 s3, v24, v24
	s_wait_dscnt 0x0
	v_cmp_ne_u16_e64 s5, v23, v21
	v_cmp_gt_f16_e64 s4, v19, v24
	s_and_b32 s2, s2, s3
	v_cndmask_b32_e64 v26, 0, 1, s5
	v_cmp_eq_u32_e64 s5, 1, v25
	s_wait_alu 0xfffe
	s_or_b32 s2, s2, s4
	s_mov_b32 s4, exec_lo
	s_wait_alu 0xfffe
	s_and_b32 s2, s2, s5
	s_wait_alu 0xfffe
	v_cndmask_b32_e64 v25, v26, v21, s2
	v_and_b32_e32 v21, 4, v7
	s_delay_alu instid0(VALU_DEP_2) | instskip(NEXT) | instid1(VALU_DEP_2)
	v_and_b32_e32 v25, 1, v25
	v_cmp_ne_u32_e64 s2, 0, v21
	s_delay_alu instid0(VALU_DEP_2)
	v_cmpx_eq_u32_e32 1, v25
	s_cbranch_execz .LBB61_19
; %bb.18:
	ds_load_2addr_b64 v[25:28], v20 offset1:4
	s_wait_dscnt 0x0
	ds_store_2addr_b64 v20, v[27:28], v[25:26] offset1:4
	ds_store_b16 v18, v24
	ds_store_b16 v18, v19 offset:8
	ds_store_b8 v17, v23
	ds_store_b8 v17, v22 offset:4
.LBB61_19:
	s_or_b32 exec_lo, exec_lo, s4
	s_wait_loadcnt_dscnt 0x0
	s_barrier_signal -1
	s_barrier_wait -1
	global_inv scope:SCOPE_SE
	ds_load_u16 v22, v11
	ds_load_u8 v23, v10
	ds_load_u16 v25, v11 offset:4
	ds_load_u8 v24, v10 offset:2
	v_lshrrev_b32_e32 v19, 2, v21
	v_cndmask_b32_e64 v21, 0, 1, s2
	s_wait_dscnt 0x3
	v_cmp_u_f16_e64 s2, v22, v22
	s_wait_dscnt 0x2
	v_and_b32_e32 v26, 1, v23
	s_wait_dscnt 0x1
	v_cmp_o_f16_e64 s3, v25, v25
	s_wait_dscnt 0x0
	v_cmp_ne_u16_e64 s5, v24, v19
	v_cmp_gt_f16_e64 s4, v22, v25
	s_and_b32 s2, s2, s3
	v_cndmask_b32_e64 v27, 0, 1, s5
	v_cmp_eq_u32_e64 s5, 1, v26
	s_wait_alu 0xfffe
	s_or_b32 s2, s2, s4
	s_mov_b32 s3, exec_lo
	s_wait_alu 0xfffe
	s_and_b32 s2, s2, s5
	s_wait_alu 0xfffe
	v_cndmask_b32_e64 v26, v27, v21, s2
	s_delay_alu instid0(VALU_DEP_1) | instskip(NEXT) | instid1(VALU_DEP_1)
	v_and_b32_e32 v26, 1, v26
	v_cmpx_eq_u32_e32 1, v26
	s_cbranch_execz .LBB61_21
; %bb.20:
	ds_load_2addr_b64 v[26:29], v13 offset1:2
	s_wait_dscnt 0x0
	ds_store_2addr_b64 v13, v[28:29], v[26:27] offset1:2
	ds_store_b16 v11, v25
	ds_store_b16 v11, v22 offset:4
	ds_store_b8 v10, v24
	ds_store_b8 v10, v23 offset:2
.LBB61_21:
	s_or_b32 exec_lo, exec_lo, s3
	s_wait_loadcnt_dscnt 0x0
	s_barrier_signal -1
	s_barrier_wait -1
	global_inv scope:SCOPE_SE
	ds_load_b32 v23, v3
	ds_load_u16 v24, v4
	s_wait_dscnt 0x1
	v_lshrrev_b32_e32 v25, 16, v23
	s_wait_dscnt 0x0
	v_lshrrev_b16 v22, 8, v24
	v_and_b32_e32 v26, 1, v24
	v_cmp_u_f16_e64 s2, v23, v23
	v_cmp_o_f16_e64 s3, v25, v25
	s_delay_alu instid0(VALU_DEP_4)
	v_cmp_ne_u16_e64 s6, v22, v19
	v_cmp_gt_f16_e64 s4, v23, v25
	v_cmp_eq_u32_e64 s5, 1, v26
	s_and_b32 s2, s2, s3
	v_cndmask_b32_e64 v19, 0, 1, s6
	s_wait_alu 0xfffe
	s_or_b32 s2, s2, s4
	s_wait_alu 0xfffe
	s_and_b32 s2, s2, s5
	s_wait_alu 0xfffe
	v_cndmask_b32_e64 v19, v19, v21, s2
	s_delay_alu instid0(VALU_DEP_1) | instskip(NEXT) | instid1(VALU_DEP_1)
	v_and_b32_e32 v19, 1, v19
	v_cmp_eq_u32_e64 s2, 1, v19
	v_lshl_add_u32 v19, v16, 3, v12
	s_and_saveexec_b32 s3, s2
	s_cbranch_execz .LBB61_23
; %bb.22:
	ds_load_b128 v[25:28], v19
	v_lshlrev_b16 v29, 8, v24
	v_alignbit_b32 v21, v23, v23, 16
	s_delay_alu instid0(VALU_DEP_2)
	v_or_b32_e32 v22, v22, v29
	s_wait_dscnt 0x0
	v_dual_mov_b32 v23, v27 :: v_dual_mov_b32 v24, v28
	ds_store_b32 v3, v21
	ds_store_b128 v19, v[23:26]
	ds_store_b16 v4, v22
.LBB61_23:
	s_wait_alu 0xfffe
	s_or_b32 exec_lo, exec_lo, s3
	v_and_b32_e32 v21, 7, v7
	s_wait_loadcnt_dscnt 0x0
	s_barrier_signal -1
	s_barrier_wait -1
	global_inv scope:SCOPE_SE
	v_sub_nc_u32_e32 v23, v16, v21
	v_bfe_u32 v25, v7, 3, 1
	s_delay_alu instid0(VALU_DEP_2)
	v_lshl_add_u32 v22, v23, 1, v14
	v_add_nc_u32_e32 v21, v15, v23
	v_lshl_add_u32 v23, v23, 3, v12
	ds_load_u16 v24, v22
	ds_load_u8 v26, v21
	ds_load_u16 v28, v22 offset:16
	ds_load_u8 v27, v21 offset:8
	s_wait_dscnt 0x3
	v_cmp_u_f16_e64 s2, v24, v24
	s_wait_dscnt 0x2
	v_and_b32_e32 v29, 1, v26
	s_wait_dscnt 0x1
	v_cmp_o_f16_e64 s3, v28, v28
	s_wait_dscnt 0x0
	v_cmp_ne_u16_e64 s5, v27, v25
	v_cmp_gt_f16_e64 s4, v24, v28
	s_and_b32 s2, s2, s3
	v_cndmask_b32_e64 v30, 0, 1, s5
	v_cmp_eq_u32_e64 s5, 1, v29
	s_wait_alu 0xfffe
	s_or_b32 s2, s2, s4
	s_mov_b32 s4, exec_lo
	s_wait_alu 0xfffe
	s_and_b32 s2, s2, s5
	s_wait_alu 0xfffe
	v_cndmask_b32_e64 v29, v30, v25, s2
	v_and_b32_e32 v25, 8, v7
	s_delay_alu instid0(VALU_DEP_2) | instskip(NEXT) | instid1(VALU_DEP_2)
	v_and_b32_e32 v29, 1, v29
	v_cmp_ne_u32_e64 s2, 0, v25
	s_delay_alu instid0(VALU_DEP_2)
	v_cmpx_eq_u32_e32 1, v29
	s_cbranch_execz .LBB61_25
; %bb.24:
	ds_load_2addr_b64 v[29:32], v23 offset1:8
	s_wait_dscnt 0x0
	ds_store_2addr_b64 v23, v[31:32], v[29:30] offset1:8
	ds_store_b16 v22, v28
	ds_store_b16 v22, v24 offset:16
	ds_store_b8 v21, v27
	ds_store_b8 v21, v26 offset:8
.LBB61_25:
	s_or_b32 exec_lo, exec_lo, s4
	s_wait_loadcnt_dscnt 0x0
	s_barrier_signal -1
	s_barrier_wait -1
	global_inv scope:SCOPE_SE
	ds_load_u16 v26, v18
	ds_load_u8 v27, v17
	ds_load_u16 v29, v18 offset:8
	ds_load_u8 v28, v17 offset:4
	v_lshrrev_b32_e32 v24, 3, v25
	v_cndmask_b32_e64 v25, 0, 1, s2
	s_wait_dscnt 0x3
	v_cmp_u_f16_e64 s2, v26, v26
	s_wait_dscnt 0x2
	v_and_b32_e32 v30, 1, v27
	s_wait_dscnt 0x1
	v_cmp_o_f16_e64 s3, v29, v29
	s_wait_dscnt 0x0
	v_cmp_ne_u16_e64 s5, v28, v24
	v_cmp_gt_f16_e64 s4, v26, v29
	s_and_b32 s2, s2, s3
	v_cndmask_b32_e64 v31, 0, 1, s5
	v_cmp_eq_u32_e64 s5, 1, v30
	s_wait_alu 0xfffe
	s_or_b32 s2, s2, s4
	s_mov_b32 s3, exec_lo
	s_wait_alu 0xfffe
	s_and_b32 s2, s2, s5
	s_wait_alu 0xfffe
	v_cndmask_b32_e64 v30, v31, v25, s2
	s_delay_alu instid0(VALU_DEP_1) | instskip(NEXT) | instid1(VALU_DEP_1)
	v_and_b32_e32 v30, 1, v30
	v_cmpx_eq_u32_e32 1, v30
	s_cbranch_execz .LBB61_27
; %bb.26:
	ds_load_2addr_b64 v[30:33], v20 offset1:4
	s_wait_dscnt 0x0
	ds_store_2addr_b64 v20, v[32:33], v[30:31] offset1:4
	ds_store_b16 v18, v29
	ds_store_b16 v18, v26 offset:8
	ds_store_b8 v17, v28
	ds_store_b8 v17, v27 offset:4
.LBB61_27:
	s_or_b32 exec_lo, exec_lo, s3
	s_wait_loadcnt_dscnt 0x0
	s_barrier_signal -1
	s_barrier_wait -1
	global_inv scope:SCOPE_SE
	ds_load_u16 v26, v11
	ds_load_u8 v27, v10
	ds_load_u16 v29, v11 offset:4
	ds_load_u8 v28, v10 offset:2
	s_wait_dscnt 0x3
	v_cmp_u_f16_e64 s2, v26, v26
	s_wait_dscnt 0x2
	v_and_b32_e32 v30, 1, v27
	s_wait_dscnt 0x1
	v_cmp_o_f16_e64 s3, v29, v29
	s_wait_dscnt 0x0
	v_cmp_ne_u16_e64 s5, v28, v24
	v_cmp_gt_f16_e64 s4, v26, v29
	s_and_b32 s2, s2, s3
	v_cndmask_b32_e64 v31, 0, 1, s5
	v_cmp_eq_u32_e64 s5, 1, v30
	s_wait_alu 0xfffe
	s_or_b32 s2, s2, s4
	s_mov_b32 s3, exec_lo
	s_wait_alu 0xfffe
	s_and_b32 s2, s2, s5
	s_wait_alu 0xfffe
	v_cndmask_b32_e64 v30, v31, v25, s2
	s_delay_alu instid0(VALU_DEP_1) | instskip(NEXT) | instid1(VALU_DEP_1)
	v_and_b32_e32 v30, 1, v30
	v_cmpx_eq_u32_e32 1, v30
	s_cbranch_execz .LBB61_29
; %bb.28:
	ds_load_2addr_b64 v[30:33], v13 offset1:2
	s_wait_dscnt 0x0
	ds_store_2addr_b64 v13, v[32:33], v[30:31] offset1:2
	ds_store_b16 v11, v29
	ds_store_b16 v11, v26 offset:4
	ds_store_b8 v10, v28
	ds_store_b8 v10, v27 offset:2
.LBB61_29:
	s_or_b32 exec_lo, exec_lo, s3
	s_wait_loadcnt_dscnt 0x0
	s_barrier_signal -1
	s_barrier_wait -1
	global_inv scope:SCOPE_SE
	ds_load_b32 v27, v3
	ds_load_u16 v28, v4
	s_wait_dscnt 0x1
	v_lshrrev_b32_e32 v29, 16, v27
	s_wait_dscnt 0x0
	v_lshrrev_b16 v26, 8, v28
	v_and_b32_e32 v30, 1, v28
	v_cmp_u_f16_e64 s2, v27, v27
	v_cmp_o_f16_e64 s3, v29, v29
	s_delay_alu instid0(VALU_DEP_4)
	v_cmp_ne_u16_e64 s6, v26, v24
	v_cmp_gt_f16_e64 s4, v27, v29
	v_cmp_eq_u32_e64 s5, 1, v30
	s_and_b32 s2, s2, s3
	v_cndmask_b32_e64 v24, 0, 1, s6
	s_wait_alu 0xfffe
	s_or_b32 s2, s2, s4
	s_mov_b32 s3, exec_lo
	s_wait_alu 0xfffe
	s_and_b32 s2, s2, s5
	s_wait_alu 0xfffe
	v_cndmask_b32_e64 v24, v24, v25, s2
	s_delay_alu instid0(VALU_DEP_1) | instskip(NEXT) | instid1(VALU_DEP_1)
	v_and_b32_e32 v24, 1, v24
	v_cmpx_eq_u32_e32 1, v24
	s_cbranch_execz .LBB61_31
; %bb.30:
	ds_load_b128 v[29:32], v19
	v_lshlrev_b16 v25, 8, v28
	v_alignbit_b32 v24, v27, v27, 16
	s_delay_alu instid0(VALU_DEP_2)
	v_or_b32_e32 v25, v26, v25
	s_wait_dscnt 0x0
	v_dual_mov_b32 v27, v31 :: v_dual_mov_b32 v28, v32
	ds_store_b32 v3, v24
	ds_store_b128 v19, v[27:30]
	ds_store_b16 v4, v25
.LBB61_31:
	s_or_b32 exec_lo, exec_lo, s3
	v_and_b32_e32 v24, 15, v7
	s_wait_loadcnt_dscnt 0x0
	s_barrier_signal -1
	s_barrier_wait -1
	global_inv scope:SCOPE_SE
	v_sub_nc_u32_e32 v24, v16, v24
	s_delay_alu instid0(VALU_DEP_1)
	v_lshl_add_u32 v16, v24, 1, v14
	v_add_nc_u32_e32 v14, v15, v24
	ds_load_u16 v15, v16
	ds_load_u8 v25, v14
	ds_load_u16 v26, v16 offset:32
	ds_load_u8 v27, v14 offset:16
	s_wait_dscnt 0x3
	v_cmp_u_f16_e64 s2, v15, v15
	s_wait_dscnt 0x2
	v_and_b32_e32 v28, 1, v25
	s_wait_dscnt 0x1
	v_cmp_o_f16_e64 s3, v26, v26
	v_cmp_gt_f16_e64 s4, v15, v26
	s_wait_dscnt 0x0
	v_and_b32_e32 v27, 0xff, v27
	v_cmp_eq_u32_e64 s5, 1, v28
	s_and_b32 s2, s2, s3
	s_wait_alu 0xfffe
	s_or_b32 s3, s2, s4
	v_cmp_ne_u16_e64 s2, 0, v27
	s_wait_alu 0xfffe
	s_and_b32 s3, s3, s5
	s_wait_alu 0xfffe
	s_xor_b32 s3, s3, -1
	s_wait_alu 0xfffe
	s_and_b32 s3, s3, s2
	s_wait_alu 0xfffe
	s_and_saveexec_b32 s2, s3
	s_cbranch_execz .LBB61_33
; %bb.32:
	v_lshl_add_u32 v12, v24, 3, v12
	v_mov_b32_e32 v24, 1
	ds_load_2addr_b64 v[27:30], v12 offset1:16
	s_wait_dscnt 0x0
	ds_store_2addr_b64 v12, v[29:30], v[27:28] offset1:16
	ds_store_b16 v16, v26
	ds_store_b16 v16, v15 offset:32
	ds_store_b8 v14, v24
	ds_store_b8 v14, v25 offset:16
.LBB61_33:
	s_wait_alu 0xfffe
	s_or_b32 exec_lo, exec_lo, s2
	s_wait_loadcnt_dscnt 0x0
	s_barrier_signal -1
	s_barrier_wait -1
	global_inv scope:SCOPE_SE
	ds_load_u16 v12, v22
	ds_load_u8 v14, v21
	ds_load_u16 v15, v22 offset:16
	ds_load_u8 v16, v21 offset:8
	s_wait_dscnt 0x3
	v_cmp_u_f16_e64 s2, v12, v12
	s_wait_dscnt 0x2
	v_and_b32_e32 v24, 1, v14
	s_wait_dscnt 0x1
	v_cmp_o_f16_e64 s3, v15, v15
	v_cmp_gt_f16_e64 s4, v12, v15
	s_wait_dscnt 0x0
	v_and_b32_e32 v16, 0xff, v16
	v_cmp_eq_u32_e64 s5, 1, v24
	s_and_b32 s2, s2, s3
	s_wait_alu 0xfffe
	s_or_b32 s3, s2, s4
	v_cmp_ne_u16_e64 s2, 0, v16
	s_wait_alu 0xfffe
	s_and_b32 s3, s3, s5
	s_wait_alu 0xfffe
	s_xor_b32 s3, s3, -1
	s_wait_alu 0xfffe
	s_and_b32 s3, s3, s2
	s_wait_alu 0xfffe
	s_and_saveexec_b32 s2, s3
	s_cbranch_execz .LBB61_35
; %bb.34:
	ds_load_2addr_b64 v[24:27], v23 offset1:8
	v_mov_b32_e32 v16, 1
	s_wait_dscnt 0x0
	ds_store_2addr_b64 v23, v[26:27], v[24:25] offset1:8
	ds_store_b16 v22, v15
	ds_store_b16 v22, v12 offset:16
	ds_store_b8 v21, v16
	ds_store_b8 v21, v14 offset:8
.LBB61_35:
	s_wait_alu 0xfffe
	s_or_b32 exec_lo, exec_lo, s2
	s_wait_loadcnt_dscnt 0x0
	s_barrier_signal -1
	s_barrier_wait -1
	global_inv scope:SCOPE_SE
	ds_load_u16 v12, v18
	ds_load_u8 v14, v17
	ds_load_u16 v15, v18 offset:8
	ds_load_u8 v16, v17 offset:4
	s_wait_dscnt 0x3
	v_cmp_u_f16_e64 s2, v12, v12
	s_wait_dscnt 0x2
	v_and_b32_e32 v21, 1, v14
	s_wait_dscnt 0x1
	v_cmp_o_f16_e64 s3, v15, v15
	v_cmp_gt_f16_e64 s4, v12, v15
	s_wait_dscnt 0x0
	v_and_b32_e32 v16, 0xff, v16
	v_cmp_eq_u32_e64 s5, 1, v21
	s_and_b32 s2, s2, s3
	s_wait_alu 0xfffe
	s_or_b32 s3, s2, s4
	v_cmp_ne_u16_e64 s2, 0, v16
	s_wait_alu 0xfffe
	s_and_b32 s3, s3, s5
	s_wait_alu 0xfffe
	s_xor_b32 s3, s3, -1
	s_wait_alu 0xfffe
	s_and_b32 s3, s3, s2
	s_wait_alu 0xfffe
	s_and_saveexec_b32 s2, s3
	s_cbranch_execz .LBB61_37
; %bb.36:
	ds_load_2addr_b64 v[21:24], v20 offset1:4
	v_mov_b32_e32 v16, 1
	s_wait_dscnt 0x0
	ds_store_2addr_b64 v20, v[23:24], v[21:22] offset1:4
	ds_store_b16 v18, v15
	ds_store_b16 v18, v12 offset:8
	ds_store_b8 v17, v16
	ds_store_b8 v17, v14 offset:4
.LBB61_37:
	;; [unrolled: 43-line block ×3, first 2 shown]
	s_wait_alu 0xfffe
	s_or_b32 exec_lo, exec_lo, s2
	s_wait_loadcnt_dscnt 0x0
	s_barrier_signal -1
	s_barrier_wait -1
	global_inv scope:SCOPE_SE
	ds_load_b32 v10, v3
	ds_load_u16 v11, v4
	s_wait_dscnt 0x1
	v_lshrrev_b32_e32 v12, 16, v10
	s_wait_dscnt 0x0
	v_and_b32_e32 v13, 1, v11
	v_cmp_u_f16_e64 s2, v10, v10
	s_delay_alu instid0(VALU_DEP_3)
	v_cmp_o_f16_e64 s3, v12, v12
	v_cmp_gt_f16_e64 s4, v10, v12
	v_lshrrev_b16 v12, 8, v11
	v_cmp_eq_u32_e64 s5, 1, v13
	s_and_b32 s2, s2, s3
	s_wait_alu 0xfffe
	s_or_b32 s3, s2, s4
	v_cmp_ne_u16_e64 s2, 0, v12
	s_wait_alu 0xfffe
	s_and_b32 s3, s3, s5
	s_wait_alu 0xfffe
	s_xor_b32 s3, s3, -1
	s_wait_alu 0xfffe
	s_and_b32 s3, s3, s2
	s_wait_alu 0xfffe
	s_and_saveexec_b32 s2, s3
	s_cbranch_execz .LBB61_41
; %bb.40:
	ds_load_b128 v[12:15], v19
	v_lshlrev_b16 v17, 8, v11
	v_alignbit_b32 v16, v10, v10, 16
	s_wait_dscnt 0x0
	v_dual_mov_b32 v10, v14 :: v_dual_mov_b32 v11, v15
	s_delay_alu instid0(VALU_DEP_3)
	v_or_b32_e32 v14, 1, v17
	ds_store_b32 v3, v16
	ds_store_b128 v19, v[10:13]
	ds_store_b16 v4, v14
.LBB61_41:
	s_wait_alu 0xfffe
	s_or_b32 exec_lo, exec_lo, s2
	s_wait_loadcnt_dscnt 0x0
	s_barrier_signal -1
	s_barrier_wait -1
	global_inv scope:SCOPE_SE
	s_and_saveexec_b32 s2, s0
	s_cbranch_execz .LBB61_46
; %bb.42:
	s_and_saveexec_b32 s0, vcc_lo
	s_cbranch_execz .LBB61_44
; %bb.43:
	v_mad_co_u64_u32 v[3:4], null, v7, s10, v[2:3]
	v_mov_b32_e32 v4, 0
	v_mad_co_u64_u32 v[10:11], null, v7, s7, v[0:1]
	ds_load_u16 v12, v8
	ds_load_b64 v[7:8], v9
	v_mov_b32_e32 v11, v4
	v_lshlrev_b64_e32 v[3:4], 1, v[3:4]
	s_delay_alu instid0(VALU_DEP_2) | instskip(NEXT) | instid1(VALU_DEP_2)
	v_lshlrev_b64_e32 v[9:10], 3, v[10:11]
	v_add_co_u32 v3, vcc_lo, s14, v3
	s_wait_alu 0xfffd
	s_delay_alu instid0(VALU_DEP_3) | instskip(NEXT) | instid1(VALU_DEP_3)
	v_add_co_ci_u32_e64 v4, null, s15, v4, vcc_lo
	v_add_co_u32 v9, vcc_lo, s12, v9
	s_wait_alu 0xfffd
	v_add_co_ci_u32_e64 v10, null, s13, v10, vcc_lo
	s_wait_dscnt 0x1
	global_store_b16 v[3:4], v12, off
	s_wait_dscnt 0x0
	global_store_b64 v[9:10], v[7:8], off
.LBB61_44:
	s_wait_alu 0xfffe
	s_or_b32 exec_lo, exec_lo, s0
	s_delay_alu instid0(SALU_CYCLE_1)
	s_and_b32 exec_lo, exec_lo, s1
	s_cbranch_execz .LBB61_46
; %bb.45:
	v_mad_co_u64_u32 v[2:3], null, v1, s10, v[2:3]
	v_mov_b32_e32 v3, 0
	v_mad_co_u64_u32 v[0:1], null, v1, s7, v[0:1]
	ds_load_u16 v7, v5
	ds_load_b64 v[4:5], v6
	v_mov_b32_e32 v1, v3
	v_lshlrev_b64_e32 v[2:3], 1, v[2:3]
	s_delay_alu instid0(VALU_DEP_2) | instskip(NEXT) | instid1(VALU_DEP_2)
	v_lshlrev_b64_e32 v[0:1], 3, v[0:1]
	v_add_co_u32 v2, vcc_lo, s14, v2
	s_wait_alu 0xfffd
	s_delay_alu instid0(VALU_DEP_3) | instskip(NEXT) | instid1(VALU_DEP_3)
	v_add_co_ci_u32_e64 v3, null, s15, v3, vcc_lo
	v_add_co_u32 v0, vcc_lo, s12, v0
	s_wait_alu 0xfffd
	v_add_co_ci_u32_e64 v1, null, s13, v1, vcc_lo
	s_wait_dscnt 0x1
	global_store_b16 v[2:3], v7, off
	s_wait_dscnt 0x0
	global_store_b64 v[0:1], v[4:5], off
.LBB61_46:
	s_endpgm
	.section	.rodata,"a",@progbits
	.p2align	6, 0x0
	.amdhsa_kernel _ZN2at6native20bitonicSortKVInPlaceILin1ELin1ELi16ELi16EN3c104HalfElNS0_4GTOpIS3_Lb1EEEjEEvNS_4cuda6detail10TensorInfoIT3_T6_EESA_SA_SA_NS8_IT4_SA_EESA_T5_
		.amdhsa_group_segment_fixed_size 5632
		.amdhsa_private_segment_fixed_size 0
		.amdhsa_kernarg_size 712
		.amdhsa_user_sgpr_count 2
		.amdhsa_user_sgpr_dispatch_ptr 0
		.amdhsa_user_sgpr_queue_ptr 0
		.amdhsa_user_sgpr_kernarg_segment_ptr 1
		.amdhsa_user_sgpr_dispatch_id 0
		.amdhsa_user_sgpr_private_segment_size 0
		.amdhsa_wavefront_size32 1
		.amdhsa_uses_dynamic_stack 0
		.amdhsa_enable_private_segment 0
		.amdhsa_system_sgpr_workgroup_id_x 1
		.amdhsa_system_sgpr_workgroup_id_y 1
		.amdhsa_system_sgpr_workgroup_id_z 1
		.amdhsa_system_sgpr_workgroup_info 0
		.amdhsa_system_vgpr_workitem_id 1
		.amdhsa_next_free_vgpr 34
		.amdhsa_next_free_sgpr 16
		.amdhsa_reserve_vcc 1
		.amdhsa_float_round_mode_32 0
		.amdhsa_float_round_mode_16_64 0
		.amdhsa_float_denorm_mode_32 3
		.amdhsa_float_denorm_mode_16_64 3
		.amdhsa_fp16_overflow 0
		.amdhsa_workgroup_processor_mode 1
		.amdhsa_memory_ordered 1
		.amdhsa_forward_progress 1
		.amdhsa_inst_pref_size 42
		.amdhsa_round_robin_scheduling 0
		.amdhsa_exception_fp_ieee_invalid_op 0
		.amdhsa_exception_fp_denorm_src 0
		.amdhsa_exception_fp_ieee_div_zero 0
		.amdhsa_exception_fp_ieee_overflow 0
		.amdhsa_exception_fp_ieee_underflow 0
		.amdhsa_exception_fp_ieee_inexact 0
		.amdhsa_exception_int_div_zero 0
	.end_amdhsa_kernel
	.section	.text._ZN2at6native20bitonicSortKVInPlaceILin1ELin1ELi16ELi16EN3c104HalfElNS0_4GTOpIS3_Lb1EEEjEEvNS_4cuda6detail10TensorInfoIT3_T6_EESA_SA_SA_NS8_IT4_SA_EESA_T5_,"axG",@progbits,_ZN2at6native20bitonicSortKVInPlaceILin1ELin1ELi16ELi16EN3c104HalfElNS0_4GTOpIS3_Lb1EEEjEEvNS_4cuda6detail10TensorInfoIT3_T6_EESA_SA_SA_NS8_IT4_SA_EESA_T5_,comdat
.Lfunc_end61:
	.size	_ZN2at6native20bitonicSortKVInPlaceILin1ELin1ELi16ELi16EN3c104HalfElNS0_4GTOpIS3_Lb1EEEjEEvNS_4cuda6detail10TensorInfoIT3_T6_EESA_SA_SA_NS8_IT4_SA_EESA_T5_, .Lfunc_end61-_ZN2at6native20bitonicSortKVInPlaceILin1ELin1ELi16ELi16EN3c104HalfElNS0_4GTOpIS3_Lb1EEEjEEvNS_4cuda6detail10TensorInfoIT3_T6_EESA_SA_SA_NS8_IT4_SA_EESA_T5_
                                        ; -- End function
	.set _ZN2at6native20bitonicSortKVInPlaceILin1ELin1ELi16ELi16EN3c104HalfElNS0_4GTOpIS3_Lb1EEEjEEvNS_4cuda6detail10TensorInfoIT3_T6_EESA_SA_SA_NS8_IT4_SA_EESA_T5_.num_vgpr, 34
	.set _ZN2at6native20bitonicSortKVInPlaceILin1ELin1ELi16ELi16EN3c104HalfElNS0_4GTOpIS3_Lb1EEEjEEvNS_4cuda6detail10TensorInfoIT3_T6_EESA_SA_SA_NS8_IT4_SA_EESA_T5_.num_agpr, 0
	.set _ZN2at6native20bitonicSortKVInPlaceILin1ELin1ELi16ELi16EN3c104HalfElNS0_4GTOpIS3_Lb1EEEjEEvNS_4cuda6detail10TensorInfoIT3_T6_EESA_SA_SA_NS8_IT4_SA_EESA_T5_.numbered_sgpr, 16
	.set _ZN2at6native20bitonicSortKVInPlaceILin1ELin1ELi16ELi16EN3c104HalfElNS0_4GTOpIS3_Lb1EEEjEEvNS_4cuda6detail10TensorInfoIT3_T6_EESA_SA_SA_NS8_IT4_SA_EESA_T5_.num_named_barrier, 0
	.set _ZN2at6native20bitonicSortKVInPlaceILin1ELin1ELi16ELi16EN3c104HalfElNS0_4GTOpIS3_Lb1EEEjEEvNS_4cuda6detail10TensorInfoIT3_T6_EESA_SA_SA_NS8_IT4_SA_EESA_T5_.private_seg_size, 0
	.set _ZN2at6native20bitonicSortKVInPlaceILin1ELin1ELi16ELi16EN3c104HalfElNS0_4GTOpIS3_Lb1EEEjEEvNS_4cuda6detail10TensorInfoIT3_T6_EESA_SA_SA_NS8_IT4_SA_EESA_T5_.uses_vcc, 1
	.set _ZN2at6native20bitonicSortKVInPlaceILin1ELin1ELi16ELi16EN3c104HalfElNS0_4GTOpIS3_Lb1EEEjEEvNS_4cuda6detail10TensorInfoIT3_T6_EESA_SA_SA_NS8_IT4_SA_EESA_T5_.uses_flat_scratch, 0
	.set _ZN2at6native20bitonicSortKVInPlaceILin1ELin1ELi16ELi16EN3c104HalfElNS0_4GTOpIS3_Lb1EEEjEEvNS_4cuda6detail10TensorInfoIT3_T6_EESA_SA_SA_NS8_IT4_SA_EESA_T5_.has_dyn_sized_stack, 0
	.set _ZN2at6native20bitonicSortKVInPlaceILin1ELin1ELi16ELi16EN3c104HalfElNS0_4GTOpIS3_Lb1EEEjEEvNS_4cuda6detail10TensorInfoIT3_T6_EESA_SA_SA_NS8_IT4_SA_EESA_T5_.has_recursion, 0
	.set _ZN2at6native20bitonicSortKVInPlaceILin1ELin1ELi16ELi16EN3c104HalfElNS0_4GTOpIS3_Lb1EEEjEEvNS_4cuda6detail10TensorInfoIT3_T6_EESA_SA_SA_NS8_IT4_SA_EESA_T5_.has_indirect_call, 0
	.section	.AMDGPU.csdata,"",@progbits
; Kernel info:
; codeLenInByte = 5372
; TotalNumSgprs: 18
; NumVgprs: 34
; ScratchSize: 0
; MemoryBound: 0
; FloatMode: 240
; IeeeMode: 1
; LDSByteSize: 5632 bytes/workgroup (compile time only)
; SGPRBlocks: 0
; VGPRBlocks: 4
; NumSGPRsForWavesPerEU: 18
; NumVGPRsForWavesPerEU: 34
; Occupancy: 16
; WaveLimiterHint : 1
; COMPUTE_PGM_RSRC2:SCRATCH_EN: 0
; COMPUTE_PGM_RSRC2:USER_SGPR: 2
; COMPUTE_PGM_RSRC2:TRAP_HANDLER: 0
; COMPUTE_PGM_RSRC2:TGID_X_EN: 1
; COMPUTE_PGM_RSRC2:TGID_Y_EN: 1
; COMPUTE_PGM_RSRC2:TGID_Z_EN: 1
; COMPUTE_PGM_RSRC2:TIDIG_COMP_CNT: 1
	.section	.text._ZN2at6native20bitonicSortKVInPlaceILin1ELin1ELi16ELi16EN3c104HalfElNS0_4LTOpIS3_Lb1EEEmEEvNS_4cuda6detail10TensorInfoIT3_T6_EESA_SA_SA_NS8_IT4_SA_EESA_T5_,"axG",@progbits,_ZN2at6native20bitonicSortKVInPlaceILin1ELin1ELi16ELi16EN3c104HalfElNS0_4LTOpIS3_Lb1EEEmEEvNS_4cuda6detail10TensorInfoIT3_T6_EESA_SA_SA_NS8_IT4_SA_EESA_T5_,comdat
	.protected	_ZN2at6native20bitonicSortKVInPlaceILin1ELin1ELi16ELi16EN3c104HalfElNS0_4LTOpIS3_Lb1EEEmEEvNS_4cuda6detail10TensorInfoIT3_T6_EESA_SA_SA_NS8_IT4_SA_EESA_T5_ ; -- Begin function _ZN2at6native20bitonicSortKVInPlaceILin1ELin1ELi16ELi16EN3c104HalfElNS0_4LTOpIS3_Lb1EEEmEEvNS_4cuda6detail10TensorInfoIT3_T6_EESA_SA_SA_NS8_IT4_SA_EESA_T5_
	.globl	_ZN2at6native20bitonicSortKVInPlaceILin1ELin1ELi16ELi16EN3c104HalfElNS0_4LTOpIS3_Lb1EEEmEEvNS_4cuda6detail10TensorInfoIT3_T6_EESA_SA_SA_NS8_IT4_SA_EESA_T5_
	.p2align	8
	.type	_ZN2at6native20bitonicSortKVInPlaceILin1ELin1ELi16ELi16EN3c104HalfElNS0_4LTOpIS3_Lb1EEEmEEvNS_4cuda6detail10TensorInfoIT3_T6_EESA_SA_SA_NS8_IT4_SA_EESA_T5_,@function
_ZN2at6native20bitonicSortKVInPlaceILin1ELin1ELi16ELi16EN3c104HalfElNS0_4LTOpIS3_Lb1EEEmEEvNS_4cuda6detail10TensorInfoIT3_T6_EESA_SA_SA_NS8_IT4_SA_EESA_T5_: ; @_ZN2at6native20bitonicSortKVInPlaceILin1ELin1ELi16ELi16EN3c104HalfElNS0_4LTOpIS3_Lb1EEEmEEvNS_4cuda6detail10TensorInfoIT3_T6_EESA_SA_SA_NS8_IT4_SA_EESA_T5_
; %bb.0:
	v_mov_b32_e32 v1, 0
	s_lshr_b32 s8, ttmp7, 16
	s_and_b32 s9, ttmp7, 0xffff
	global_load_u16 v1, v1, s[0:1] offset:886
	s_clause 0x1
	s_load_b64 s[2:3], s[0:1], 0x368
	s_load_b128 s[4:7], s[0:1], 0x1a0
	s_wait_kmcnt 0x0
	s_mul_i32 s3, s3, s8
	s_delay_alu instid0(SALU_CYCLE_1) | instskip(NEXT) | instid1(SALU_CYCLE_1)
	s_add_co_i32 s3, s3, s9
	s_mul_i32 s2, s3, s2
	s_delay_alu instid0(SALU_CYCLE_1) | instskip(SKIP_2) | instid1(VALU_DEP_1)
	s_add_co_i32 s2, s2, ttmp9
	s_wait_loadcnt 0x0
	v_and_b32_e32 v1, 0xffff, v1
	v_mul_hi_u32 v2, v1, s2
	v_mul_lo_u32 v1, v1, s2
	s_delay_alu instid0(VALU_DEP_1)
	v_cmp_le_u64_e32 vcc_lo, s[4:5], v[1:2]
	s_cbranch_vccnz .LBB62_56
; %bb.1:
	s_clause 0x1
	s_load_b32 s10, s[0:1], 0x198
	s_load_b64 s[8:9], s[0:1], 0x1b0
	v_bfe_u32 v16, v0, 10, 10
	s_delay_alu instid0(VALU_DEP_1) | instskip(NEXT) | instid1(VALU_DEP_1)
	v_add_co_u32 v4, vcc_lo, v1, v16
	v_add_co_ci_u32_e64 v5, null, 0, v2, vcc_lo
	v_mov_b32_e32 v2, 0
	v_mov_b32_e32 v3, 0
	s_delay_alu instid0(VALU_DEP_3)
	v_dual_mov_b32 v7, v5 :: v_dual_mov_b32 v6, v4
	s_wait_kmcnt 0x0
	s_cmp_lt_i32 s10, 2
	s_cbranch_scc1 .LBB62_9
; %bb.2:
	s_add_co_i32 s2, s10, -1
	s_mov_b32 s3, 0
	v_dual_mov_b32 v2, 0 :: v_dual_mov_b32 v11, v5
	s_wait_alu 0xfffe
	s_lshl_b64 s[12:13], s[2:3], 3
	v_dual_mov_b32 v3, 0 :: v_dual_mov_b32 v8, 0
	v_mov_b32_e32 v10, v4
	s_add_nc_u64 s[12:13], s[0:1], s[12:13]
	s_add_co_i32 s14, s10, 1
	s_add_nc_u64 s[10:11], s[12:13], 8
.LBB62_3:                               ; =>This Inner Loop Header: Depth=1
	s_load_b64 s[12:13], s[10:11], 0x0
                                        ; implicit-def: $vgpr6_vgpr7
	s_mov_b32 s2, exec_lo
	s_wait_kmcnt 0x0
	v_or_b32_e32 v9, s13, v11
	s_delay_alu instid0(VALU_DEP_1)
	v_cmpx_ne_u64_e32 0, v[8:9]
	s_wait_alu 0xfffe
	s_xor_b32 s15, exec_lo, s2
	s_cbranch_execz .LBB62_5
; %bb.4:                                ;   in Loop: Header=BB62_3 Depth=1
	s_cvt_f32_u32 s2, s12
	s_cvt_f32_u32 s16, s13
	s_sub_nc_u64 s[18:19], 0, s[12:13]
	s_wait_alu 0xfffe
	s_delay_alu instid0(SALU_CYCLE_1) | instskip(SKIP_1) | instid1(SALU_CYCLE_2)
	s_fmamk_f32 s2, s16, 0x4f800000, s2
	s_wait_alu 0xfffe
	v_s_rcp_f32 s2, s2
	s_delay_alu instid0(TRANS32_DEP_1) | instskip(SKIP_1) | instid1(SALU_CYCLE_2)
	s_mul_f32 s2, s2, 0x5f7ffffc
	s_wait_alu 0xfffe
	s_mul_f32 s16, s2, 0x2f800000
	s_wait_alu 0xfffe
	s_delay_alu instid0(SALU_CYCLE_2) | instskip(SKIP_1) | instid1(SALU_CYCLE_2)
	s_trunc_f32 s16, s16
	s_wait_alu 0xfffe
	s_fmamk_f32 s2, s16, 0xcf800000, s2
	s_cvt_u32_f32 s17, s16
	s_wait_alu 0xfffe
	s_delay_alu instid0(SALU_CYCLE_1) | instskip(SKIP_1) | instid1(SALU_CYCLE_2)
	s_cvt_u32_f32 s16, s2
	s_wait_alu 0xfffe
	s_mul_u64 s[20:21], s[18:19], s[16:17]
	s_delay_alu instid0(SALU_CYCLE_1)
	s_mul_hi_u32 s23, s16, s21
	s_mul_i32 s22, s16, s21
	s_mul_hi_u32 s2, s16, s20
	s_mul_i32 s25, s17, s20
	s_wait_alu 0xfffe
	s_add_nc_u64 s[22:23], s[2:3], s[22:23]
	s_mul_hi_u32 s24, s17, s20
	s_mul_hi_u32 s26, s17, s21
	s_add_co_u32 s2, s22, s25
	s_add_co_ci_u32 s2, s23, s24
	s_mul_i32 s20, s17, s21
	s_add_co_ci_u32 s21, s26, 0
	s_wait_alu 0xfffe
	s_add_nc_u64 s[20:21], s[2:3], s[20:21]
	s_delay_alu instid0(SALU_CYCLE_1)
	s_add_co_u32 s16, s16, s20
	s_cselect_b32 s2, -1, 0
	s_wait_alu 0xfffe
	s_cmp_lg_u32 s2, 0
	s_add_co_ci_u32 s17, s17, s21
	s_wait_alu 0xfffe
	s_mul_u64 s[18:19], s[18:19], s[16:17]
	s_delay_alu instid0(SALU_CYCLE_1)
	s_mul_hi_u32 s21, s16, s19
	s_mul_i32 s20, s16, s19
	s_mul_hi_u32 s2, s16, s18
	s_mul_i32 s23, s17, s18
	s_wait_alu 0xfffe
	s_add_nc_u64 s[20:21], s[2:3], s[20:21]
	s_mul_hi_u32 s22, s17, s18
	s_mul_hi_u32 s24, s17, s19
	s_add_co_u32 s2, s20, s23
	s_add_co_ci_u32 s2, s21, s22
	s_mul_i32 s18, s17, s19
	s_add_co_ci_u32 s19, s24, 0
	s_wait_alu 0xfffe
	s_add_nc_u64 s[18:19], s[2:3], s[18:19]
	s_delay_alu instid0(SALU_CYCLE_1)
	s_add_co_u32 s2, s16, s18
	s_cselect_b32 s16, -1, 0
	s_wait_alu 0xfffe
	v_mul_hi_u32 v1, v10, s2
	s_cmp_lg_u32 s16, 0
	v_mad_co_u64_u32 v[12:13], null, v11, s2, 0
	s_add_co_ci_u32 s16, s17, s19
	s_wait_alu 0xfffe
	v_mad_co_u64_u32 v[6:7], null, v10, s16, 0
	v_mad_co_u64_u32 v[14:15], null, v11, s16, 0
	s_delay_alu instid0(VALU_DEP_2) | instskip(SKIP_1) | instid1(VALU_DEP_3)
	v_add_co_u32 v1, vcc_lo, v1, v6
	s_wait_alu 0xfffd
	v_add_co_ci_u32_e64 v6, null, 0, v7, vcc_lo
	s_delay_alu instid0(VALU_DEP_2) | instskip(SKIP_1) | instid1(VALU_DEP_2)
	v_add_co_u32 v1, vcc_lo, v1, v12
	s_wait_alu 0xfffd
	v_add_co_ci_u32_e32 v1, vcc_lo, v6, v13, vcc_lo
	s_wait_alu 0xfffd
	v_add_co_ci_u32_e32 v6, vcc_lo, 0, v15, vcc_lo
	s_delay_alu instid0(VALU_DEP_2) | instskip(SKIP_1) | instid1(VALU_DEP_2)
	v_add_co_u32 v1, vcc_lo, v1, v14
	s_wait_alu 0xfffd
	v_add_co_ci_u32_e64 v9, null, 0, v6, vcc_lo
	s_delay_alu instid0(VALU_DEP_2) | instskip(SKIP_1) | instid1(VALU_DEP_3)
	v_mul_lo_u32 v12, s13, v1
	v_mad_co_u64_u32 v[6:7], null, s12, v1, 0
	v_mul_lo_u32 v13, s12, v9
	s_delay_alu instid0(VALU_DEP_2) | instskip(NEXT) | instid1(VALU_DEP_2)
	v_sub_co_u32 v6, vcc_lo, v10, v6
	v_add3_u32 v7, v7, v13, v12
	v_add_co_u32 v13, s2, v1, 2
	s_wait_alu 0xf1ff
	v_add_co_ci_u32_e64 v14, null, 0, v9, s2
	s_delay_alu instid0(VALU_DEP_3) | instskip(SKIP_3) | instid1(VALU_DEP_3)
	v_sub_nc_u32_e32 v12, v11, v7
	v_sub_co_u32 v15, s2, v6, s12
	s_wait_alu 0xfffd
	v_sub_co_ci_u32_e64 v7, null, v11, v7, vcc_lo
	v_subrev_co_ci_u32_e64 v12, null, s13, v12, vcc_lo
	s_delay_alu instid0(VALU_DEP_3) | instskip(SKIP_1) | instid1(VALU_DEP_2)
	v_cmp_le_u32_e32 vcc_lo, s12, v15
	s_wait_alu 0xf1ff
	v_subrev_co_ci_u32_e64 v12, null, 0, v12, s2
	s_wait_alu 0xfffd
	v_cndmask_b32_e64 v15, 0, -1, vcc_lo
	v_cmp_eq_u32_e64 s2, s13, v7
	s_delay_alu instid0(VALU_DEP_3)
	v_cmp_le_u32_e32 vcc_lo, s13, v12
	s_wait_alu 0xfffd
	v_cndmask_b32_e64 v17, 0, -1, vcc_lo
	v_cmp_le_u32_e32 vcc_lo, s12, v6
	s_wait_alu 0xfffd
	v_cndmask_b32_e64 v6, 0, -1, vcc_lo
	v_cmp_le_u32_e32 vcc_lo, s13, v7
	s_wait_alu 0xfffd
	v_cndmask_b32_e64 v18, 0, -1, vcc_lo
	v_cmp_eq_u32_e32 vcc_lo, s13, v12
	s_wait_alu 0xf1ff
	s_delay_alu instid0(VALU_DEP_2)
	v_cndmask_b32_e64 v6, v18, v6, s2
	s_wait_alu 0xfffd
	v_cndmask_b32_e32 v12, v17, v15, vcc_lo
	v_add_co_u32 v15, vcc_lo, v1, 1
	s_wait_alu 0xfffd
	v_add_co_ci_u32_e64 v17, null, 0, v9, vcc_lo
	s_delay_alu instid0(VALU_DEP_3) | instskip(SKIP_1) | instid1(VALU_DEP_2)
	v_cmp_ne_u32_e32 vcc_lo, 0, v12
	s_wait_alu 0xfffd
	v_dual_cndmask_b32 v7, v17, v14 :: v_dual_cndmask_b32 v12, v15, v13
	v_cmp_ne_u32_e32 vcc_lo, 0, v6
	s_wait_alu 0xfffd
	s_delay_alu instid0(VALU_DEP_2) | instskip(NEXT) | instid1(VALU_DEP_3)
	v_cndmask_b32_e32 v7, v9, v7, vcc_lo
	v_cndmask_b32_e32 v6, v1, v12, vcc_lo
.LBB62_5:                               ;   in Loop: Header=BB62_3 Depth=1
	s_wait_alu 0xfffe
	s_and_not1_saveexec_b32 s2, s15
	s_cbranch_execz .LBB62_7
; %bb.6:                                ;   in Loop: Header=BB62_3 Depth=1
	v_cvt_f32_u32_e32 v1, s12
	s_sub_co_i32 s15, 0, s12
	s_delay_alu instid0(VALU_DEP_1) | instskip(NEXT) | instid1(TRANS32_DEP_1)
	v_rcp_iflag_f32_e32 v1, v1
	v_mul_f32_e32 v1, 0x4f7ffffe, v1
	s_delay_alu instid0(VALU_DEP_1) | instskip(SKIP_1) | instid1(VALU_DEP_1)
	v_cvt_u32_f32_e32 v1, v1
	s_wait_alu 0xfffe
	v_mul_lo_u32 v6, s15, v1
	s_delay_alu instid0(VALU_DEP_1) | instskip(NEXT) | instid1(VALU_DEP_1)
	v_mul_hi_u32 v6, v1, v6
	v_add_nc_u32_e32 v1, v1, v6
	s_delay_alu instid0(VALU_DEP_1) | instskip(NEXT) | instid1(VALU_DEP_1)
	v_mul_hi_u32 v1, v10, v1
	v_mul_lo_u32 v6, v1, s12
	v_add_nc_u32_e32 v7, 1, v1
	s_delay_alu instid0(VALU_DEP_2) | instskip(NEXT) | instid1(VALU_DEP_1)
	v_sub_nc_u32_e32 v6, v10, v6
	v_subrev_nc_u32_e32 v9, s12, v6
	v_cmp_le_u32_e32 vcc_lo, s12, v6
	s_wait_alu 0xfffd
	s_delay_alu instid0(VALU_DEP_2) | instskip(NEXT) | instid1(VALU_DEP_1)
	v_dual_cndmask_b32 v6, v6, v9 :: v_dual_cndmask_b32 v1, v1, v7
	v_cmp_le_u32_e32 vcc_lo, s12, v6
	s_delay_alu instid0(VALU_DEP_2) | instskip(SKIP_1) | instid1(VALU_DEP_1)
	v_add_nc_u32_e32 v7, 1, v1
	s_wait_alu 0xfffd
	v_dual_cndmask_b32 v6, v1, v7 :: v_dual_mov_b32 v7, v8
.LBB62_7:                               ;   in Loop: Header=BB62_3 Depth=1
	s_wait_alu 0xfffe
	s_or_b32 exec_lo, exec_lo, s2
	s_load_b64 s[16:17], s[10:11], 0xc8
	s_delay_alu instid0(VALU_DEP_1)
	v_mul_lo_u32 v1, v7, s12
	v_mul_lo_u32 v9, v6, s13
	v_mad_co_u64_u32 v[12:13], null, v6, s12, 0
	s_add_co_i32 s14, s14, -1
	s_add_nc_u64 s[10:11], s[10:11], -8
	s_wait_alu 0xfffe
	s_cmp_gt_u32 s14, 2
	v_add3_u32 v1, v13, v9, v1
	v_sub_co_u32 v9, vcc_lo, v10, v12
	s_wait_alu 0xfffd
	s_delay_alu instid0(VALU_DEP_2) | instskip(SKIP_1) | instid1(VALU_DEP_2)
	v_sub_co_ci_u32_e64 v1, null, v11, v1, vcc_lo
	s_wait_kmcnt 0x0
	v_mul_lo_u32 v10, s17, v9
	s_delay_alu instid0(VALU_DEP_2) | instskip(SKIP_1) | instid1(VALU_DEP_1)
	v_mul_lo_u32 v1, s16, v1
	v_mad_co_u64_u32 v[2:3], null, s16, v9, v[2:3]
	v_add3_u32 v3, v10, v3, v1
	s_cbranch_scc0 .LBB62_9
; %bb.8:                                ;   in Loop: Header=BB62_3 Depth=1
	v_dual_mov_b32 v11, v7 :: v_dual_mov_b32 v10, v6
	s_branch .LBB62_3
.LBB62_9:
	s_clause 0x1
	s_load_b32 s14, s[0:1], 0x350
	s_load_b64 s[10:11], s[0:1], 0xd0
	v_dual_mov_b32 v8, 0 :: v_dual_mov_b32 v15, v5
	v_dual_mov_b32 v9, 0 :: v_dual_mov_b32 v14, v4
	s_add_nc_u64 s[12:13], s[0:1], 0x368
	s_wait_kmcnt 0x0
	s_cmp_lt_i32 s14, 2
	s_cbranch_scc1 .LBB62_17
; %bb.10:
	s_add_co_i32 s2, s14, -1
	s_mov_b32 s3, 0
	v_dual_mov_b32 v8, 0 :: v_dual_mov_b32 v13, v5
	s_wait_alu 0xfffe
	s_lshl_b64 s[16:17], s[2:3], 3
	v_dual_mov_b32 v9, 0 :: v_dual_mov_b32 v10, 0
	v_mov_b32_e32 v12, v4
	s_wait_alu 0xfffe
	s_add_nc_u64 s[16:17], s[0:1], s[16:17]
	s_add_co_i32 s18, s14, 1
	s_wait_alu 0xfffe
	s_add_nc_u64 s[14:15], s[16:17], 0x1c0
.LBB62_11:                              ; =>This Inner Loop Header: Depth=1
	s_load_b64 s[16:17], s[14:15], 0x0
                                        ; implicit-def: $vgpr14_vgpr15
	s_mov_b32 s2, exec_lo
	s_wait_kmcnt 0x0
	v_or_b32_e32 v11, s17, v13
	s_delay_alu instid0(VALU_DEP_1)
	v_cmpx_ne_u64_e32 0, v[10:11]
	s_wait_alu 0xfffe
	s_xor_b32 s19, exec_lo, s2
	s_cbranch_execz .LBB62_13
; %bb.12:                               ;   in Loop: Header=BB62_11 Depth=1
	s_cvt_f32_u32 s2, s16
	s_cvt_f32_u32 s20, s17
	s_sub_nc_u64 s[22:23], 0, s[16:17]
	s_wait_alu 0xfffe
	s_delay_alu instid0(SALU_CYCLE_1) | instskip(SKIP_1) | instid1(SALU_CYCLE_2)
	s_fmamk_f32 s2, s20, 0x4f800000, s2
	s_wait_alu 0xfffe
	v_s_rcp_f32 s2, s2
	s_delay_alu instid0(TRANS32_DEP_1) | instskip(SKIP_1) | instid1(SALU_CYCLE_2)
	s_mul_f32 s2, s2, 0x5f7ffffc
	s_wait_alu 0xfffe
	s_mul_f32 s20, s2, 0x2f800000
	s_wait_alu 0xfffe
	s_delay_alu instid0(SALU_CYCLE_2) | instskip(SKIP_1) | instid1(SALU_CYCLE_2)
	s_trunc_f32 s20, s20
	s_wait_alu 0xfffe
	s_fmamk_f32 s2, s20, 0xcf800000, s2
	s_cvt_u32_f32 s21, s20
	s_wait_alu 0xfffe
	s_delay_alu instid0(SALU_CYCLE_1) | instskip(SKIP_1) | instid1(SALU_CYCLE_2)
	s_cvt_u32_f32 s20, s2
	s_wait_alu 0xfffe
	s_mul_u64 s[24:25], s[22:23], s[20:21]
	s_delay_alu instid0(SALU_CYCLE_1)
	s_mul_hi_u32 s27, s20, s25
	s_mul_i32 s26, s20, s25
	s_mul_hi_u32 s2, s20, s24
	s_mul_i32 s29, s21, s24
	s_wait_alu 0xfffe
	s_add_nc_u64 s[26:27], s[2:3], s[26:27]
	s_mul_hi_u32 s28, s21, s24
	s_mul_hi_u32 s30, s21, s25
	s_add_co_u32 s2, s26, s29
	s_add_co_ci_u32 s2, s27, s28
	s_mul_i32 s24, s21, s25
	s_add_co_ci_u32 s25, s30, 0
	s_wait_alu 0xfffe
	s_add_nc_u64 s[24:25], s[2:3], s[24:25]
	s_delay_alu instid0(SALU_CYCLE_1)
	s_add_co_u32 s20, s20, s24
	s_cselect_b32 s2, -1, 0
	s_wait_alu 0xfffe
	s_cmp_lg_u32 s2, 0
	s_add_co_ci_u32 s21, s21, s25
	s_wait_alu 0xfffe
	s_mul_u64 s[22:23], s[22:23], s[20:21]
	s_delay_alu instid0(SALU_CYCLE_1)
	s_mul_hi_u32 s25, s20, s23
	s_mul_i32 s24, s20, s23
	s_mul_hi_u32 s2, s20, s22
	s_mul_i32 s27, s21, s22
	s_wait_alu 0xfffe
	s_add_nc_u64 s[24:25], s[2:3], s[24:25]
	s_mul_hi_u32 s26, s21, s22
	s_mul_hi_u32 s28, s21, s23
	s_add_co_u32 s2, s24, s27
	s_add_co_ci_u32 s2, s25, s26
	s_mul_i32 s22, s21, s23
	s_add_co_ci_u32 s23, s28, 0
	s_wait_alu 0xfffe
	s_add_nc_u64 s[22:23], s[2:3], s[22:23]
	s_delay_alu instid0(SALU_CYCLE_1)
	s_add_co_u32 s2, s20, s22
	s_cselect_b32 s20, -1, 0
	s_wait_alu 0xfffe
	v_mul_hi_u32 v1, v12, s2
	s_cmp_lg_u32 s20, 0
	v_mad_co_u64_u32 v[17:18], null, v13, s2, 0
	s_add_co_ci_u32 s20, s21, s23
	s_wait_alu 0xfffe
	v_mad_co_u64_u32 v[14:15], null, v12, s20, 0
	v_mad_co_u64_u32 v[19:20], null, v13, s20, 0
	s_delay_alu instid0(VALU_DEP_2) | instskip(SKIP_1) | instid1(VALU_DEP_3)
	v_add_co_u32 v1, vcc_lo, v1, v14
	s_wait_alu 0xfffd
	v_add_co_ci_u32_e64 v11, null, 0, v15, vcc_lo
	s_delay_alu instid0(VALU_DEP_2) | instskip(SKIP_1) | instid1(VALU_DEP_2)
	v_add_co_u32 v1, vcc_lo, v1, v17
	s_wait_alu 0xfffd
	v_add_co_ci_u32_e32 v1, vcc_lo, v11, v18, vcc_lo
	s_wait_alu 0xfffd
	v_add_co_ci_u32_e32 v11, vcc_lo, 0, v20, vcc_lo
	s_delay_alu instid0(VALU_DEP_2) | instskip(SKIP_1) | instid1(VALU_DEP_2)
	v_add_co_u32 v1, vcc_lo, v1, v19
	s_wait_alu 0xfffd
	v_add_co_ci_u32_e64 v11, null, 0, v11, vcc_lo
	s_delay_alu instid0(VALU_DEP_2) | instskip(SKIP_1) | instid1(VALU_DEP_3)
	v_mul_lo_u32 v17, s17, v1
	v_mad_co_u64_u32 v[14:15], null, s16, v1, 0
	v_mul_lo_u32 v18, s16, v11
	s_delay_alu instid0(VALU_DEP_2) | instskip(NEXT) | instid1(VALU_DEP_2)
	v_sub_co_u32 v14, vcc_lo, v12, v14
	v_add3_u32 v15, v15, v18, v17
	v_add_co_u32 v18, s2, v1, 2
	s_wait_alu 0xf1ff
	v_add_co_ci_u32_e64 v19, null, 0, v11, s2
	s_delay_alu instid0(VALU_DEP_3) | instskip(SKIP_3) | instid1(VALU_DEP_3)
	v_sub_nc_u32_e32 v17, v13, v15
	v_sub_co_u32 v20, s2, v14, s16
	s_wait_alu 0xfffd
	v_sub_co_ci_u32_e64 v15, null, v13, v15, vcc_lo
	v_subrev_co_ci_u32_e64 v17, null, s17, v17, vcc_lo
	s_delay_alu instid0(VALU_DEP_3) | instskip(SKIP_1) | instid1(VALU_DEP_2)
	v_cmp_le_u32_e32 vcc_lo, s16, v20
	s_wait_alu 0xf1ff
	v_subrev_co_ci_u32_e64 v17, null, 0, v17, s2
	s_wait_alu 0xfffd
	v_cndmask_b32_e64 v20, 0, -1, vcc_lo
	v_cmp_eq_u32_e64 s2, s17, v15
	s_delay_alu instid0(VALU_DEP_3)
	v_cmp_le_u32_e32 vcc_lo, s17, v17
	s_wait_alu 0xfffd
	v_cndmask_b32_e64 v21, 0, -1, vcc_lo
	v_cmp_le_u32_e32 vcc_lo, s16, v14
	s_wait_alu 0xfffd
	v_cndmask_b32_e64 v14, 0, -1, vcc_lo
	;; [unrolled: 3-line block ×3, first 2 shown]
	v_cmp_eq_u32_e32 vcc_lo, s17, v17
	s_wait_alu 0xf1ff
	s_delay_alu instid0(VALU_DEP_2)
	v_cndmask_b32_e64 v14, v22, v14, s2
	s_wait_alu 0xfffd
	v_cndmask_b32_e32 v17, v21, v20, vcc_lo
	v_add_co_u32 v20, vcc_lo, v1, 1
	s_wait_alu 0xfffd
	v_add_co_ci_u32_e64 v21, null, 0, v11, vcc_lo
	s_delay_alu instid0(VALU_DEP_3) | instskip(SKIP_1) | instid1(VALU_DEP_2)
	v_cmp_ne_u32_e32 vcc_lo, 0, v17
	s_wait_alu 0xfffd
	v_cndmask_b32_e32 v15, v21, v19, vcc_lo
	v_cndmask_b32_e32 v17, v20, v18, vcc_lo
	v_cmp_ne_u32_e32 vcc_lo, 0, v14
	s_wait_alu 0xfffd
	s_delay_alu instid0(VALU_DEP_2)
	v_dual_cndmask_b32 v15, v11, v15 :: v_dual_cndmask_b32 v14, v1, v17
.LBB62_13:                              ;   in Loop: Header=BB62_11 Depth=1
	s_wait_alu 0xfffe
	s_and_not1_saveexec_b32 s2, s19
	s_cbranch_execz .LBB62_15
; %bb.14:                               ;   in Loop: Header=BB62_11 Depth=1
	v_cvt_f32_u32_e32 v1, s16
	s_sub_co_i32 s19, 0, s16
	s_delay_alu instid0(VALU_DEP_1) | instskip(NEXT) | instid1(TRANS32_DEP_1)
	v_rcp_iflag_f32_e32 v1, v1
	v_mul_f32_e32 v1, 0x4f7ffffe, v1
	s_delay_alu instid0(VALU_DEP_1) | instskip(SKIP_1) | instid1(VALU_DEP_1)
	v_cvt_u32_f32_e32 v1, v1
	s_wait_alu 0xfffe
	v_mul_lo_u32 v11, s19, v1
	s_delay_alu instid0(VALU_DEP_1) | instskip(NEXT) | instid1(VALU_DEP_1)
	v_mul_hi_u32 v11, v1, v11
	v_add_nc_u32_e32 v1, v1, v11
	s_delay_alu instid0(VALU_DEP_1) | instskip(NEXT) | instid1(VALU_DEP_1)
	v_mul_hi_u32 v1, v12, v1
	v_mul_lo_u32 v11, v1, s16
	s_delay_alu instid0(VALU_DEP_1) | instskip(NEXT) | instid1(VALU_DEP_1)
	v_sub_nc_u32_e32 v11, v12, v11
	v_subrev_nc_u32_e32 v15, s16, v11
	v_cmp_le_u32_e32 vcc_lo, s16, v11
	s_wait_alu 0xfffd
	s_delay_alu instid0(VALU_DEP_2) | instskip(NEXT) | instid1(VALU_DEP_1)
	v_dual_cndmask_b32 v11, v11, v15 :: v_dual_add_nc_u32 v14, 1, v1
	v_cndmask_b32_e32 v1, v1, v14, vcc_lo
	v_mov_b32_e32 v15, v10
	s_delay_alu instid0(VALU_DEP_3) | instskip(NEXT) | instid1(VALU_DEP_3)
	v_cmp_le_u32_e32 vcc_lo, s16, v11
	v_add_nc_u32_e32 v14, 1, v1
	s_wait_alu 0xfffd
	s_delay_alu instid0(VALU_DEP_1)
	v_cndmask_b32_e32 v14, v1, v14, vcc_lo
.LBB62_15:                              ;   in Loop: Header=BB62_11 Depth=1
	s_wait_alu 0xfffe
	s_or_b32 exec_lo, exec_lo, s2
	s_load_b64 s[20:21], s[14:15], 0xc8
	v_mul_lo_u32 v1, v15, s16
	v_mul_lo_u32 v11, v14, s17
	v_mad_co_u64_u32 v[17:18], null, v14, s16, 0
	s_add_co_i32 s18, s18, -1
	s_add_nc_u64 s[14:15], s[14:15], -8
	s_wait_alu 0xfffe
	s_cmp_gt_u32 s18, 2
	v_add3_u32 v1, v18, v11, v1
	v_sub_co_u32 v11, vcc_lo, v12, v17
	s_wait_alu 0xfffd
	s_delay_alu instid0(VALU_DEP_2) | instskip(SKIP_1) | instid1(VALU_DEP_2)
	v_sub_co_ci_u32_e64 v1, null, v13, v1, vcc_lo
	s_wait_kmcnt 0x0
	v_mul_lo_u32 v12, s21, v11
	s_delay_alu instid0(VALU_DEP_2) | instskip(SKIP_1) | instid1(VALU_DEP_1)
	v_mul_lo_u32 v1, s20, v1
	v_mad_co_u64_u32 v[8:9], null, s20, v11, v[8:9]
	v_add3_u32 v9, v12, v9, v1
	s_cbranch_scc0 .LBB62_17
; %bb.16:                               ;   in Loop: Header=BB62_11 Depth=1
	v_dual_mov_b32 v12, v14 :: v_dual_mov_b32 v13, v15
	s_branch .LBB62_11
.LBB62_17:
	s_load_b64 s[2:3], s[0:1], 0x288
	v_mul_lo_u32 v17, s11, v6
	v_mul_lo_u32 v18, s10, v7
	v_mad_co_u64_u32 v[6:7], null, s10, v6, 0
	v_cmp_gt_u64_e32 vcc_lo, s[4:5], v[4:5]
	s_clause 0x2
	s_load_b64 s[10:11], s[0:1], 0x358
	s_load_b64 s[4:5], s[0:1], 0x0
	;; [unrolled: 1-line block ×3, first 2 shown]
	v_mov_b32_e32 v1, 0
	v_lshlrev_b64_e32 v[12:13], 1, v[2:3]
	v_and_b32_e32 v2, 0x3ff, v0
	v_add3_u32 v7, v7, v18, v17
	s_delay_alu instid0(VALU_DEP_4)
	v_mov_b32_e32 v3, v1
	s_wait_kmcnt 0x0
	v_mul_lo_u32 v4, s3, v14
	v_mul_lo_u32 v5, s2, v15
	v_mad_co_u64_u32 v[10:11], null, s2, v14, 0
	s_load_b32 s2, s[12:13], 0xc
	v_lshlrev_b64_e32 v[14:15], 3, v[8:9]
	v_lshlrev_b64_e32 v[8:9], 1, v[6:7]
	v_mov_b32_e32 v6, 0
	v_mov_b32_e32 v7, 0
	v_add3_u32 v11, v11, v5, v4
	v_mov_b32_e32 v4, 0
	v_add_co_u32 v0, s1, s4, v8
	s_delay_alu instid0(VALU_DEP_1) | instskip(NEXT) | instid1(VALU_DEP_4)
	v_add_co_ci_u32_e64 v8, null, s5, v9, s1
	v_lshlrev_b64_e32 v[10:11], 3, v[10:11]
	v_cmp_gt_u64_e64 s0, s[6:7], v[2:3]
	v_mov_b32_e32 v5, 0
	s_delay_alu instid0(VALU_DEP_3) | instskip(SKIP_1) | instid1(VALU_DEP_4)
	v_add_co_u32 v9, s1, s14, v10
	s_wait_alu 0xf1ff
	v_add_co_ci_u32_e64 v10, null, s15, v11, s1
	v_add_co_u32 v3, s1, v0, v12
	s_wait_alu 0xf1ff
	v_add_co_ci_u32_e64 v8, null, v8, v13, s1
	v_add_co_u32 v9, s1, v9, v14
	s_wait_alu 0xf1ff
	v_add_co_ci_u32_e64 v10, null, v10, v15, s1
	v_mov_b32_e32 v13, 0
	s_and_b32 s4, vcc_lo, s0
	s_wait_alu 0xfffe
	s_and_saveexec_b32 s3, s4
	s_cbranch_execz .LBB62_19
; %bb.18:
	v_mad_co_u64_u32 v[6:7], null, s8, v2, 0
	v_mad_co_u64_u32 v[11:12], null, s10, v2, 0
	s_delay_alu instid0(VALU_DEP_1) | instskip(NEXT) | instid1(VALU_DEP_1)
	v_dual_mov_b32 v0, v7 :: v_dual_mov_b32 v7, v12
	v_mad_co_u64_u32 v[12:13], null, s9, v2, v[0:1]
	s_delay_alu instid0(VALU_DEP_2) | instskip(NEXT) | instid1(VALU_DEP_1)
	v_mad_co_u64_u32 v[13:14], null, s11, v2, v[7:8]
	v_dual_mov_b32 v7, v12 :: v_dual_mov_b32 v12, v13
	s_delay_alu instid0(VALU_DEP_1) | instskip(NEXT) | instid1(VALU_DEP_2)
	v_lshlrev_b64_e32 v[6:7], 1, v[6:7]
	v_lshlrev_b64_e32 v[11:12], 3, v[11:12]
	s_delay_alu instid0(VALU_DEP_2) | instskip(SKIP_1) | instid1(VALU_DEP_3)
	v_add_co_u32 v6, s1, v3, v6
	s_wait_alu 0xf1ff
	v_add_co_ci_u32_e64 v7, null, v8, v7, s1
	s_delay_alu instid0(VALU_DEP_3)
	v_add_co_u32 v11, s1, v9, v11
	s_wait_alu 0xf1ff
	v_add_co_ci_u32_e64 v12, null, v10, v12, s1
	global_load_u16 v13, v[6:7], off
	global_load_b64 v[6:7], v[11:12], off
.LBB62_19:
	s_wait_alu 0xfffe
	s_or_b32 exec_lo, exec_lo, s3
	s_wait_kmcnt 0x0
	s_and_b32 s3, 0xffff, s2
	v_lshl_add_u32 v17, v16, 6, 0x1000
	s_wait_alu 0xfffe
	v_add_nc_u32_e32 v0, s3, v2
	v_lshlrev_b32_e32 v14, 8, v16
	v_lshl_add_u32 v16, v16, 5, 0x1400
	v_cndmask_b32_e64 v15, 0, 1, s4
	v_lshl_add_u32 v11, v2, 1, v17
	v_cmp_gt_u64_e64 s1, s[6:7], v[0:1]
	v_lshl_add_u32 v12, v2, 3, v14
	v_add_nc_u32_e32 v18, v16, v2
	s_wait_loadcnt 0x1
	ds_store_b16 v11, v13
	s_wait_loadcnt 0x0
	ds_store_b64 v12, v[6:7]
	ds_store_b8 v18, v15
	s_and_b32 s4, vcc_lo, s1
	s_wait_alu 0xfffe
	s_and_saveexec_b32 s5, s4
	s_cbranch_execz .LBB62_21
; %bb.20:
	v_mad_co_u64_u32 v[4:5], null, s8, v0, 0
	v_mad_co_u64_u32 v[6:7], null, s10, v0, 0
	s_delay_alu instid0(VALU_DEP_2) | instskip(NEXT) | instid1(VALU_DEP_2)
	v_mov_b32_e32 v1, v5
	v_mov_b32_e32 v5, v7
	s_delay_alu instid0(VALU_DEP_2) | instskip(NEXT) | instid1(VALU_DEP_2)
	v_mad_co_u64_u32 v[18:19], null, s9, v0, v[1:2]
	v_mad_co_u64_u32 v[19:20], null, s11, v0, v[5:6]
	s_delay_alu instid0(VALU_DEP_2) | instskip(NEXT) | instid1(VALU_DEP_2)
	v_mov_b32_e32 v5, v18
	v_mov_b32_e32 v7, v19
	s_delay_alu instid0(VALU_DEP_2) | instskip(NEXT) | instid1(VALU_DEP_2)
	v_lshlrev_b64_e32 v[4:5], 1, v[4:5]
	v_lshlrev_b64_e32 v[6:7], 3, v[6:7]
	s_delay_alu instid0(VALU_DEP_2) | instskip(SKIP_1) | instid1(VALU_DEP_3)
	v_add_co_u32 v4, s2, v3, v4
	s_wait_alu 0xf1ff
	v_add_co_ci_u32_e64 v5, null, v8, v5, s2
	s_delay_alu instid0(VALU_DEP_3)
	v_add_co_u32 v6, s2, v9, v6
	s_wait_alu 0xf1ff
	v_add_co_ci_u32_e64 v7, null, v10, v7, s2
	global_load_u16 v1, v[4:5], off
	global_load_b64 v[4:5], v[6:7], off
.LBB62_21:
	s_wait_alu 0xfffe
	s_or_b32 exec_lo, exec_lo, s5
	v_lshl_add_u32 v6, s3, 1, v11
	v_lshlrev_b32_e32 v18, 1, v2
	v_lshl_add_u32 v7, s3, 3, v12
	v_cndmask_b32_e64 v13, 0, 1, s4
	v_add_nc_u32_e32 v15, v16, v0
	s_wait_loadcnt 0x1
	ds_store_b16 v6, v1
	s_wait_loadcnt 0x0
	ds_store_b64 v7, v[4:5]
	ds_store_b8 v15, v13
	v_add_nc_u32_e32 v1, v11, v18
	v_add_nc_u32_e32 v4, v16, v18
	s_wait_dscnt 0x0
	s_barrier_signal -1
	s_barrier_wait -1
	global_inv scope:SCOPE_SE
	ds_load_b32 v13, v1
	ds_load_u16 v20, v4
	v_and_b32_e32 v5, 1, v2
	s_wait_dscnt 0x1
	v_lshrrev_b32_e32 v19, 16, v13
	s_wait_dscnt 0x0
	v_lshrrev_b16 v15, 8, v20
	v_and_b32_e32 v21, 1, v20
	v_cmp_o_f16_e64 s2, v13, v13
	v_cmp_u_f16_e64 s3, v19, v19
	s_delay_alu instid0(VALU_DEP_4)
	v_cmp_ne_u16_e64 s6, v15, v5
	v_cmp_lt_f16_e64 s4, v13, v19
	v_cmp_eq_u32_e64 s5, 1, v21
	s_and_b32 s2, s3, s2
	v_cndmask_b32_e64 v19, 0, 1, s6
	s_wait_alu 0xfffe
	s_or_b32 s2, s2, s4
	s_wait_alu 0xfffe
	s_and_b32 s2, s2, s5
	s_wait_alu 0xfffe
	v_cndmask_b32_e64 v19, v19, v2, s2
	s_delay_alu instid0(VALU_DEP_1) | instskip(NEXT) | instid1(VALU_DEP_1)
	v_and_b32_e32 v19, 1, v19
	v_cmp_eq_u32_e64 s2, 1, v19
	v_lshl_add_u32 v19, v2, 3, v12
	s_and_saveexec_b32 s3, s2
	s_wait_alu 0xfffe
	s_xor_b32 s2, exec_lo, s3
	s_cbranch_execz .LBB62_23
; %bb.22:
	ds_load_b128 v[21:24], v19
	v_lshlrev_b16 v20, 8, v20
	v_alignbit_b32 v13, v13, v13, 16
	s_delay_alu instid0(VALU_DEP_2)
	v_or_b32_e32 v15, v15, v20
	s_wait_dscnt 0x0
	v_dual_mov_b32 v25, v21 :: v_dual_mov_b32 v26, v22
	ds_store_b32 v1, v13
	ds_store_b128 v19, v[23:26]
	ds_store_b16 v4, v15
.LBB62_23:
	s_wait_alu 0xfffe
	s_or_b32 exec_lo, exec_lo, s2
	v_sub_nc_u32_e32 v15, v18, v5
	s_wait_loadcnt_dscnt 0x0
	s_barrier_signal -1
	s_barrier_wait -1
	global_inv scope:SCOPE_SE
	v_lshl_add_u32 v13, v15, 1, v17
	v_add_nc_u32_e32 v5, v16, v15
	v_bfe_u32 v22, v2, 1, 1
	v_lshl_add_u32 v15, v15, 3, v14
	ds_load_u16 v20, v13 offset:4
	ds_load_u8 v21, v5
	ds_load_u16 v24, v13
	ds_load_u8 v23, v5 offset:2
	s_wait_dscnt 0x3
	v_cmp_u_f16_e64 s2, v20, v20
	s_wait_dscnt 0x2
	v_and_b32_e32 v25, 1, v21
	s_wait_dscnt 0x1
	v_cmp_o_f16_e64 s3, v24, v24
	s_wait_dscnt 0x0
	v_cmp_ne_u16_e64 s5, v23, v22
	v_cmp_lt_f16_e64 s4, v24, v20
	s_and_b32 s2, s2, s3
	v_cndmask_b32_e64 v26, 0, 1, s5
	v_cmp_eq_u32_e64 s5, 1, v25
	s_wait_alu 0xfffe
	s_or_b32 s2, s2, s4
	s_wait_alu 0xfffe
	s_and_b32 s2, s2, s5
	s_wait_alu 0xfffe
	v_cndmask_b32_e64 v25, v26, v22, s2
	v_and_b32_e32 v22, 2, v2
	s_delay_alu instid0(VALU_DEP_2) | instskip(NEXT) | instid1(VALU_DEP_2)
	v_and_b32_e32 v25, 1, v25
	v_cmp_ne_u32_e64 s2, 0, v22
	s_delay_alu instid0(VALU_DEP_2)
	v_cmp_eq_u32_e64 s3, 1, v25
	s_and_saveexec_b32 s4, s3
	s_wait_alu 0xfffe
	s_xor_b32 s3, exec_lo, s4
	s_cbranch_execz .LBB62_25
; %bb.24:
	ds_load_2addr_b64 v[25:28], v15 offset1:2
	s_wait_dscnt 0x0
	ds_store_2addr_b64 v15, v[27:28], v[25:26] offset1:2
	ds_store_b16 v13, v20
	ds_store_b16 v13, v24 offset:4
	ds_store_b8 v5, v23
	ds_store_b8 v5, v21 offset:2
.LBB62_25:
	s_wait_alu 0xfffe
	s_or_b32 exec_lo, exec_lo, s3
	s_wait_loadcnt_dscnt 0x0
	s_barrier_signal -1
	s_barrier_wait -1
	global_inv scope:SCOPE_SE
	ds_load_b32 v20, v1
	ds_load_u16 v21, v4
	v_lshrrev_b32_e32 v23, 1, v22
	v_cndmask_b32_e64 v25, 0, 1, s2
	s_wait_dscnt 0x1
	v_lshrrev_b32_e32 v24, 16, v20
	s_wait_dscnt 0x0
	v_lshrrev_b16 v22, 8, v21
	v_and_b32_e32 v26, 1, v21
	v_cmp_o_f16_e64 s2, v20, v20
	v_cmp_u_f16_e64 s3, v24, v24
	s_delay_alu instid0(VALU_DEP_4)
	v_cmp_ne_u16_e64 s6, v22, v23
	v_cmp_lt_f16_e64 s4, v20, v24
	v_cmp_eq_u32_e64 s5, 1, v26
	s_and_b32 s2, s3, s2
	v_cndmask_b32_e64 v23, 0, 1, s6
	s_wait_alu 0xfffe
	s_or_b32 s2, s2, s4
	s_mov_b32 s3, exec_lo
	s_wait_alu 0xfffe
	s_and_b32 s2, s2, s5
	s_wait_alu 0xfffe
	v_cndmask_b32_e64 v23, v23, v25, s2
	s_delay_alu instid0(VALU_DEP_1) | instskip(NEXT) | instid1(VALU_DEP_1)
	v_and_b32_e32 v23, 1, v23
	v_cmpx_eq_u32_e32 1, v23
	s_cbranch_execz .LBB62_27
; %bb.26:
	ds_load_b128 v[23:26], v19
	v_lshlrev_b16 v21, 8, v21
	v_alignbit_b32 v20, v20, v20, 16
	s_delay_alu instid0(VALU_DEP_2)
	v_or_b32_e32 v21, v22, v21
	s_wait_dscnt 0x0
	v_dual_mov_b32 v27, v23 :: v_dual_mov_b32 v28, v24
	ds_store_b32 v1, v20
	ds_store_b128 v19, v[25:28]
	ds_store_b16 v4, v21
.LBB62_27:
	s_or_b32 exec_lo, exec_lo, s3
	v_and_b32_e32 v19, 3, v2
	s_wait_loadcnt_dscnt 0x0
	s_barrier_signal -1
	s_barrier_wait -1
	global_inv scope:SCOPE_SE
	v_sub_nc_u32_e32 v22, v18, v19
	v_bfe_u32 v23, v2, 2, 1
	s_delay_alu instid0(VALU_DEP_2)
	v_lshl_add_u32 v20, v22, 1, v17
	v_add_nc_u32_e32 v19, v16, v22
	v_lshl_add_u32 v22, v22, 3, v14
	ds_load_u16 v21, v20 offset:8
	ds_load_u8 v24, v19
	ds_load_u16 v26, v20
	ds_load_u8 v25, v19 offset:4
	s_wait_dscnt 0x3
	v_cmp_u_f16_e64 s2, v21, v21
	s_wait_dscnt 0x2
	v_and_b32_e32 v27, 1, v24
	s_wait_dscnt 0x1
	v_cmp_o_f16_e64 s3, v26, v26
	s_wait_dscnt 0x0
	v_cmp_ne_u16_e64 s5, v25, v23
	v_cmp_lt_f16_e64 s4, v26, v21
	s_and_b32 s2, s2, s3
	v_cndmask_b32_e64 v28, 0, 1, s5
	v_cmp_eq_u32_e64 s5, 1, v27
	s_wait_alu 0xfffe
	s_or_b32 s2, s2, s4
	s_mov_b32 s4, exec_lo
	s_wait_alu 0xfffe
	s_and_b32 s2, s2, s5
	s_wait_alu 0xfffe
	v_cndmask_b32_e64 v27, v28, v23, s2
	v_and_b32_e32 v23, 4, v2
	s_delay_alu instid0(VALU_DEP_2) | instskip(NEXT) | instid1(VALU_DEP_2)
	v_and_b32_e32 v27, 1, v27
	v_cmp_ne_u32_e64 s2, 0, v23
	s_delay_alu instid0(VALU_DEP_2)
	v_cmpx_eq_u32_e32 1, v27
	s_cbranch_execz .LBB62_29
; %bb.28:
	ds_load_2addr_b64 v[27:30], v22 offset1:4
	s_wait_dscnt 0x0
	ds_store_2addr_b64 v22, v[29:30], v[27:28] offset1:4
	ds_store_b16 v20, v21
	ds_store_b16 v20, v26 offset:8
	ds_store_b8 v19, v25
	ds_store_b8 v19, v24 offset:4
.LBB62_29:
	s_or_b32 exec_lo, exec_lo, s4
	s_wait_loadcnt_dscnt 0x0
	s_barrier_signal -1
	s_barrier_wait -1
	global_inv scope:SCOPE_SE
	ds_load_u16 v24, v13 offset:4
	ds_load_u8 v25, v5
	ds_load_u16 v27, v13
	ds_load_u8 v26, v5 offset:2
	v_lshrrev_b32_e32 v21, 2, v23
	v_cndmask_b32_e64 v23, 0, 1, s2
	s_wait_dscnt 0x3
	v_cmp_u_f16_e64 s2, v24, v24
	s_wait_dscnt 0x2
	v_and_b32_e32 v28, 1, v25
	s_wait_dscnt 0x1
	v_cmp_o_f16_e64 s3, v27, v27
	s_wait_dscnt 0x0
	v_cmp_ne_u16_e64 s5, v26, v21
	v_cmp_lt_f16_e64 s4, v27, v24
	s_and_b32 s2, s2, s3
	v_cndmask_b32_e64 v29, 0, 1, s5
	v_cmp_eq_u32_e64 s5, 1, v28
	s_wait_alu 0xfffe
	s_or_b32 s2, s2, s4
	s_mov_b32 s3, exec_lo
	s_wait_alu 0xfffe
	s_and_b32 s2, s2, s5
	s_wait_alu 0xfffe
	v_cndmask_b32_e64 v28, v29, v23, s2
	s_delay_alu instid0(VALU_DEP_1) | instskip(NEXT) | instid1(VALU_DEP_1)
	v_and_b32_e32 v28, 1, v28
	v_cmpx_eq_u32_e32 1, v28
	s_cbranch_execz .LBB62_31
; %bb.30:
	ds_load_2addr_b64 v[28:31], v15 offset1:2
	s_wait_dscnt 0x0
	ds_store_2addr_b64 v15, v[30:31], v[28:29] offset1:2
	ds_store_b16 v13, v24
	ds_store_b16 v13, v27 offset:4
	ds_store_b8 v5, v26
	ds_store_b8 v5, v25 offset:2
.LBB62_31:
	s_or_b32 exec_lo, exec_lo, s3
	s_wait_loadcnt_dscnt 0x0
	s_barrier_signal -1
	s_barrier_wait -1
	global_inv scope:SCOPE_SE
	ds_load_b32 v25, v1
	ds_load_u16 v26, v4
	s_wait_dscnt 0x1
	v_lshrrev_b32_e32 v27, 16, v25
	s_wait_dscnt 0x0
	v_lshrrev_b16 v24, 8, v26
	v_and_b32_e32 v28, 1, v26
	v_cmp_o_f16_e64 s2, v25, v25
	v_cmp_u_f16_e64 s3, v27, v27
	s_delay_alu instid0(VALU_DEP_4)
	v_cmp_ne_u16_e64 s6, v24, v21
	v_cmp_lt_f16_e64 s4, v25, v27
	v_cmp_eq_u32_e64 s5, 1, v28
	s_and_b32 s2, s3, s2
	v_cndmask_b32_e64 v21, 0, 1, s6
	s_wait_alu 0xfffe
	s_or_b32 s2, s2, s4
	s_wait_alu 0xfffe
	s_and_b32 s2, s2, s5
	s_wait_alu 0xfffe
	v_cndmask_b32_e64 v21, v21, v23, s2
	s_delay_alu instid0(VALU_DEP_1) | instskip(NEXT) | instid1(VALU_DEP_1)
	v_and_b32_e32 v21, 1, v21
	v_cmp_eq_u32_e64 s2, 1, v21
	v_lshl_add_u32 v21, v18, 3, v14
	s_and_saveexec_b32 s3, s2
	s_cbranch_execz .LBB62_33
; %bb.32:
	ds_load_b128 v[27:30], v21
	v_lshlrev_b16 v31, 8, v26
	v_alignbit_b32 v23, v25, v25, 16
	s_delay_alu instid0(VALU_DEP_2)
	v_or_b32_e32 v24, v24, v31
	s_wait_dscnt 0x0
	v_dual_mov_b32 v25, v29 :: v_dual_mov_b32 v26, v30
	ds_store_b32 v1, v23
	ds_store_b128 v21, v[25:28]
	ds_store_b16 v4, v24
.LBB62_33:
	s_wait_alu 0xfffe
	s_or_b32 exec_lo, exec_lo, s3
	v_and_b32_e32 v23, 7, v2
	s_wait_loadcnt_dscnt 0x0
	s_barrier_signal -1
	s_barrier_wait -1
	global_inv scope:SCOPE_SE
	v_sub_nc_u32_e32 v25, v18, v23
	v_bfe_u32 v27, v2, 3, 1
	s_delay_alu instid0(VALU_DEP_2)
	v_lshl_add_u32 v24, v25, 1, v17
	v_add_nc_u32_e32 v23, v16, v25
	v_lshl_add_u32 v25, v25, 3, v14
	ds_load_u16 v26, v24 offset:16
	ds_load_u8 v28, v23
	ds_load_u16 v30, v24
	ds_load_u8 v29, v23 offset:8
	s_wait_dscnt 0x3
	v_cmp_u_f16_e64 s2, v26, v26
	s_wait_dscnt 0x2
	v_and_b32_e32 v31, 1, v28
	s_wait_dscnt 0x1
	v_cmp_o_f16_e64 s3, v30, v30
	s_wait_dscnt 0x0
	v_cmp_ne_u16_e64 s5, v29, v27
	v_cmp_lt_f16_e64 s4, v30, v26
	s_and_b32 s2, s2, s3
	v_cndmask_b32_e64 v32, 0, 1, s5
	v_cmp_eq_u32_e64 s5, 1, v31
	s_wait_alu 0xfffe
	s_or_b32 s2, s2, s4
	s_mov_b32 s4, exec_lo
	s_wait_alu 0xfffe
	s_and_b32 s2, s2, s5
	s_wait_alu 0xfffe
	v_cndmask_b32_e64 v31, v32, v27, s2
	v_and_b32_e32 v27, 8, v2
	s_delay_alu instid0(VALU_DEP_2) | instskip(NEXT) | instid1(VALU_DEP_2)
	v_and_b32_e32 v31, 1, v31
	v_cmp_ne_u32_e64 s2, 0, v27
	s_delay_alu instid0(VALU_DEP_2)
	v_cmpx_eq_u32_e32 1, v31
	s_cbranch_execz .LBB62_35
; %bb.34:
	ds_load_2addr_b64 v[31:34], v25 offset1:8
	s_wait_dscnt 0x0
	ds_store_2addr_b64 v25, v[33:34], v[31:32] offset1:8
	ds_store_b16 v24, v26
	ds_store_b16 v24, v30 offset:16
	ds_store_b8 v23, v29
	ds_store_b8 v23, v28 offset:8
.LBB62_35:
	s_or_b32 exec_lo, exec_lo, s4
	s_wait_loadcnt_dscnt 0x0
	s_barrier_signal -1
	s_barrier_wait -1
	global_inv scope:SCOPE_SE
	ds_load_u16 v28, v20 offset:8
	ds_load_u8 v29, v19
	ds_load_u16 v31, v20
	ds_load_u8 v30, v19 offset:4
	v_lshrrev_b32_e32 v26, 3, v27
	v_cndmask_b32_e64 v27, 0, 1, s2
	s_wait_dscnt 0x3
	v_cmp_u_f16_e64 s2, v28, v28
	s_wait_dscnt 0x2
	v_and_b32_e32 v32, 1, v29
	s_wait_dscnt 0x1
	v_cmp_o_f16_e64 s3, v31, v31
	s_wait_dscnt 0x0
	v_cmp_ne_u16_e64 s5, v30, v26
	v_cmp_lt_f16_e64 s4, v31, v28
	s_and_b32 s2, s2, s3
	v_cndmask_b32_e64 v33, 0, 1, s5
	v_cmp_eq_u32_e64 s5, 1, v32
	s_wait_alu 0xfffe
	s_or_b32 s2, s2, s4
	s_mov_b32 s3, exec_lo
	s_wait_alu 0xfffe
	s_and_b32 s2, s2, s5
	s_wait_alu 0xfffe
	v_cndmask_b32_e64 v32, v33, v27, s2
	s_delay_alu instid0(VALU_DEP_1) | instskip(NEXT) | instid1(VALU_DEP_1)
	v_and_b32_e32 v32, 1, v32
	v_cmpx_eq_u32_e32 1, v32
	s_cbranch_execz .LBB62_37
; %bb.36:
	ds_load_2addr_b64 v[32:35], v22 offset1:4
	s_wait_dscnt 0x0
	ds_store_2addr_b64 v22, v[34:35], v[32:33] offset1:4
	ds_store_b16 v20, v28
	ds_store_b16 v20, v31 offset:8
	ds_store_b8 v19, v30
	ds_store_b8 v19, v29 offset:4
.LBB62_37:
	s_or_b32 exec_lo, exec_lo, s3
	s_wait_loadcnt_dscnt 0x0
	s_barrier_signal -1
	s_barrier_wait -1
	global_inv scope:SCOPE_SE
	ds_load_u16 v28, v13 offset:4
	ds_load_u8 v29, v5
	ds_load_u16 v31, v13
	ds_load_u8 v30, v5 offset:2
	s_wait_dscnt 0x3
	v_cmp_u_f16_e64 s2, v28, v28
	s_wait_dscnt 0x2
	v_and_b32_e32 v32, 1, v29
	s_wait_dscnt 0x1
	v_cmp_o_f16_e64 s3, v31, v31
	s_wait_dscnt 0x0
	v_cmp_ne_u16_e64 s5, v30, v26
	v_cmp_lt_f16_e64 s4, v31, v28
	s_and_b32 s2, s2, s3
	v_cndmask_b32_e64 v33, 0, 1, s5
	v_cmp_eq_u32_e64 s5, 1, v32
	s_wait_alu 0xfffe
	s_or_b32 s2, s2, s4
	s_mov_b32 s3, exec_lo
	s_wait_alu 0xfffe
	s_and_b32 s2, s2, s5
	s_wait_alu 0xfffe
	v_cndmask_b32_e64 v32, v33, v27, s2
	s_delay_alu instid0(VALU_DEP_1) | instskip(NEXT) | instid1(VALU_DEP_1)
	v_and_b32_e32 v32, 1, v32
	v_cmpx_eq_u32_e32 1, v32
	s_cbranch_execz .LBB62_39
; %bb.38:
	ds_load_2addr_b64 v[32:35], v15 offset1:2
	s_wait_dscnt 0x0
	ds_store_2addr_b64 v15, v[34:35], v[32:33] offset1:2
	ds_store_b16 v13, v28
	ds_store_b16 v13, v31 offset:4
	ds_store_b8 v5, v30
	ds_store_b8 v5, v29 offset:2
.LBB62_39:
	s_or_b32 exec_lo, exec_lo, s3
	s_wait_loadcnt_dscnt 0x0
	s_barrier_signal -1
	s_barrier_wait -1
	global_inv scope:SCOPE_SE
	ds_load_b32 v29, v1
	ds_load_u16 v30, v4
	s_wait_dscnt 0x1
	v_lshrrev_b32_e32 v31, 16, v29
	s_wait_dscnt 0x0
	v_lshrrev_b16 v28, 8, v30
	v_and_b32_e32 v32, 1, v30
	v_cmp_o_f16_e64 s2, v29, v29
	v_cmp_u_f16_e64 s3, v31, v31
	s_delay_alu instid0(VALU_DEP_4)
	v_cmp_ne_u16_e64 s6, v28, v26
	v_cmp_lt_f16_e64 s4, v29, v31
	v_cmp_eq_u32_e64 s5, 1, v32
	s_and_b32 s2, s3, s2
	v_cndmask_b32_e64 v26, 0, 1, s6
	s_wait_alu 0xfffe
	s_or_b32 s2, s2, s4
	s_mov_b32 s3, exec_lo
	s_wait_alu 0xfffe
	s_and_b32 s2, s2, s5
	s_wait_alu 0xfffe
	v_cndmask_b32_e64 v26, v26, v27, s2
	s_delay_alu instid0(VALU_DEP_1) | instskip(NEXT) | instid1(VALU_DEP_1)
	v_and_b32_e32 v26, 1, v26
	v_cmpx_eq_u32_e32 1, v26
	s_cbranch_execz .LBB62_41
; %bb.40:
	ds_load_b128 v[31:34], v21
	v_lshlrev_b16 v27, 8, v30
	v_alignbit_b32 v26, v29, v29, 16
	s_delay_alu instid0(VALU_DEP_2)
	v_or_b32_e32 v27, v28, v27
	s_wait_dscnt 0x0
	v_dual_mov_b32 v29, v33 :: v_dual_mov_b32 v30, v34
	ds_store_b32 v1, v26
	ds_store_b128 v21, v[29:32]
	ds_store_b16 v4, v27
.LBB62_41:
	s_or_b32 exec_lo, exec_lo, s3
	v_and_b32_e32 v26, 15, v2
	s_wait_loadcnt_dscnt 0x0
	s_barrier_signal -1
	s_barrier_wait -1
	global_inv scope:SCOPE_SE
	v_sub_nc_u32_e32 v18, v18, v26
	s_delay_alu instid0(VALU_DEP_1)
	v_lshl_add_u32 v17, v18, 1, v17
	v_add_nc_u32_e32 v16, v16, v18
	ds_load_u16 v26, v17 offset:32
	ds_load_u8 v27, v16
	ds_load_u16 v28, v17
	ds_load_u8 v29, v16 offset:16
	s_wait_dscnt 0x3
	v_cmp_u_f16_e64 s2, v26, v26
	s_wait_dscnt 0x2
	v_and_b32_e32 v30, 1, v27
	s_wait_dscnt 0x1
	v_cmp_o_f16_e64 s3, v28, v28
	v_cmp_lt_f16_e64 s4, v28, v26
	s_wait_dscnt 0x0
	v_and_b32_e32 v29, 0xff, v29
	v_cmp_eq_u32_e64 s5, 1, v30
	s_and_b32 s2, s2, s3
	s_wait_alu 0xfffe
	s_or_b32 s3, s2, s4
	v_cmp_ne_u16_e64 s2, 0, v29
	s_wait_alu 0xfffe
	s_and_b32 s3, s3, s5
	s_wait_alu 0xfffe
	s_xor_b32 s3, s3, -1
	s_wait_alu 0xfffe
	s_and_b32 s3, s3, s2
	s_wait_alu 0xfffe
	s_and_saveexec_b32 s2, s3
	s_cbranch_execz .LBB62_43
; %bb.42:
	v_lshl_add_u32 v14, v18, 3, v14
	v_mov_b32_e32 v18, 1
	ds_load_2addr_b64 v[29:32], v14 offset1:16
	s_wait_dscnt 0x0
	ds_store_2addr_b64 v14, v[31:32], v[29:30] offset1:16
	ds_store_b16 v17, v26
	ds_store_b16 v17, v28 offset:32
	ds_store_b8 v16, v18
	ds_store_b8 v16, v27 offset:16
.LBB62_43:
	s_wait_alu 0xfffe
	s_or_b32 exec_lo, exec_lo, s2
	s_wait_loadcnt_dscnt 0x0
	s_barrier_signal -1
	s_barrier_wait -1
	global_inv scope:SCOPE_SE
	ds_load_u16 v14, v24 offset:16
	ds_load_u8 v16, v23
	ds_load_u16 v17, v24
	ds_load_u8 v18, v23 offset:8
	s_wait_dscnt 0x3
	v_cmp_u_f16_e64 s2, v14, v14
	s_wait_dscnt 0x2
	v_and_b32_e32 v26, 1, v16
	s_wait_dscnt 0x1
	v_cmp_o_f16_e64 s3, v17, v17
	v_cmp_lt_f16_e64 s4, v17, v14
	s_wait_dscnt 0x0
	v_and_b32_e32 v18, 0xff, v18
	v_cmp_eq_u32_e64 s5, 1, v26
	s_and_b32 s2, s2, s3
	s_wait_alu 0xfffe
	s_or_b32 s3, s2, s4
	v_cmp_ne_u16_e64 s2, 0, v18
	s_wait_alu 0xfffe
	s_and_b32 s3, s3, s5
	s_wait_alu 0xfffe
	s_xor_b32 s3, s3, -1
	s_wait_alu 0xfffe
	s_and_b32 s3, s3, s2
	s_wait_alu 0xfffe
	s_and_saveexec_b32 s2, s3
	s_cbranch_execz .LBB62_45
; %bb.44:
	ds_load_2addr_b64 v[26:29], v25 offset1:8
	v_mov_b32_e32 v18, 1
	s_wait_dscnt 0x0
	ds_store_2addr_b64 v25, v[28:29], v[26:27] offset1:8
	ds_store_b16 v24, v14
	ds_store_b16 v24, v17 offset:16
	ds_store_b8 v23, v18
	ds_store_b8 v23, v16 offset:8
.LBB62_45:
	s_wait_alu 0xfffe
	s_or_b32 exec_lo, exec_lo, s2
	s_wait_loadcnt_dscnt 0x0
	s_barrier_signal -1
	s_barrier_wait -1
	global_inv scope:SCOPE_SE
	ds_load_u16 v14, v20 offset:8
	ds_load_u8 v16, v19
	ds_load_u16 v17, v20
	ds_load_u8 v18, v19 offset:4
	s_wait_dscnt 0x3
	v_cmp_u_f16_e64 s2, v14, v14
	s_wait_dscnt 0x2
	v_and_b32_e32 v23, 1, v16
	s_wait_dscnt 0x1
	v_cmp_o_f16_e64 s3, v17, v17
	v_cmp_lt_f16_e64 s4, v17, v14
	s_wait_dscnt 0x0
	v_and_b32_e32 v18, 0xff, v18
	v_cmp_eq_u32_e64 s5, 1, v23
	s_and_b32 s2, s2, s3
	s_wait_alu 0xfffe
	s_or_b32 s3, s2, s4
	v_cmp_ne_u16_e64 s2, 0, v18
	s_wait_alu 0xfffe
	s_and_b32 s3, s3, s5
	s_wait_alu 0xfffe
	s_xor_b32 s3, s3, -1
	s_wait_alu 0xfffe
	s_and_b32 s3, s3, s2
	s_wait_alu 0xfffe
	s_and_saveexec_b32 s2, s3
	s_cbranch_execz .LBB62_47
; %bb.46:
	ds_load_2addr_b64 v[23:26], v22 offset1:4
	v_mov_b32_e32 v18, 1
	s_wait_dscnt 0x0
	ds_store_2addr_b64 v22, v[25:26], v[23:24] offset1:4
	ds_store_b16 v20, v14
	ds_store_b16 v20, v17 offset:8
	ds_store_b8 v19, v18
	ds_store_b8 v19, v16 offset:4
.LBB62_47:
	;; [unrolled: 43-line block ×3, first 2 shown]
	s_wait_alu 0xfffe
	s_or_b32 exec_lo, exec_lo, s2
	s_wait_loadcnt_dscnt 0x0
	s_barrier_signal -1
	s_barrier_wait -1
	global_inv scope:SCOPE_SE
	ds_load_b32 v5, v1
	ds_load_u16 v13, v4
	s_wait_dscnt 0x1
	v_lshrrev_b32_e32 v14, 16, v5
	s_wait_dscnt 0x0
	v_and_b32_e32 v15, 1, v13
	v_cmp_o_f16_e64 s3, v5, v5
	s_delay_alu instid0(VALU_DEP_3)
	v_cmp_u_f16_e64 s2, v14, v14
	v_cmp_lt_f16_e64 s4, v5, v14
	v_lshrrev_b16 v14, 8, v13
	v_cmp_eq_u32_e64 s5, 1, v15
	s_and_b32 s2, s2, s3
	s_wait_alu 0xfffe
	s_or_b32 s3, s2, s4
	v_cmp_ne_u16_e64 s2, 0, v14
	s_wait_alu 0xfffe
	s_and_b32 s3, s3, s5
	s_wait_alu 0xfffe
	s_xor_b32 s3, s3, -1
	s_wait_alu 0xfffe
	s_and_b32 s3, s3, s2
	s_wait_alu 0xfffe
	s_and_saveexec_b32 s2, s3
	s_cbranch_execz .LBB62_51
; %bb.50:
	ds_load_b128 v[14:17], v21
	v_lshlrev_b16 v13, 8, v13
	v_alignbit_b32 v5, v5, v5, 16
	s_delay_alu instid0(VALU_DEP_2)
	v_or_b32_e32 v13, 1, v13
	s_wait_dscnt 0x0
	v_dual_mov_b32 v18, v14 :: v_dual_mov_b32 v19, v15
	ds_store_b32 v1, v5
	ds_store_b128 v21, v[16:19]
	ds_store_b16 v4, v13
.LBB62_51:
	s_wait_alu 0xfffe
	s_or_b32 exec_lo, exec_lo, s2
	s_wait_loadcnt_dscnt 0x0
	s_barrier_signal -1
	s_barrier_wait -1
	global_inv scope:SCOPE_SE
	s_and_saveexec_b32 s2, vcc_lo
	s_cbranch_execz .LBB62_56
; %bb.52:
	s_and_saveexec_b32 s2, s0
	s_cbranch_execz .LBB62_54
; %bb.53:
	v_mad_co_u64_u32 v[4:5], null, s8, v2, 0
	v_mad_co_u64_u32 v[13:14], null, s10, v2, 0
	s_delay_alu instid0(VALU_DEP_2) | instskip(NEXT) | instid1(VALU_DEP_2)
	v_mov_b32_e32 v1, v5
	v_mov_b32_e32 v5, v14
	s_delay_alu instid0(VALU_DEP_2) | instskip(NEXT) | instid1(VALU_DEP_2)
	v_mad_co_u64_u32 v[14:15], null, s9, v2, v[1:2]
	v_mad_co_u64_u32 v[1:2], null, s11, v2, v[5:6]
	ds_load_u16 v15, v11
	ds_load_b64 v[11:12], v12
	v_dual_mov_b32 v5, v14 :: v_dual_mov_b32 v14, v1
	s_delay_alu instid0(VALU_DEP_1) | instskip(NEXT) | instid1(VALU_DEP_2)
	v_lshlrev_b64_e32 v[1:2], 1, v[4:5]
	v_lshlrev_b64_e32 v[4:5], 3, v[13:14]
	s_delay_alu instid0(VALU_DEP_2) | instskip(SKIP_1) | instid1(VALU_DEP_3)
	v_add_co_u32 v1, vcc_lo, v3, v1
	s_wait_alu 0xfffd
	v_add_co_ci_u32_e64 v2, null, v8, v2, vcc_lo
	s_delay_alu instid0(VALU_DEP_3)
	v_add_co_u32 v4, vcc_lo, v9, v4
	s_wait_alu 0xfffd
	v_add_co_ci_u32_e64 v5, null, v10, v5, vcc_lo
	s_wait_dscnt 0x1
	global_store_b16 v[1:2], v15, off
	s_wait_dscnt 0x0
	global_store_b64 v[4:5], v[11:12], off
.LBB62_54:
	s_wait_alu 0xfffe
	s_or_b32 exec_lo, exec_lo, s2
	s_delay_alu instid0(SALU_CYCLE_1)
	s_and_b32 exec_lo, exec_lo, s1
	s_cbranch_execz .LBB62_56
; %bb.55:
	v_mad_co_u64_u32 v[1:2], null, s8, v0, 0
	v_mad_co_u64_u32 v[4:5], null, s10, v0, 0
	s_delay_alu instid0(VALU_DEP_2) | instskip(NEXT) | instid1(VALU_DEP_2)
	v_mad_co_u64_u32 v[11:12], null, s9, v0, v[2:3]
	v_mad_co_u64_u32 v[12:13], null, s11, v0, v[5:6]
	s_delay_alu instid0(VALU_DEP_2) | instskip(SKIP_4) | instid1(VALU_DEP_2)
	v_mov_b32_e32 v2, v11
	ds_load_u16 v11, v6
	ds_load_b64 v[6:7], v7
	v_mov_b32_e32 v5, v12
	v_lshlrev_b64_e32 v[0:1], 1, v[1:2]
	v_lshlrev_b64_e32 v[4:5], 3, v[4:5]
	s_delay_alu instid0(VALU_DEP_2) | instskip(SKIP_1) | instid1(VALU_DEP_3)
	v_add_co_u32 v0, vcc_lo, v3, v0
	s_wait_alu 0xfffd
	v_add_co_ci_u32_e64 v1, null, v8, v1, vcc_lo
	s_delay_alu instid0(VALU_DEP_3)
	v_add_co_u32 v2, vcc_lo, v9, v4
	s_wait_alu 0xfffd
	v_add_co_ci_u32_e64 v3, null, v10, v5, vcc_lo
	s_wait_dscnt 0x1
	global_store_b16 v[0:1], v11, off
	s_wait_dscnt 0x0
	global_store_b64 v[2:3], v[6:7], off
.LBB62_56:
	s_endpgm
	.section	.rodata,"a",@progbits
	.p2align	6, 0x0
	.amdhsa_kernel _ZN2at6native20bitonicSortKVInPlaceILin1ELin1ELi16ELi16EN3c104HalfElNS0_4LTOpIS3_Lb1EEEmEEvNS_4cuda6detail10TensorInfoIT3_T6_EESA_SA_SA_NS8_IT4_SA_EESA_T5_
		.amdhsa_group_segment_fixed_size 5632
		.amdhsa_private_segment_fixed_size 0
		.amdhsa_kernarg_size 1128
		.amdhsa_user_sgpr_count 2
		.amdhsa_user_sgpr_dispatch_ptr 0
		.amdhsa_user_sgpr_queue_ptr 0
		.amdhsa_user_sgpr_kernarg_segment_ptr 1
		.amdhsa_user_sgpr_dispatch_id 0
		.amdhsa_user_sgpr_private_segment_size 0
		.amdhsa_wavefront_size32 1
		.amdhsa_uses_dynamic_stack 0
		.amdhsa_enable_private_segment 0
		.amdhsa_system_sgpr_workgroup_id_x 1
		.amdhsa_system_sgpr_workgroup_id_y 1
		.amdhsa_system_sgpr_workgroup_id_z 1
		.amdhsa_system_sgpr_workgroup_info 0
		.amdhsa_system_vgpr_workitem_id 1
		.amdhsa_next_free_vgpr 36
		.amdhsa_next_free_sgpr 31
		.amdhsa_reserve_vcc 1
		.amdhsa_float_round_mode_32 0
		.amdhsa_float_round_mode_16_64 0
		.amdhsa_float_denorm_mode_32 3
		.amdhsa_float_denorm_mode_16_64 3
		.amdhsa_fp16_overflow 0
		.amdhsa_workgroup_processor_mode 1
		.amdhsa_memory_ordered 1
		.amdhsa_forward_progress 1
		.amdhsa_inst_pref_size 58
		.amdhsa_round_robin_scheduling 0
		.amdhsa_exception_fp_ieee_invalid_op 0
		.amdhsa_exception_fp_denorm_src 0
		.amdhsa_exception_fp_ieee_div_zero 0
		.amdhsa_exception_fp_ieee_overflow 0
		.amdhsa_exception_fp_ieee_underflow 0
		.amdhsa_exception_fp_ieee_inexact 0
		.amdhsa_exception_int_div_zero 0
	.end_amdhsa_kernel
	.section	.text._ZN2at6native20bitonicSortKVInPlaceILin1ELin1ELi16ELi16EN3c104HalfElNS0_4LTOpIS3_Lb1EEEmEEvNS_4cuda6detail10TensorInfoIT3_T6_EESA_SA_SA_NS8_IT4_SA_EESA_T5_,"axG",@progbits,_ZN2at6native20bitonicSortKVInPlaceILin1ELin1ELi16ELi16EN3c104HalfElNS0_4LTOpIS3_Lb1EEEmEEvNS_4cuda6detail10TensorInfoIT3_T6_EESA_SA_SA_NS8_IT4_SA_EESA_T5_,comdat
.Lfunc_end62:
	.size	_ZN2at6native20bitonicSortKVInPlaceILin1ELin1ELi16ELi16EN3c104HalfElNS0_4LTOpIS3_Lb1EEEmEEvNS_4cuda6detail10TensorInfoIT3_T6_EESA_SA_SA_NS8_IT4_SA_EESA_T5_, .Lfunc_end62-_ZN2at6native20bitonicSortKVInPlaceILin1ELin1ELi16ELi16EN3c104HalfElNS0_4LTOpIS3_Lb1EEEmEEvNS_4cuda6detail10TensorInfoIT3_T6_EESA_SA_SA_NS8_IT4_SA_EESA_T5_
                                        ; -- End function
	.set _ZN2at6native20bitonicSortKVInPlaceILin1ELin1ELi16ELi16EN3c104HalfElNS0_4LTOpIS3_Lb1EEEmEEvNS_4cuda6detail10TensorInfoIT3_T6_EESA_SA_SA_NS8_IT4_SA_EESA_T5_.num_vgpr, 36
	.set _ZN2at6native20bitonicSortKVInPlaceILin1ELin1ELi16ELi16EN3c104HalfElNS0_4LTOpIS3_Lb1EEEmEEvNS_4cuda6detail10TensorInfoIT3_T6_EESA_SA_SA_NS8_IT4_SA_EESA_T5_.num_agpr, 0
	.set _ZN2at6native20bitonicSortKVInPlaceILin1ELin1ELi16ELi16EN3c104HalfElNS0_4LTOpIS3_Lb1EEEmEEvNS_4cuda6detail10TensorInfoIT3_T6_EESA_SA_SA_NS8_IT4_SA_EESA_T5_.numbered_sgpr, 31
	.set _ZN2at6native20bitonicSortKVInPlaceILin1ELin1ELi16ELi16EN3c104HalfElNS0_4LTOpIS3_Lb1EEEmEEvNS_4cuda6detail10TensorInfoIT3_T6_EESA_SA_SA_NS8_IT4_SA_EESA_T5_.num_named_barrier, 0
	.set _ZN2at6native20bitonicSortKVInPlaceILin1ELin1ELi16ELi16EN3c104HalfElNS0_4LTOpIS3_Lb1EEEmEEvNS_4cuda6detail10TensorInfoIT3_T6_EESA_SA_SA_NS8_IT4_SA_EESA_T5_.private_seg_size, 0
	.set _ZN2at6native20bitonicSortKVInPlaceILin1ELin1ELi16ELi16EN3c104HalfElNS0_4LTOpIS3_Lb1EEEmEEvNS_4cuda6detail10TensorInfoIT3_T6_EESA_SA_SA_NS8_IT4_SA_EESA_T5_.uses_vcc, 1
	.set _ZN2at6native20bitonicSortKVInPlaceILin1ELin1ELi16ELi16EN3c104HalfElNS0_4LTOpIS3_Lb1EEEmEEvNS_4cuda6detail10TensorInfoIT3_T6_EESA_SA_SA_NS8_IT4_SA_EESA_T5_.uses_flat_scratch, 0
	.set _ZN2at6native20bitonicSortKVInPlaceILin1ELin1ELi16ELi16EN3c104HalfElNS0_4LTOpIS3_Lb1EEEmEEvNS_4cuda6detail10TensorInfoIT3_T6_EESA_SA_SA_NS8_IT4_SA_EESA_T5_.has_dyn_sized_stack, 0
	.set _ZN2at6native20bitonicSortKVInPlaceILin1ELin1ELi16ELi16EN3c104HalfElNS0_4LTOpIS3_Lb1EEEmEEvNS_4cuda6detail10TensorInfoIT3_T6_EESA_SA_SA_NS8_IT4_SA_EESA_T5_.has_recursion, 0
	.set _ZN2at6native20bitonicSortKVInPlaceILin1ELin1ELi16ELi16EN3c104HalfElNS0_4LTOpIS3_Lb1EEEmEEvNS_4cuda6detail10TensorInfoIT3_T6_EESA_SA_SA_NS8_IT4_SA_EESA_T5_.has_indirect_call, 0
	.section	.AMDGPU.csdata,"",@progbits
; Kernel info:
; codeLenInByte = 7388
; TotalNumSgprs: 33
; NumVgprs: 36
; ScratchSize: 0
; MemoryBound: 0
; FloatMode: 240
; IeeeMode: 1
; LDSByteSize: 5632 bytes/workgroup (compile time only)
; SGPRBlocks: 0
; VGPRBlocks: 4
; NumSGPRsForWavesPerEU: 33
; NumVGPRsForWavesPerEU: 36
; Occupancy: 16
; WaveLimiterHint : 1
; COMPUTE_PGM_RSRC2:SCRATCH_EN: 0
; COMPUTE_PGM_RSRC2:USER_SGPR: 2
; COMPUTE_PGM_RSRC2:TRAP_HANDLER: 0
; COMPUTE_PGM_RSRC2:TGID_X_EN: 1
; COMPUTE_PGM_RSRC2:TGID_Y_EN: 1
; COMPUTE_PGM_RSRC2:TGID_Z_EN: 1
; COMPUTE_PGM_RSRC2:TIDIG_COMP_CNT: 1
	.section	.text._ZN2at6native20bitonicSortKVInPlaceILin1ELin1ELi16ELi16EN3c104HalfElNS0_4GTOpIS3_Lb1EEEmEEvNS_4cuda6detail10TensorInfoIT3_T6_EESA_SA_SA_NS8_IT4_SA_EESA_T5_,"axG",@progbits,_ZN2at6native20bitonicSortKVInPlaceILin1ELin1ELi16ELi16EN3c104HalfElNS0_4GTOpIS3_Lb1EEEmEEvNS_4cuda6detail10TensorInfoIT3_T6_EESA_SA_SA_NS8_IT4_SA_EESA_T5_,comdat
	.protected	_ZN2at6native20bitonicSortKVInPlaceILin1ELin1ELi16ELi16EN3c104HalfElNS0_4GTOpIS3_Lb1EEEmEEvNS_4cuda6detail10TensorInfoIT3_T6_EESA_SA_SA_NS8_IT4_SA_EESA_T5_ ; -- Begin function _ZN2at6native20bitonicSortKVInPlaceILin1ELin1ELi16ELi16EN3c104HalfElNS0_4GTOpIS3_Lb1EEEmEEvNS_4cuda6detail10TensorInfoIT3_T6_EESA_SA_SA_NS8_IT4_SA_EESA_T5_
	.globl	_ZN2at6native20bitonicSortKVInPlaceILin1ELin1ELi16ELi16EN3c104HalfElNS0_4GTOpIS3_Lb1EEEmEEvNS_4cuda6detail10TensorInfoIT3_T6_EESA_SA_SA_NS8_IT4_SA_EESA_T5_
	.p2align	8
	.type	_ZN2at6native20bitonicSortKVInPlaceILin1ELin1ELi16ELi16EN3c104HalfElNS0_4GTOpIS3_Lb1EEEmEEvNS_4cuda6detail10TensorInfoIT3_T6_EESA_SA_SA_NS8_IT4_SA_EESA_T5_,@function
_ZN2at6native20bitonicSortKVInPlaceILin1ELin1ELi16ELi16EN3c104HalfElNS0_4GTOpIS3_Lb1EEEmEEvNS_4cuda6detail10TensorInfoIT3_T6_EESA_SA_SA_NS8_IT4_SA_EESA_T5_: ; @_ZN2at6native20bitonicSortKVInPlaceILin1ELin1ELi16ELi16EN3c104HalfElNS0_4GTOpIS3_Lb1EEEmEEvNS_4cuda6detail10TensorInfoIT3_T6_EESA_SA_SA_NS8_IT4_SA_EESA_T5_
; %bb.0:
	v_mov_b32_e32 v1, 0
	s_lshr_b32 s8, ttmp7, 16
	s_and_b32 s9, ttmp7, 0xffff
	global_load_u16 v1, v1, s[0:1] offset:886
	s_clause 0x1
	s_load_b64 s[2:3], s[0:1], 0x368
	s_load_b128 s[4:7], s[0:1], 0x1a0
	s_wait_kmcnt 0x0
	s_mul_i32 s3, s3, s8
	s_delay_alu instid0(SALU_CYCLE_1) | instskip(NEXT) | instid1(SALU_CYCLE_1)
	s_add_co_i32 s3, s3, s9
	s_mul_i32 s2, s3, s2
	s_delay_alu instid0(SALU_CYCLE_1) | instskip(SKIP_2) | instid1(VALU_DEP_1)
	s_add_co_i32 s2, s2, ttmp9
	s_wait_loadcnt 0x0
	v_and_b32_e32 v1, 0xffff, v1
	v_mul_hi_u32 v2, v1, s2
	v_mul_lo_u32 v1, v1, s2
	s_delay_alu instid0(VALU_DEP_1)
	v_cmp_le_u64_e32 vcc_lo, s[4:5], v[1:2]
	s_cbranch_vccnz .LBB63_56
; %bb.1:
	s_clause 0x1
	s_load_b32 s10, s[0:1], 0x198
	s_load_b64 s[8:9], s[0:1], 0x1b0
	v_bfe_u32 v16, v0, 10, 10
	s_delay_alu instid0(VALU_DEP_1) | instskip(NEXT) | instid1(VALU_DEP_1)
	v_add_co_u32 v4, vcc_lo, v1, v16
	v_add_co_ci_u32_e64 v5, null, 0, v2, vcc_lo
	v_mov_b32_e32 v2, 0
	v_mov_b32_e32 v3, 0
	s_delay_alu instid0(VALU_DEP_3)
	v_dual_mov_b32 v7, v5 :: v_dual_mov_b32 v6, v4
	s_wait_kmcnt 0x0
	s_cmp_lt_i32 s10, 2
	s_cbranch_scc1 .LBB63_9
; %bb.2:
	s_add_co_i32 s2, s10, -1
	s_mov_b32 s3, 0
	v_dual_mov_b32 v2, 0 :: v_dual_mov_b32 v11, v5
	s_wait_alu 0xfffe
	s_lshl_b64 s[12:13], s[2:3], 3
	v_dual_mov_b32 v3, 0 :: v_dual_mov_b32 v8, 0
	v_mov_b32_e32 v10, v4
	s_add_nc_u64 s[12:13], s[0:1], s[12:13]
	s_add_co_i32 s14, s10, 1
	s_add_nc_u64 s[10:11], s[12:13], 8
.LBB63_3:                               ; =>This Inner Loop Header: Depth=1
	s_load_b64 s[12:13], s[10:11], 0x0
                                        ; implicit-def: $vgpr6_vgpr7
	s_mov_b32 s2, exec_lo
	s_wait_kmcnt 0x0
	v_or_b32_e32 v9, s13, v11
	s_delay_alu instid0(VALU_DEP_1)
	v_cmpx_ne_u64_e32 0, v[8:9]
	s_wait_alu 0xfffe
	s_xor_b32 s15, exec_lo, s2
	s_cbranch_execz .LBB63_5
; %bb.4:                                ;   in Loop: Header=BB63_3 Depth=1
	s_cvt_f32_u32 s2, s12
	s_cvt_f32_u32 s16, s13
	s_sub_nc_u64 s[18:19], 0, s[12:13]
	s_wait_alu 0xfffe
	s_delay_alu instid0(SALU_CYCLE_1) | instskip(SKIP_1) | instid1(SALU_CYCLE_2)
	s_fmamk_f32 s2, s16, 0x4f800000, s2
	s_wait_alu 0xfffe
	v_s_rcp_f32 s2, s2
	s_delay_alu instid0(TRANS32_DEP_1) | instskip(SKIP_1) | instid1(SALU_CYCLE_2)
	s_mul_f32 s2, s2, 0x5f7ffffc
	s_wait_alu 0xfffe
	s_mul_f32 s16, s2, 0x2f800000
	s_wait_alu 0xfffe
	s_delay_alu instid0(SALU_CYCLE_2) | instskip(SKIP_1) | instid1(SALU_CYCLE_2)
	s_trunc_f32 s16, s16
	s_wait_alu 0xfffe
	s_fmamk_f32 s2, s16, 0xcf800000, s2
	s_cvt_u32_f32 s17, s16
	s_wait_alu 0xfffe
	s_delay_alu instid0(SALU_CYCLE_1) | instskip(SKIP_1) | instid1(SALU_CYCLE_2)
	s_cvt_u32_f32 s16, s2
	s_wait_alu 0xfffe
	s_mul_u64 s[20:21], s[18:19], s[16:17]
	s_delay_alu instid0(SALU_CYCLE_1)
	s_mul_hi_u32 s23, s16, s21
	s_mul_i32 s22, s16, s21
	s_mul_hi_u32 s2, s16, s20
	s_mul_i32 s25, s17, s20
	s_wait_alu 0xfffe
	s_add_nc_u64 s[22:23], s[2:3], s[22:23]
	s_mul_hi_u32 s24, s17, s20
	s_mul_hi_u32 s26, s17, s21
	s_add_co_u32 s2, s22, s25
	s_add_co_ci_u32 s2, s23, s24
	s_mul_i32 s20, s17, s21
	s_add_co_ci_u32 s21, s26, 0
	s_wait_alu 0xfffe
	s_add_nc_u64 s[20:21], s[2:3], s[20:21]
	s_delay_alu instid0(SALU_CYCLE_1)
	s_add_co_u32 s16, s16, s20
	s_cselect_b32 s2, -1, 0
	s_wait_alu 0xfffe
	s_cmp_lg_u32 s2, 0
	s_add_co_ci_u32 s17, s17, s21
	s_wait_alu 0xfffe
	s_mul_u64 s[18:19], s[18:19], s[16:17]
	s_delay_alu instid0(SALU_CYCLE_1)
	s_mul_hi_u32 s21, s16, s19
	s_mul_i32 s20, s16, s19
	s_mul_hi_u32 s2, s16, s18
	s_mul_i32 s23, s17, s18
	s_wait_alu 0xfffe
	s_add_nc_u64 s[20:21], s[2:3], s[20:21]
	s_mul_hi_u32 s22, s17, s18
	s_mul_hi_u32 s24, s17, s19
	s_add_co_u32 s2, s20, s23
	s_add_co_ci_u32 s2, s21, s22
	s_mul_i32 s18, s17, s19
	s_add_co_ci_u32 s19, s24, 0
	s_wait_alu 0xfffe
	s_add_nc_u64 s[18:19], s[2:3], s[18:19]
	s_delay_alu instid0(SALU_CYCLE_1)
	s_add_co_u32 s2, s16, s18
	s_cselect_b32 s16, -1, 0
	s_wait_alu 0xfffe
	v_mul_hi_u32 v1, v10, s2
	s_cmp_lg_u32 s16, 0
	v_mad_co_u64_u32 v[12:13], null, v11, s2, 0
	s_add_co_ci_u32 s16, s17, s19
	s_wait_alu 0xfffe
	v_mad_co_u64_u32 v[6:7], null, v10, s16, 0
	v_mad_co_u64_u32 v[14:15], null, v11, s16, 0
	s_delay_alu instid0(VALU_DEP_2) | instskip(SKIP_1) | instid1(VALU_DEP_3)
	v_add_co_u32 v1, vcc_lo, v1, v6
	s_wait_alu 0xfffd
	v_add_co_ci_u32_e64 v6, null, 0, v7, vcc_lo
	s_delay_alu instid0(VALU_DEP_2) | instskip(SKIP_1) | instid1(VALU_DEP_2)
	v_add_co_u32 v1, vcc_lo, v1, v12
	s_wait_alu 0xfffd
	v_add_co_ci_u32_e32 v1, vcc_lo, v6, v13, vcc_lo
	s_wait_alu 0xfffd
	v_add_co_ci_u32_e32 v6, vcc_lo, 0, v15, vcc_lo
	s_delay_alu instid0(VALU_DEP_2) | instskip(SKIP_1) | instid1(VALU_DEP_2)
	v_add_co_u32 v1, vcc_lo, v1, v14
	s_wait_alu 0xfffd
	v_add_co_ci_u32_e64 v9, null, 0, v6, vcc_lo
	s_delay_alu instid0(VALU_DEP_2) | instskip(SKIP_1) | instid1(VALU_DEP_3)
	v_mul_lo_u32 v12, s13, v1
	v_mad_co_u64_u32 v[6:7], null, s12, v1, 0
	v_mul_lo_u32 v13, s12, v9
	s_delay_alu instid0(VALU_DEP_2) | instskip(NEXT) | instid1(VALU_DEP_2)
	v_sub_co_u32 v6, vcc_lo, v10, v6
	v_add3_u32 v7, v7, v13, v12
	v_add_co_u32 v13, s2, v1, 2
	s_wait_alu 0xf1ff
	v_add_co_ci_u32_e64 v14, null, 0, v9, s2
	s_delay_alu instid0(VALU_DEP_3) | instskip(SKIP_3) | instid1(VALU_DEP_3)
	v_sub_nc_u32_e32 v12, v11, v7
	v_sub_co_u32 v15, s2, v6, s12
	s_wait_alu 0xfffd
	v_sub_co_ci_u32_e64 v7, null, v11, v7, vcc_lo
	v_subrev_co_ci_u32_e64 v12, null, s13, v12, vcc_lo
	s_delay_alu instid0(VALU_DEP_3) | instskip(SKIP_1) | instid1(VALU_DEP_2)
	v_cmp_le_u32_e32 vcc_lo, s12, v15
	s_wait_alu 0xf1ff
	v_subrev_co_ci_u32_e64 v12, null, 0, v12, s2
	s_wait_alu 0xfffd
	v_cndmask_b32_e64 v15, 0, -1, vcc_lo
	v_cmp_eq_u32_e64 s2, s13, v7
	s_delay_alu instid0(VALU_DEP_3)
	v_cmp_le_u32_e32 vcc_lo, s13, v12
	s_wait_alu 0xfffd
	v_cndmask_b32_e64 v17, 0, -1, vcc_lo
	v_cmp_le_u32_e32 vcc_lo, s12, v6
	s_wait_alu 0xfffd
	v_cndmask_b32_e64 v6, 0, -1, vcc_lo
	;; [unrolled: 3-line block ×3, first 2 shown]
	v_cmp_eq_u32_e32 vcc_lo, s13, v12
	s_wait_alu 0xf1ff
	s_delay_alu instid0(VALU_DEP_2)
	v_cndmask_b32_e64 v6, v18, v6, s2
	s_wait_alu 0xfffd
	v_cndmask_b32_e32 v12, v17, v15, vcc_lo
	v_add_co_u32 v15, vcc_lo, v1, 1
	s_wait_alu 0xfffd
	v_add_co_ci_u32_e64 v17, null, 0, v9, vcc_lo
	s_delay_alu instid0(VALU_DEP_3) | instskip(SKIP_1) | instid1(VALU_DEP_2)
	v_cmp_ne_u32_e32 vcc_lo, 0, v12
	s_wait_alu 0xfffd
	v_dual_cndmask_b32 v7, v17, v14 :: v_dual_cndmask_b32 v12, v15, v13
	v_cmp_ne_u32_e32 vcc_lo, 0, v6
	s_wait_alu 0xfffd
	s_delay_alu instid0(VALU_DEP_2) | instskip(NEXT) | instid1(VALU_DEP_3)
	v_cndmask_b32_e32 v7, v9, v7, vcc_lo
	v_cndmask_b32_e32 v6, v1, v12, vcc_lo
.LBB63_5:                               ;   in Loop: Header=BB63_3 Depth=1
	s_wait_alu 0xfffe
	s_and_not1_saveexec_b32 s2, s15
	s_cbranch_execz .LBB63_7
; %bb.6:                                ;   in Loop: Header=BB63_3 Depth=1
	v_cvt_f32_u32_e32 v1, s12
	s_sub_co_i32 s15, 0, s12
	s_delay_alu instid0(VALU_DEP_1) | instskip(NEXT) | instid1(TRANS32_DEP_1)
	v_rcp_iflag_f32_e32 v1, v1
	v_mul_f32_e32 v1, 0x4f7ffffe, v1
	s_delay_alu instid0(VALU_DEP_1) | instskip(SKIP_1) | instid1(VALU_DEP_1)
	v_cvt_u32_f32_e32 v1, v1
	s_wait_alu 0xfffe
	v_mul_lo_u32 v6, s15, v1
	s_delay_alu instid0(VALU_DEP_1) | instskip(NEXT) | instid1(VALU_DEP_1)
	v_mul_hi_u32 v6, v1, v6
	v_add_nc_u32_e32 v1, v1, v6
	s_delay_alu instid0(VALU_DEP_1) | instskip(NEXT) | instid1(VALU_DEP_1)
	v_mul_hi_u32 v1, v10, v1
	v_mul_lo_u32 v6, v1, s12
	v_add_nc_u32_e32 v7, 1, v1
	s_delay_alu instid0(VALU_DEP_2) | instskip(NEXT) | instid1(VALU_DEP_1)
	v_sub_nc_u32_e32 v6, v10, v6
	v_subrev_nc_u32_e32 v9, s12, v6
	v_cmp_le_u32_e32 vcc_lo, s12, v6
	s_wait_alu 0xfffd
	s_delay_alu instid0(VALU_DEP_2) | instskip(NEXT) | instid1(VALU_DEP_1)
	v_dual_cndmask_b32 v6, v6, v9 :: v_dual_cndmask_b32 v1, v1, v7
	v_cmp_le_u32_e32 vcc_lo, s12, v6
	s_delay_alu instid0(VALU_DEP_2) | instskip(SKIP_1) | instid1(VALU_DEP_1)
	v_add_nc_u32_e32 v7, 1, v1
	s_wait_alu 0xfffd
	v_dual_cndmask_b32 v6, v1, v7 :: v_dual_mov_b32 v7, v8
.LBB63_7:                               ;   in Loop: Header=BB63_3 Depth=1
	s_wait_alu 0xfffe
	s_or_b32 exec_lo, exec_lo, s2
	s_load_b64 s[16:17], s[10:11], 0xc8
	s_delay_alu instid0(VALU_DEP_1)
	v_mul_lo_u32 v1, v7, s12
	v_mul_lo_u32 v9, v6, s13
	v_mad_co_u64_u32 v[12:13], null, v6, s12, 0
	s_add_co_i32 s14, s14, -1
	s_add_nc_u64 s[10:11], s[10:11], -8
	s_wait_alu 0xfffe
	s_cmp_gt_u32 s14, 2
	v_add3_u32 v1, v13, v9, v1
	v_sub_co_u32 v9, vcc_lo, v10, v12
	s_wait_alu 0xfffd
	s_delay_alu instid0(VALU_DEP_2) | instskip(SKIP_1) | instid1(VALU_DEP_2)
	v_sub_co_ci_u32_e64 v1, null, v11, v1, vcc_lo
	s_wait_kmcnt 0x0
	v_mul_lo_u32 v10, s17, v9
	s_delay_alu instid0(VALU_DEP_2) | instskip(SKIP_1) | instid1(VALU_DEP_1)
	v_mul_lo_u32 v1, s16, v1
	v_mad_co_u64_u32 v[2:3], null, s16, v9, v[2:3]
	v_add3_u32 v3, v10, v3, v1
	s_cbranch_scc0 .LBB63_9
; %bb.8:                                ;   in Loop: Header=BB63_3 Depth=1
	v_dual_mov_b32 v11, v7 :: v_dual_mov_b32 v10, v6
	s_branch .LBB63_3
.LBB63_9:
	s_clause 0x1
	s_load_b32 s14, s[0:1], 0x350
	s_load_b64 s[10:11], s[0:1], 0xd0
	v_dual_mov_b32 v8, 0 :: v_dual_mov_b32 v15, v5
	v_dual_mov_b32 v9, 0 :: v_dual_mov_b32 v14, v4
	s_add_nc_u64 s[12:13], s[0:1], 0x368
	s_wait_kmcnt 0x0
	s_cmp_lt_i32 s14, 2
	s_cbranch_scc1 .LBB63_17
; %bb.10:
	s_add_co_i32 s2, s14, -1
	s_mov_b32 s3, 0
	v_dual_mov_b32 v8, 0 :: v_dual_mov_b32 v13, v5
	s_wait_alu 0xfffe
	s_lshl_b64 s[16:17], s[2:3], 3
	v_dual_mov_b32 v9, 0 :: v_dual_mov_b32 v10, 0
	v_mov_b32_e32 v12, v4
	s_wait_alu 0xfffe
	s_add_nc_u64 s[16:17], s[0:1], s[16:17]
	s_add_co_i32 s18, s14, 1
	s_wait_alu 0xfffe
	s_add_nc_u64 s[14:15], s[16:17], 0x1c0
.LBB63_11:                              ; =>This Inner Loop Header: Depth=1
	s_load_b64 s[16:17], s[14:15], 0x0
                                        ; implicit-def: $vgpr14_vgpr15
	s_mov_b32 s2, exec_lo
	s_wait_kmcnt 0x0
	v_or_b32_e32 v11, s17, v13
	s_delay_alu instid0(VALU_DEP_1)
	v_cmpx_ne_u64_e32 0, v[10:11]
	s_wait_alu 0xfffe
	s_xor_b32 s19, exec_lo, s2
	s_cbranch_execz .LBB63_13
; %bb.12:                               ;   in Loop: Header=BB63_11 Depth=1
	s_cvt_f32_u32 s2, s16
	s_cvt_f32_u32 s20, s17
	s_sub_nc_u64 s[22:23], 0, s[16:17]
	s_wait_alu 0xfffe
	s_delay_alu instid0(SALU_CYCLE_1) | instskip(SKIP_1) | instid1(SALU_CYCLE_2)
	s_fmamk_f32 s2, s20, 0x4f800000, s2
	s_wait_alu 0xfffe
	v_s_rcp_f32 s2, s2
	s_delay_alu instid0(TRANS32_DEP_1) | instskip(SKIP_1) | instid1(SALU_CYCLE_2)
	s_mul_f32 s2, s2, 0x5f7ffffc
	s_wait_alu 0xfffe
	s_mul_f32 s20, s2, 0x2f800000
	s_wait_alu 0xfffe
	s_delay_alu instid0(SALU_CYCLE_2) | instskip(SKIP_1) | instid1(SALU_CYCLE_2)
	s_trunc_f32 s20, s20
	s_wait_alu 0xfffe
	s_fmamk_f32 s2, s20, 0xcf800000, s2
	s_cvt_u32_f32 s21, s20
	s_wait_alu 0xfffe
	s_delay_alu instid0(SALU_CYCLE_1) | instskip(SKIP_1) | instid1(SALU_CYCLE_2)
	s_cvt_u32_f32 s20, s2
	s_wait_alu 0xfffe
	s_mul_u64 s[24:25], s[22:23], s[20:21]
	s_delay_alu instid0(SALU_CYCLE_1)
	s_mul_hi_u32 s27, s20, s25
	s_mul_i32 s26, s20, s25
	s_mul_hi_u32 s2, s20, s24
	s_mul_i32 s29, s21, s24
	s_wait_alu 0xfffe
	s_add_nc_u64 s[26:27], s[2:3], s[26:27]
	s_mul_hi_u32 s28, s21, s24
	s_mul_hi_u32 s30, s21, s25
	s_add_co_u32 s2, s26, s29
	s_add_co_ci_u32 s2, s27, s28
	s_mul_i32 s24, s21, s25
	s_add_co_ci_u32 s25, s30, 0
	s_wait_alu 0xfffe
	s_add_nc_u64 s[24:25], s[2:3], s[24:25]
	s_delay_alu instid0(SALU_CYCLE_1)
	s_add_co_u32 s20, s20, s24
	s_cselect_b32 s2, -1, 0
	s_wait_alu 0xfffe
	s_cmp_lg_u32 s2, 0
	s_add_co_ci_u32 s21, s21, s25
	s_wait_alu 0xfffe
	s_mul_u64 s[22:23], s[22:23], s[20:21]
	s_delay_alu instid0(SALU_CYCLE_1)
	s_mul_hi_u32 s25, s20, s23
	s_mul_i32 s24, s20, s23
	s_mul_hi_u32 s2, s20, s22
	s_mul_i32 s27, s21, s22
	s_wait_alu 0xfffe
	s_add_nc_u64 s[24:25], s[2:3], s[24:25]
	s_mul_hi_u32 s26, s21, s22
	s_mul_hi_u32 s28, s21, s23
	s_add_co_u32 s2, s24, s27
	s_add_co_ci_u32 s2, s25, s26
	s_mul_i32 s22, s21, s23
	s_add_co_ci_u32 s23, s28, 0
	s_wait_alu 0xfffe
	s_add_nc_u64 s[22:23], s[2:3], s[22:23]
	s_delay_alu instid0(SALU_CYCLE_1)
	s_add_co_u32 s2, s20, s22
	s_cselect_b32 s20, -1, 0
	s_wait_alu 0xfffe
	v_mul_hi_u32 v1, v12, s2
	s_cmp_lg_u32 s20, 0
	v_mad_co_u64_u32 v[17:18], null, v13, s2, 0
	s_add_co_ci_u32 s20, s21, s23
	s_wait_alu 0xfffe
	v_mad_co_u64_u32 v[14:15], null, v12, s20, 0
	v_mad_co_u64_u32 v[19:20], null, v13, s20, 0
	s_delay_alu instid0(VALU_DEP_2) | instskip(SKIP_1) | instid1(VALU_DEP_3)
	v_add_co_u32 v1, vcc_lo, v1, v14
	s_wait_alu 0xfffd
	v_add_co_ci_u32_e64 v11, null, 0, v15, vcc_lo
	s_delay_alu instid0(VALU_DEP_2) | instskip(SKIP_1) | instid1(VALU_DEP_2)
	v_add_co_u32 v1, vcc_lo, v1, v17
	s_wait_alu 0xfffd
	v_add_co_ci_u32_e32 v1, vcc_lo, v11, v18, vcc_lo
	s_wait_alu 0xfffd
	v_add_co_ci_u32_e32 v11, vcc_lo, 0, v20, vcc_lo
	s_delay_alu instid0(VALU_DEP_2) | instskip(SKIP_1) | instid1(VALU_DEP_2)
	v_add_co_u32 v1, vcc_lo, v1, v19
	s_wait_alu 0xfffd
	v_add_co_ci_u32_e64 v11, null, 0, v11, vcc_lo
	s_delay_alu instid0(VALU_DEP_2) | instskip(SKIP_1) | instid1(VALU_DEP_3)
	v_mul_lo_u32 v17, s17, v1
	v_mad_co_u64_u32 v[14:15], null, s16, v1, 0
	v_mul_lo_u32 v18, s16, v11
	s_delay_alu instid0(VALU_DEP_2) | instskip(NEXT) | instid1(VALU_DEP_2)
	v_sub_co_u32 v14, vcc_lo, v12, v14
	v_add3_u32 v15, v15, v18, v17
	v_add_co_u32 v18, s2, v1, 2
	s_wait_alu 0xf1ff
	v_add_co_ci_u32_e64 v19, null, 0, v11, s2
	s_delay_alu instid0(VALU_DEP_3) | instskip(SKIP_3) | instid1(VALU_DEP_3)
	v_sub_nc_u32_e32 v17, v13, v15
	v_sub_co_u32 v20, s2, v14, s16
	s_wait_alu 0xfffd
	v_sub_co_ci_u32_e64 v15, null, v13, v15, vcc_lo
	v_subrev_co_ci_u32_e64 v17, null, s17, v17, vcc_lo
	s_delay_alu instid0(VALU_DEP_3) | instskip(SKIP_1) | instid1(VALU_DEP_2)
	v_cmp_le_u32_e32 vcc_lo, s16, v20
	s_wait_alu 0xf1ff
	v_subrev_co_ci_u32_e64 v17, null, 0, v17, s2
	s_wait_alu 0xfffd
	v_cndmask_b32_e64 v20, 0, -1, vcc_lo
	v_cmp_eq_u32_e64 s2, s17, v15
	s_delay_alu instid0(VALU_DEP_3)
	v_cmp_le_u32_e32 vcc_lo, s17, v17
	s_wait_alu 0xfffd
	v_cndmask_b32_e64 v21, 0, -1, vcc_lo
	v_cmp_le_u32_e32 vcc_lo, s16, v14
	s_wait_alu 0xfffd
	v_cndmask_b32_e64 v14, 0, -1, vcc_lo
	;; [unrolled: 3-line block ×3, first 2 shown]
	v_cmp_eq_u32_e32 vcc_lo, s17, v17
	s_wait_alu 0xf1ff
	s_delay_alu instid0(VALU_DEP_2)
	v_cndmask_b32_e64 v14, v22, v14, s2
	s_wait_alu 0xfffd
	v_cndmask_b32_e32 v17, v21, v20, vcc_lo
	v_add_co_u32 v20, vcc_lo, v1, 1
	s_wait_alu 0xfffd
	v_add_co_ci_u32_e64 v21, null, 0, v11, vcc_lo
	s_delay_alu instid0(VALU_DEP_3) | instskip(SKIP_1) | instid1(VALU_DEP_2)
	v_cmp_ne_u32_e32 vcc_lo, 0, v17
	s_wait_alu 0xfffd
	v_cndmask_b32_e32 v15, v21, v19, vcc_lo
	v_cndmask_b32_e32 v17, v20, v18, vcc_lo
	v_cmp_ne_u32_e32 vcc_lo, 0, v14
	s_wait_alu 0xfffd
	s_delay_alu instid0(VALU_DEP_2)
	v_dual_cndmask_b32 v15, v11, v15 :: v_dual_cndmask_b32 v14, v1, v17
.LBB63_13:                              ;   in Loop: Header=BB63_11 Depth=1
	s_wait_alu 0xfffe
	s_and_not1_saveexec_b32 s2, s19
	s_cbranch_execz .LBB63_15
; %bb.14:                               ;   in Loop: Header=BB63_11 Depth=1
	v_cvt_f32_u32_e32 v1, s16
	s_sub_co_i32 s19, 0, s16
	s_delay_alu instid0(VALU_DEP_1) | instskip(NEXT) | instid1(TRANS32_DEP_1)
	v_rcp_iflag_f32_e32 v1, v1
	v_mul_f32_e32 v1, 0x4f7ffffe, v1
	s_delay_alu instid0(VALU_DEP_1) | instskip(SKIP_1) | instid1(VALU_DEP_1)
	v_cvt_u32_f32_e32 v1, v1
	s_wait_alu 0xfffe
	v_mul_lo_u32 v11, s19, v1
	s_delay_alu instid0(VALU_DEP_1) | instskip(NEXT) | instid1(VALU_DEP_1)
	v_mul_hi_u32 v11, v1, v11
	v_add_nc_u32_e32 v1, v1, v11
	s_delay_alu instid0(VALU_DEP_1) | instskip(NEXT) | instid1(VALU_DEP_1)
	v_mul_hi_u32 v1, v12, v1
	v_mul_lo_u32 v11, v1, s16
	s_delay_alu instid0(VALU_DEP_1) | instskip(NEXT) | instid1(VALU_DEP_1)
	v_sub_nc_u32_e32 v11, v12, v11
	v_subrev_nc_u32_e32 v15, s16, v11
	v_cmp_le_u32_e32 vcc_lo, s16, v11
	s_wait_alu 0xfffd
	s_delay_alu instid0(VALU_DEP_2) | instskip(NEXT) | instid1(VALU_DEP_1)
	v_dual_cndmask_b32 v11, v11, v15 :: v_dual_add_nc_u32 v14, 1, v1
	v_cndmask_b32_e32 v1, v1, v14, vcc_lo
	v_mov_b32_e32 v15, v10
	s_delay_alu instid0(VALU_DEP_3) | instskip(NEXT) | instid1(VALU_DEP_3)
	v_cmp_le_u32_e32 vcc_lo, s16, v11
	v_add_nc_u32_e32 v14, 1, v1
	s_wait_alu 0xfffd
	s_delay_alu instid0(VALU_DEP_1)
	v_cndmask_b32_e32 v14, v1, v14, vcc_lo
.LBB63_15:                              ;   in Loop: Header=BB63_11 Depth=1
	s_wait_alu 0xfffe
	s_or_b32 exec_lo, exec_lo, s2
	s_load_b64 s[20:21], s[14:15], 0xc8
	v_mul_lo_u32 v1, v15, s16
	v_mul_lo_u32 v11, v14, s17
	v_mad_co_u64_u32 v[17:18], null, v14, s16, 0
	s_add_co_i32 s18, s18, -1
	s_add_nc_u64 s[14:15], s[14:15], -8
	s_wait_alu 0xfffe
	s_cmp_gt_u32 s18, 2
	v_add3_u32 v1, v18, v11, v1
	v_sub_co_u32 v11, vcc_lo, v12, v17
	s_wait_alu 0xfffd
	s_delay_alu instid0(VALU_DEP_2) | instskip(SKIP_1) | instid1(VALU_DEP_2)
	v_sub_co_ci_u32_e64 v1, null, v13, v1, vcc_lo
	s_wait_kmcnt 0x0
	v_mul_lo_u32 v12, s21, v11
	s_delay_alu instid0(VALU_DEP_2) | instskip(SKIP_1) | instid1(VALU_DEP_1)
	v_mul_lo_u32 v1, s20, v1
	v_mad_co_u64_u32 v[8:9], null, s20, v11, v[8:9]
	v_add3_u32 v9, v12, v9, v1
	s_cbranch_scc0 .LBB63_17
; %bb.16:                               ;   in Loop: Header=BB63_11 Depth=1
	v_dual_mov_b32 v12, v14 :: v_dual_mov_b32 v13, v15
	s_branch .LBB63_11
.LBB63_17:
	s_load_b64 s[2:3], s[0:1], 0x288
	v_mul_lo_u32 v17, s11, v6
	v_mul_lo_u32 v18, s10, v7
	v_mad_co_u64_u32 v[6:7], null, s10, v6, 0
	v_cmp_gt_u64_e32 vcc_lo, s[4:5], v[4:5]
	s_clause 0x2
	s_load_b64 s[10:11], s[0:1], 0x358
	s_load_b64 s[4:5], s[0:1], 0x0
	;; [unrolled: 1-line block ×3, first 2 shown]
	v_mov_b32_e32 v1, 0
	v_lshlrev_b64_e32 v[12:13], 1, v[2:3]
	v_and_b32_e32 v2, 0x3ff, v0
	v_add3_u32 v7, v7, v18, v17
	s_delay_alu instid0(VALU_DEP_4)
	v_mov_b32_e32 v3, v1
	s_wait_kmcnt 0x0
	v_mul_lo_u32 v4, s3, v14
	v_mul_lo_u32 v5, s2, v15
	v_mad_co_u64_u32 v[10:11], null, s2, v14, 0
	s_load_b32 s2, s[12:13], 0xc
	v_lshlrev_b64_e32 v[14:15], 3, v[8:9]
	v_lshlrev_b64_e32 v[8:9], 1, v[6:7]
	v_mov_b32_e32 v6, 0
	v_mov_b32_e32 v7, 0
	v_add3_u32 v11, v11, v5, v4
	v_mov_b32_e32 v4, 0
	v_add_co_u32 v0, s1, s4, v8
	s_delay_alu instid0(VALU_DEP_1) | instskip(NEXT) | instid1(VALU_DEP_4)
	v_add_co_ci_u32_e64 v8, null, s5, v9, s1
	v_lshlrev_b64_e32 v[10:11], 3, v[10:11]
	v_cmp_gt_u64_e64 s0, s[6:7], v[2:3]
	v_mov_b32_e32 v5, 0
	s_delay_alu instid0(VALU_DEP_3) | instskip(SKIP_1) | instid1(VALU_DEP_4)
	v_add_co_u32 v9, s1, s14, v10
	s_wait_alu 0xf1ff
	v_add_co_ci_u32_e64 v10, null, s15, v11, s1
	v_add_co_u32 v3, s1, v0, v12
	s_wait_alu 0xf1ff
	v_add_co_ci_u32_e64 v8, null, v8, v13, s1
	;; [unrolled: 3-line block ×3, first 2 shown]
	v_mov_b32_e32 v13, 0
	s_and_b32 s4, vcc_lo, s0
	s_wait_alu 0xfffe
	s_and_saveexec_b32 s3, s4
	s_cbranch_execz .LBB63_19
; %bb.18:
	v_mad_co_u64_u32 v[6:7], null, s8, v2, 0
	v_mad_co_u64_u32 v[11:12], null, s10, v2, 0
	s_delay_alu instid0(VALU_DEP_1) | instskip(NEXT) | instid1(VALU_DEP_1)
	v_dual_mov_b32 v0, v7 :: v_dual_mov_b32 v7, v12
	v_mad_co_u64_u32 v[12:13], null, s9, v2, v[0:1]
	s_delay_alu instid0(VALU_DEP_2) | instskip(NEXT) | instid1(VALU_DEP_1)
	v_mad_co_u64_u32 v[13:14], null, s11, v2, v[7:8]
	v_dual_mov_b32 v7, v12 :: v_dual_mov_b32 v12, v13
	s_delay_alu instid0(VALU_DEP_1) | instskip(NEXT) | instid1(VALU_DEP_2)
	v_lshlrev_b64_e32 v[6:7], 1, v[6:7]
	v_lshlrev_b64_e32 v[11:12], 3, v[11:12]
	s_delay_alu instid0(VALU_DEP_2) | instskip(SKIP_1) | instid1(VALU_DEP_3)
	v_add_co_u32 v6, s1, v3, v6
	s_wait_alu 0xf1ff
	v_add_co_ci_u32_e64 v7, null, v8, v7, s1
	s_delay_alu instid0(VALU_DEP_3)
	v_add_co_u32 v11, s1, v9, v11
	s_wait_alu 0xf1ff
	v_add_co_ci_u32_e64 v12, null, v10, v12, s1
	global_load_u16 v13, v[6:7], off
	global_load_b64 v[6:7], v[11:12], off
.LBB63_19:
	s_wait_alu 0xfffe
	s_or_b32 exec_lo, exec_lo, s3
	s_wait_kmcnt 0x0
	s_and_b32 s3, 0xffff, s2
	v_lshl_add_u32 v17, v16, 6, 0x1000
	s_wait_alu 0xfffe
	v_add_nc_u32_e32 v0, s3, v2
	v_lshlrev_b32_e32 v14, 8, v16
	v_lshl_add_u32 v16, v16, 5, 0x1400
	v_cndmask_b32_e64 v15, 0, 1, s4
	v_lshl_add_u32 v11, v2, 1, v17
	v_cmp_gt_u64_e64 s1, s[6:7], v[0:1]
	v_lshl_add_u32 v12, v2, 3, v14
	v_add_nc_u32_e32 v18, v16, v2
	s_wait_loadcnt 0x1
	ds_store_b16 v11, v13
	s_wait_loadcnt 0x0
	ds_store_b64 v12, v[6:7]
	ds_store_b8 v18, v15
	s_and_b32 s4, vcc_lo, s1
	s_wait_alu 0xfffe
	s_and_saveexec_b32 s5, s4
	s_cbranch_execz .LBB63_21
; %bb.20:
	v_mad_co_u64_u32 v[4:5], null, s8, v0, 0
	v_mad_co_u64_u32 v[6:7], null, s10, v0, 0
	s_delay_alu instid0(VALU_DEP_2) | instskip(NEXT) | instid1(VALU_DEP_2)
	v_mov_b32_e32 v1, v5
	v_mov_b32_e32 v5, v7
	s_delay_alu instid0(VALU_DEP_2) | instskip(NEXT) | instid1(VALU_DEP_2)
	v_mad_co_u64_u32 v[18:19], null, s9, v0, v[1:2]
	v_mad_co_u64_u32 v[19:20], null, s11, v0, v[5:6]
	s_delay_alu instid0(VALU_DEP_2) | instskip(NEXT) | instid1(VALU_DEP_2)
	v_mov_b32_e32 v5, v18
	v_mov_b32_e32 v7, v19
	s_delay_alu instid0(VALU_DEP_2) | instskip(NEXT) | instid1(VALU_DEP_2)
	v_lshlrev_b64_e32 v[4:5], 1, v[4:5]
	v_lshlrev_b64_e32 v[6:7], 3, v[6:7]
	s_delay_alu instid0(VALU_DEP_2) | instskip(SKIP_1) | instid1(VALU_DEP_3)
	v_add_co_u32 v4, s2, v3, v4
	s_wait_alu 0xf1ff
	v_add_co_ci_u32_e64 v5, null, v8, v5, s2
	s_delay_alu instid0(VALU_DEP_3)
	v_add_co_u32 v6, s2, v9, v6
	s_wait_alu 0xf1ff
	v_add_co_ci_u32_e64 v7, null, v10, v7, s2
	global_load_u16 v1, v[4:5], off
	global_load_b64 v[4:5], v[6:7], off
.LBB63_21:
	s_wait_alu 0xfffe
	s_or_b32 exec_lo, exec_lo, s5
	v_lshl_add_u32 v6, s3, 1, v11
	v_lshlrev_b32_e32 v18, 1, v2
	v_lshl_add_u32 v7, s3, 3, v12
	v_cndmask_b32_e64 v13, 0, 1, s4
	v_add_nc_u32_e32 v15, v16, v0
	s_wait_loadcnt 0x1
	ds_store_b16 v6, v1
	s_wait_loadcnt 0x0
	ds_store_b64 v7, v[4:5]
	ds_store_b8 v15, v13
	v_add_nc_u32_e32 v1, v11, v18
	v_add_nc_u32_e32 v4, v16, v18
	s_wait_dscnt 0x0
	s_barrier_signal -1
	s_barrier_wait -1
	global_inv scope:SCOPE_SE
	ds_load_b32 v13, v1
	ds_load_u16 v20, v4
	v_and_b32_e32 v5, 1, v2
	s_wait_dscnt 0x1
	v_lshrrev_b32_e32 v19, 16, v13
	s_wait_dscnt 0x0
	v_lshrrev_b16 v15, 8, v20
	v_and_b32_e32 v21, 1, v20
	v_cmp_u_f16_e64 s2, v13, v13
	v_cmp_o_f16_e64 s3, v19, v19
	s_delay_alu instid0(VALU_DEP_4)
	v_cmp_ne_u16_e64 s6, v15, v5
	v_cmp_gt_f16_e64 s4, v13, v19
	v_cmp_eq_u32_e64 s5, 1, v21
	s_and_b32 s2, s2, s3
	v_cndmask_b32_e64 v19, 0, 1, s6
	s_wait_alu 0xfffe
	s_or_b32 s2, s2, s4
	s_wait_alu 0xfffe
	s_and_b32 s2, s2, s5
	s_wait_alu 0xfffe
	v_cndmask_b32_e64 v19, v19, v2, s2
	s_delay_alu instid0(VALU_DEP_1) | instskip(NEXT) | instid1(VALU_DEP_1)
	v_and_b32_e32 v19, 1, v19
	v_cmp_eq_u32_e64 s2, 1, v19
	v_lshl_add_u32 v19, v2, 3, v12
	s_and_saveexec_b32 s3, s2
	s_wait_alu 0xfffe
	s_xor_b32 s2, exec_lo, s3
	s_cbranch_execz .LBB63_23
; %bb.22:
	ds_load_b128 v[21:24], v19
	v_lshlrev_b16 v20, 8, v20
	v_alignbit_b32 v13, v13, v13, 16
	s_delay_alu instid0(VALU_DEP_2)
	v_or_b32_e32 v15, v15, v20
	s_wait_dscnt 0x0
	v_dual_mov_b32 v25, v21 :: v_dual_mov_b32 v26, v22
	ds_store_b32 v1, v13
	ds_store_b128 v19, v[23:26]
	ds_store_b16 v4, v15
.LBB63_23:
	s_wait_alu 0xfffe
	s_or_b32 exec_lo, exec_lo, s2
	v_sub_nc_u32_e32 v15, v18, v5
	s_wait_loadcnt_dscnt 0x0
	s_barrier_signal -1
	s_barrier_wait -1
	global_inv scope:SCOPE_SE
	v_lshl_add_u32 v13, v15, 1, v17
	v_add_nc_u32_e32 v5, v16, v15
	v_bfe_u32 v22, v2, 1, 1
	v_lshl_add_u32 v15, v15, 3, v14
	ds_load_u16 v20, v13
	ds_load_u8 v21, v5
	ds_load_u16 v24, v13 offset:4
	ds_load_u8 v23, v5 offset:2
	s_wait_dscnt 0x3
	v_cmp_u_f16_e64 s2, v20, v20
	s_wait_dscnt 0x2
	v_and_b32_e32 v25, 1, v21
	s_wait_dscnt 0x1
	v_cmp_o_f16_e64 s3, v24, v24
	s_wait_dscnt 0x0
	v_cmp_ne_u16_e64 s5, v23, v22
	v_cmp_gt_f16_e64 s4, v20, v24
	s_and_b32 s2, s2, s3
	v_cndmask_b32_e64 v26, 0, 1, s5
	v_cmp_eq_u32_e64 s5, 1, v25
	s_wait_alu 0xfffe
	s_or_b32 s2, s2, s4
	s_wait_alu 0xfffe
	s_and_b32 s2, s2, s5
	s_wait_alu 0xfffe
	v_cndmask_b32_e64 v25, v26, v22, s2
	v_and_b32_e32 v22, 2, v2
	s_delay_alu instid0(VALU_DEP_2) | instskip(NEXT) | instid1(VALU_DEP_2)
	v_and_b32_e32 v25, 1, v25
	v_cmp_ne_u32_e64 s2, 0, v22
	s_delay_alu instid0(VALU_DEP_2)
	v_cmp_eq_u32_e64 s3, 1, v25
	s_and_saveexec_b32 s4, s3
	s_wait_alu 0xfffe
	s_xor_b32 s3, exec_lo, s4
	s_cbranch_execz .LBB63_25
; %bb.24:
	ds_load_2addr_b64 v[25:28], v15 offset1:2
	s_wait_dscnt 0x0
	ds_store_2addr_b64 v15, v[27:28], v[25:26] offset1:2
	ds_store_b16 v13, v24
	ds_store_b16 v13, v20 offset:4
	ds_store_b8 v5, v23
	ds_store_b8 v5, v21 offset:2
.LBB63_25:
	s_wait_alu 0xfffe
	s_or_b32 exec_lo, exec_lo, s3
	s_wait_loadcnt_dscnt 0x0
	s_barrier_signal -1
	s_barrier_wait -1
	global_inv scope:SCOPE_SE
	ds_load_b32 v20, v1
	ds_load_u16 v21, v4
	v_lshrrev_b32_e32 v23, 1, v22
	v_cndmask_b32_e64 v25, 0, 1, s2
	s_wait_dscnt 0x1
	v_lshrrev_b32_e32 v24, 16, v20
	s_wait_dscnt 0x0
	v_lshrrev_b16 v22, 8, v21
	v_and_b32_e32 v26, 1, v21
	v_cmp_u_f16_e64 s2, v20, v20
	v_cmp_o_f16_e64 s3, v24, v24
	s_delay_alu instid0(VALU_DEP_4)
	v_cmp_ne_u16_e64 s6, v22, v23
	v_cmp_gt_f16_e64 s4, v20, v24
	v_cmp_eq_u32_e64 s5, 1, v26
	s_and_b32 s2, s2, s3
	v_cndmask_b32_e64 v23, 0, 1, s6
	s_wait_alu 0xfffe
	s_or_b32 s2, s2, s4
	s_mov_b32 s3, exec_lo
	s_wait_alu 0xfffe
	s_and_b32 s2, s2, s5
	s_wait_alu 0xfffe
	v_cndmask_b32_e64 v23, v23, v25, s2
	s_delay_alu instid0(VALU_DEP_1) | instskip(NEXT) | instid1(VALU_DEP_1)
	v_and_b32_e32 v23, 1, v23
	v_cmpx_eq_u32_e32 1, v23
	s_cbranch_execz .LBB63_27
; %bb.26:
	ds_load_b128 v[23:26], v19
	v_lshlrev_b16 v21, 8, v21
	v_alignbit_b32 v20, v20, v20, 16
	s_delay_alu instid0(VALU_DEP_2)
	v_or_b32_e32 v21, v22, v21
	s_wait_dscnt 0x0
	v_dual_mov_b32 v27, v23 :: v_dual_mov_b32 v28, v24
	ds_store_b32 v1, v20
	ds_store_b128 v19, v[25:28]
	ds_store_b16 v4, v21
.LBB63_27:
	s_or_b32 exec_lo, exec_lo, s3
	v_and_b32_e32 v19, 3, v2
	s_wait_loadcnt_dscnt 0x0
	s_barrier_signal -1
	s_barrier_wait -1
	global_inv scope:SCOPE_SE
	v_sub_nc_u32_e32 v22, v18, v19
	v_bfe_u32 v23, v2, 2, 1
	s_delay_alu instid0(VALU_DEP_2)
	v_lshl_add_u32 v20, v22, 1, v17
	v_add_nc_u32_e32 v19, v16, v22
	v_lshl_add_u32 v22, v22, 3, v14
	ds_load_u16 v21, v20
	ds_load_u8 v24, v19
	ds_load_u16 v26, v20 offset:8
	ds_load_u8 v25, v19 offset:4
	s_wait_dscnt 0x3
	v_cmp_u_f16_e64 s2, v21, v21
	s_wait_dscnt 0x2
	v_and_b32_e32 v27, 1, v24
	s_wait_dscnt 0x1
	v_cmp_o_f16_e64 s3, v26, v26
	s_wait_dscnt 0x0
	v_cmp_ne_u16_e64 s5, v25, v23
	v_cmp_gt_f16_e64 s4, v21, v26
	s_and_b32 s2, s2, s3
	v_cndmask_b32_e64 v28, 0, 1, s5
	v_cmp_eq_u32_e64 s5, 1, v27
	s_wait_alu 0xfffe
	s_or_b32 s2, s2, s4
	s_mov_b32 s4, exec_lo
	s_wait_alu 0xfffe
	s_and_b32 s2, s2, s5
	s_wait_alu 0xfffe
	v_cndmask_b32_e64 v27, v28, v23, s2
	v_and_b32_e32 v23, 4, v2
	s_delay_alu instid0(VALU_DEP_2) | instskip(NEXT) | instid1(VALU_DEP_2)
	v_and_b32_e32 v27, 1, v27
	v_cmp_ne_u32_e64 s2, 0, v23
	s_delay_alu instid0(VALU_DEP_2)
	v_cmpx_eq_u32_e32 1, v27
	s_cbranch_execz .LBB63_29
; %bb.28:
	ds_load_2addr_b64 v[27:30], v22 offset1:4
	s_wait_dscnt 0x0
	ds_store_2addr_b64 v22, v[29:30], v[27:28] offset1:4
	ds_store_b16 v20, v26
	ds_store_b16 v20, v21 offset:8
	ds_store_b8 v19, v25
	ds_store_b8 v19, v24 offset:4
.LBB63_29:
	s_or_b32 exec_lo, exec_lo, s4
	s_wait_loadcnt_dscnt 0x0
	s_barrier_signal -1
	s_barrier_wait -1
	global_inv scope:SCOPE_SE
	ds_load_u16 v24, v13
	ds_load_u8 v25, v5
	ds_load_u16 v27, v13 offset:4
	ds_load_u8 v26, v5 offset:2
	v_lshrrev_b32_e32 v21, 2, v23
	v_cndmask_b32_e64 v23, 0, 1, s2
	s_wait_dscnt 0x3
	v_cmp_u_f16_e64 s2, v24, v24
	s_wait_dscnt 0x2
	v_and_b32_e32 v28, 1, v25
	s_wait_dscnt 0x1
	v_cmp_o_f16_e64 s3, v27, v27
	s_wait_dscnt 0x0
	v_cmp_ne_u16_e64 s5, v26, v21
	v_cmp_gt_f16_e64 s4, v24, v27
	s_and_b32 s2, s2, s3
	v_cndmask_b32_e64 v29, 0, 1, s5
	v_cmp_eq_u32_e64 s5, 1, v28
	s_wait_alu 0xfffe
	s_or_b32 s2, s2, s4
	s_mov_b32 s3, exec_lo
	s_wait_alu 0xfffe
	s_and_b32 s2, s2, s5
	s_wait_alu 0xfffe
	v_cndmask_b32_e64 v28, v29, v23, s2
	s_delay_alu instid0(VALU_DEP_1) | instskip(NEXT) | instid1(VALU_DEP_1)
	v_and_b32_e32 v28, 1, v28
	v_cmpx_eq_u32_e32 1, v28
	s_cbranch_execz .LBB63_31
; %bb.30:
	ds_load_2addr_b64 v[28:31], v15 offset1:2
	s_wait_dscnt 0x0
	ds_store_2addr_b64 v15, v[30:31], v[28:29] offset1:2
	ds_store_b16 v13, v27
	ds_store_b16 v13, v24 offset:4
	ds_store_b8 v5, v26
	ds_store_b8 v5, v25 offset:2
.LBB63_31:
	s_or_b32 exec_lo, exec_lo, s3
	s_wait_loadcnt_dscnt 0x0
	s_barrier_signal -1
	s_barrier_wait -1
	global_inv scope:SCOPE_SE
	ds_load_b32 v25, v1
	ds_load_u16 v26, v4
	s_wait_dscnt 0x1
	v_lshrrev_b32_e32 v27, 16, v25
	s_wait_dscnt 0x0
	v_lshrrev_b16 v24, 8, v26
	v_and_b32_e32 v28, 1, v26
	v_cmp_u_f16_e64 s2, v25, v25
	v_cmp_o_f16_e64 s3, v27, v27
	s_delay_alu instid0(VALU_DEP_4)
	v_cmp_ne_u16_e64 s6, v24, v21
	v_cmp_gt_f16_e64 s4, v25, v27
	v_cmp_eq_u32_e64 s5, 1, v28
	s_and_b32 s2, s2, s3
	v_cndmask_b32_e64 v21, 0, 1, s6
	s_wait_alu 0xfffe
	s_or_b32 s2, s2, s4
	s_wait_alu 0xfffe
	s_and_b32 s2, s2, s5
	s_wait_alu 0xfffe
	v_cndmask_b32_e64 v21, v21, v23, s2
	s_delay_alu instid0(VALU_DEP_1) | instskip(NEXT) | instid1(VALU_DEP_1)
	v_and_b32_e32 v21, 1, v21
	v_cmp_eq_u32_e64 s2, 1, v21
	v_lshl_add_u32 v21, v18, 3, v14
	s_and_saveexec_b32 s3, s2
	s_cbranch_execz .LBB63_33
; %bb.32:
	ds_load_b128 v[27:30], v21
	v_lshlrev_b16 v31, 8, v26
	v_alignbit_b32 v23, v25, v25, 16
	s_delay_alu instid0(VALU_DEP_2)
	v_or_b32_e32 v24, v24, v31
	s_wait_dscnt 0x0
	v_dual_mov_b32 v25, v29 :: v_dual_mov_b32 v26, v30
	ds_store_b32 v1, v23
	ds_store_b128 v21, v[25:28]
	ds_store_b16 v4, v24
.LBB63_33:
	s_wait_alu 0xfffe
	s_or_b32 exec_lo, exec_lo, s3
	v_and_b32_e32 v23, 7, v2
	s_wait_loadcnt_dscnt 0x0
	s_barrier_signal -1
	s_barrier_wait -1
	global_inv scope:SCOPE_SE
	v_sub_nc_u32_e32 v25, v18, v23
	v_bfe_u32 v27, v2, 3, 1
	s_delay_alu instid0(VALU_DEP_2)
	v_lshl_add_u32 v24, v25, 1, v17
	v_add_nc_u32_e32 v23, v16, v25
	v_lshl_add_u32 v25, v25, 3, v14
	ds_load_u16 v26, v24
	ds_load_u8 v28, v23
	ds_load_u16 v30, v24 offset:16
	ds_load_u8 v29, v23 offset:8
	s_wait_dscnt 0x3
	v_cmp_u_f16_e64 s2, v26, v26
	s_wait_dscnt 0x2
	v_and_b32_e32 v31, 1, v28
	s_wait_dscnt 0x1
	v_cmp_o_f16_e64 s3, v30, v30
	s_wait_dscnt 0x0
	v_cmp_ne_u16_e64 s5, v29, v27
	v_cmp_gt_f16_e64 s4, v26, v30
	s_and_b32 s2, s2, s3
	v_cndmask_b32_e64 v32, 0, 1, s5
	v_cmp_eq_u32_e64 s5, 1, v31
	s_wait_alu 0xfffe
	s_or_b32 s2, s2, s4
	s_mov_b32 s4, exec_lo
	s_wait_alu 0xfffe
	s_and_b32 s2, s2, s5
	s_wait_alu 0xfffe
	v_cndmask_b32_e64 v31, v32, v27, s2
	v_and_b32_e32 v27, 8, v2
	s_delay_alu instid0(VALU_DEP_2) | instskip(NEXT) | instid1(VALU_DEP_2)
	v_and_b32_e32 v31, 1, v31
	v_cmp_ne_u32_e64 s2, 0, v27
	s_delay_alu instid0(VALU_DEP_2)
	v_cmpx_eq_u32_e32 1, v31
	s_cbranch_execz .LBB63_35
; %bb.34:
	ds_load_2addr_b64 v[31:34], v25 offset1:8
	s_wait_dscnt 0x0
	ds_store_2addr_b64 v25, v[33:34], v[31:32] offset1:8
	ds_store_b16 v24, v30
	ds_store_b16 v24, v26 offset:16
	ds_store_b8 v23, v29
	ds_store_b8 v23, v28 offset:8
.LBB63_35:
	s_or_b32 exec_lo, exec_lo, s4
	s_wait_loadcnt_dscnt 0x0
	s_barrier_signal -1
	s_barrier_wait -1
	global_inv scope:SCOPE_SE
	ds_load_u16 v28, v20
	ds_load_u8 v29, v19
	ds_load_u16 v31, v20 offset:8
	ds_load_u8 v30, v19 offset:4
	v_lshrrev_b32_e32 v26, 3, v27
	v_cndmask_b32_e64 v27, 0, 1, s2
	s_wait_dscnt 0x3
	v_cmp_u_f16_e64 s2, v28, v28
	s_wait_dscnt 0x2
	v_and_b32_e32 v32, 1, v29
	s_wait_dscnt 0x1
	v_cmp_o_f16_e64 s3, v31, v31
	s_wait_dscnt 0x0
	v_cmp_ne_u16_e64 s5, v30, v26
	v_cmp_gt_f16_e64 s4, v28, v31
	s_and_b32 s2, s2, s3
	v_cndmask_b32_e64 v33, 0, 1, s5
	v_cmp_eq_u32_e64 s5, 1, v32
	s_wait_alu 0xfffe
	s_or_b32 s2, s2, s4
	s_mov_b32 s3, exec_lo
	s_wait_alu 0xfffe
	s_and_b32 s2, s2, s5
	s_wait_alu 0xfffe
	v_cndmask_b32_e64 v32, v33, v27, s2
	s_delay_alu instid0(VALU_DEP_1) | instskip(NEXT) | instid1(VALU_DEP_1)
	v_and_b32_e32 v32, 1, v32
	v_cmpx_eq_u32_e32 1, v32
	s_cbranch_execz .LBB63_37
; %bb.36:
	ds_load_2addr_b64 v[32:35], v22 offset1:4
	s_wait_dscnt 0x0
	ds_store_2addr_b64 v22, v[34:35], v[32:33] offset1:4
	ds_store_b16 v20, v31
	ds_store_b16 v20, v28 offset:8
	ds_store_b8 v19, v30
	ds_store_b8 v19, v29 offset:4
.LBB63_37:
	s_or_b32 exec_lo, exec_lo, s3
	s_wait_loadcnt_dscnt 0x0
	s_barrier_signal -1
	s_barrier_wait -1
	global_inv scope:SCOPE_SE
	ds_load_u16 v28, v13
	ds_load_u8 v29, v5
	ds_load_u16 v31, v13 offset:4
	ds_load_u8 v30, v5 offset:2
	s_wait_dscnt 0x3
	v_cmp_u_f16_e64 s2, v28, v28
	s_wait_dscnt 0x2
	v_and_b32_e32 v32, 1, v29
	s_wait_dscnt 0x1
	v_cmp_o_f16_e64 s3, v31, v31
	s_wait_dscnt 0x0
	v_cmp_ne_u16_e64 s5, v30, v26
	v_cmp_gt_f16_e64 s4, v28, v31
	s_and_b32 s2, s2, s3
	v_cndmask_b32_e64 v33, 0, 1, s5
	v_cmp_eq_u32_e64 s5, 1, v32
	s_wait_alu 0xfffe
	s_or_b32 s2, s2, s4
	s_mov_b32 s3, exec_lo
	s_wait_alu 0xfffe
	s_and_b32 s2, s2, s5
	s_wait_alu 0xfffe
	v_cndmask_b32_e64 v32, v33, v27, s2
	s_delay_alu instid0(VALU_DEP_1) | instskip(NEXT) | instid1(VALU_DEP_1)
	v_and_b32_e32 v32, 1, v32
	v_cmpx_eq_u32_e32 1, v32
	s_cbranch_execz .LBB63_39
; %bb.38:
	ds_load_2addr_b64 v[32:35], v15 offset1:2
	s_wait_dscnt 0x0
	ds_store_2addr_b64 v15, v[34:35], v[32:33] offset1:2
	ds_store_b16 v13, v31
	ds_store_b16 v13, v28 offset:4
	ds_store_b8 v5, v30
	ds_store_b8 v5, v29 offset:2
.LBB63_39:
	s_or_b32 exec_lo, exec_lo, s3
	s_wait_loadcnt_dscnt 0x0
	s_barrier_signal -1
	s_barrier_wait -1
	global_inv scope:SCOPE_SE
	ds_load_b32 v29, v1
	ds_load_u16 v30, v4
	s_wait_dscnt 0x1
	v_lshrrev_b32_e32 v31, 16, v29
	s_wait_dscnt 0x0
	v_lshrrev_b16 v28, 8, v30
	v_and_b32_e32 v32, 1, v30
	v_cmp_u_f16_e64 s2, v29, v29
	v_cmp_o_f16_e64 s3, v31, v31
	s_delay_alu instid0(VALU_DEP_4)
	v_cmp_ne_u16_e64 s6, v28, v26
	v_cmp_gt_f16_e64 s4, v29, v31
	v_cmp_eq_u32_e64 s5, 1, v32
	s_and_b32 s2, s2, s3
	v_cndmask_b32_e64 v26, 0, 1, s6
	s_wait_alu 0xfffe
	s_or_b32 s2, s2, s4
	s_mov_b32 s3, exec_lo
	s_wait_alu 0xfffe
	s_and_b32 s2, s2, s5
	s_wait_alu 0xfffe
	v_cndmask_b32_e64 v26, v26, v27, s2
	s_delay_alu instid0(VALU_DEP_1) | instskip(NEXT) | instid1(VALU_DEP_1)
	v_and_b32_e32 v26, 1, v26
	v_cmpx_eq_u32_e32 1, v26
	s_cbranch_execz .LBB63_41
; %bb.40:
	ds_load_b128 v[31:34], v21
	v_lshlrev_b16 v27, 8, v30
	v_alignbit_b32 v26, v29, v29, 16
	s_delay_alu instid0(VALU_DEP_2)
	v_or_b32_e32 v27, v28, v27
	s_wait_dscnt 0x0
	v_dual_mov_b32 v29, v33 :: v_dual_mov_b32 v30, v34
	ds_store_b32 v1, v26
	ds_store_b128 v21, v[29:32]
	ds_store_b16 v4, v27
.LBB63_41:
	s_or_b32 exec_lo, exec_lo, s3
	v_and_b32_e32 v26, 15, v2
	s_wait_loadcnt_dscnt 0x0
	s_barrier_signal -1
	s_barrier_wait -1
	global_inv scope:SCOPE_SE
	v_sub_nc_u32_e32 v26, v18, v26
	s_delay_alu instid0(VALU_DEP_1)
	v_lshl_add_u32 v17, v26, 1, v17
	v_add_nc_u32_e32 v16, v16, v26
	ds_load_u16 v18, v17
	ds_load_u8 v27, v16
	ds_load_u16 v28, v17 offset:32
	ds_load_u8 v29, v16 offset:16
	s_wait_dscnt 0x3
	v_cmp_u_f16_e64 s2, v18, v18
	s_wait_dscnt 0x2
	v_and_b32_e32 v30, 1, v27
	s_wait_dscnt 0x1
	v_cmp_o_f16_e64 s3, v28, v28
	v_cmp_gt_f16_e64 s4, v18, v28
	s_wait_dscnt 0x0
	v_and_b32_e32 v29, 0xff, v29
	v_cmp_eq_u32_e64 s5, 1, v30
	s_and_b32 s2, s2, s3
	s_wait_alu 0xfffe
	s_or_b32 s3, s2, s4
	v_cmp_ne_u16_e64 s2, 0, v29
	s_wait_alu 0xfffe
	s_and_b32 s3, s3, s5
	s_wait_alu 0xfffe
	s_xor_b32 s3, s3, -1
	s_wait_alu 0xfffe
	s_and_b32 s3, s3, s2
	s_wait_alu 0xfffe
	s_and_saveexec_b32 s2, s3
	s_cbranch_execz .LBB63_43
; %bb.42:
	v_lshl_add_u32 v14, v26, 3, v14
	v_mov_b32_e32 v26, 1
	ds_load_2addr_b64 v[29:32], v14 offset1:16
	s_wait_dscnt 0x0
	ds_store_2addr_b64 v14, v[31:32], v[29:30] offset1:16
	ds_store_b16 v17, v28
	ds_store_b16 v17, v18 offset:32
	ds_store_b8 v16, v26
	ds_store_b8 v16, v27 offset:16
.LBB63_43:
	s_wait_alu 0xfffe
	s_or_b32 exec_lo, exec_lo, s2
	s_wait_loadcnt_dscnt 0x0
	s_barrier_signal -1
	s_barrier_wait -1
	global_inv scope:SCOPE_SE
	ds_load_u16 v14, v24
	ds_load_u8 v16, v23
	ds_load_u16 v17, v24 offset:16
	ds_load_u8 v18, v23 offset:8
	s_wait_dscnt 0x3
	v_cmp_u_f16_e64 s2, v14, v14
	s_wait_dscnt 0x2
	v_and_b32_e32 v26, 1, v16
	s_wait_dscnt 0x1
	v_cmp_o_f16_e64 s3, v17, v17
	v_cmp_gt_f16_e64 s4, v14, v17
	s_wait_dscnt 0x0
	v_and_b32_e32 v18, 0xff, v18
	v_cmp_eq_u32_e64 s5, 1, v26
	s_and_b32 s2, s2, s3
	s_wait_alu 0xfffe
	s_or_b32 s3, s2, s4
	v_cmp_ne_u16_e64 s2, 0, v18
	s_wait_alu 0xfffe
	s_and_b32 s3, s3, s5
	s_wait_alu 0xfffe
	s_xor_b32 s3, s3, -1
	s_wait_alu 0xfffe
	s_and_b32 s3, s3, s2
	s_wait_alu 0xfffe
	s_and_saveexec_b32 s2, s3
	s_cbranch_execz .LBB63_45
; %bb.44:
	ds_load_2addr_b64 v[26:29], v25 offset1:8
	v_mov_b32_e32 v18, 1
	s_wait_dscnt 0x0
	ds_store_2addr_b64 v25, v[28:29], v[26:27] offset1:8
	ds_store_b16 v24, v17
	ds_store_b16 v24, v14 offset:16
	ds_store_b8 v23, v18
	ds_store_b8 v23, v16 offset:8
.LBB63_45:
	s_wait_alu 0xfffe
	s_or_b32 exec_lo, exec_lo, s2
	s_wait_loadcnt_dscnt 0x0
	s_barrier_signal -1
	s_barrier_wait -1
	global_inv scope:SCOPE_SE
	ds_load_u16 v14, v20
	ds_load_u8 v16, v19
	ds_load_u16 v17, v20 offset:8
	ds_load_u8 v18, v19 offset:4
	s_wait_dscnt 0x3
	v_cmp_u_f16_e64 s2, v14, v14
	s_wait_dscnt 0x2
	v_and_b32_e32 v23, 1, v16
	s_wait_dscnt 0x1
	v_cmp_o_f16_e64 s3, v17, v17
	v_cmp_gt_f16_e64 s4, v14, v17
	s_wait_dscnt 0x0
	v_and_b32_e32 v18, 0xff, v18
	v_cmp_eq_u32_e64 s5, 1, v23
	s_and_b32 s2, s2, s3
	s_wait_alu 0xfffe
	s_or_b32 s3, s2, s4
	v_cmp_ne_u16_e64 s2, 0, v18
	s_wait_alu 0xfffe
	s_and_b32 s3, s3, s5
	s_wait_alu 0xfffe
	s_xor_b32 s3, s3, -1
	s_wait_alu 0xfffe
	s_and_b32 s3, s3, s2
	s_wait_alu 0xfffe
	s_and_saveexec_b32 s2, s3
	s_cbranch_execz .LBB63_47
; %bb.46:
	ds_load_2addr_b64 v[23:26], v22 offset1:4
	v_mov_b32_e32 v18, 1
	s_wait_dscnt 0x0
	ds_store_2addr_b64 v22, v[25:26], v[23:24] offset1:4
	ds_store_b16 v20, v17
	ds_store_b16 v20, v14 offset:8
	ds_store_b8 v19, v18
	ds_store_b8 v19, v16 offset:4
.LBB63_47:
	;; [unrolled: 43-line block ×3, first 2 shown]
	s_wait_alu 0xfffe
	s_or_b32 exec_lo, exec_lo, s2
	s_wait_loadcnt_dscnt 0x0
	s_barrier_signal -1
	s_barrier_wait -1
	global_inv scope:SCOPE_SE
	ds_load_b32 v5, v1
	ds_load_u16 v13, v4
	s_wait_dscnt 0x1
	v_lshrrev_b32_e32 v14, 16, v5
	s_wait_dscnt 0x0
	v_and_b32_e32 v15, 1, v13
	v_cmp_u_f16_e64 s2, v5, v5
	s_delay_alu instid0(VALU_DEP_3)
	v_cmp_o_f16_e64 s3, v14, v14
	v_cmp_gt_f16_e64 s4, v5, v14
	v_lshrrev_b16 v14, 8, v13
	v_cmp_eq_u32_e64 s5, 1, v15
	s_and_b32 s2, s2, s3
	s_wait_alu 0xfffe
	s_or_b32 s3, s2, s4
	v_cmp_ne_u16_e64 s2, 0, v14
	s_wait_alu 0xfffe
	s_and_b32 s3, s3, s5
	s_wait_alu 0xfffe
	s_xor_b32 s3, s3, -1
	s_wait_alu 0xfffe
	s_and_b32 s3, s3, s2
	s_wait_alu 0xfffe
	s_and_saveexec_b32 s2, s3
	s_cbranch_execz .LBB63_51
; %bb.50:
	ds_load_b128 v[14:17], v21
	v_lshlrev_b16 v13, 8, v13
	v_alignbit_b32 v5, v5, v5, 16
	s_delay_alu instid0(VALU_DEP_2)
	v_or_b32_e32 v13, 1, v13
	s_wait_dscnt 0x0
	v_dual_mov_b32 v18, v14 :: v_dual_mov_b32 v19, v15
	ds_store_b32 v1, v5
	ds_store_b128 v21, v[16:19]
	ds_store_b16 v4, v13
.LBB63_51:
	s_wait_alu 0xfffe
	s_or_b32 exec_lo, exec_lo, s2
	s_wait_loadcnt_dscnt 0x0
	s_barrier_signal -1
	s_barrier_wait -1
	global_inv scope:SCOPE_SE
	s_and_saveexec_b32 s2, vcc_lo
	s_cbranch_execz .LBB63_56
; %bb.52:
	s_and_saveexec_b32 s2, s0
	s_cbranch_execz .LBB63_54
; %bb.53:
	v_mad_co_u64_u32 v[4:5], null, s8, v2, 0
	v_mad_co_u64_u32 v[13:14], null, s10, v2, 0
	s_delay_alu instid0(VALU_DEP_2) | instskip(NEXT) | instid1(VALU_DEP_2)
	v_mov_b32_e32 v1, v5
	v_mov_b32_e32 v5, v14
	s_delay_alu instid0(VALU_DEP_2) | instskip(NEXT) | instid1(VALU_DEP_2)
	v_mad_co_u64_u32 v[14:15], null, s9, v2, v[1:2]
	v_mad_co_u64_u32 v[1:2], null, s11, v2, v[5:6]
	ds_load_u16 v15, v11
	ds_load_b64 v[11:12], v12
	v_dual_mov_b32 v5, v14 :: v_dual_mov_b32 v14, v1
	s_delay_alu instid0(VALU_DEP_1) | instskip(NEXT) | instid1(VALU_DEP_2)
	v_lshlrev_b64_e32 v[1:2], 1, v[4:5]
	v_lshlrev_b64_e32 v[4:5], 3, v[13:14]
	s_delay_alu instid0(VALU_DEP_2) | instskip(SKIP_1) | instid1(VALU_DEP_3)
	v_add_co_u32 v1, vcc_lo, v3, v1
	s_wait_alu 0xfffd
	v_add_co_ci_u32_e64 v2, null, v8, v2, vcc_lo
	s_delay_alu instid0(VALU_DEP_3)
	v_add_co_u32 v4, vcc_lo, v9, v4
	s_wait_alu 0xfffd
	v_add_co_ci_u32_e64 v5, null, v10, v5, vcc_lo
	s_wait_dscnt 0x1
	global_store_b16 v[1:2], v15, off
	s_wait_dscnt 0x0
	global_store_b64 v[4:5], v[11:12], off
.LBB63_54:
	s_wait_alu 0xfffe
	s_or_b32 exec_lo, exec_lo, s2
	s_delay_alu instid0(SALU_CYCLE_1)
	s_and_b32 exec_lo, exec_lo, s1
	s_cbranch_execz .LBB63_56
; %bb.55:
	v_mad_co_u64_u32 v[1:2], null, s8, v0, 0
	v_mad_co_u64_u32 v[4:5], null, s10, v0, 0
	s_delay_alu instid0(VALU_DEP_2) | instskip(NEXT) | instid1(VALU_DEP_2)
	v_mad_co_u64_u32 v[11:12], null, s9, v0, v[2:3]
	v_mad_co_u64_u32 v[12:13], null, s11, v0, v[5:6]
	s_delay_alu instid0(VALU_DEP_2) | instskip(SKIP_4) | instid1(VALU_DEP_2)
	v_mov_b32_e32 v2, v11
	ds_load_u16 v11, v6
	ds_load_b64 v[6:7], v7
	v_mov_b32_e32 v5, v12
	v_lshlrev_b64_e32 v[0:1], 1, v[1:2]
	v_lshlrev_b64_e32 v[4:5], 3, v[4:5]
	s_delay_alu instid0(VALU_DEP_2) | instskip(SKIP_1) | instid1(VALU_DEP_3)
	v_add_co_u32 v0, vcc_lo, v3, v0
	s_wait_alu 0xfffd
	v_add_co_ci_u32_e64 v1, null, v8, v1, vcc_lo
	s_delay_alu instid0(VALU_DEP_3)
	v_add_co_u32 v2, vcc_lo, v9, v4
	s_wait_alu 0xfffd
	v_add_co_ci_u32_e64 v3, null, v10, v5, vcc_lo
	s_wait_dscnt 0x1
	global_store_b16 v[0:1], v11, off
	s_wait_dscnt 0x0
	global_store_b64 v[2:3], v[6:7], off
.LBB63_56:
	s_endpgm
	.section	.rodata,"a",@progbits
	.p2align	6, 0x0
	.amdhsa_kernel _ZN2at6native20bitonicSortKVInPlaceILin1ELin1ELi16ELi16EN3c104HalfElNS0_4GTOpIS3_Lb1EEEmEEvNS_4cuda6detail10TensorInfoIT3_T6_EESA_SA_SA_NS8_IT4_SA_EESA_T5_
		.amdhsa_group_segment_fixed_size 5632
		.amdhsa_private_segment_fixed_size 0
		.amdhsa_kernarg_size 1128
		.amdhsa_user_sgpr_count 2
		.amdhsa_user_sgpr_dispatch_ptr 0
		.amdhsa_user_sgpr_queue_ptr 0
		.amdhsa_user_sgpr_kernarg_segment_ptr 1
		.amdhsa_user_sgpr_dispatch_id 0
		.amdhsa_user_sgpr_private_segment_size 0
		.amdhsa_wavefront_size32 1
		.amdhsa_uses_dynamic_stack 0
		.amdhsa_enable_private_segment 0
		.amdhsa_system_sgpr_workgroup_id_x 1
		.amdhsa_system_sgpr_workgroup_id_y 1
		.amdhsa_system_sgpr_workgroup_id_z 1
		.amdhsa_system_sgpr_workgroup_info 0
		.amdhsa_system_vgpr_workitem_id 1
		.amdhsa_next_free_vgpr 36
		.amdhsa_next_free_sgpr 31
		.amdhsa_reserve_vcc 1
		.amdhsa_float_round_mode_32 0
		.amdhsa_float_round_mode_16_64 0
		.amdhsa_float_denorm_mode_32 3
		.amdhsa_float_denorm_mode_16_64 3
		.amdhsa_fp16_overflow 0
		.amdhsa_workgroup_processor_mode 1
		.amdhsa_memory_ordered 1
		.amdhsa_forward_progress 1
		.amdhsa_inst_pref_size 58
		.amdhsa_round_robin_scheduling 0
		.amdhsa_exception_fp_ieee_invalid_op 0
		.amdhsa_exception_fp_denorm_src 0
		.amdhsa_exception_fp_ieee_div_zero 0
		.amdhsa_exception_fp_ieee_overflow 0
		.amdhsa_exception_fp_ieee_underflow 0
		.amdhsa_exception_fp_ieee_inexact 0
		.amdhsa_exception_int_div_zero 0
	.end_amdhsa_kernel
	.section	.text._ZN2at6native20bitonicSortKVInPlaceILin1ELin1ELi16ELi16EN3c104HalfElNS0_4GTOpIS3_Lb1EEEmEEvNS_4cuda6detail10TensorInfoIT3_T6_EESA_SA_SA_NS8_IT4_SA_EESA_T5_,"axG",@progbits,_ZN2at6native20bitonicSortKVInPlaceILin1ELin1ELi16ELi16EN3c104HalfElNS0_4GTOpIS3_Lb1EEEmEEvNS_4cuda6detail10TensorInfoIT3_T6_EESA_SA_SA_NS8_IT4_SA_EESA_T5_,comdat
.Lfunc_end63:
	.size	_ZN2at6native20bitonicSortKVInPlaceILin1ELin1ELi16ELi16EN3c104HalfElNS0_4GTOpIS3_Lb1EEEmEEvNS_4cuda6detail10TensorInfoIT3_T6_EESA_SA_SA_NS8_IT4_SA_EESA_T5_, .Lfunc_end63-_ZN2at6native20bitonicSortKVInPlaceILin1ELin1ELi16ELi16EN3c104HalfElNS0_4GTOpIS3_Lb1EEEmEEvNS_4cuda6detail10TensorInfoIT3_T6_EESA_SA_SA_NS8_IT4_SA_EESA_T5_
                                        ; -- End function
	.set _ZN2at6native20bitonicSortKVInPlaceILin1ELin1ELi16ELi16EN3c104HalfElNS0_4GTOpIS3_Lb1EEEmEEvNS_4cuda6detail10TensorInfoIT3_T6_EESA_SA_SA_NS8_IT4_SA_EESA_T5_.num_vgpr, 36
	.set _ZN2at6native20bitonicSortKVInPlaceILin1ELin1ELi16ELi16EN3c104HalfElNS0_4GTOpIS3_Lb1EEEmEEvNS_4cuda6detail10TensorInfoIT3_T6_EESA_SA_SA_NS8_IT4_SA_EESA_T5_.num_agpr, 0
	.set _ZN2at6native20bitonicSortKVInPlaceILin1ELin1ELi16ELi16EN3c104HalfElNS0_4GTOpIS3_Lb1EEEmEEvNS_4cuda6detail10TensorInfoIT3_T6_EESA_SA_SA_NS8_IT4_SA_EESA_T5_.numbered_sgpr, 31
	.set _ZN2at6native20bitonicSortKVInPlaceILin1ELin1ELi16ELi16EN3c104HalfElNS0_4GTOpIS3_Lb1EEEmEEvNS_4cuda6detail10TensorInfoIT3_T6_EESA_SA_SA_NS8_IT4_SA_EESA_T5_.num_named_barrier, 0
	.set _ZN2at6native20bitonicSortKVInPlaceILin1ELin1ELi16ELi16EN3c104HalfElNS0_4GTOpIS3_Lb1EEEmEEvNS_4cuda6detail10TensorInfoIT3_T6_EESA_SA_SA_NS8_IT4_SA_EESA_T5_.private_seg_size, 0
	.set _ZN2at6native20bitonicSortKVInPlaceILin1ELin1ELi16ELi16EN3c104HalfElNS0_4GTOpIS3_Lb1EEEmEEvNS_4cuda6detail10TensorInfoIT3_T6_EESA_SA_SA_NS8_IT4_SA_EESA_T5_.uses_vcc, 1
	.set _ZN2at6native20bitonicSortKVInPlaceILin1ELin1ELi16ELi16EN3c104HalfElNS0_4GTOpIS3_Lb1EEEmEEvNS_4cuda6detail10TensorInfoIT3_T6_EESA_SA_SA_NS8_IT4_SA_EESA_T5_.uses_flat_scratch, 0
	.set _ZN2at6native20bitonicSortKVInPlaceILin1ELin1ELi16ELi16EN3c104HalfElNS0_4GTOpIS3_Lb1EEEmEEvNS_4cuda6detail10TensorInfoIT3_T6_EESA_SA_SA_NS8_IT4_SA_EESA_T5_.has_dyn_sized_stack, 0
	.set _ZN2at6native20bitonicSortKVInPlaceILin1ELin1ELi16ELi16EN3c104HalfElNS0_4GTOpIS3_Lb1EEEmEEvNS_4cuda6detail10TensorInfoIT3_T6_EESA_SA_SA_NS8_IT4_SA_EESA_T5_.has_recursion, 0
	.set _ZN2at6native20bitonicSortKVInPlaceILin1ELin1ELi16ELi16EN3c104HalfElNS0_4GTOpIS3_Lb1EEEmEEvNS_4cuda6detail10TensorInfoIT3_T6_EESA_SA_SA_NS8_IT4_SA_EESA_T5_.has_indirect_call, 0
	.section	.AMDGPU.csdata,"",@progbits
; Kernel info:
; codeLenInByte = 7388
; TotalNumSgprs: 33
; NumVgprs: 36
; ScratchSize: 0
; MemoryBound: 0
; FloatMode: 240
; IeeeMode: 1
; LDSByteSize: 5632 bytes/workgroup (compile time only)
; SGPRBlocks: 0
; VGPRBlocks: 4
; NumSGPRsForWavesPerEU: 33
; NumVGPRsForWavesPerEU: 36
; Occupancy: 16
; WaveLimiterHint : 1
; COMPUTE_PGM_RSRC2:SCRATCH_EN: 0
; COMPUTE_PGM_RSRC2:USER_SGPR: 2
; COMPUTE_PGM_RSRC2:TRAP_HANDLER: 0
; COMPUTE_PGM_RSRC2:TGID_X_EN: 1
; COMPUTE_PGM_RSRC2:TGID_Y_EN: 1
; COMPUTE_PGM_RSRC2:TGID_Z_EN: 1
; COMPUTE_PGM_RSRC2:TIDIG_COMP_CNT: 1
	.section	.text._ZN2at6native20bitonicSortKVInPlaceILin2ELin1ELi16ELi16EN3c108BFloat16ElNS0_4LTOpIS3_Lb1EEEjEEvNS_4cuda6detail10TensorInfoIT3_T6_EESA_SA_SA_NS8_IT4_SA_EESA_T5_,"axG",@progbits,_ZN2at6native20bitonicSortKVInPlaceILin2ELin1ELi16ELi16EN3c108BFloat16ElNS0_4LTOpIS3_Lb1EEEjEEvNS_4cuda6detail10TensorInfoIT3_T6_EESA_SA_SA_NS8_IT4_SA_EESA_T5_,comdat
	.protected	_ZN2at6native20bitonicSortKVInPlaceILin2ELin1ELi16ELi16EN3c108BFloat16ElNS0_4LTOpIS3_Lb1EEEjEEvNS_4cuda6detail10TensorInfoIT3_T6_EESA_SA_SA_NS8_IT4_SA_EESA_T5_ ; -- Begin function _ZN2at6native20bitonicSortKVInPlaceILin2ELin1ELi16ELi16EN3c108BFloat16ElNS0_4LTOpIS3_Lb1EEEjEEvNS_4cuda6detail10TensorInfoIT3_T6_EESA_SA_SA_NS8_IT4_SA_EESA_T5_
	.globl	_ZN2at6native20bitonicSortKVInPlaceILin2ELin1ELi16ELi16EN3c108BFloat16ElNS0_4LTOpIS3_Lb1EEEjEEvNS_4cuda6detail10TensorInfoIT3_T6_EESA_SA_SA_NS8_IT4_SA_EESA_T5_
	.p2align	8
	.type	_ZN2at6native20bitonicSortKVInPlaceILin2ELin1ELi16ELi16EN3c108BFloat16ElNS0_4LTOpIS3_Lb1EEEjEEvNS_4cuda6detail10TensorInfoIT3_T6_EESA_SA_SA_NS8_IT4_SA_EESA_T5_,@function
_ZN2at6native20bitonicSortKVInPlaceILin2ELin1ELi16ELi16EN3c108BFloat16ElNS0_4LTOpIS3_Lb1EEEjEEvNS_4cuda6detail10TensorInfoIT3_T6_EESA_SA_SA_NS8_IT4_SA_EESA_T5_: ; @_ZN2at6native20bitonicSortKVInPlaceILin2ELin1ELi16ELi16EN3c108BFloat16ElNS0_4LTOpIS3_Lb1EEEjEEvNS_4cuda6detail10TensorInfoIT3_T6_EESA_SA_SA_NS8_IT4_SA_EESA_T5_
; %bb.0:
	s_clause 0x2
	s_load_b64 s[2:3], s[0:1], 0x1c8
	s_load_u16 s4, s[0:1], 0x1d6
	s_load_b96 s[8:10], s[0:1], 0xd8
	s_lshr_b32 s5, ttmp7, 16
	s_wait_kmcnt 0x0
	s_mul_i32 s3, s3, s5
	s_and_b32 s5, ttmp7, 0xffff
	s_delay_alu instid0(SALU_CYCLE_1) | instskip(NEXT) | instid1(SALU_CYCLE_1)
	s_add_co_i32 s3, s3, s5
	s_mul_i32 s2, s3, s2
	s_delay_alu instid0(SALU_CYCLE_1) | instskip(NEXT) | instid1(SALU_CYCLE_1)
	s_add_co_i32 s2, s2, ttmp9
	s_mul_i32 s2, s2, s4
	s_delay_alu instid0(SALU_CYCLE_1)
	s_cmp_ge_u32 s2, s8
	s_cbranch_scc1 .LBB64_43
; %bb.1:
	s_clause 0x1
	s_load_b32 s4, s[0:1], 0x1b8
	s_load_b64 s[12:13], s[0:1], 0x0
	v_bfe_u32 v8, v0, 10, 10
	s_delay_alu instid0(VALU_DEP_1) | instskip(SKIP_2) | instid1(VALU_DEP_2)
	v_add_nc_u32_e32 v3, s2, v8
	v_mov_b32_e32 v1, 0
	s_add_nc_u64 s[2:3], s[0:1], 0xe8
	v_mov_b32_e32 v4, v3
	s_wait_kmcnt 0x0
	s_cmp_lt_i32 s4, 2
	s_cbranch_scc1 .LBB64_4
; %bb.2:
	s_add_co_i32 s6, s4, -1
	s_mov_b32 s7, 0
	v_dual_mov_b32 v1, 0 :: v_dual_mov_b32 v4, v3
	s_lshl_b64 s[6:7], s[6:7], 2
	s_wait_alu 0xfffe
	s_add_nc_u64 s[14:15], s[2:3], s[6:7]
	s_add_co_i32 s6, s4, 1
	s_add_nc_u64 s[4:5], s[14:15], 8
.LBB64_3:                               ; =>This Inner Loop Header: Depth=1
	s_clause 0x1
	s_load_b32 s7, s[4:5], 0x0
	s_load_b32 s11, s[4:5], 0x64
	s_add_co_i32 s6, s6, -1
	s_add_nc_u64 s[4:5], s[4:5], -4
	s_wait_kmcnt 0x0
	s_cvt_f32_u32 s14, s7
	s_sub_co_i32 s15, 0, s7
	s_wait_alu 0xfffe
	s_delay_alu instid0(SALU_CYCLE_1) | instskip(NEXT) | instid1(TRANS32_DEP_1)
	v_rcp_iflag_f32_e32 v2, s14
	v_readfirstlane_b32 s14, v2
	v_mov_b32_e32 v2, v4
	s_mul_f32 s14, s14, 0x4f7ffffe
	s_wait_alu 0xfffe
	s_delay_alu instid0(SALU_CYCLE_2) | instskip(SKIP_1) | instid1(SALU_CYCLE_2)
	s_cvt_u32_f32 s14, s14
	s_wait_alu 0xfffe
	s_mul_i32 s15, s15, s14
	s_wait_alu 0xfffe
	s_mul_hi_u32 s15, s14, s15
	s_wait_alu 0xfffe
	s_add_co_i32 s14, s14, s15
	s_cmp_gt_u32 s6, 2
	s_wait_alu 0xfffe
	v_mul_hi_u32 v4, v2, s14
	s_delay_alu instid0(VALU_DEP_1) | instskip(SKIP_1) | instid1(VALU_DEP_2)
	v_mul_lo_u32 v5, v4, s7
	v_add_nc_u32_e32 v6, 1, v4
	v_sub_nc_u32_e32 v5, v2, v5
	s_delay_alu instid0(VALU_DEP_1) | instskip(SKIP_2) | instid1(VALU_DEP_2)
	v_subrev_nc_u32_e32 v7, s7, v5
	v_cmp_le_u32_e32 vcc_lo, s7, v5
	s_wait_alu 0xfffd
	v_dual_cndmask_b32 v4, v4, v6 :: v_dual_cndmask_b32 v5, v5, v7
	s_delay_alu instid0(VALU_DEP_1) | instskip(NEXT) | instid1(VALU_DEP_2)
	v_add_nc_u32_e32 v6, 1, v4
	v_cmp_le_u32_e32 vcc_lo, s7, v5
	s_wait_alu 0xfffd
	s_delay_alu instid0(VALU_DEP_2) | instskip(NEXT) | instid1(VALU_DEP_1)
	v_cndmask_b32_e32 v4, v4, v6, vcc_lo
	v_mul_lo_u32 v5, v4, s7
	s_delay_alu instid0(VALU_DEP_1) | instskip(NEXT) | instid1(VALU_DEP_1)
	v_sub_nc_u32_e32 v2, v2, v5
	v_mad_co_u64_u32 v[1:2], null, s11, v2, v[1:2]
	s_cbranch_scc1 .LBB64_3
.LBB64_4:
	s_load_b32 s6, s[0:1], 0x6c
	s_add_nc_u64 s[4:5], s[0:1], 0x1c8
	s_load_b32 s11, s[2:3], 0x6c
	s_load_b32 s4, s[4:5], 0xc
	s_clause 0x1
	s_load_b32 s7, s[0:1], 0x1c0
	s_load_b64 s[14:15], s[2:3], 0x0
	v_and_b32_e32 v7, 0x3ff, v0
	v_cmp_gt_u32_e64 s0, s8, v3
	v_mov_b32_e32 v5, 0
	v_dual_mov_b32 v6, 0 :: v_dual_mov_b32 v11, 0
	v_mov_b32_e32 v10, 0
	s_wait_kmcnt 0x0
	v_mul_lo_u32 v2, s6, v3
	s_delay_alu instid0(VALU_DEP_1)
	v_mad_co_u64_u32 v[0:1], null, s11, v4, v[1:2]
	v_mov_b32_e32 v3, 0
	v_mov_b32_e32 v4, 0
	v_cmp_gt_u32_e32 vcc_lo, s9, v7
	s_and_b32 s2, s0, vcc_lo
	s_wait_alu 0xfffe
	s_and_saveexec_b32 s3, s2
	s_cbranch_execz .LBB64_6
; %bb.5:
	v_mad_co_u64_u32 v[5:6], null, v7, s10, v[2:3]
	v_mov_b32_e32 v6, 0
	v_mad_co_u64_u32 v[11:12], null, v7, s7, v[0:1]
	s_delay_alu instid0(VALU_DEP_2) | instskip(NEXT) | instid1(VALU_DEP_4)
	v_mov_b32_e32 v12, v6
	v_lshlrev_b64_e32 v[5:6], 1, v[5:6]
	s_delay_alu instid0(VALU_DEP_2) | instskip(NEXT) | instid1(VALU_DEP_2)
	v_lshlrev_b64_e32 v[11:12], 3, v[11:12]
	v_add_co_u32 v5, s1, s12, v5
	s_delay_alu instid0(VALU_DEP_1) | instskip(NEXT) | instid1(VALU_DEP_3)
	v_add_co_ci_u32_e64 v6, null, s13, v6, s1
	v_add_co_u32 v13, s1, s14, v11
	s_wait_alu 0xf1ff
	s_delay_alu instid0(VALU_DEP_4)
	v_add_co_ci_u32_e64 v14, null, s15, v12, s1
	global_load_u16 v11, v[5:6], off
	global_load_b64 v[5:6], v[13:14], off
.LBB64_6:
	s_wait_alu 0xfffe
	s_or_b32 exec_lo, exec_lo, s3
	s_and_b32 s3, 0xffff, s4
	v_lshl_add_u32 v15, v8, 6, 0x1000
	s_wait_alu 0xfffe
	v_add_nc_u32_e32 v1, s3, v7
	v_lshlrev_b32_e32 v12, 8, v8
	v_lshl_add_u32 v14, v8, 5, 0x1400
	v_cndmask_b32_e64 v13, 0, 1, s2
	v_lshl_add_u32 v8, v7, 1, v15
	v_cmp_gt_u32_e64 s1, s9, v1
	v_lshl_add_u32 v9, v7, 3, v12
	v_add_nc_u32_e32 v16, v14, v7
	s_wait_loadcnt 0x1
	ds_store_b16 v8, v11
	s_wait_loadcnt 0x0
	ds_store_b64 v9, v[5:6]
	ds_store_b8 v16, v13
	s_and_b32 s4, s0, s1
	s_delay_alu instid0(SALU_CYCLE_1)
	s_and_saveexec_b32 s5, s4
	s_cbranch_execz .LBB64_8
; %bb.7:
	v_mad_co_u64_u32 v[3:4], null, v1, s10, v[2:3]
	v_mov_b32_e32 v4, 0
	v_mad_co_u64_u32 v[5:6], null, v1, s7, v[0:1]
	s_delay_alu instid0(VALU_DEP_2) | instskip(NEXT) | instid1(VALU_DEP_4)
	v_mov_b32_e32 v6, v4
	v_lshlrev_b64_e32 v[3:4], 1, v[3:4]
	s_delay_alu instid0(VALU_DEP_2) | instskip(NEXT) | instid1(VALU_DEP_2)
	v_lshlrev_b64_e32 v[5:6], 3, v[5:6]
	v_add_co_u32 v3, s2, s12, v3
	s_wait_alu 0xf1ff
	s_delay_alu instid0(VALU_DEP_3) | instskip(NEXT) | instid1(VALU_DEP_3)
	v_add_co_ci_u32_e64 v4, null, s13, v4, s2
	v_add_co_u32 v5, s2, s14, v5
	s_wait_alu 0xf1ff
	v_add_co_ci_u32_e64 v6, null, s15, v6, s2
	global_load_u16 v10, v[3:4], off
	global_load_b64 v[3:4], v[5:6], off
.LBB64_8:
	s_or_b32 exec_lo, exec_lo, s5
	v_lshl_add_u32 v5, s3, 1, v8
	v_lshlrev_b32_e32 v16, 1, v7
	v_lshl_add_u32 v6, s3, 3, v9
	v_cndmask_b32_e64 v11, 0, 1, s4
	v_add_nc_u32_e32 v13, v14, v1
	s_wait_loadcnt 0x1
	ds_store_b16 v5, v10
	s_wait_loadcnt 0x0
	ds_store_b64 v6, v[3:4]
	ds_store_b8 v13, v11
	v_add_nc_u32_e32 v3, v8, v16
	v_add_nc_u32_e32 v4, v14, v16
	s_wait_dscnt 0x0
	s_barrier_signal -1
	s_barrier_wait -1
	global_inv scope:SCOPE_SE
	ds_load_b32 v11, v3
	ds_load_u16 v13, v4
	v_and_b32_e32 v10, 1, v7
	s_wait_dscnt 0x1
	v_and_b32_e32 v17, 0xffff0000, v11
	v_lshlrev_b32_e32 v19, 16, v11
	s_wait_dscnt 0x0
	v_lshrrev_b16 v18, 8, v13
	v_and_b32_e32 v20, 1, v13
	v_cmp_u_f32_e64 s2, v17, v17
	v_cmp_o_f32_e64 s3, v19, v19
	s_delay_alu instid0(VALU_DEP_4)
	v_cmp_ne_u16_e64 s6, v18, v10
	v_cmp_lt_f32_e64 s4, v19, v17
	v_cmp_eq_u32_e64 s5, 1, v20
	s_and_b32 s2, s2, s3
	v_cndmask_b32_e64 v17, 0, 1, s6
	s_wait_alu 0xfffe
	s_or_b32 s2, s2, s4
	s_wait_alu 0xfffe
	s_and_b32 s2, s2, s5
	s_wait_alu 0xfffe
	v_cndmask_b32_e64 v17, v17, v7, s2
	s_delay_alu instid0(VALU_DEP_1) | instskip(NEXT) | instid1(VALU_DEP_1)
	v_and_b32_e32 v17, 1, v17
	v_cmp_eq_u32_e64 s2, 1, v17
	v_lshl_add_u32 v17, v7, 3, v9
	s_and_saveexec_b32 s3, s2
	s_wait_alu 0xfffe
	s_xor_b32 s2, exec_lo, s3
	s_cbranch_execz .LBB64_10
; %bb.9:
	ds_load_b128 v[19:22], v17
	v_lshlrev_b16 v13, 8, v13
	v_alignbit_b32 v11, v11, v11, 16
	s_delay_alu instid0(VALU_DEP_2)
	v_or_b32_e32 v13, v18, v13
	s_wait_dscnt 0x0
	v_dual_mov_b32 v23, v19 :: v_dual_mov_b32 v24, v20
	ds_store_b32 v3, v11
	ds_store_b128 v17, v[21:24]
	ds_store_b16 v4, v13
.LBB64_10:
	s_wait_alu 0xfffe
	s_or_b32 exec_lo, exec_lo, s2
	v_sub_nc_u32_e32 v13, v16, v10
	s_wait_loadcnt_dscnt 0x0
	s_barrier_signal -1
	s_barrier_wait -1
	global_inv scope:SCOPE_SE
	v_lshl_add_u32 v10, v13, 1, v15
	v_add_nc_u32_e32 v11, v14, v13
	v_bfe_u32 v24, v7, 1, 1
	v_lshl_add_u32 v13, v13, 3, v12
	ds_load_u16 v19, v10 offset:4
	ds_load_u16 v18, v10
	ds_load_u8 v20, v11
	ds_load_u8 v22, v11 offset:2
	s_wait_dscnt 0x3
	v_lshlrev_b32_e32 v21, 16, v19
	s_wait_dscnt 0x2
	v_lshlrev_b32_e32 v23, 16, v18
	s_wait_dscnt 0x1
	v_and_b32_e32 v25, 1, v20
	s_wait_dscnt 0x0
	v_cmp_ne_u16_e64 s5, v22, v24
	v_cmp_u_f32_e64 s2, v21, v21
	v_cmp_o_f32_e64 s3, v23, v23
	v_cmp_lt_f32_e64 s4, v23, v21
	s_wait_alu 0xf1ff
	v_cndmask_b32_e64 v21, 0, 1, s5
	v_cmp_eq_u32_e64 s5, 1, v25
	s_and_b32 s2, s2, s3
	s_wait_alu 0xfffe
	s_or_b32 s2, s2, s4
	s_wait_alu 0xfffe
	s_and_b32 s2, s2, s5
	s_wait_alu 0xfffe
	v_cndmask_b32_e64 v23, v21, v24, s2
	v_and_b32_e32 v21, 2, v7
	s_delay_alu instid0(VALU_DEP_2) | instskip(NEXT) | instid1(VALU_DEP_2)
	v_and_b32_e32 v23, 1, v23
	v_cmp_ne_u32_e64 s2, 0, v21
	s_delay_alu instid0(VALU_DEP_2)
	v_cmp_eq_u32_e64 s3, 1, v23
	s_and_saveexec_b32 s4, s3
	s_wait_alu 0xfffe
	s_xor_b32 s3, exec_lo, s4
	s_cbranch_execz .LBB64_12
; %bb.11:
	ds_load_2addr_b64 v[23:26], v13 offset1:2
	s_wait_dscnt 0x0
	ds_store_2addr_b64 v13, v[25:26], v[23:24] offset1:2
	ds_store_b16 v10, v19
	ds_store_b16 v10, v18 offset:4
	ds_store_b8 v11, v22
	ds_store_b8 v11, v20 offset:2
.LBB64_12:
	s_wait_alu 0xfffe
	s_or_b32 exec_lo, exec_lo, s3
	s_wait_loadcnt_dscnt 0x0
	s_barrier_signal -1
	s_barrier_wait -1
	global_inv scope:SCOPE_SE
	ds_load_b32 v18, v3
	ds_load_u16 v19, v4
	v_lshrrev_b32_e32 v21, 1, v21
	v_cndmask_b32_e64 v24, 0, 1, s2
	s_wait_dscnt 0x1
	v_and_b32_e32 v22, 0xffff0000, v18
	v_lshlrev_b32_e32 v23, 16, v18
	s_wait_dscnt 0x0
	v_lshrrev_b16 v20, 8, v19
	v_and_b32_e32 v25, 1, v19
	v_cmp_u_f32_e64 s2, v22, v22
	v_cmp_o_f32_e64 s3, v23, v23
	s_delay_alu instid0(VALU_DEP_4)
	v_cmp_ne_u16_e64 s6, v20, v21
	v_cmp_lt_f32_e64 s4, v23, v22
	v_cmp_eq_u32_e64 s5, 1, v25
	s_and_b32 s2, s2, s3
	v_cndmask_b32_e64 v21, 0, 1, s6
	s_wait_alu 0xfffe
	s_or_b32 s2, s2, s4
	s_mov_b32 s3, exec_lo
	s_wait_alu 0xfffe
	s_and_b32 s2, s2, s5
	s_wait_alu 0xfffe
	v_cndmask_b32_e64 v21, v21, v24, s2
	s_delay_alu instid0(VALU_DEP_1) | instskip(NEXT) | instid1(VALU_DEP_1)
	v_and_b32_e32 v21, 1, v21
	v_cmpx_eq_u32_e32 1, v21
	s_cbranch_execz .LBB64_14
; %bb.13:
	ds_load_b128 v[21:24], v17
	v_lshlrev_b16 v19, 8, v19
	v_alignbit_b32 v18, v18, v18, 16
	s_delay_alu instid0(VALU_DEP_2)
	v_or_b32_e32 v19, v20, v19
	s_wait_dscnt 0x0
	v_dual_mov_b32 v25, v21 :: v_dual_mov_b32 v26, v22
	ds_store_b32 v3, v18
	ds_store_b128 v17, v[23:26]
	ds_store_b16 v4, v19
.LBB64_14:
	s_or_b32 exec_lo, exec_lo, s3
	v_and_b32_e32 v17, 3, v7
	s_wait_loadcnt_dscnt 0x0
	s_barrier_signal -1
	s_barrier_wait -1
	global_inv scope:SCOPE_SE
	v_sub_nc_u32_e32 v20, v16, v17
	v_bfe_u32 v26, v7, 2, 1
	s_delay_alu instid0(VALU_DEP_2)
	v_lshl_add_u32 v17, v20, 1, v15
	v_add_nc_u32_e32 v18, v14, v20
	v_lshl_add_u32 v20, v20, 3, v12
	ds_load_u16 v21, v17 offset:8
	ds_load_u16 v19, v17
	ds_load_u8 v22, v18
	ds_load_u8 v23, v18 offset:4
	s_wait_dscnt 0x3
	v_lshlrev_b32_e32 v24, 16, v21
	s_wait_dscnt 0x2
	v_lshlrev_b32_e32 v25, 16, v19
	s_wait_dscnt 0x1
	v_and_b32_e32 v27, 1, v22
	s_wait_dscnt 0x0
	v_cmp_ne_u16_e64 s5, v23, v26
	v_cmp_u_f32_e64 s2, v24, v24
	v_cmp_o_f32_e64 s3, v25, v25
	v_cmp_lt_f32_e64 s4, v25, v24
	s_wait_alu 0xf1ff
	v_cndmask_b32_e64 v24, 0, 1, s5
	v_cmp_eq_u32_e64 s5, 1, v27
	s_and_b32 s2, s2, s3
	s_wait_alu 0xfffe
	s_or_b32 s2, s2, s4
	s_mov_b32 s4, exec_lo
	s_wait_alu 0xfffe
	s_and_b32 s2, s2, s5
	s_wait_alu 0xfffe
	v_cndmask_b32_e64 v25, v24, v26, s2
	v_and_b32_e32 v24, 4, v7
	s_delay_alu instid0(VALU_DEP_2) | instskip(NEXT) | instid1(VALU_DEP_2)
	v_and_b32_e32 v25, 1, v25
	v_cmp_ne_u32_e64 s2, 0, v24
	s_delay_alu instid0(VALU_DEP_2)
	v_cmpx_eq_u32_e32 1, v25
	s_cbranch_execz .LBB64_16
; %bb.15:
	ds_load_2addr_b64 v[25:28], v20 offset1:4
	s_wait_dscnt 0x0
	ds_store_2addr_b64 v20, v[27:28], v[25:26] offset1:4
	ds_store_b16 v17, v21
	ds_store_b16 v17, v19 offset:8
	ds_store_b8 v18, v23
	ds_store_b8 v18, v22 offset:4
.LBB64_16:
	s_or_b32 exec_lo, exec_lo, s4
	s_wait_loadcnt_dscnt 0x0
	s_barrier_signal -1
	s_barrier_wait -1
	global_inv scope:SCOPE_SE
	ds_load_u16 v23, v10 offset:4
	ds_load_u16 v22, v10
	ds_load_u8 v25, v11
	ds_load_u8 v26, v11 offset:2
	v_lshrrev_b32_e32 v19, 2, v24
	v_cndmask_b32_e64 v21, 0, 1, s2
	s_wait_dscnt 0x3
	v_lshlrev_b32_e32 v27, 16, v23
	s_wait_dscnt 0x2
	v_lshlrev_b32_e32 v28, 16, v22
	s_wait_dscnt 0x1
	v_and_b32_e32 v24, 1, v25
	s_wait_dscnt 0x0
	v_cmp_ne_u16_e64 s5, v26, v19
	v_cmp_u_f32_e64 s2, v27, v27
	v_cmp_o_f32_e64 s3, v28, v28
	v_cmp_lt_f32_e64 s4, v28, v27
	s_wait_alu 0xf1ff
	v_cndmask_b32_e64 v27, 0, 1, s5
	v_cmp_eq_u32_e64 s5, 1, v24
	s_and_b32 s2, s2, s3
	s_mov_b32 s3, exec_lo
	s_wait_alu 0xfffe
	s_or_b32 s2, s2, s4
	s_wait_alu 0xfffe
	s_and_b32 s2, s2, s5
	s_wait_alu 0xfffe
	v_cndmask_b32_e64 v24, v27, v21, s2
	s_delay_alu instid0(VALU_DEP_1) | instskip(NEXT) | instid1(VALU_DEP_1)
	v_and_b32_e32 v24, 1, v24
	v_cmpx_eq_u32_e32 1, v24
	s_cbranch_execz .LBB64_18
; %bb.17:
	ds_load_2addr_b64 v[27:30], v13 offset1:2
	s_wait_dscnt 0x0
	ds_store_2addr_b64 v13, v[29:30], v[27:28] offset1:2
	ds_store_b16 v10, v23
	ds_store_b16 v10, v22 offset:4
	ds_store_b8 v11, v26
	ds_store_b8 v11, v25 offset:2
.LBB64_18:
	s_or_b32 exec_lo, exec_lo, s3
	s_wait_loadcnt_dscnt 0x0
	s_barrier_signal -1
	s_barrier_wait -1
	global_inv scope:SCOPE_SE
	ds_load_b32 v22, v3
	ds_load_u16 v24, v4
	s_wait_dscnt 0x1
	v_and_b32_e32 v25, 0xffff0000, v22
	v_lshlrev_b32_e32 v26, 16, v22
	s_wait_dscnt 0x0
	v_lshrrev_b16 v23, 8, v24
	v_and_b32_e32 v27, 1, v24
	v_cmp_u_f32_e64 s2, v25, v25
	v_cmp_o_f32_e64 s3, v26, v26
	s_delay_alu instid0(VALU_DEP_4)
	v_cmp_ne_u16_e64 s6, v23, v19
	v_cmp_lt_f32_e64 s4, v26, v25
	v_cmp_eq_u32_e64 s5, 1, v27
	s_and_b32 s2, s2, s3
	v_cndmask_b32_e64 v19, 0, 1, s6
	s_wait_alu 0xfffe
	s_or_b32 s2, s2, s4
	s_wait_alu 0xfffe
	s_and_b32 s2, s2, s5
	s_wait_alu 0xfffe
	v_cndmask_b32_e64 v19, v19, v21, s2
	s_delay_alu instid0(VALU_DEP_1) | instskip(NEXT) | instid1(VALU_DEP_1)
	v_and_b32_e32 v19, 1, v19
	v_cmp_eq_u32_e64 s2, 1, v19
	v_lshl_add_u32 v19, v16, 3, v12
	s_and_saveexec_b32 s3, s2
	s_cbranch_execz .LBB64_20
; %bb.19:
	ds_load_b128 v[25:28], v19
	v_alignbit_b32 v21, v22, v22, 16
	v_lshlrev_b16 v22, 8, v24
	s_delay_alu instid0(VALU_DEP_1)
	v_or_b32_e32 v22, v23, v22
	s_wait_dscnt 0x0
	v_dual_mov_b32 v29, v25 :: v_dual_mov_b32 v30, v26
	ds_store_b32 v3, v21
	ds_store_b128 v19, v[27:30]
	ds_store_b16 v4, v22
.LBB64_20:
	s_wait_alu 0xfffe
	s_or_b32 exec_lo, exec_lo, s3
	v_and_b32_e32 v21, 7, v7
	s_wait_loadcnt_dscnt 0x0
	s_barrier_signal -1
	s_barrier_wait -1
	global_inv scope:SCOPE_SE
	v_sub_nc_u32_e32 v23, v16, v21
	v_bfe_u32 v30, v7, 3, 1
	s_delay_alu instid0(VALU_DEP_2)
	v_lshl_add_u32 v21, v23, 1, v15
	v_add_nc_u32_e32 v22, v14, v23
	v_lshl_add_u32 v23, v23, 3, v12
	ds_load_u16 v25, v21 offset:16
	ds_load_u16 v24, v21
	ds_load_u8 v26, v22
	ds_load_u8 v27, v22 offset:8
	s_wait_dscnt 0x3
	v_lshlrev_b32_e32 v28, 16, v25
	s_wait_dscnt 0x2
	v_lshlrev_b32_e32 v29, 16, v24
	s_wait_dscnt 0x1
	v_and_b32_e32 v31, 1, v26
	s_wait_dscnt 0x0
	v_cmp_ne_u16_e64 s5, v27, v30
	v_cmp_u_f32_e64 s2, v28, v28
	v_cmp_o_f32_e64 s3, v29, v29
	v_cmp_lt_f32_e64 s4, v29, v28
	s_wait_alu 0xf1ff
	v_cndmask_b32_e64 v28, 0, 1, s5
	v_cmp_eq_u32_e64 s5, 1, v31
	s_and_b32 s2, s2, s3
	s_wait_alu 0xfffe
	s_or_b32 s2, s2, s4
	s_mov_b32 s4, exec_lo
	s_wait_alu 0xfffe
	s_and_b32 s2, s2, s5
	s_wait_alu 0xfffe
	v_cndmask_b32_e64 v29, v28, v30, s2
	v_and_b32_e32 v28, 8, v7
	s_delay_alu instid0(VALU_DEP_2) | instskip(NEXT) | instid1(VALU_DEP_2)
	v_and_b32_e32 v29, 1, v29
	v_cmp_ne_u32_e64 s2, 0, v28
	s_delay_alu instid0(VALU_DEP_2)
	v_cmpx_eq_u32_e32 1, v29
	s_cbranch_execz .LBB64_22
; %bb.21:
	ds_load_2addr_b64 v[29:32], v23 offset1:8
	s_wait_dscnt 0x0
	ds_store_2addr_b64 v23, v[31:32], v[29:30] offset1:8
	ds_store_b16 v21, v25
	ds_store_b16 v21, v24 offset:16
	ds_store_b8 v22, v27
	ds_store_b8 v22, v26 offset:8
.LBB64_22:
	s_or_b32 exec_lo, exec_lo, s4
	s_wait_loadcnt_dscnt 0x0
	s_barrier_signal -1
	s_barrier_wait -1
	global_inv scope:SCOPE_SE
	ds_load_u16 v27, v17 offset:8
	ds_load_u16 v26, v17
	ds_load_u8 v29, v18
	ds_load_u8 v30, v18 offset:4
	v_lshrrev_b32_e32 v24, 3, v28
	v_cndmask_b32_e64 v25, 0, 1, s2
	s_wait_dscnt 0x3
	v_lshlrev_b32_e32 v31, 16, v27
	s_wait_dscnt 0x2
	v_lshlrev_b32_e32 v32, 16, v26
	s_wait_dscnt 0x1
	v_and_b32_e32 v28, 1, v29
	s_wait_dscnt 0x0
	v_cmp_ne_u16_e64 s5, v30, v24
	v_cmp_u_f32_e64 s2, v31, v31
	v_cmp_o_f32_e64 s3, v32, v32
	v_cmp_lt_f32_e64 s4, v32, v31
	s_wait_alu 0xf1ff
	v_cndmask_b32_e64 v31, 0, 1, s5
	v_cmp_eq_u32_e64 s5, 1, v28
	s_and_b32 s2, s2, s3
	s_mov_b32 s3, exec_lo
	s_wait_alu 0xfffe
	s_or_b32 s2, s2, s4
	s_wait_alu 0xfffe
	s_and_b32 s2, s2, s5
	s_wait_alu 0xfffe
	v_cndmask_b32_e64 v28, v31, v25, s2
	s_delay_alu instid0(VALU_DEP_1) | instskip(NEXT) | instid1(VALU_DEP_1)
	v_and_b32_e32 v28, 1, v28
	v_cmpx_eq_u32_e32 1, v28
	s_cbranch_execz .LBB64_24
; %bb.23:
	ds_load_2addr_b64 v[31:34], v20 offset1:4
	s_wait_dscnt 0x0
	ds_store_2addr_b64 v20, v[33:34], v[31:32] offset1:4
	ds_store_b16 v17, v27
	ds_store_b16 v17, v26 offset:8
	ds_store_b8 v18, v30
	ds_store_b8 v18, v29 offset:4
.LBB64_24:
	s_or_b32 exec_lo, exec_lo, s3
	s_wait_loadcnt_dscnt 0x0
	s_barrier_signal -1
	s_barrier_wait -1
	global_inv scope:SCOPE_SE
	ds_load_u16 v27, v10 offset:4
	ds_load_u16 v26, v10
	ds_load_u8 v28, v11
	ds_load_u8 v29, v11 offset:2
	s_wait_dscnt 0x3
	v_lshlrev_b32_e32 v30, 16, v27
	s_wait_dscnt 0x2
	v_lshlrev_b32_e32 v31, 16, v26
	s_wait_dscnt 0x1
	v_and_b32_e32 v32, 1, v28
	s_wait_dscnt 0x0
	v_cmp_ne_u16_e64 s5, v29, v24
	v_cmp_u_f32_e64 s2, v30, v30
	v_cmp_o_f32_e64 s3, v31, v31
	v_cmp_lt_f32_e64 s4, v31, v30
	s_wait_alu 0xf1ff
	v_cndmask_b32_e64 v30, 0, 1, s5
	v_cmp_eq_u32_e64 s5, 1, v32
	s_and_b32 s2, s2, s3
	s_mov_b32 s3, exec_lo
	s_wait_alu 0xfffe
	s_or_b32 s2, s2, s4
	s_wait_alu 0xfffe
	s_and_b32 s2, s2, s5
	s_wait_alu 0xfffe
	v_cndmask_b32_e64 v30, v30, v25, s2
	s_delay_alu instid0(VALU_DEP_1) | instskip(NEXT) | instid1(VALU_DEP_1)
	v_and_b32_e32 v30, 1, v30
	v_cmpx_eq_u32_e32 1, v30
	s_cbranch_execz .LBB64_26
; %bb.25:
	ds_load_2addr_b64 v[30:33], v13 offset1:2
	s_wait_dscnt 0x0
	ds_store_2addr_b64 v13, v[32:33], v[30:31] offset1:2
	ds_store_b16 v10, v27
	ds_store_b16 v10, v26 offset:4
	ds_store_b8 v11, v29
	ds_store_b8 v11, v28 offset:2
.LBB64_26:
	s_or_b32 exec_lo, exec_lo, s3
	s_wait_loadcnt_dscnt 0x0
	s_barrier_signal -1
	s_barrier_wait -1
	global_inv scope:SCOPE_SE
	ds_load_b32 v26, v3
	ds_load_u16 v28, v4
	s_wait_dscnt 0x1
	v_and_b32_e32 v29, 0xffff0000, v26
	v_lshlrev_b32_e32 v30, 16, v26
	s_wait_dscnt 0x0
	v_lshrrev_b16 v27, 8, v28
	v_and_b32_e32 v31, 1, v28
	v_cmp_u_f32_e64 s2, v29, v29
	v_cmp_o_f32_e64 s3, v30, v30
	s_delay_alu instid0(VALU_DEP_4)
	v_cmp_ne_u16_e64 s6, v27, v24
	v_cmp_lt_f32_e64 s4, v30, v29
	v_cmp_eq_u32_e64 s5, 1, v31
	s_and_b32 s2, s2, s3
	v_cndmask_b32_e64 v24, 0, 1, s6
	s_wait_alu 0xfffe
	s_or_b32 s2, s2, s4
	s_mov_b32 s3, exec_lo
	s_wait_alu 0xfffe
	s_and_b32 s2, s2, s5
	s_wait_alu 0xfffe
	v_cndmask_b32_e64 v24, v24, v25, s2
	s_delay_alu instid0(VALU_DEP_1) | instskip(NEXT) | instid1(VALU_DEP_1)
	v_and_b32_e32 v24, 1, v24
	v_cmpx_eq_u32_e32 1, v24
	s_cbranch_execz .LBB64_28
; %bb.27:
	ds_load_b128 v[29:32], v19
	v_lshlrev_b16 v25, 8, v28
	v_alignbit_b32 v24, v26, v26, 16
	s_delay_alu instid0(VALU_DEP_2)
	v_or_b32_e32 v25, v27, v25
	s_wait_dscnt 0x0
	v_dual_mov_b32 v33, v29 :: v_dual_mov_b32 v34, v30
	ds_store_b32 v3, v24
	ds_store_b128 v19, v[31:34]
	ds_store_b16 v4, v25
.LBB64_28:
	s_or_b32 exec_lo, exec_lo, s3
	v_and_b32_e32 v24, 15, v7
	s_wait_loadcnt_dscnt 0x0
	s_barrier_signal -1
	s_barrier_wait -1
	global_inv scope:SCOPE_SE
	v_sub_nc_u32_e32 v16, v16, v24
	s_delay_alu instid0(VALU_DEP_1)
	v_lshl_add_u32 v15, v16, 1, v15
	v_add_nc_u32_e32 v14, v14, v16
	ds_load_u16 v25, v15 offset:32
	ds_load_u16 v24, v15
	ds_load_u8 v26, v14
	ds_load_u8 v27, v14 offset:16
	s_wait_dscnt 0x3
	v_lshlrev_b32_e32 v28, 16, v25
	s_wait_dscnt 0x2
	v_lshlrev_b32_e32 v29, 16, v24
	s_wait_dscnt 0x1
	v_and_b32_e32 v30, 1, v26
	s_wait_dscnt 0x0
	v_and_b32_e32 v27, 0xff, v27
	v_cmp_u_f32_e64 s2, v28, v28
	v_cmp_o_f32_e64 s3, v29, v29
	v_cmp_lt_f32_e64 s4, v29, v28
	v_cmp_eq_u32_e64 s5, 1, v30
	s_and_b32 s2, s2, s3
	s_wait_alu 0xfffe
	s_or_b32 s3, s2, s4
	v_cmp_ne_u16_e64 s2, 0, v27
	s_wait_alu 0xfffe
	s_and_b32 s3, s3, s5
	s_wait_alu 0xfffe
	s_xor_b32 s3, s3, -1
	s_wait_alu 0xfffe
	s_and_b32 s3, s3, s2
	s_wait_alu 0xfffe
	s_and_saveexec_b32 s2, s3
	s_cbranch_execz .LBB64_30
; %bb.29:
	v_lshl_add_u32 v12, v16, 3, v12
	v_mov_b32_e32 v16, 1
	ds_load_2addr_b64 v[27:30], v12 offset1:16
	s_wait_dscnt 0x0
	ds_store_2addr_b64 v12, v[29:30], v[27:28] offset1:16
	ds_store_b16 v15, v25
	ds_store_b16 v15, v24 offset:32
	ds_store_b8 v14, v16
	ds_store_b8 v14, v26 offset:16
.LBB64_30:
	s_wait_alu 0xfffe
	s_or_b32 exec_lo, exec_lo, s2
	s_wait_loadcnt_dscnt 0x0
	s_barrier_signal -1
	s_barrier_wait -1
	global_inv scope:SCOPE_SE
	ds_load_u16 v14, v21 offset:16
	ds_load_u16 v12, v21
	ds_load_u8 v15, v22
	ds_load_u8 v16, v22 offset:8
	s_wait_dscnt 0x3
	v_lshlrev_b32_e32 v24, 16, v14
	s_wait_dscnt 0x2
	v_lshlrev_b32_e32 v25, 16, v12
	s_wait_dscnt 0x1
	v_and_b32_e32 v26, 1, v15
	s_wait_dscnt 0x0
	v_and_b32_e32 v16, 0xff, v16
	v_cmp_u_f32_e64 s2, v24, v24
	v_cmp_o_f32_e64 s3, v25, v25
	v_cmp_lt_f32_e64 s4, v25, v24
	v_cmp_eq_u32_e64 s5, 1, v26
	s_and_b32 s2, s2, s3
	s_wait_alu 0xfffe
	s_or_b32 s3, s2, s4
	v_cmp_ne_u16_e64 s2, 0, v16
	s_wait_alu 0xfffe
	s_and_b32 s3, s3, s5
	s_wait_alu 0xfffe
	s_xor_b32 s3, s3, -1
	s_wait_alu 0xfffe
	s_and_b32 s3, s3, s2
	s_wait_alu 0xfffe
	s_and_saveexec_b32 s2, s3
	s_cbranch_execz .LBB64_32
; %bb.31:
	ds_load_2addr_b64 v[24:27], v23 offset1:8
	v_mov_b32_e32 v16, 1
	s_wait_dscnt 0x0
	ds_store_2addr_b64 v23, v[26:27], v[24:25] offset1:8
	ds_store_b16 v21, v14
	ds_store_b16 v21, v12 offset:16
	ds_store_b8 v22, v16
	ds_store_b8 v22, v15 offset:8
.LBB64_32:
	s_wait_alu 0xfffe
	s_or_b32 exec_lo, exec_lo, s2
	s_wait_loadcnt_dscnt 0x0
	s_barrier_signal -1
	s_barrier_wait -1
	global_inv scope:SCOPE_SE
	ds_load_u16 v14, v17 offset:8
	ds_load_u16 v12, v17
	ds_load_u8 v15, v18
	ds_load_u8 v16, v18 offset:4
	s_wait_dscnt 0x3
	v_lshlrev_b32_e32 v21, 16, v14
	s_wait_dscnt 0x2
	v_lshlrev_b32_e32 v22, 16, v12
	s_wait_dscnt 0x1
	v_and_b32_e32 v23, 1, v15
	s_wait_dscnt 0x0
	v_and_b32_e32 v16, 0xff, v16
	v_cmp_u_f32_e64 s2, v21, v21
	v_cmp_o_f32_e64 s3, v22, v22
	v_cmp_lt_f32_e64 s4, v22, v21
	v_cmp_eq_u32_e64 s5, 1, v23
	s_and_b32 s2, s2, s3
	s_wait_alu 0xfffe
	s_or_b32 s3, s2, s4
	v_cmp_ne_u16_e64 s2, 0, v16
	s_wait_alu 0xfffe
	s_and_b32 s3, s3, s5
	s_wait_alu 0xfffe
	s_xor_b32 s3, s3, -1
	s_wait_alu 0xfffe
	s_and_b32 s3, s3, s2
	s_wait_alu 0xfffe
	s_and_saveexec_b32 s2, s3
	s_cbranch_execz .LBB64_34
; %bb.33:
	ds_load_2addr_b64 v[21:24], v20 offset1:4
	v_mov_b32_e32 v16, 1
	s_wait_dscnt 0x0
	ds_store_2addr_b64 v20, v[23:24], v[21:22] offset1:4
	ds_store_b16 v17, v14
	ds_store_b16 v17, v12 offset:8
	ds_store_b8 v18, v16
	ds_store_b8 v18, v15 offset:4
.LBB64_34:
	;; [unrolled: 45-line block ×3, first 2 shown]
	s_wait_alu 0xfffe
	s_or_b32 exec_lo, exec_lo, s2
	s_wait_loadcnt_dscnt 0x0
	s_barrier_signal -1
	s_barrier_wait -1
	global_inv scope:SCOPE_SE
	ds_load_b32 v10, v3
	ds_load_u16 v11, v4
	s_wait_dscnt 0x1
	v_and_b32_e32 v12, 0xffff0000, v10
	v_lshlrev_b32_e32 v13, 16, v10
	s_wait_dscnt 0x0
	v_and_b32_e32 v14, 1, v11
	s_delay_alu instid0(VALU_DEP_3) | instskip(NEXT) | instid1(VALU_DEP_3)
	v_cmp_u_f32_e64 s2, v12, v12
	v_cmp_o_f32_e64 s3, v13, v13
	v_cmp_lt_f32_e64 s4, v13, v12
	v_lshrrev_b16 v12, 8, v11
	v_cmp_eq_u32_e64 s5, 1, v14
	s_and_b32 s2, s2, s3
	s_wait_alu 0xfffe
	s_or_b32 s3, s2, s4
	v_cmp_ne_u16_e64 s2, 0, v12
	s_wait_alu 0xfffe
	s_and_b32 s3, s3, s5
	s_wait_alu 0xfffe
	s_xor_b32 s3, s3, -1
	s_wait_alu 0xfffe
	s_and_b32 s3, s3, s2
	s_wait_alu 0xfffe
	s_and_saveexec_b32 s2, s3
	s_cbranch_execz .LBB64_38
; %bb.37:
	ds_load_b128 v[12:15], v19
	v_lshlrev_b16 v17, 8, v11
	v_alignbit_b32 v16, v10, v10, 16
	s_wait_dscnt 0x0
	v_dual_mov_b32 v10, v14 :: v_dual_mov_b32 v11, v15
	s_delay_alu instid0(VALU_DEP_3)
	v_or_b32_e32 v14, 1, v17
	ds_store_b32 v3, v16
	ds_store_b128 v19, v[10:13]
	ds_store_b16 v4, v14
.LBB64_38:
	s_wait_alu 0xfffe
	s_or_b32 exec_lo, exec_lo, s2
	s_wait_loadcnt_dscnt 0x0
	s_barrier_signal -1
	s_barrier_wait -1
	global_inv scope:SCOPE_SE
	s_and_saveexec_b32 s2, s0
	s_cbranch_execz .LBB64_43
; %bb.39:
	s_and_saveexec_b32 s0, vcc_lo
	s_cbranch_execz .LBB64_41
; %bb.40:
	v_mad_co_u64_u32 v[3:4], null, v7, s10, v[2:3]
	v_mov_b32_e32 v4, 0
	v_mad_co_u64_u32 v[10:11], null, v7, s7, v[0:1]
	ds_load_u16 v12, v8
	ds_load_b64 v[7:8], v9
	v_mov_b32_e32 v11, v4
	v_lshlrev_b64_e32 v[3:4], 1, v[3:4]
	s_delay_alu instid0(VALU_DEP_2) | instskip(NEXT) | instid1(VALU_DEP_2)
	v_lshlrev_b64_e32 v[9:10], 3, v[10:11]
	v_add_co_u32 v3, vcc_lo, s12, v3
	s_wait_alu 0xfffd
	s_delay_alu instid0(VALU_DEP_3) | instskip(NEXT) | instid1(VALU_DEP_3)
	v_add_co_ci_u32_e64 v4, null, s13, v4, vcc_lo
	v_add_co_u32 v9, vcc_lo, s14, v9
	s_wait_alu 0xfffd
	v_add_co_ci_u32_e64 v10, null, s15, v10, vcc_lo
	s_wait_dscnt 0x1
	global_store_b16 v[3:4], v12, off
	s_wait_dscnt 0x0
	global_store_b64 v[9:10], v[7:8], off
.LBB64_41:
	s_wait_alu 0xfffe
	s_or_b32 exec_lo, exec_lo, s0
	s_delay_alu instid0(SALU_CYCLE_1)
	s_and_b32 exec_lo, exec_lo, s1
	s_cbranch_execz .LBB64_43
; %bb.42:
	v_mad_co_u64_u32 v[2:3], null, v1, s10, v[2:3]
	v_mov_b32_e32 v3, 0
	v_mad_co_u64_u32 v[0:1], null, v1, s7, v[0:1]
	ds_load_u16 v7, v5
	ds_load_b64 v[4:5], v6
	v_mov_b32_e32 v1, v3
	v_lshlrev_b64_e32 v[2:3], 1, v[2:3]
	s_delay_alu instid0(VALU_DEP_2) | instskip(NEXT) | instid1(VALU_DEP_2)
	v_lshlrev_b64_e32 v[0:1], 3, v[0:1]
	v_add_co_u32 v2, vcc_lo, s12, v2
	s_wait_alu 0xfffd
	s_delay_alu instid0(VALU_DEP_3) | instskip(NEXT) | instid1(VALU_DEP_3)
	v_add_co_ci_u32_e64 v3, null, s13, v3, vcc_lo
	v_add_co_u32 v0, vcc_lo, s14, v0
	s_wait_alu 0xfffd
	v_add_co_ci_u32_e64 v1, null, s15, v1, vcc_lo
	s_wait_dscnt 0x1
	global_store_b16 v[2:3], v7, off
	s_wait_dscnt 0x0
	global_store_b64 v[0:1], v[4:5], off
.LBB64_43:
	s_endpgm
	.section	.rodata,"a",@progbits
	.p2align	6, 0x0
	.amdhsa_kernel _ZN2at6native20bitonicSortKVInPlaceILin2ELin1ELi16ELi16EN3c108BFloat16ElNS0_4LTOpIS3_Lb1EEEjEEvNS_4cuda6detail10TensorInfoIT3_T6_EESA_SA_SA_NS8_IT4_SA_EESA_T5_
		.amdhsa_group_segment_fixed_size 5632
		.amdhsa_private_segment_fixed_size 0
		.amdhsa_kernarg_size 712
		.amdhsa_user_sgpr_count 2
		.amdhsa_user_sgpr_dispatch_ptr 0
		.amdhsa_user_sgpr_queue_ptr 0
		.amdhsa_user_sgpr_kernarg_segment_ptr 1
		.amdhsa_user_sgpr_dispatch_id 0
		.amdhsa_user_sgpr_private_segment_size 0
		.amdhsa_wavefront_size32 1
		.amdhsa_uses_dynamic_stack 0
		.amdhsa_enable_private_segment 0
		.amdhsa_system_sgpr_workgroup_id_x 1
		.amdhsa_system_sgpr_workgroup_id_y 1
		.amdhsa_system_sgpr_workgroup_id_z 1
		.amdhsa_system_sgpr_workgroup_info 0
		.amdhsa_system_vgpr_workitem_id 1
		.amdhsa_next_free_vgpr 35
		.amdhsa_next_free_sgpr 16
		.amdhsa_reserve_vcc 1
		.amdhsa_float_round_mode_32 0
		.amdhsa_float_round_mode_16_64 0
		.amdhsa_float_denorm_mode_32 3
		.amdhsa_float_denorm_mode_16_64 3
		.amdhsa_fp16_overflow 0
		.amdhsa_workgroup_processor_mode 1
		.amdhsa_memory_ordered 1
		.amdhsa_forward_progress 1
		.amdhsa_inst_pref_size 41
		.amdhsa_round_robin_scheduling 0
		.amdhsa_exception_fp_ieee_invalid_op 0
		.amdhsa_exception_fp_denorm_src 0
		.amdhsa_exception_fp_ieee_div_zero 0
		.amdhsa_exception_fp_ieee_overflow 0
		.amdhsa_exception_fp_ieee_underflow 0
		.amdhsa_exception_fp_ieee_inexact 0
		.amdhsa_exception_int_div_zero 0
	.end_amdhsa_kernel
	.section	.text._ZN2at6native20bitonicSortKVInPlaceILin2ELin1ELi16ELi16EN3c108BFloat16ElNS0_4LTOpIS3_Lb1EEEjEEvNS_4cuda6detail10TensorInfoIT3_T6_EESA_SA_SA_NS8_IT4_SA_EESA_T5_,"axG",@progbits,_ZN2at6native20bitonicSortKVInPlaceILin2ELin1ELi16ELi16EN3c108BFloat16ElNS0_4LTOpIS3_Lb1EEEjEEvNS_4cuda6detail10TensorInfoIT3_T6_EESA_SA_SA_NS8_IT4_SA_EESA_T5_,comdat
.Lfunc_end64:
	.size	_ZN2at6native20bitonicSortKVInPlaceILin2ELin1ELi16ELi16EN3c108BFloat16ElNS0_4LTOpIS3_Lb1EEEjEEvNS_4cuda6detail10TensorInfoIT3_T6_EESA_SA_SA_NS8_IT4_SA_EESA_T5_, .Lfunc_end64-_ZN2at6native20bitonicSortKVInPlaceILin2ELin1ELi16ELi16EN3c108BFloat16ElNS0_4LTOpIS3_Lb1EEEjEEvNS_4cuda6detail10TensorInfoIT3_T6_EESA_SA_SA_NS8_IT4_SA_EESA_T5_
                                        ; -- End function
	.set _ZN2at6native20bitonicSortKVInPlaceILin2ELin1ELi16ELi16EN3c108BFloat16ElNS0_4LTOpIS3_Lb1EEEjEEvNS_4cuda6detail10TensorInfoIT3_T6_EESA_SA_SA_NS8_IT4_SA_EESA_T5_.num_vgpr, 35
	.set _ZN2at6native20bitonicSortKVInPlaceILin2ELin1ELi16ELi16EN3c108BFloat16ElNS0_4LTOpIS3_Lb1EEEjEEvNS_4cuda6detail10TensorInfoIT3_T6_EESA_SA_SA_NS8_IT4_SA_EESA_T5_.num_agpr, 0
	.set _ZN2at6native20bitonicSortKVInPlaceILin2ELin1ELi16ELi16EN3c108BFloat16ElNS0_4LTOpIS3_Lb1EEEjEEvNS_4cuda6detail10TensorInfoIT3_T6_EESA_SA_SA_NS8_IT4_SA_EESA_T5_.numbered_sgpr, 16
	.set _ZN2at6native20bitonicSortKVInPlaceILin2ELin1ELi16ELi16EN3c108BFloat16ElNS0_4LTOpIS3_Lb1EEEjEEvNS_4cuda6detail10TensorInfoIT3_T6_EESA_SA_SA_NS8_IT4_SA_EESA_T5_.num_named_barrier, 0
	.set _ZN2at6native20bitonicSortKVInPlaceILin2ELin1ELi16ELi16EN3c108BFloat16ElNS0_4LTOpIS3_Lb1EEEjEEvNS_4cuda6detail10TensorInfoIT3_T6_EESA_SA_SA_NS8_IT4_SA_EESA_T5_.private_seg_size, 0
	.set _ZN2at6native20bitonicSortKVInPlaceILin2ELin1ELi16ELi16EN3c108BFloat16ElNS0_4LTOpIS3_Lb1EEEjEEvNS_4cuda6detail10TensorInfoIT3_T6_EESA_SA_SA_NS8_IT4_SA_EESA_T5_.uses_vcc, 1
	.set _ZN2at6native20bitonicSortKVInPlaceILin2ELin1ELi16ELi16EN3c108BFloat16ElNS0_4LTOpIS3_Lb1EEEjEEvNS_4cuda6detail10TensorInfoIT3_T6_EESA_SA_SA_NS8_IT4_SA_EESA_T5_.uses_flat_scratch, 0
	.set _ZN2at6native20bitonicSortKVInPlaceILin2ELin1ELi16ELi16EN3c108BFloat16ElNS0_4LTOpIS3_Lb1EEEjEEvNS_4cuda6detail10TensorInfoIT3_T6_EESA_SA_SA_NS8_IT4_SA_EESA_T5_.has_dyn_sized_stack, 0
	.set _ZN2at6native20bitonicSortKVInPlaceILin2ELin1ELi16ELi16EN3c108BFloat16ElNS0_4LTOpIS3_Lb1EEEjEEvNS_4cuda6detail10TensorInfoIT3_T6_EESA_SA_SA_NS8_IT4_SA_EESA_T5_.has_recursion, 0
	.set _ZN2at6native20bitonicSortKVInPlaceILin2ELin1ELi16ELi16EN3c108BFloat16ElNS0_4LTOpIS3_Lb1EEEjEEvNS_4cuda6detail10TensorInfoIT3_T6_EESA_SA_SA_NS8_IT4_SA_EESA_T5_.has_indirect_call, 0
	.section	.AMDGPU.csdata,"",@progbits
; Kernel info:
; codeLenInByte = 5244
; TotalNumSgprs: 18
; NumVgprs: 35
; ScratchSize: 0
; MemoryBound: 0
; FloatMode: 240
; IeeeMode: 1
; LDSByteSize: 5632 bytes/workgroup (compile time only)
; SGPRBlocks: 0
; VGPRBlocks: 4
; NumSGPRsForWavesPerEU: 18
; NumVGPRsForWavesPerEU: 35
; Occupancy: 16
; WaveLimiterHint : 1
; COMPUTE_PGM_RSRC2:SCRATCH_EN: 0
; COMPUTE_PGM_RSRC2:USER_SGPR: 2
; COMPUTE_PGM_RSRC2:TRAP_HANDLER: 0
; COMPUTE_PGM_RSRC2:TGID_X_EN: 1
; COMPUTE_PGM_RSRC2:TGID_Y_EN: 1
; COMPUTE_PGM_RSRC2:TGID_Z_EN: 1
; COMPUTE_PGM_RSRC2:TIDIG_COMP_CNT: 1
	.section	.text._ZN2at6native20bitonicSortKVInPlaceILin2ELin1ELi16ELi16EN3c108BFloat16ElNS0_4GTOpIS3_Lb1EEEjEEvNS_4cuda6detail10TensorInfoIT3_T6_EESA_SA_SA_NS8_IT4_SA_EESA_T5_,"axG",@progbits,_ZN2at6native20bitonicSortKVInPlaceILin2ELin1ELi16ELi16EN3c108BFloat16ElNS0_4GTOpIS3_Lb1EEEjEEvNS_4cuda6detail10TensorInfoIT3_T6_EESA_SA_SA_NS8_IT4_SA_EESA_T5_,comdat
	.protected	_ZN2at6native20bitonicSortKVInPlaceILin2ELin1ELi16ELi16EN3c108BFloat16ElNS0_4GTOpIS3_Lb1EEEjEEvNS_4cuda6detail10TensorInfoIT3_T6_EESA_SA_SA_NS8_IT4_SA_EESA_T5_ ; -- Begin function _ZN2at6native20bitonicSortKVInPlaceILin2ELin1ELi16ELi16EN3c108BFloat16ElNS0_4GTOpIS3_Lb1EEEjEEvNS_4cuda6detail10TensorInfoIT3_T6_EESA_SA_SA_NS8_IT4_SA_EESA_T5_
	.globl	_ZN2at6native20bitonicSortKVInPlaceILin2ELin1ELi16ELi16EN3c108BFloat16ElNS0_4GTOpIS3_Lb1EEEjEEvNS_4cuda6detail10TensorInfoIT3_T6_EESA_SA_SA_NS8_IT4_SA_EESA_T5_
	.p2align	8
	.type	_ZN2at6native20bitonicSortKVInPlaceILin2ELin1ELi16ELi16EN3c108BFloat16ElNS0_4GTOpIS3_Lb1EEEjEEvNS_4cuda6detail10TensorInfoIT3_T6_EESA_SA_SA_NS8_IT4_SA_EESA_T5_,@function
_ZN2at6native20bitonicSortKVInPlaceILin2ELin1ELi16ELi16EN3c108BFloat16ElNS0_4GTOpIS3_Lb1EEEjEEvNS_4cuda6detail10TensorInfoIT3_T6_EESA_SA_SA_NS8_IT4_SA_EESA_T5_: ; @_ZN2at6native20bitonicSortKVInPlaceILin2ELin1ELi16ELi16EN3c108BFloat16ElNS0_4GTOpIS3_Lb1EEEjEEvNS_4cuda6detail10TensorInfoIT3_T6_EESA_SA_SA_NS8_IT4_SA_EESA_T5_
; %bb.0:
	s_clause 0x2
	s_load_b64 s[2:3], s[0:1], 0x1c8
	s_load_u16 s4, s[0:1], 0x1d6
	s_load_b96 s[8:10], s[0:1], 0xd8
	s_lshr_b32 s5, ttmp7, 16
	s_wait_kmcnt 0x0
	s_mul_i32 s3, s3, s5
	s_and_b32 s5, ttmp7, 0xffff
	s_delay_alu instid0(SALU_CYCLE_1) | instskip(NEXT) | instid1(SALU_CYCLE_1)
	s_add_co_i32 s3, s3, s5
	s_mul_i32 s2, s3, s2
	s_delay_alu instid0(SALU_CYCLE_1) | instskip(NEXT) | instid1(SALU_CYCLE_1)
	s_add_co_i32 s2, s2, ttmp9
	s_mul_i32 s2, s2, s4
	s_delay_alu instid0(SALU_CYCLE_1)
	s_cmp_ge_u32 s2, s8
	s_cbranch_scc1 .LBB65_43
; %bb.1:
	s_clause 0x1
	s_load_b32 s4, s[0:1], 0x1b8
	s_load_b64 s[12:13], s[0:1], 0x0
	v_bfe_u32 v8, v0, 10, 10
	s_delay_alu instid0(VALU_DEP_1) | instskip(SKIP_2) | instid1(VALU_DEP_2)
	v_add_nc_u32_e32 v3, s2, v8
	v_mov_b32_e32 v1, 0
	s_add_nc_u64 s[2:3], s[0:1], 0xe8
	v_mov_b32_e32 v4, v3
	s_wait_kmcnt 0x0
	s_cmp_lt_i32 s4, 2
	s_cbranch_scc1 .LBB65_4
; %bb.2:
	s_add_co_i32 s6, s4, -1
	s_mov_b32 s7, 0
	v_dual_mov_b32 v1, 0 :: v_dual_mov_b32 v4, v3
	s_lshl_b64 s[6:7], s[6:7], 2
	s_wait_alu 0xfffe
	s_add_nc_u64 s[14:15], s[2:3], s[6:7]
	s_add_co_i32 s6, s4, 1
	s_add_nc_u64 s[4:5], s[14:15], 8
.LBB65_3:                               ; =>This Inner Loop Header: Depth=1
	s_clause 0x1
	s_load_b32 s7, s[4:5], 0x0
	s_load_b32 s11, s[4:5], 0x64
	s_add_co_i32 s6, s6, -1
	s_add_nc_u64 s[4:5], s[4:5], -4
	s_wait_kmcnt 0x0
	s_cvt_f32_u32 s14, s7
	s_sub_co_i32 s15, 0, s7
	s_wait_alu 0xfffe
	s_delay_alu instid0(SALU_CYCLE_1) | instskip(NEXT) | instid1(TRANS32_DEP_1)
	v_rcp_iflag_f32_e32 v2, s14
	v_readfirstlane_b32 s14, v2
	v_mov_b32_e32 v2, v4
	s_mul_f32 s14, s14, 0x4f7ffffe
	s_wait_alu 0xfffe
	s_delay_alu instid0(SALU_CYCLE_2) | instskip(SKIP_1) | instid1(SALU_CYCLE_2)
	s_cvt_u32_f32 s14, s14
	s_wait_alu 0xfffe
	s_mul_i32 s15, s15, s14
	s_wait_alu 0xfffe
	s_mul_hi_u32 s15, s14, s15
	s_wait_alu 0xfffe
	s_add_co_i32 s14, s14, s15
	s_cmp_gt_u32 s6, 2
	s_wait_alu 0xfffe
	v_mul_hi_u32 v4, v2, s14
	s_delay_alu instid0(VALU_DEP_1) | instskip(SKIP_1) | instid1(VALU_DEP_2)
	v_mul_lo_u32 v5, v4, s7
	v_add_nc_u32_e32 v6, 1, v4
	v_sub_nc_u32_e32 v5, v2, v5
	s_delay_alu instid0(VALU_DEP_1) | instskip(SKIP_2) | instid1(VALU_DEP_2)
	v_subrev_nc_u32_e32 v7, s7, v5
	v_cmp_le_u32_e32 vcc_lo, s7, v5
	s_wait_alu 0xfffd
	v_dual_cndmask_b32 v4, v4, v6 :: v_dual_cndmask_b32 v5, v5, v7
	s_delay_alu instid0(VALU_DEP_1) | instskip(NEXT) | instid1(VALU_DEP_2)
	v_add_nc_u32_e32 v6, 1, v4
	v_cmp_le_u32_e32 vcc_lo, s7, v5
	s_wait_alu 0xfffd
	s_delay_alu instid0(VALU_DEP_2) | instskip(NEXT) | instid1(VALU_DEP_1)
	v_cndmask_b32_e32 v4, v4, v6, vcc_lo
	v_mul_lo_u32 v5, v4, s7
	s_delay_alu instid0(VALU_DEP_1) | instskip(NEXT) | instid1(VALU_DEP_1)
	v_sub_nc_u32_e32 v2, v2, v5
	v_mad_co_u64_u32 v[1:2], null, s11, v2, v[1:2]
	s_cbranch_scc1 .LBB65_3
.LBB65_4:
	s_load_b32 s6, s[0:1], 0x6c
	s_add_nc_u64 s[4:5], s[0:1], 0x1c8
	s_load_b32 s11, s[2:3], 0x6c
	s_load_b32 s4, s[4:5], 0xc
	s_clause 0x1
	s_load_b32 s7, s[0:1], 0x1c0
	s_load_b64 s[14:15], s[2:3], 0x0
	v_and_b32_e32 v7, 0x3ff, v0
	v_cmp_gt_u32_e64 s0, s8, v3
	v_mov_b32_e32 v5, 0
	v_dual_mov_b32 v6, 0 :: v_dual_mov_b32 v11, 0
	v_mov_b32_e32 v10, 0
	s_wait_kmcnt 0x0
	v_mul_lo_u32 v2, s6, v3
	s_delay_alu instid0(VALU_DEP_1)
	v_mad_co_u64_u32 v[0:1], null, s11, v4, v[1:2]
	v_mov_b32_e32 v3, 0
	v_mov_b32_e32 v4, 0
	v_cmp_gt_u32_e32 vcc_lo, s9, v7
	s_and_b32 s2, s0, vcc_lo
	s_wait_alu 0xfffe
	s_and_saveexec_b32 s3, s2
	s_cbranch_execz .LBB65_6
; %bb.5:
	v_mad_co_u64_u32 v[5:6], null, v7, s10, v[2:3]
	v_mov_b32_e32 v6, 0
	v_mad_co_u64_u32 v[11:12], null, v7, s7, v[0:1]
	s_delay_alu instid0(VALU_DEP_2) | instskip(NEXT) | instid1(VALU_DEP_4)
	v_mov_b32_e32 v12, v6
	v_lshlrev_b64_e32 v[5:6], 1, v[5:6]
	s_delay_alu instid0(VALU_DEP_2) | instskip(NEXT) | instid1(VALU_DEP_2)
	v_lshlrev_b64_e32 v[11:12], 3, v[11:12]
	v_add_co_u32 v5, s1, s12, v5
	s_delay_alu instid0(VALU_DEP_1) | instskip(NEXT) | instid1(VALU_DEP_3)
	v_add_co_ci_u32_e64 v6, null, s13, v6, s1
	v_add_co_u32 v13, s1, s14, v11
	s_wait_alu 0xf1ff
	s_delay_alu instid0(VALU_DEP_4)
	v_add_co_ci_u32_e64 v14, null, s15, v12, s1
	global_load_u16 v11, v[5:6], off
	global_load_b64 v[5:6], v[13:14], off
.LBB65_6:
	s_wait_alu 0xfffe
	s_or_b32 exec_lo, exec_lo, s3
	s_and_b32 s3, 0xffff, s4
	v_lshl_add_u32 v15, v8, 6, 0x1000
	s_wait_alu 0xfffe
	v_add_nc_u32_e32 v1, s3, v7
	v_lshlrev_b32_e32 v12, 8, v8
	v_lshl_add_u32 v14, v8, 5, 0x1400
	v_cndmask_b32_e64 v13, 0, 1, s2
	v_lshl_add_u32 v8, v7, 1, v15
	v_cmp_gt_u32_e64 s1, s9, v1
	v_lshl_add_u32 v9, v7, 3, v12
	v_add_nc_u32_e32 v16, v14, v7
	s_wait_loadcnt 0x1
	ds_store_b16 v8, v11
	s_wait_loadcnt 0x0
	ds_store_b64 v9, v[5:6]
	ds_store_b8 v16, v13
	s_and_b32 s4, s0, s1
	s_delay_alu instid0(SALU_CYCLE_1)
	s_and_saveexec_b32 s5, s4
	s_cbranch_execz .LBB65_8
; %bb.7:
	v_mad_co_u64_u32 v[3:4], null, v1, s10, v[2:3]
	v_mov_b32_e32 v4, 0
	v_mad_co_u64_u32 v[5:6], null, v1, s7, v[0:1]
	s_delay_alu instid0(VALU_DEP_2) | instskip(NEXT) | instid1(VALU_DEP_4)
	v_mov_b32_e32 v6, v4
	v_lshlrev_b64_e32 v[3:4], 1, v[3:4]
	s_delay_alu instid0(VALU_DEP_2) | instskip(NEXT) | instid1(VALU_DEP_2)
	v_lshlrev_b64_e32 v[5:6], 3, v[5:6]
	v_add_co_u32 v3, s2, s12, v3
	s_wait_alu 0xf1ff
	s_delay_alu instid0(VALU_DEP_3) | instskip(NEXT) | instid1(VALU_DEP_3)
	v_add_co_ci_u32_e64 v4, null, s13, v4, s2
	v_add_co_u32 v5, s2, s14, v5
	s_wait_alu 0xf1ff
	v_add_co_ci_u32_e64 v6, null, s15, v6, s2
	global_load_u16 v10, v[3:4], off
	global_load_b64 v[3:4], v[5:6], off
.LBB65_8:
	s_or_b32 exec_lo, exec_lo, s5
	v_lshl_add_u32 v5, s3, 1, v8
	v_lshlrev_b32_e32 v16, 1, v7
	v_lshl_add_u32 v6, s3, 3, v9
	v_cndmask_b32_e64 v11, 0, 1, s4
	v_add_nc_u32_e32 v13, v14, v1
	s_wait_loadcnt 0x1
	ds_store_b16 v5, v10
	s_wait_loadcnt 0x0
	ds_store_b64 v6, v[3:4]
	ds_store_b8 v13, v11
	v_add_nc_u32_e32 v3, v8, v16
	v_add_nc_u32_e32 v4, v14, v16
	s_wait_dscnt 0x0
	s_barrier_signal -1
	s_barrier_wait -1
	global_inv scope:SCOPE_SE
	ds_load_b32 v11, v3
	ds_load_u16 v13, v4
	v_and_b32_e32 v10, 1, v7
	s_wait_dscnt 0x1
	v_lshlrev_b32_e32 v17, 16, v11
	v_and_b32_e32 v19, 0xffff0000, v11
	s_wait_dscnt 0x0
	v_lshrrev_b16 v18, 8, v13
	v_and_b32_e32 v20, 1, v13
	v_cmp_u_f32_e64 s2, v17, v17
	v_cmp_o_f32_e64 s3, v19, v19
	s_delay_alu instid0(VALU_DEP_4)
	v_cmp_ne_u16_e64 s6, v18, v10
	v_cmp_lt_f32_e64 s4, v19, v17
	v_cmp_eq_u32_e64 s5, 1, v20
	s_and_b32 s2, s2, s3
	v_cndmask_b32_e64 v17, 0, 1, s6
	s_wait_alu 0xfffe
	s_or_b32 s2, s2, s4
	s_wait_alu 0xfffe
	s_and_b32 s2, s2, s5
	s_wait_alu 0xfffe
	v_cndmask_b32_e64 v17, v17, v7, s2
	s_delay_alu instid0(VALU_DEP_1) | instskip(NEXT) | instid1(VALU_DEP_1)
	v_and_b32_e32 v17, 1, v17
	v_cmp_eq_u32_e64 s2, 1, v17
	v_lshl_add_u32 v17, v7, 3, v9
	s_and_saveexec_b32 s3, s2
	s_wait_alu 0xfffe
	s_xor_b32 s2, exec_lo, s3
	s_cbranch_execz .LBB65_10
; %bb.9:
	ds_load_b128 v[19:22], v17
	v_lshlrev_b16 v13, 8, v13
	v_alignbit_b32 v11, v11, v11, 16
	s_delay_alu instid0(VALU_DEP_2)
	v_or_b32_e32 v13, v18, v13
	s_wait_dscnt 0x0
	v_dual_mov_b32 v23, v19 :: v_dual_mov_b32 v24, v20
	ds_store_b32 v3, v11
	ds_store_b128 v17, v[21:24]
	ds_store_b16 v4, v13
.LBB65_10:
	s_wait_alu 0xfffe
	s_or_b32 exec_lo, exec_lo, s2
	v_sub_nc_u32_e32 v13, v16, v10
	s_wait_loadcnt_dscnt 0x0
	s_barrier_signal -1
	s_barrier_wait -1
	global_inv scope:SCOPE_SE
	v_lshl_add_u32 v10, v13, 1, v15
	v_add_nc_u32_e32 v11, v14, v13
	v_bfe_u32 v24, v7, 1, 1
	v_lshl_add_u32 v13, v13, 3, v12
	ds_load_u16 v18, v10
	ds_load_u16 v19, v10 offset:4
	ds_load_u8 v20, v11
	ds_load_u8 v22, v11 offset:2
	s_wait_dscnt 0x3
	v_lshlrev_b32_e32 v21, 16, v18
	s_wait_dscnt 0x2
	v_lshlrev_b32_e32 v23, 16, v19
	s_wait_dscnt 0x1
	v_and_b32_e32 v25, 1, v20
	s_wait_dscnt 0x0
	v_cmp_ne_u16_e64 s5, v22, v24
	v_cmp_u_f32_e64 s2, v21, v21
	v_cmp_o_f32_e64 s3, v23, v23
	v_cmp_lt_f32_e64 s4, v23, v21
	s_wait_alu 0xf1ff
	v_cndmask_b32_e64 v21, 0, 1, s5
	v_cmp_eq_u32_e64 s5, 1, v25
	s_and_b32 s2, s2, s3
	s_wait_alu 0xfffe
	s_or_b32 s2, s2, s4
	s_wait_alu 0xfffe
	s_and_b32 s2, s2, s5
	s_wait_alu 0xfffe
	v_cndmask_b32_e64 v23, v21, v24, s2
	v_and_b32_e32 v21, 2, v7
	s_delay_alu instid0(VALU_DEP_2) | instskip(NEXT) | instid1(VALU_DEP_2)
	v_and_b32_e32 v23, 1, v23
	v_cmp_ne_u32_e64 s2, 0, v21
	s_delay_alu instid0(VALU_DEP_2)
	v_cmp_eq_u32_e64 s3, 1, v23
	s_and_saveexec_b32 s4, s3
	s_wait_alu 0xfffe
	s_xor_b32 s3, exec_lo, s4
	s_cbranch_execz .LBB65_12
; %bb.11:
	ds_load_2addr_b64 v[23:26], v13 offset1:2
	s_wait_dscnt 0x0
	ds_store_2addr_b64 v13, v[25:26], v[23:24] offset1:2
	ds_store_b16 v10, v19
	ds_store_b16 v10, v18 offset:4
	ds_store_b8 v11, v22
	ds_store_b8 v11, v20 offset:2
.LBB65_12:
	s_wait_alu 0xfffe
	s_or_b32 exec_lo, exec_lo, s3
	s_wait_loadcnt_dscnt 0x0
	s_barrier_signal -1
	s_barrier_wait -1
	global_inv scope:SCOPE_SE
	ds_load_b32 v18, v3
	ds_load_u16 v19, v4
	v_lshrrev_b32_e32 v21, 1, v21
	v_cndmask_b32_e64 v24, 0, 1, s2
	s_wait_dscnt 0x1
	v_lshlrev_b32_e32 v22, 16, v18
	v_and_b32_e32 v23, 0xffff0000, v18
	s_wait_dscnt 0x0
	v_lshrrev_b16 v20, 8, v19
	v_and_b32_e32 v25, 1, v19
	v_cmp_u_f32_e64 s2, v22, v22
	v_cmp_o_f32_e64 s3, v23, v23
	s_delay_alu instid0(VALU_DEP_4)
	v_cmp_ne_u16_e64 s6, v20, v21
	v_cmp_lt_f32_e64 s4, v23, v22
	v_cmp_eq_u32_e64 s5, 1, v25
	s_and_b32 s2, s2, s3
	v_cndmask_b32_e64 v21, 0, 1, s6
	s_wait_alu 0xfffe
	s_or_b32 s2, s2, s4
	s_mov_b32 s3, exec_lo
	s_wait_alu 0xfffe
	s_and_b32 s2, s2, s5
	s_wait_alu 0xfffe
	v_cndmask_b32_e64 v21, v21, v24, s2
	s_delay_alu instid0(VALU_DEP_1) | instskip(NEXT) | instid1(VALU_DEP_1)
	v_and_b32_e32 v21, 1, v21
	v_cmpx_eq_u32_e32 1, v21
	s_cbranch_execz .LBB65_14
; %bb.13:
	ds_load_b128 v[21:24], v17
	v_lshlrev_b16 v19, 8, v19
	v_alignbit_b32 v18, v18, v18, 16
	s_delay_alu instid0(VALU_DEP_2)
	v_or_b32_e32 v19, v20, v19
	s_wait_dscnt 0x0
	v_dual_mov_b32 v25, v21 :: v_dual_mov_b32 v26, v22
	ds_store_b32 v3, v18
	ds_store_b128 v17, v[23:26]
	ds_store_b16 v4, v19
.LBB65_14:
	s_or_b32 exec_lo, exec_lo, s3
	v_and_b32_e32 v17, 3, v7
	s_wait_loadcnt_dscnt 0x0
	s_barrier_signal -1
	s_barrier_wait -1
	global_inv scope:SCOPE_SE
	v_sub_nc_u32_e32 v20, v16, v17
	v_bfe_u32 v26, v7, 2, 1
	s_delay_alu instid0(VALU_DEP_2)
	v_lshl_add_u32 v17, v20, 1, v15
	v_add_nc_u32_e32 v18, v14, v20
	v_lshl_add_u32 v20, v20, 3, v12
	ds_load_u16 v19, v17
	ds_load_u16 v21, v17 offset:8
	ds_load_u8 v22, v18
	ds_load_u8 v23, v18 offset:4
	s_wait_dscnt 0x3
	v_lshlrev_b32_e32 v24, 16, v19
	s_wait_dscnt 0x2
	v_lshlrev_b32_e32 v25, 16, v21
	s_wait_dscnt 0x1
	v_and_b32_e32 v27, 1, v22
	s_wait_dscnt 0x0
	v_cmp_ne_u16_e64 s5, v23, v26
	v_cmp_u_f32_e64 s2, v24, v24
	v_cmp_o_f32_e64 s3, v25, v25
	v_cmp_lt_f32_e64 s4, v25, v24
	s_wait_alu 0xf1ff
	v_cndmask_b32_e64 v24, 0, 1, s5
	v_cmp_eq_u32_e64 s5, 1, v27
	s_and_b32 s2, s2, s3
	s_wait_alu 0xfffe
	s_or_b32 s2, s2, s4
	s_mov_b32 s4, exec_lo
	s_wait_alu 0xfffe
	s_and_b32 s2, s2, s5
	s_wait_alu 0xfffe
	v_cndmask_b32_e64 v25, v24, v26, s2
	v_and_b32_e32 v24, 4, v7
	s_delay_alu instid0(VALU_DEP_2) | instskip(NEXT) | instid1(VALU_DEP_2)
	v_and_b32_e32 v25, 1, v25
	v_cmp_ne_u32_e64 s2, 0, v24
	s_delay_alu instid0(VALU_DEP_2)
	v_cmpx_eq_u32_e32 1, v25
	s_cbranch_execz .LBB65_16
; %bb.15:
	ds_load_2addr_b64 v[25:28], v20 offset1:4
	s_wait_dscnt 0x0
	ds_store_2addr_b64 v20, v[27:28], v[25:26] offset1:4
	ds_store_b16 v17, v21
	ds_store_b16 v17, v19 offset:8
	ds_store_b8 v18, v23
	ds_store_b8 v18, v22 offset:4
.LBB65_16:
	s_or_b32 exec_lo, exec_lo, s4
	s_wait_loadcnt_dscnt 0x0
	s_barrier_signal -1
	s_barrier_wait -1
	global_inv scope:SCOPE_SE
	ds_load_u16 v22, v10
	ds_load_u16 v23, v10 offset:4
	ds_load_u8 v25, v11
	ds_load_u8 v26, v11 offset:2
	v_lshrrev_b32_e32 v19, 2, v24
	v_cndmask_b32_e64 v21, 0, 1, s2
	s_wait_dscnt 0x3
	v_lshlrev_b32_e32 v27, 16, v22
	s_wait_dscnt 0x2
	v_lshlrev_b32_e32 v28, 16, v23
	s_wait_dscnt 0x1
	v_and_b32_e32 v24, 1, v25
	s_wait_dscnt 0x0
	v_cmp_ne_u16_e64 s5, v26, v19
	v_cmp_u_f32_e64 s2, v27, v27
	v_cmp_o_f32_e64 s3, v28, v28
	v_cmp_lt_f32_e64 s4, v28, v27
	s_wait_alu 0xf1ff
	v_cndmask_b32_e64 v27, 0, 1, s5
	v_cmp_eq_u32_e64 s5, 1, v24
	s_and_b32 s2, s2, s3
	s_mov_b32 s3, exec_lo
	s_wait_alu 0xfffe
	s_or_b32 s2, s2, s4
	s_wait_alu 0xfffe
	s_and_b32 s2, s2, s5
	s_wait_alu 0xfffe
	v_cndmask_b32_e64 v24, v27, v21, s2
	s_delay_alu instid0(VALU_DEP_1) | instskip(NEXT) | instid1(VALU_DEP_1)
	v_and_b32_e32 v24, 1, v24
	v_cmpx_eq_u32_e32 1, v24
	s_cbranch_execz .LBB65_18
; %bb.17:
	ds_load_2addr_b64 v[27:30], v13 offset1:2
	s_wait_dscnt 0x0
	ds_store_2addr_b64 v13, v[29:30], v[27:28] offset1:2
	ds_store_b16 v10, v23
	ds_store_b16 v10, v22 offset:4
	ds_store_b8 v11, v26
	ds_store_b8 v11, v25 offset:2
.LBB65_18:
	s_or_b32 exec_lo, exec_lo, s3
	s_wait_loadcnt_dscnt 0x0
	s_barrier_signal -1
	s_barrier_wait -1
	global_inv scope:SCOPE_SE
	ds_load_b32 v22, v3
	ds_load_u16 v24, v4
	s_wait_dscnt 0x1
	v_lshlrev_b32_e32 v25, 16, v22
	v_and_b32_e32 v26, 0xffff0000, v22
	s_wait_dscnt 0x0
	v_lshrrev_b16 v23, 8, v24
	v_and_b32_e32 v27, 1, v24
	v_cmp_u_f32_e64 s2, v25, v25
	v_cmp_o_f32_e64 s3, v26, v26
	s_delay_alu instid0(VALU_DEP_4)
	v_cmp_ne_u16_e64 s6, v23, v19
	v_cmp_lt_f32_e64 s4, v26, v25
	v_cmp_eq_u32_e64 s5, 1, v27
	s_and_b32 s2, s2, s3
	v_cndmask_b32_e64 v19, 0, 1, s6
	s_wait_alu 0xfffe
	s_or_b32 s2, s2, s4
	s_wait_alu 0xfffe
	s_and_b32 s2, s2, s5
	s_wait_alu 0xfffe
	v_cndmask_b32_e64 v19, v19, v21, s2
	s_delay_alu instid0(VALU_DEP_1) | instskip(NEXT) | instid1(VALU_DEP_1)
	v_and_b32_e32 v19, 1, v19
	v_cmp_eq_u32_e64 s2, 1, v19
	v_lshl_add_u32 v19, v16, 3, v12
	s_and_saveexec_b32 s3, s2
	s_cbranch_execz .LBB65_20
; %bb.19:
	ds_load_b128 v[25:28], v19
	v_alignbit_b32 v21, v22, v22, 16
	v_lshlrev_b16 v22, 8, v24
	s_delay_alu instid0(VALU_DEP_1)
	v_or_b32_e32 v22, v23, v22
	s_wait_dscnt 0x0
	v_dual_mov_b32 v29, v25 :: v_dual_mov_b32 v30, v26
	ds_store_b32 v3, v21
	ds_store_b128 v19, v[27:30]
	ds_store_b16 v4, v22
.LBB65_20:
	s_wait_alu 0xfffe
	s_or_b32 exec_lo, exec_lo, s3
	v_and_b32_e32 v21, 7, v7
	s_wait_loadcnt_dscnt 0x0
	s_barrier_signal -1
	s_barrier_wait -1
	global_inv scope:SCOPE_SE
	v_sub_nc_u32_e32 v23, v16, v21
	v_bfe_u32 v30, v7, 3, 1
	s_delay_alu instid0(VALU_DEP_2)
	v_lshl_add_u32 v21, v23, 1, v15
	v_add_nc_u32_e32 v22, v14, v23
	v_lshl_add_u32 v23, v23, 3, v12
	ds_load_u16 v24, v21
	ds_load_u16 v25, v21 offset:16
	ds_load_u8 v26, v22
	ds_load_u8 v27, v22 offset:8
	s_wait_dscnt 0x3
	v_lshlrev_b32_e32 v28, 16, v24
	s_wait_dscnt 0x2
	v_lshlrev_b32_e32 v29, 16, v25
	s_wait_dscnt 0x1
	v_and_b32_e32 v31, 1, v26
	s_wait_dscnt 0x0
	v_cmp_ne_u16_e64 s5, v27, v30
	v_cmp_u_f32_e64 s2, v28, v28
	v_cmp_o_f32_e64 s3, v29, v29
	v_cmp_lt_f32_e64 s4, v29, v28
	s_wait_alu 0xf1ff
	v_cndmask_b32_e64 v28, 0, 1, s5
	v_cmp_eq_u32_e64 s5, 1, v31
	s_and_b32 s2, s2, s3
	s_wait_alu 0xfffe
	s_or_b32 s2, s2, s4
	s_mov_b32 s4, exec_lo
	s_wait_alu 0xfffe
	s_and_b32 s2, s2, s5
	s_wait_alu 0xfffe
	v_cndmask_b32_e64 v29, v28, v30, s2
	v_and_b32_e32 v28, 8, v7
	s_delay_alu instid0(VALU_DEP_2) | instskip(NEXT) | instid1(VALU_DEP_2)
	v_and_b32_e32 v29, 1, v29
	v_cmp_ne_u32_e64 s2, 0, v28
	s_delay_alu instid0(VALU_DEP_2)
	v_cmpx_eq_u32_e32 1, v29
	s_cbranch_execz .LBB65_22
; %bb.21:
	ds_load_2addr_b64 v[29:32], v23 offset1:8
	s_wait_dscnt 0x0
	ds_store_2addr_b64 v23, v[31:32], v[29:30] offset1:8
	ds_store_b16 v21, v25
	ds_store_b16 v21, v24 offset:16
	ds_store_b8 v22, v27
	ds_store_b8 v22, v26 offset:8
.LBB65_22:
	s_or_b32 exec_lo, exec_lo, s4
	s_wait_loadcnt_dscnt 0x0
	s_barrier_signal -1
	s_barrier_wait -1
	global_inv scope:SCOPE_SE
	ds_load_u16 v26, v17
	ds_load_u16 v27, v17 offset:8
	ds_load_u8 v29, v18
	ds_load_u8 v30, v18 offset:4
	v_lshrrev_b32_e32 v24, 3, v28
	v_cndmask_b32_e64 v25, 0, 1, s2
	s_wait_dscnt 0x3
	v_lshlrev_b32_e32 v31, 16, v26
	s_wait_dscnt 0x2
	v_lshlrev_b32_e32 v32, 16, v27
	s_wait_dscnt 0x1
	v_and_b32_e32 v28, 1, v29
	s_wait_dscnt 0x0
	v_cmp_ne_u16_e64 s5, v30, v24
	v_cmp_u_f32_e64 s2, v31, v31
	v_cmp_o_f32_e64 s3, v32, v32
	v_cmp_lt_f32_e64 s4, v32, v31
	s_wait_alu 0xf1ff
	v_cndmask_b32_e64 v31, 0, 1, s5
	v_cmp_eq_u32_e64 s5, 1, v28
	s_and_b32 s2, s2, s3
	s_mov_b32 s3, exec_lo
	s_wait_alu 0xfffe
	s_or_b32 s2, s2, s4
	s_wait_alu 0xfffe
	s_and_b32 s2, s2, s5
	s_wait_alu 0xfffe
	v_cndmask_b32_e64 v28, v31, v25, s2
	s_delay_alu instid0(VALU_DEP_1) | instskip(NEXT) | instid1(VALU_DEP_1)
	v_and_b32_e32 v28, 1, v28
	v_cmpx_eq_u32_e32 1, v28
	s_cbranch_execz .LBB65_24
; %bb.23:
	ds_load_2addr_b64 v[31:34], v20 offset1:4
	s_wait_dscnt 0x0
	ds_store_2addr_b64 v20, v[33:34], v[31:32] offset1:4
	ds_store_b16 v17, v27
	ds_store_b16 v17, v26 offset:8
	ds_store_b8 v18, v30
	ds_store_b8 v18, v29 offset:4
.LBB65_24:
	s_or_b32 exec_lo, exec_lo, s3
	s_wait_loadcnt_dscnt 0x0
	s_barrier_signal -1
	s_barrier_wait -1
	global_inv scope:SCOPE_SE
	ds_load_u16 v26, v10
	ds_load_u16 v27, v10 offset:4
	ds_load_u8 v28, v11
	ds_load_u8 v29, v11 offset:2
	s_wait_dscnt 0x3
	v_lshlrev_b32_e32 v30, 16, v26
	s_wait_dscnt 0x2
	v_lshlrev_b32_e32 v31, 16, v27
	s_wait_dscnt 0x1
	v_and_b32_e32 v32, 1, v28
	s_wait_dscnt 0x0
	v_cmp_ne_u16_e64 s5, v29, v24
	v_cmp_u_f32_e64 s2, v30, v30
	v_cmp_o_f32_e64 s3, v31, v31
	v_cmp_lt_f32_e64 s4, v31, v30
	s_wait_alu 0xf1ff
	v_cndmask_b32_e64 v30, 0, 1, s5
	v_cmp_eq_u32_e64 s5, 1, v32
	s_and_b32 s2, s2, s3
	s_mov_b32 s3, exec_lo
	s_wait_alu 0xfffe
	s_or_b32 s2, s2, s4
	s_wait_alu 0xfffe
	s_and_b32 s2, s2, s5
	s_wait_alu 0xfffe
	v_cndmask_b32_e64 v30, v30, v25, s2
	s_delay_alu instid0(VALU_DEP_1) | instskip(NEXT) | instid1(VALU_DEP_1)
	v_and_b32_e32 v30, 1, v30
	v_cmpx_eq_u32_e32 1, v30
	s_cbranch_execz .LBB65_26
; %bb.25:
	ds_load_2addr_b64 v[30:33], v13 offset1:2
	s_wait_dscnt 0x0
	ds_store_2addr_b64 v13, v[32:33], v[30:31] offset1:2
	ds_store_b16 v10, v27
	ds_store_b16 v10, v26 offset:4
	ds_store_b8 v11, v29
	ds_store_b8 v11, v28 offset:2
.LBB65_26:
	s_or_b32 exec_lo, exec_lo, s3
	s_wait_loadcnt_dscnt 0x0
	s_barrier_signal -1
	s_barrier_wait -1
	global_inv scope:SCOPE_SE
	ds_load_b32 v26, v3
	ds_load_u16 v28, v4
	s_wait_dscnt 0x1
	v_lshlrev_b32_e32 v29, 16, v26
	v_and_b32_e32 v30, 0xffff0000, v26
	s_wait_dscnt 0x0
	v_lshrrev_b16 v27, 8, v28
	v_and_b32_e32 v31, 1, v28
	v_cmp_u_f32_e64 s2, v29, v29
	v_cmp_o_f32_e64 s3, v30, v30
	s_delay_alu instid0(VALU_DEP_4)
	v_cmp_ne_u16_e64 s6, v27, v24
	v_cmp_lt_f32_e64 s4, v30, v29
	v_cmp_eq_u32_e64 s5, 1, v31
	s_and_b32 s2, s2, s3
	v_cndmask_b32_e64 v24, 0, 1, s6
	s_wait_alu 0xfffe
	s_or_b32 s2, s2, s4
	s_mov_b32 s3, exec_lo
	s_wait_alu 0xfffe
	s_and_b32 s2, s2, s5
	s_wait_alu 0xfffe
	v_cndmask_b32_e64 v24, v24, v25, s2
	s_delay_alu instid0(VALU_DEP_1) | instskip(NEXT) | instid1(VALU_DEP_1)
	v_and_b32_e32 v24, 1, v24
	v_cmpx_eq_u32_e32 1, v24
	s_cbranch_execz .LBB65_28
; %bb.27:
	ds_load_b128 v[29:32], v19
	v_lshlrev_b16 v25, 8, v28
	v_alignbit_b32 v24, v26, v26, 16
	s_delay_alu instid0(VALU_DEP_2)
	v_or_b32_e32 v25, v27, v25
	s_wait_dscnt 0x0
	v_dual_mov_b32 v33, v29 :: v_dual_mov_b32 v34, v30
	ds_store_b32 v3, v24
	ds_store_b128 v19, v[31:34]
	ds_store_b16 v4, v25
.LBB65_28:
	s_or_b32 exec_lo, exec_lo, s3
	v_and_b32_e32 v24, 15, v7
	s_wait_loadcnt_dscnt 0x0
	s_barrier_signal -1
	s_barrier_wait -1
	global_inv scope:SCOPE_SE
	v_sub_nc_u32_e32 v24, v16, v24
	s_delay_alu instid0(VALU_DEP_1)
	v_lshl_add_u32 v15, v24, 1, v15
	v_add_nc_u32_e32 v14, v14, v24
	ds_load_u16 v16, v15
	ds_load_u16 v25, v15 offset:32
	ds_load_u8 v26, v14
	ds_load_u8 v27, v14 offset:16
	s_wait_dscnt 0x3
	v_lshlrev_b32_e32 v28, 16, v16
	s_wait_dscnt 0x2
	v_lshlrev_b32_e32 v29, 16, v25
	s_wait_dscnt 0x1
	v_and_b32_e32 v30, 1, v26
	s_wait_dscnt 0x0
	v_and_b32_e32 v27, 0xff, v27
	v_cmp_u_f32_e64 s2, v28, v28
	v_cmp_o_f32_e64 s3, v29, v29
	v_cmp_lt_f32_e64 s4, v29, v28
	v_cmp_eq_u32_e64 s5, 1, v30
	s_and_b32 s2, s2, s3
	s_wait_alu 0xfffe
	s_or_b32 s3, s2, s4
	v_cmp_ne_u16_e64 s2, 0, v27
	s_wait_alu 0xfffe
	s_and_b32 s3, s3, s5
	s_wait_alu 0xfffe
	s_xor_b32 s3, s3, -1
	s_wait_alu 0xfffe
	s_and_b32 s3, s3, s2
	s_wait_alu 0xfffe
	s_and_saveexec_b32 s2, s3
	s_cbranch_execz .LBB65_30
; %bb.29:
	v_lshl_add_u32 v12, v24, 3, v12
	v_mov_b32_e32 v24, 1
	ds_load_2addr_b64 v[27:30], v12 offset1:16
	s_wait_dscnt 0x0
	ds_store_2addr_b64 v12, v[29:30], v[27:28] offset1:16
	ds_store_b16 v15, v25
	ds_store_b16 v15, v16 offset:32
	ds_store_b8 v14, v24
	ds_store_b8 v14, v26 offset:16
.LBB65_30:
	s_wait_alu 0xfffe
	s_or_b32 exec_lo, exec_lo, s2
	s_wait_loadcnt_dscnt 0x0
	s_barrier_signal -1
	s_barrier_wait -1
	global_inv scope:SCOPE_SE
	ds_load_u16 v12, v21
	ds_load_u16 v14, v21 offset:16
	ds_load_u8 v15, v22
	ds_load_u8 v16, v22 offset:8
	s_wait_dscnt 0x3
	v_lshlrev_b32_e32 v24, 16, v12
	s_wait_dscnt 0x2
	v_lshlrev_b32_e32 v25, 16, v14
	s_wait_dscnt 0x1
	v_and_b32_e32 v26, 1, v15
	s_wait_dscnt 0x0
	v_and_b32_e32 v16, 0xff, v16
	v_cmp_u_f32_e64 s2, v24, v24
	v_cmp_o_f32_e64 s3, v25, v25
	v_cmp_lt_f32_e64 s4, v25, v24
	v_cmp_eq_u32_e64 s5, 1, v26
	s_and_b32 s2, s2, s3
	s_wait_alu 0xfffe
	s_or_b32 s3, s2, s4
	v_cmp_ne_u16_e64 s2, 0, v16
	s_wait_alu 0xfffe
	s_and_b32 s3, s3, s5
	s_wait_alu 0xfffe
	s_xor_b32 s3, s3, -1
	s_wait_alu 0xfffe
	s_and_b32 s3, s3, s2
	s_wait_alu 0xfffe
	s_and_saveexec_b32 s2, s3
	s_cbranch_execz .LBB65_32
; %bb.31:
	ds_load_2addr_b64 v[24:27], v23 offset1:8
	v_mov_b32_e32 v16, 1
	s_wait_dscnt 0x0
	ds_store_2addr_b64 v23, v[26:27], v[24:25] offset1:8
	ds_store_b16 v21, v14
	ds_store_b16 v21, v12 offset:16
	ds_store_b8 v22, v16
	ds_store_b8 v22, v15 offset:8
.LBB65_32:
	s_wait_alu 0xfffe
	s_or_b32 exec_lo, exec_lo, s2
	s_wait_loadcnt_dscnt 0x0
	s_barrier_signal -1
	s_barrier_wait -1
	global_inv scope:SCOPE_SE
	ds_load_u16 v12, v17
	ds_load_u16 v14, v17 offset:8
	ds_load_u8 v15, v18
	ds_load_u8 v16, v18 offset:4
	s_wait_dscnt 0x3
	v_lshlrev_b32_e32 v21, 16, v12
	s_wait_dscnt 0x2
	v_lshlrev_b32_e32 v22, 16, v14
	s_wait_dscnt 0x1
	v_and_b32_e32 v23, 1, v15
	s_wait_dscnt 0x0
	v_and_b32_e32 v16, 0xff, v16
	v_cmp_u_f32_e64 s2, v21, v21
	v_cmp_o_f32_e64 s3, v22, v22
	v_cmp_lt_f32_e64 s4, v22, v21
	v_cmp_eq_u32_e64 s5, 1, v23
	s_and_b32 s2, s2, s3
	s_wait_alu 0xfffe
	s_or_b32 s3, s2, s4
	v_cmp_ne_u16_e64 s2, 0, v16
	s_wait_alu 0xfffe
	s_and_b32 s3, s3, s5
	s_wait_alu 0xfffe
	s_xor_b32 s3, s3, -1
	s_wait_alu 0xfffe
	s_and_b32 s3, s3, s2
	s_wait_alu 0xfffe
	s_and_saveexec_b32 s2, s3
	s_cbranch_execz .LBB65_34
; %bb.33:
	ds_load_2addr_b64 v[21:24], v20 offset1:4
	v_mov_b32_e32 v16, 1
	s_wait_dscnt 0x0
	ds_store_2addr_b64 v20, v[23:24], v[21:22] offset1:4
	ds_store_b16 v17, v14
	ds_store_b16 v17, v12 offset:8
	ds_store_b8 v18, v16
	ds_store_b8 v18, v15 offset:4
.LBB65_34:
	;; [unrolled: 45-line block ×3, first 2 shown]
	s_wait_alu 0xfffe
	s_or_b32 exec_lo, exec_lo, s2
	s_wait_loadcnt_dscnt 0x0
	s_barrier_signal -1
	s_barrier_wait -1
	global_inv scope:SCOPE_SE
	ds_load_b32 v10, v3
	ds_load_u16 v11, v4
	s_wait_dscnt 0x1
	v_lshlrev_b32_e32 v12, 16, v10
	v_and_b32_e32 v13, 0xffff0000, v10
	s_wait_dscnt 0x0
	v_and_b32_e32 v14, 1, v11
	s_delay_alu instid0(VALU_DEP_3) | instskip(NEXT) | instid1(VALU_DEP_3)
	v_cmp_u_f32_e64 s2, v12, v12
	v_cmp_o_f32_e64 s3, v13, v13
	v_cmp_lt_f32_e64 s4, v13, v12
	v_lshrrev_b16 v12, 8, v11
	v_cmp_eq_u32_e64 s5, 1, v14
	s_and_b32 s2, s2, s3
	s_wait_alu 0xfffe
	s_or_b32 s3, s2, s4
	v_cmp_ne_u16_e64 s2, 0, v12
	s_wait_alu 0xfffe
	s_and_b32 s3, s3, s5
	s_wait_alu 0xfffe
	s_xor_b32 s3, s3, -1
	s_wait_alu 0xfffe
	s_and_b32 s3, s3, s2
	s_wait_alu 0xfffe
	s_and_saveexec_b32 s2, s3
	s_cbranch_execz .LBB65_38
; %bb.37:
	ds_load_b128 v[12:15], v19
	v_lshlrev_b16 v17, 8, v11
	v_alignbit_b32 v16, v10, v10, 16
	s_wait_dscnt 0x0
	v_dual_mov_b32 v10, v14 :: v_dual_mov_b32 v11, v15
	s_delay_alu instid0(VALU_DEP_3)
	v_or_b32_e32 v14, 1, v17
	ds_store_b32 v3, v16
	ds_store_b128 v19, v[10:13]
	ds_store_b16 v4, v14
.LBB65_38:
	s_wait_alu 0xfffe
	s_or_b32 exec_lo, exec_lo, s2
	s_wait_loadcnt_dscnt 0x0
	s_barrier_signal -1
	s_barrier_wait -1
	global_inv scope:SCOPE_SE
	s_and_saveexec_b32 s2, s0
	s_cbranch_execz .LBB65_43
; %bb.39:
	s_and_saveexec_b32 s0, vcc_lo
	s_cbranch_execz .LBB65_41
; %bb.40:
	v_mad_co_u64_u32 v[3:4], null, v7, s10, v[2:3]
	v_mov_b32_e32 v4, 0
	v_mad_co_u64_u32 v[10:11], null, v7, s7, v[0:1]
	ds_load_u16 v12, v8
	ds_load_b64 v[7:8], v9
	v_mov_b32_e32 v11, v4
	v_lshlrev_b64_e32 v[3:4], 1, v[3:4]
	s_delay_alu instid0(VALU_DEP_2) | instskip(NEXT) | instid1(VALU_DEP_2)
	v_lshlrev_b64_e32 v[9:10], 3, v[10:11]
	v_add_co_u32 v3, vcc_lo, s12, v3
	s_wait_alu 0xfffd
	s_delay_alu instid0(VALU_DEP_3) | instskip(NEXT) | instid1(VALU_DEP_3)
	v_add_co_ci_u32_e64 v4, null, s13, v4, vcc_lo
	v_add_co_u32 v9, vcc_lo, s14, v9
	s_wait_alu 0xfffd
	v_add_co_ci_u32_e64 v10, null, s15, v10, vcc_lo
	s_wait_dscnt 0x1
	global_store_b16 v[3:4], v12, off
	s_wait_dscnt 0x0
	global_store_b64 v[9:10], v[7:8], off
.LBB65_41:
	s_wait_alu 0xfffe
	s_or_b32 exec_lo, exec_lo, s0
	s_delay_alu instid0(SALU_CYCLE_1)
	s_and_b32 exec_lo, exec_lo, s1
	s_cbranch_execz .LBB65_43
; %bb.42:
	v_mad_co_u64_u32 v[2:3], null, v1, s10, v[2:3]
	v_mov_b32_e32 v3, 0
	v_mad_co_u64_u32 v[0:1], null, v1, s7, v[0:1]
	ds_load_u16 v7, v5
	ds_load_b64 v[4:5], v6
	v_mov_b32_e32 v1, v3
	v_lshlrev_b64_e32 v[2:3], 1, v[2:3]
	s_delay_alu instid0(VALU_DEP_2) | instskip(NEXT) | instid1(VALU_DEP_2)
	v_lshlrev_b64_e32 v[0:1], 3, v[0:1]
	v_add_co_u32 v2, vcc_lo, s12, v2
	s_wait_alu 0xfffd
	s_delay_alu instid0(VALU_DEP_3) | instskip(NEXT) | instid1(VALU_DEP_3)
	v_add_co_ci_u32_e64 v3, null, s13, v3, vcc_lo
	v_add_co_u32 v0, vcc_lo, s14, v0
	s_wait_alu 0xfffd
	v_add_co_ci_u32_e64 v1, null, s15, v1, vcc_lo
	s_wait_dscnt 0x1
	global_store_b16 v[2:3], v7, off
	s_wait_dscnt 0x0
	global_store_b64 v[0:1], v[4:5], off
.LBB65_43:
	s_endpgm
	.section	.rodata,"a",@progbits
	.p2align	6, 0x0
	.amdhsa_kernel _ZN2at6native20bitonicSortKVInPlaceILin2ELin1ELi16ELi16EN3c108BFloat16ElNS0_4GTOpIS3_Lb1EEEjEEvNS_4cuda6detail10TensorInfoIT3_T6_EESA_SA_SA_NS8_IT4_SA_EESA_T5_
		.amdhsa_group_segment_fixed_size 5632
		.amdhsa_private_segment_fixed_size 0
		.amdhsa_kernarg_size 712
		.amdhsa_user_sgpr_count 2
		.amdhsa_user_sgpr_dispatch_ptr 0
		.amdhsa_user_sgpr_queue_ptr 0
		.amdhsa_user_sgpr_kernarg_segment_ptr 1
		.amdhsa_user_sgpr_dispatch_id 0
		.amdhsa_user_sgpr_private_segment_size 0
		.amdhsa_wavefront_size32 1
		.amdhsa_uses_dynamic_stack 0
		.amdhsa_enable_private_segment 0
		.amdhsa_system_sgpr_workgroup_id_x 1
		.amdhsa_system_sgpr_workgroup_id_y 1
		.amdhsa_system_sgpr_workgroup_id_z 1
		.amdhsa_system_sgpr_workgroup_info 0
		.amdhsa_system_vgpr_workitem_id 1
		.amdhsa_next_free_vgpr 35
		.amdhsa_next_free_sgpr 16
		.amdhsa_reserve_vcc 1
		.amdhsa_float_round_mode_32 0
		.amdhsa_float_round_mode_16_64 0
		.amdhsa_float_denorm_mode_32 3
		.amdhsa_float_denorm_mode_16_64 3
		.amdhsa_fp16_overflow 0
		.amdhsa_workgroup_processor_mode 1
		.amdhsa_memory_ordered 1
		.amdhsa_forward_progress 1
		.amdhsa_inst_pref_size 41
		.amdhsa_round_robin_scheduling 0
		.amdhsa_exception_fp_ieee_invalid_op 0
		.amdhsa_exception_fp_denorm_src 0
		.amdhsa_exception_fp_ieee_div_zero 0
		.amdhsa_exception_fp_ieee_overflow 0
		.amdhsa_exception_fp_ieee_underflow 0
		.amdhsa_exception_fp_ieee_inexact 0
		.amdhsa_exception_int_div_zero 0
	.end_amdhsa_kernel
	.section	.text._ZN2at6native20bitonicSortKVInPlaceILin2ELin1ELi16ELi16EN3c108BFloat16ElNS0_4GTOpIS3_Lb1EEEjEEvNS_4cuda6detail10TensorInfoIT3_T6_EESA_SA_SA_NS8_IT4_SA_EESA_T5_,"axG",@progbits,_ZN2at6native20bitonicSortKVInPlaceILin2ELin1ELi16ELi16EN3c108BFloat16ElNS0_4GTOpIS3_Lb1EEEjEEvNS_4cuda6detail10TensorInfoIT3_T6_EESA_SA_SA_NS8_IT4_SA_EESA_T5_,comdat
.Lfunc_end65:
	.size	_ZN2at6native20bitonicSortKVInPlaceILin2ELin1ELi16ELi16EN3c108BFloat16ElNS0_4GTOpIS3_Lb1EEEjEEvNS_4cuda6detail10TensorInfoIT3_T6_EESA_SA_SA_NS8_IT4_SA_EESA_T5_, .Lfunc_end65-_ZN2at6native20bitonicSortKVInPlaceILin2ELin1ELi16ELi16EN3c108BFloat16ElNS0_4GTOpIS3_Lb1EEEjEEvNS_4cuda6detail10TensorInfoIT3_T6_EESA_SA_SA_NS8_IT4_SA_EESA_T5_
                                        ; -- End function
	.set _ZN2at6native20bitonicSortKVInPlaceILin2ELin1ELi16ELi16EN3c108BFloat16ElNS0_4GTOpIS3_Lb1EEEjEEvNS_4cuda6detail10TensorInfoIT3_T6_EESA_SA_SA_NS8_IT4_SA_EESA_T5_.num_vgpr, 35
	.set _ZN2at6native20bitonicSortKVInPlaceILin2ELin1ELi16ELi16EN3c108BFloat16ElNS0_4GTOpIS3_Lb1EEEjEEvNS_4cuda6detail10TensorInfoIT3_T6_EESA_SA_SA_NS8_IT4_SA_EESA_T5_.num_agpr, 0
	.set _ZN2at6native20bitonicSortKVInPlaceILin2ELin1ELi16ELi16EN3c108BFloat16ElNS0_4GTOpIS3_Lb1EEEjEEvNS_4cuda6detail10TensorInfoIT3_T6_EESA_SA_SA_NS8_IT4_SA_EESA_T5_.numbered_sgpr, 16
	.set _ZN2at6native20bitonicSortKVInPlaceILin2ELin1ELi16ELi16EN3c108BFloat16ElNS0_4GTOpIS3_Lb1EEEjEEvNS_4cuda6detail10TensorInfoIT3_T6_EESA_SA_SA_NS8_IT4_SA_EESA_T5_.num_named_barrier, 0
	.set _ZN2at6native20bitonicSortKVInPlaceILin2ELin1ELi16ELi16EN3c108BFloat16ElNS0_4GTOpIS3_Lb1EEEjEEvNS_4cuda6detail10TensorInfoIT3_T6_EESA_SA_SA_NS8_IT4_SA_EESA_T5_.private_seg_size, 0
	.set _ZN2at6native20bitonicSortKVInPlaceILin2ELin1ELi16ELi16EN3c108BFloat16ElNS0_4GTOpIS3_Lb1EEEjEEvNS_4cuda6detail10TensorInfoIT3_T6_EESA_SA_SA_NS8_IT4_SA_EESA_T5_.uses_vcc, 1
	.set _ZN2at6native20bitonicSortKVInPlaceILin2ELin1ELi16ELi16EN3c108BFloat16ElNS0_4GTOpIS3_Lb1EEEjEEvNS_4cuda6detail10TensorInfoIT3_T6_EESA_SA_SA_NS8_IT4_SA_EESA_T5_.uses_flat_scratch, 0
	.set _ZN2at6native20bitonicSortKVInPlaceILin2ELin1ELi16ELi16EN3c108BFloat16ElNS0_4GTOpIS3_Lb1EEEjEEvNS_4cuda6detail10TensorInfoIT3_T6_EESA_SA_SA_NS8_IT4_SA_EESA_T5_.has_dyn_sized_stack, 0
	.set _ZN2at6native20bitonicSortKVInPlaceILin2ELin1ELi16ELi16EN3c108BFloat16ElNS0_4GTOpIS3_Lb1EEEjEEvNS_4cuda6detail10TensorInfoIT3_T6_EESA_SA_SA_NS8_IT4_SA_EESA_T5_.has_recursion, 0
	.set _ZN2at6native20bitonicSortKVInPlaceILin2ELin1ELi16ELi16EN3c108BFloat16ElNS0_4GTOpIS3_Lb1EEEjEEvNS_4cuda6detail10TensorInfoIT3_T6_EESA_SA_SA_NS8_IT4_SA_EESA_T5_.has_indirect_call, 0
	.section	.AMDGPU.csdata,"",@progbits
; Kernel info:
; codeLenInByte = 5244
; TotalNumSgprs: 18
; NumVgprs: 35
; ScratchSize: 0
; MemoryBound: 0
; FloatMode: 240
; IeeeMode: 1
; LDSByteSize: 5632 bytes/workgroup (compile time only)
; SGPRBlocks: 0
; VGPRBlocks: 4
; NumSGPRsForWavesPerEU: 18
; NumVGPRsForWavesPerEU: 35
; Occupancy: 16
; WaveLimiterHint : 1
; COMPUTE_PGM_RSRC2:SCRATCH_EN: 0
; COMPUTE_PGM_RSRC2:USER_SGPR: 2
; COMPUTE_PGM_RSRC2:TRAP_HANDLER: 0
; COMPUTE_PGM_RSRC2:TGID_X_EN: 1
; COMPUTE_PGM_RSRC2:TGID_Y_EN: 1
; COMPUTE_PGM_RSRC2:TGID_Z_EN: 1
; COMPUTE_PGM_RSRC2:TIDIG_COMP_CNT: 1
	.section	.text._ZN2at6native20bitonicSortKVInPlaceILi2ELin1ELi16ELi16EN3c108BFloat16ElNS0_4LTOpIS3_Lb1EEEjEEvNS_4cuda6detail10TensorInfoIT3_T6_EESA_SA_SA_NS8_IT4_SA_EESA_T5_,"axG",@progbits,_ZN2at6native20bitonicSortKVInPlaceILi2ELin1ELi16ELi16EN3c108BFloat16ElNS0_4LTOpIS3_Lb1EEEjEEvNS_4cuda6detail10TensorInfoIT3_T6_EESA_SA_SA_NS8_IT4_SA_EESA_T5_,comdat
	.protected	_ZN2at6native20bitonicSortKVInPlaceILi2ELin1ELi16ELi16EN3c108BFloat16ElNS0_4LTOpIS3_Lb1EEEjEEvNS_4cuda6detail10TensorInfoIT3_T6_EESA_SA_SA_NS8_IT4_SA_EESA_T5_ ; -- Begin function _ZN2at6native20bitonicSortKVInPlaceILi2ELin1ELi16ELi16EN3c108BFloat16ElNS0_4LTOpIS3_Lb1EEEjEEvNS_4cuda6detail10TensorInfoIT3_T6_EESA_SA_SA_NS8_IT4_SA_EESA_T5_
	.globl	_ZN2at6native20bitonicSortKVInPlaceILi2ELin1ELi16ELi16EN3c108BFloat16ElNS0_4LTOpIS3_Lb1EEEjEEvNS_4cuda6detail10TensorInfoIT3_T6_EESA_SA_SA_NS8_IT4_SA_EESA_T5_
	.p2align	8
	.type	_ZN2at6native20bitonicSortKVInPlaceILi2ELin1ELi16ELi16EN3c108BFloat16ElNS0_4LTOpIS3_Lb1EEEjEEvNS_4cuda6detail10TensorInfoIT3_T6_EESA_SA_SA_NS8_IT4_SA_EESA_T5_,@function
_ZN2at6native20bitonicSortKVInPlaceILi2ELin1ELi16ELi16EN3c108BFloat16ElNS0_4LTOpIS3_Lb1EEEjEEvNS_4cuda6detail10TensorInfoIT3_T6_EESA_SA_SA_NS8_IT4_SA_EESA_T5_: ; @_ZN2at6native20bitonicSortKVInPlaceILi2ELin1ELi16ELi16EN3c108BFloat16ElNS0_4LTOpIS3_Lb1EEEjEEvNS_4cuda6detail10TensorInfoIT3_T6_EESA_SA_SA_NS8_IT4_SA_EESA_T5_
; %bb.0:
	s_clause 0x2
	s_load_b64 s[2:3], s[0:1], 0x1c8
	s_load_u16 s4, s[0:1], 0x1d6
	s_load_b96 s[8:10], s[0:1], 0xd8
	s_lshr_b32 s5, ttmp7, 16
	s_wait_kmcnt 0x0
	s_mul_i32 s3, s3, s5
	s_and_b32 s5, ttmp7, 0xffff
	s_delay_alu instid0(SALU_CYCLE_1) | instskip(NEXT) | instid1(SALU_CYCLE_1)
	s_add_co_i32 s3, s3, s5
	s_mul_i32 s2, s3, s2
	s_delay_alu instid0(SALU_CYCLE_1) | instskip(NEXT) | instid1(SALU_CYCLE_1)
	s_add_co_i32 s2, s2, ttmp9
	s_mul_i32 s4, s2, s4
	s_delay_alu instid0(SALU_CYCLE_1)
	s_cmp_ge_u32 s4, s8
	s_cbranch_scc1 .LBB66_44
; %bb.1:
	s_clause 0x3
	s_load_b32 s11, s[0:1], 0xc
	s_load_b64 s[2:3], s[0:1], 0x6c
	s_load_b32 s14, s[0:1], 0x1b8
	s_load_b64 s[12:13], s[0:1], 0x0
	v_bfe_u32 v8, v0, 10, 10
	s_mov_b32 s7, 0
	s_delay_alu instid0(VALU_DEP_1) | instskip(SKIP_4) | instid1(SALU_CYCLE_1)
	v_add_nc_u32_e32 v4, s4, v8
	s_wait_kmcnt 0x0
	s_cvt_f32_u32 s5, s11
	s_sub_co_i32 s6, 0, s11
	s_wait_alu 0xfffe
	v_rcp_iflag_f32_e32 v1, s5
	s_delay_alu instid0(TRANS32_DEP_1) | instskip(SKIP_3) | instid1(SALU_CYCLE_2)
	v_readfirstlane_b32 s5, v1
	v_mov_b32_e32 v1, 0
	s_mul_f32 s5, s5, 0x4f7ffffe
	s_wait_alu 0xfffe
	s_cvt_u32_f32 s5, s5
	s_wait_alu 0xfffe
	s_delay_alu instid0(SALU_CYCLE_2) | instskip(NEXT) | instid1(SALU_CYCLE_1)
	s_mul_i32 s6, s6, s5
	s_mul_hi_u32 s4, s5, s6
	s_wait_alu 0xfffe
	s_add_co_i32 s5, s5, s4
	s_cmp_lt_i32 s14, 2
	s_wait_alu 0xfffe
	v_mad_co_u64_u32 v[2:3], null, v4, s5, 0
	s_add_nc_u64 s[4:5], s[0:1], 0xe8
	s_cbranch_scc1 .LBB66_4
; %bb.2:
	s_add_co_i32 s6, s14, -1
	v_mov_b32_e32 v1, 0
	s_lshl_b64 s[6:7], s[6:7], 2
	v_mov_b32_e32 v5, v4
	s_wait_alu 0xfffe
	s_add_nc_u64 s[6:7], s[4:5], s[6:7]
	s_add_co_i32 s14, s14, 1
	s_add_nc_u64 s[6:7], s[6:7], 8
.LBB66_3:                               ; =>This Inner Loop Header: Depth=1
	s_clause 0x1
	s_load_b32 s15, s[6:7], 0x0
	s_load_b32 s16, s[6:7], 0x64
	s_add_co_i32 s14, s14, -1
	s_add_nc_u64 s[6:7], s[6:7], -4
	s_wait_kmcnt 0x0
	s_cvt_f32_u32 s17, s15
	s_sub_co_i32 s18, 0, s15
	s_wait_alu 0xfffe
	s_delay_alu instid0(SALU_CYCLE_1) | instskip(NEXT) | instid1(TRANS32_DEP_1)
	v_rcp_iflag_f32_e32 v2, s17
	v_readfirstlane_b32 s17, v2
	v_mov_b32_e32 v2, v5
	s_mul_f32 s17, s17, 0x4f7ffffe
	s_wait_alu 0xfffe
	s_delay_alu instid0(SALU_CYCLE_2) | instskip(SKIP_1) | instid1(SALU_CYCLE_2)
	s_cvt_u32_f32 s17, s17
	s_wait_alu 0xfffe
	s_mul_i32 s18, s18, s17
	s_delay_alu instid0(SALU_CYCLE_1) | instskip(NEXT) | instid1(SALU_CYCLE_1)
	s_mul_hi_u32 s18, s17, s18
	s_add_co_i32 s17, s17, s18
	s_cmp_gt_u32 s14, 2
	s_wait_alu 0xfffe
	v_mul_hi_u32 v5, v2, s17
	s_delay_alu instid0(VALU_DEP_1) | instskip(SKIP_1) | instid1(VALU_DEP_2)
	v_mul_lo_u32 v6, v5, s15
	v_add_nc_u32_e32 v7, 1, v5
	v_sub_nc_u32_e32 v6, v2, v6
	s_delay_alu instid0(VALU_DEP_1) | instskip(SKIP_2) | instid1(VALU_DEP_2)
	v_subrev_nc_u32_e32 v9, s15, v6
	v_cmp_le_u32_e32 vcc_lo, s15, v6
	s_wait_alu 0xfffd
	v_dual_cndmask_b32 v5, v5, v7 :: v_dual_cndmask_b32 v6, v6, v9
	s_delay_alu instid0(VALU_DEP_1) | instskip(NEXT) | instid1(VALU_DEP_2)
	v_add_nc_u32_e32 v7, 1, v5
	v_cmp_le_u32_e32 vcc_lo, s15, v6
	s_wait_alu 0xfffd
	s_delay_alu instid0(VALU_DEP_2) | instskip(NEXT) | instid1(VALU_DEP_1)
	v_cndmask_b32_e32 v5, v5, v7, vcc_lo
	v_mul_lo_u32 v6, v5, s15
	s_delay_alu instid0(VALU_DEP_1) | instskip(NEXT) | instid1(VALU_DEP_1)
	v_sub_nc_u32_e32 v2, v2, v6
	v_mad_co_u64_u32 v[1:2], null, s16, v2, v[1:2]
	s_cbranch_scc1 .LBB66_3
	s_branch .LBB66_5
.LBB66_4:
	v_mov_b32_e32 v5, v4
.LBB66_5:
	v_mul_lo_u32 v2, v3, s11
	v_add_nc_u32_e32 v6, 1, v3
	s_load_b32 s16, s[4:5], 0x6c
	s_add_nc_u64 s[6:7], s[0:1], 0x1c8
	v_mov_b32_e32 v10, 0
	s_load_b32 s6, s[6:7], 0xc
	s_clause 0x1
	s_load_b32 s7, s[0:1], 0x1c0
	s_load_b64 s[14:15], s[4:5], 0x0
	v_cmp_gt_u32_e64 s0, s8, v4
	v_sub_nc_u32_e32 v2, v4, v2
	v_mov_b32_e32 v11, 0
	s_delay_alu instid0(VALU_DEP_2) | instskip(SKIP_2) | instid1(VALU_DEP_2)
	v_subrev_nc_u32_e32 v7, s11, v2
	v_cmp_le_u32_e32 vcc_lo, s11, v2
	s_wait_alu 0xfffd
	v_dual_cndmask_b32 v3, v3, v6 :: v_dual_cndmask_b32 v2, v2, v7
	s_delay_alu instid0(VALU_DEP_1) | instskip(NEXT) | instid1(VALU_DEP_2)
	v_add_nc_u32_e32 v6, 1, v3
	v_cmp_le_u32_e32 vcc_lo, s11, v2
	s_wait_alu 0xfffd
	s_delay_alu instid0(VALU_DEP_2) | instskip(NEXT) | instid1(VALU_DEP_1)
	v_dual_cndmask_b32 v3, v3, v6 :: v_dual_and_b32 v6, 0x3ff, v0
	v_mul_lo_u32 v2, v3, s11
	s_delay_alu instid0(VALU_DEP_2) | instskip(NEXT) | instid1(VALU_DEP_2)
	v_cmp_gt_u32_e32 vcc_lo, s9, v6
	v_sub_nc_u32_e32 v2, v4, v2
	s_delay_alu instid0(VALU_DEP_1) | instskip(SKIP_1) | instid1(VALU_DEP_1)
	v_mul_lo_u32 v2, v2, s3
	s_wait_kmcnt 0x0
	v_mad_co_u64_u32 v[0:1], null, s16, v5, v[1:2]
	v_mad_co_u64_u32 v[1:2], null, v3, s2, v[2:3]
	v_mov_b32_e32 v2, 0
	v_dual_mov_b32 v4, 0 :: v_dual_mov_b32 v3, 0
	v_mov_b32_e32 v5, 0
	s_and_b32 s2, s0, vcc_lo
	s_wait_alu 0xfffe
	s_and_saveexec_b32 s3, s2
	s_cbranch_execz .LBB66_7
; %bb.6:
	v_mad_co_u64_u32 v[4:5], null, v6, s10, v[1:2]
	v_mov_b32_e32 v5, 0
	v_mad_co_u64_u32 v[11:12], null, v6, s7, v[0:1]
	s_delay_alu instid0(VALU_DEP_2) | instskip(NEXT) | instid1(VALU_DEP_4)
	v_mov_b32_e32 v12, v5
	v_lshlrev_b64_e32 v[4:5], 1, v[4:5]
	s_delay_alu instid0(VALU_DEP_2) | instskip(NEXT) | instid1(VALU_DEP_2)
	v_lshlrev_b64_e32 v[11:12], 3, v[11:12]
	v_add_co_u32 v4, s1, s12, v4
	s_delay_alu instid0(VALU_DEP_1) | instskip(NEXT) | instid1(VALU_DEP_3)
	v_add_co_ci_u32_e64 v5, null, s13, v5, s1
	v_add_co_u32 v13, s1, s14, v11
	s_wait_alu 0xf1ff
	s_delay_alu instid0(VALU_DEP_4)
	v_add_co_ci_u32_e64 v14, null, s15, v12, s1
	global_load_u16 v11, v[4:5], off
	global_load_b64 v[4:5], v[13:14], off
.LBB66_7:
	s_wait_alu 0xfffe
	s_or_b32 exec_lo, exec_lo, s3
	s_and_b32 s3, 0xffff, s6
	v_lshl_add_u32 v15, v8, 6, 0x1000
	s_wait_alu 0xfffe
	v_add_nc_u32_e32 v7, s3, v6
	v_lshlrev_b32_e32 v12, 8, v8
	v_lshl_add_u32 v14, v8, 5, 0x1400
	v_cndmask_b32_e64 v13, 0, 1, s2
	v_lshl_add_u32 v8, v6, 1, v15
	v_cmp_gt_u32_e64 s1, s9, v7
	v_lshl_add_u32 v9, v6, 3, v12
	v_add_nc_u32_e32 v16, v14, v6
	s_wait_loadcnt 0x1
	ds_store_b16 v8, v11
	s_wait_loadcnt 0x0
	ds_store_b64 v9, v[4:5]
	ds_store_b8 v16, v13
	s_and_b32 s4, s0, s1
	s_wait_alu 0xfffe
	s_and_saveexec_b32 s5, s4
	s_cbranch_execz .LBB66_9
; %bb.8:
	v_mad_co_u64_u32 v[2:3], null, v7, s10, v[1:2]
	v_mov_b32_e32 v3, 0
	v_mad_co_u64_u32 v[4:5], null, v7, s7, v[0:1]
	s_delay_alu instid0(VALU_DEP_2) | instskip(NEXT) | instid1(VALU_DEP_4)
	v_mov_b32_e32 v5, v3
	v_lshlrev_b64_e32 v[2:3], 1, v[2:3]
	s_delay_alu instid0(VALU_DEP_2) | instskip(NEXT) | instid1(VALU_DEP_2)
	v_lshlrev_b64_e32 v[4:5], 3, v[4:5]
	v_add_co_u32 v2, s2, s12, v2
	s_wait_alu 0xf1ff
	s_delay_alu instid0(VALU_DEP_3) | instskip(NEXT) | instid1(VALU_DEP_3)
	v_add_co_ci_u32_e64 v3, null, s13, v3, s2
	v_add_co_u32 v4, s2, s14, v4
	s_wait_alu 0xf1ff
	v_add_co_ci_u32_e64 v5, null, s15, v5, s2
	global_load_u16 v10, v[2:3], off
	global_load_b64 v[2:3], v[4:5], off
.LBB66_9:
	s_wait_alu 0xfffe
	s_or_b32 exec_lo, exec_lo, s5
	v_lshl_add_u32 v4, s3, 1, v8
	v_lshlrev_b32_e32 v16, 1, v6
	v_lshl_add_u32 v5, s3, 3, v9
	v_cndmask_b32_e64 v11, 0, 1, s4
	v_add_nc_u32_e32 v13, v14, v7
	s_wait_loadcnt 0x1
	ds_store_b16 v4, v10
	s_wait_loadcnt 0x0
	ds_store_b64 v5, v[2:3]
	ds_store_b8 v13, v11
	v_add_nc_u32_e32 v2, v8, v16
	v_add_nc_u32_e32 v3, v14, v16
	s_wait_dscnt 0x0
	s_barrier_signal -1
	s_barrier_wait -1
	global_inv scope:SCOPE_SE
	ds_load_b32 v11, v2
	ds_load_u16 v13, v3
	v_and_b32_e32 v10, 1, v6
	s_wait_dscnt 0x1
	v_and_b32_e32 v17, 0xffff0000, v11
	v_lshlrev_b32_e32 v19, 16, v11
	s_wait_dscnt 0x0
	v_lshrrev_b16 v18, 8, v13
	v_and_b32_e32 v20, 1, v13
	v_cmp_u_f32_e64 s2, v17, v17
	v_cmp_o_f32_e64 s3, v19, v19
	s_delay_alu instid0(VALU_DEP_4)
	v_cmp_ne_u16_e64 s6, v18, v10
	v_cmp_lt_f32_e64 s4, v19, v17
	v_cmp_eq_u32_e64 s5, 1, v20
	s_and_b32 s2, s2, s3
	v_cndmask_b32_e64 v17, 0, 1, s6
	s_wait_alu 0xfffe
	s_or_b32 s2, s2, s4
	s_wait_alu 0xfffe
	s_and_b32 s2, s2, s5
	s_wait_alu 0xfffe
	v_cndmask_b32_e64 v17, v17, v6, s2
	s_delay_alu instid0(VALU_DEP_1) | instskip(NEXT) | instid1(VALU_DEP_1)
	v_and_b32_e32 v17, 1, v17
	v_cmp_eq_u32_e64 s2, 1, v17
	v_lshl_add_u32 v17, v6, 3, v9
	s_and_saveexec_b32 s3, s2
	s_wait_alu 0xfffe
	s_xor_b32 s2, exec_lo, s3
	s_cbranch_execz .LBB66_11
; %bb.10:
	ds_load_b128 v[19:22], v17
	v_lshlrev_b16 v13, 8, v13
	v_alignbit_b32 v11, v11, v11, 16
	s_delay_alu instid0(VALU_DEP_2)
	v_or_b32_e32 v13, v18, v13
	s_wait_dscnt 0x0
	v_dual_mov_b32 v23, v19 :: v_dual_mov_b32 v24, v20
	ds_store_b32 v2, v11
	ds_store_b128 v17, v[21:24]
	ds_store_b16 v3, v13
.LBB66_11:
	s_wait_alu 0xfffe
	s_or_b32 exec_lo, exec_lo, s2
	v_sub_nc_u32_e32 v13, v16, v10
	s_wait_loadcnt_dscnt 0x0
	s_barrier_signal -1
	s_barrier_wait -1
	global_inv scope:SCOPE_SE
	v_lshl_add_u32 v10, v13, 1, v15
	v_add_nc_u32_e32 v11, v14, v13
	v_bfe_u32 v24, v6, 1, 1
	v_lshl_add_u32 v13, v13, 3, v12
	ds_load_u16 v19, v10 offset:4
	ds_load_u16 v18, v10
	ds_load_u8 v20, v11
	ds_load_u8 v22, v11 offset:2
	s_wait_dscnt 0x3
	v_lshlrev_b32_e32 v21, 16, v19
	s_wait_dscnt 0x2
	v_lshlrev_b32_e32 v23, 16, v18
	s_wait_dscnt 0x1
	v_and_b32_e32 v25, 1, v20
	s_wait_dscnt 0x0
	v_cmp_ne_u16_e64 s5, v22, v24
	v_cmp_u_f32_e64 s2, v21, v21
	v_cmp_o_f32_e64 s3, v23, v23
	v_cmp_lt_f32_e64 s4, v23, v21
	s_wait_alu 0xf1ff
	v_cndmask_b32_e64 v21, 0, 1, s5
	v_cmp_eq_u32_e64 s5, 1, v25
	s_and_b32 s2, s2, s3
	s_wait_alu 0xfffe
	s_or_b32 s2, s2, s4
	s_wait_alu 0xfffe
	s_and_b32 s2, s2, s5
	s_wait_alu 0xfffe
	v_cndmask_b32_e64 v23, v21, v24, s2
	v_and_b32_e32 v21, 2, v6
	s_delay_alu instid0(VALU_DEP_2) | instskip(NEXT) | instid1(VALU_DEP_2)
	v_and_b32_e32 v23, 1, v23
	v_cmp_ne_u32_e64 s2, 0, v21
	s_delay_alu instid0(VALU_DEP_2)
	v_cmp_eq_u32_e64 s3, 1, v23
	s_and_saveexec_b32 s4, s3
	s_wait_alu 0xfffe
	s_xor_b32 s3, exec_lo, s4
	s_cbranch_execz .LBB66_13
; %bb.12:
	ds_load_2addr_b64 v[23:26], v13 offset1:2
	s_wait_dscnt 0x0
	ds_store_2addr_b64 v13, v[25:26], v[23:24] offset1:2
	ds_store_b16 v10, v19
	ds_store_b16 v10, v18 offset:4
	ds_store_b8 v11, v22
	ds_store_b8 v11, v20 offset:2
.LBB66_13:
	s_wait_alu 0xfffe
	s_or_b32 exec_lo, exec_lo, s3
	s_wait_loadcnt_dscnt 0x0
	s_barrier_signal -1
	s_barrier_wait -1
	global_inv scope:SCOPE_SE
	ds_load_b32 v18, v2
	ds_load_u16 v19, v3
	v_lshrrev_b32_e32 v21, 1, v21
	v_cndmask_b32_e64 v24, 0, 1, s2
	s_wait_dscnt 0x1
	v_and_b32_e32 v22, 0xffff0000, v18
	v_lshlrev_b32_e32 v23, 16, v18
	s_wait_dscnt 0x0
	v_lshrrev_b16 v20, 8, v19
	v_and_b32_e32 v25, 1, v19
	v_cmp_u_f32_e64 s2, v22, v22
	v_cmp_o_f32_e64 s3, v23, v23
	s_delay_alu instid0(VALU_DEP_4)
	v_cmp_ne_u16_e64 s6, v20, v21
	v_cmp_lt_f32_e64 s4, v23, v22
	v_cmp_eq_u32_e64 s5, 1, v25
	s_and_b32 s2, s2, s3
	v_cndmask_b32_e64 v21, 0, 1, s6
	s_wait_alu 0xfffe
	s_or_b32 s2, s2, s4
	s_mov_b32 s3, exec_lo
	s_wait_alu 0xfffe
	s_and_b32 s2, s2, s5
	s_wait_alu 0xfffe
	v_cndmask_b32_e64 v21, v21, v24, s2
	s_delay_alu instid0(VALU_DEP_1) | instskip(NEXT) | instid1(VALU_DEP_1)
	v_and_b32_e32 v21, 1, v21
	v_cmpx_eq_u32_e32 1, v21
	s_cbranch_execz .LBB66_15
; %bb.14:
	ds_load_b128 v[21:24], v17
	v_lshlrev_b16 v19, 8, v19
	v_alignbit_b32 v18, v18, v18, 16
	s_delay_alu instid0(VALU_DEP_2)
	v_or_b32_e32 v19, v20, v19
	s_wait_dscnt 0x0
	v_dual_mov_b32 v25, v21 :: v_dual_mov_b32 v26, v22
	ds_store_b32 v2, v18
	ds_store_b128 v17, v[23:26]
	ds_store_b16 v3, v19
.LBB66_15:
	s_or_b32 exec_lo, exec_lo, s3
	v_and_b32_e32 v17, 3, v6
	s_wait_loadcnt_dscnt 0x0
	s_barrier_signal -1
	s_barrier_wait -1
	global_inv scope:SCOPE_SE
	v_sub_nc_u32_e32 v20, v16, v17
	v_bfe_u32 v26, v6, 2, 1
	s_delay_alu instid0(VALU_DEP_2)
	v_lshl_add_u32 v17, v20, 1, v15
	v_add_nc_u32_e32 v18, v14, v20
	v_lshl_add_u32 v20, v20, 3, v12
	ds_load_u16 v21, v17 offset:8
	ds_load_u16 v19, v17
	ds_load_u8 v22, v18
	ds_load_u8 v23, v18 offset:4
	s_wait_dscnt 0x3
	v_lshlrev_b32_e32 v24, 16, v21
	s_wait_dscnt 0x2
	v_lshlrev_b32_e32 v25, 16, v19
	s_wait_dscnt 0x1
	v_and_b32_e32 v27, 1, v22
	s_wait_dscnt 0x0
	v_cmp_ne_u16_e64 s5, v23, v26
	v_cmp_u_f32_e64 s2, v24, v24
	v_cmp_o_f32_e64 s3, v25, v25
	v_cmp_lt_f32_e64 s4, v25, v24
	s_wait_alu 0xf1ff
	v_cndmask_b32_e64 v24, 0, 1, s5
	v_cmp_eq_u32_e64 s5, 1, v27
	s_and_b32 s2, s2, s3
	s_wait_alu 0xfffe
	s_or_b32 s2, s2, s4
	s_mov_b32 s4, exec_lo
	s_wait_alu 0xfffe
	s_and_b32 s2, s2, s5
	s_wait_alu 0xfffe
	v_cndmask_b32_e64 v25, v24, v26, s2
	v_and_b32_e32 v24, 4, v6
	s_delay_alu instid0(VALU_DEP_2) | instskip(NEXT) | instid1(VALU_DEP_2)
	v_and_b32_e32 v25, 1, v25
	v_cmp_ne_u32_e64 s2, 0, v24
	s_delay_alu instid0(VALU_DEP_2)
	v_cmpx_eq_u32_e32 1, v25
	s_cbranch_execz .LBB66_17
; %bb.16:
	ds_load_2addr_b64 v[25:28], v20 offset1:4
	s_wait_dscnt 0x0
	ds_store_2addr_b64 v20, v[27:28], v[25:26] offset1:4
	ds_store_b16 v17, v21
	ds_store_b16 v17, v19 offset:8
	ds_store_b8 v18, v23
	ds_store_b8 v18, v22 offset:4
.LBB66_17:
	s_or_b32 exec_lo, exec_lo, s4
	s_wait_loadcnt_dscnt 0x0
	s_barrier_signal -1
	s_barrier_wait -1
	global_inv scope:SCOPE_SE
	ds_load_u16 v23, v10 offset:4
	ds_load_u16 v22, v10
	ds_load_u8 v25, v11
	ds_load_u8 v26, v11 offset:2
	v_lshrrev_b32_e32 v19, 2, v24
	v_cndmask_b32_e64 v21, 0, 1, s2
	s_wait_dscnt 0x3
	v_lshlrev_b32_e32 v27, 16, v23
	s_wait_dscnt 0x2
	v_lshlrev_b32_e32 v28, 16, v22
	s_wait_dscnt 0x1
	v_and_b32_e32 v24, 1, v25
	s_wait_dscnt 0x0
	v_cmp_ne_u16_e64 s5, v26, v19
	v_cmp_u_f32_e64 s2, v27, v27
	v_cmp_o_f32_e64 s3, v28, v28
	v_cmp_lt_f32_e64 s4, v28, v27
	s_wait_alu 0xf1ff
	v_cndmask_b32_e64 v27, 0, 1, s5
	v_cmp_eq_u32_e64 s5, 1, v24
	s_and_b32 s2, s2, s3
	s_mov_b32 s3, exec_lo
	s_wait_alu 0xfffe
	s_or_b32 s2, s2, s4
	s_wait_alu 0xfffe
	s_and_b32 s2, s2, s5
	s_wait_alu 0xfffe
	v_cndmask_b32_e64 v24, v27, v21, s2
	s_delay_alu instid0(VALU_DEP_1) | instskip(NEXT) | instid1(VALU_DEP_1)
	v_and_b32_e32 v24, 1, v24
	v_cmpx_eq_u32_e32 1, v24
	s_cbranch_execz .LBB66_19
; %bb.18:
	ds_load_2addr_b64 v[27:30], v13 offset1:2
	s_wait_dscnt 0x0
	ds_store_2addr_b64 v13, v[29:30], v[27:28] offset1:2
	ds_store_b16 v10, v23
	ds_store_b16 v10, v22 offset:4
	ds_store_b8 v11, v26
	ds_store_b8 v11, v25 offset:2
.LBB66_19:
	s_or_b32 exec_lo, exec_lo, s3
	s_wait_loadcnt_dscnt 0x0
	s_barrier_signal -1
	s_barrier_wait -1
	global_inv scope:SCOPE_SE
	ds_load_b32 v22, v2
	ds_load_u16 v24, v3
	s_wait_dscnt 0x1
	v_and_b32_e32 v25, 0xffff0000, v22
	v_lshlrev_b32_e32 v26, 16, v22
	s_wait_dscnt 0x0
	v_lshrrev_b16 v23, 8, v24
	v_and_b32_e32 v27, 1, v24
	v_cmp_u_f32_e64 s2, v25, v25
	v_cmp_o_f32_e64 s3, v26, v26
	s_delay_alu instid0(VALU_DEP_4)
	v_cmp_ne_u16_e64 s6, v23, v19
	v_cmp_lt_f32_e64 s4, v26, v25
	v_cmp_eq_u32_e64 s5, 1, v27
	s_and_b32 s2, s2, s3
	v_cndmask_b32_e64 v19, 0, 1, s6
	s_wait_alu 0xfffe
	s_or_b32 s2, s2, s4
	s_wait_alu 0xfffe
	s_and_b32 s2, s2, s5
	s_wait_alu 0xfffe
	v_cndmask_b32_e64 v19, v19, v21, s2
	s_delay_alu instid0(VALU_DEP_1) | instskip(NEXT) | instid1(VALU_DEP_1)
	v_and_b32_e32 v19, 1, v19
	v_cmp_eq_u32_e64 s2, 1, v19
	v_lshl_add_u32 v19, v16, 3, v12
	s_and_saveexec_b32 s3, s2
	s_cbranch_execz .LBB66_21
; %bb.20:
	ds_load_b128 v[25:28], v19
	v_alignbit_b32 v21, v22, v22, 16
	v_lshlrev_b16 v22, 8, v24
	s_delay_alu instid0(VALU_DEP_1)
	v_or_b32_e32 v22, v23, v22
	s_wait_dscnt 0x0
	v_dual_mov_b32 v29, v25 :: v_dual_mov_b32 v30, v26
	ds_store_b32 v2, v21
	ds_store_b128 v19, v[27:30]
	ds_store_b16 v3, v22
.LBB66_21:
	s_wait_alu 0xfffe
	s_or_b32 exec_lo, exec_lo, s3
	v_and_b32_e32 v21, 7, v6
	s_wait_loadcnt_dscnt 0x0
	s_barrier_signal -1
	s_barrier_wait -1
	global_inv scope:SCOPE_SE
	v_sub_nc_u32_e32 v23, v16, v21
	v_bfe_u32 v30, v6, 3, 1
	s_delay_alu instid0(VALU_DEP_2)
	v_lshl_add_u32 v21, v23, 1, v15
	v_add_nc_u32_e32 v22, v14, v23
	v_lshl_add_u32 v23, v23, 3, v12
	ds_load_u16 v25, v21 offset:16
	ds_load_u16 v24, v21
	ds_load_u8 v26, v22
	ds_load_u8 v27, v22 offset:8
	s_wait_dscnt 0x3
	v_lshlrev_b32_e32 v28, 16, v25
	s_wait_dscnt 0x2
	v_lshlrev_b32_e32 v29, 16, v24
	s_wait_dscnt 0x1
	v_and_b32_e32 v31, 1, v26
	s_wait_dscnt 0x0
	v_cmp_ne_u16_e64 s5, v27, v30
	v_cmp_u_f32_e64 s2, v28, v28
	v_cmp_o_f32_e64 s3, v29, v29
	v_cmp_lt_f32_e64 s4, v29, v28
	s_wait_alu 0xf1ff
	v_cndmask_b32_e64 v28, 0, 1, s5
	v_cmp_eq_u32_e64 s5, 1, v31
	s_and_b32 s2, s2, s3
	s_wait_alu 0xfffe
	s_or_b32 s2, s2, s4
	s_mov_b32 s4, exec_lo
	s_wait_alu 0xfffe
	s_and_b32 s2, s2, s5
	s_wait_alu 0xfffe
	v_cndmask_b32_e64 v29, v28, v30, s2
	v_and_b32_e32 v28, 8, v6
	s_delay_alu instid0(VALU_DEP_2) | instskip(NEXT) | instid1(VALU_DEP_2)
	v_and_b32_e32 v29, 1, v29
	v_cmp_ne_u32_e64 s2, 0, v28
	s_delay_alu instid0(VALU_DEP_2)
	v_cmpx_eq_u32_e32 1, v29
	s_cbranch_execz .LBB66_23
; %bb.22:
	ds_load_2addr_b64 v[29:32], v23 offset1:8
	s_wait_dscnt 0x0
	ds_store_2addr_b64 v23, v[31:32], v[29:30] offset1:8
	ds_store_b16 v21, v25
	ds_store_b16 v21, v24 offset:16
	ds_store_b8 v22, v27
	ds_store_b8 v22, v26 offset:8
.LBB66_23:
	s_or_b32 exec_lo, exec_lo, s4
	s_wait_loadcnt_dscnt 0x0
	s_barrier_signal -1
	s_barrier_wait -1
	global_inv scope:SCOPE_SE
	ds_load_u16 v27, v17 offset:8
	ds_load_u16 v26, v17
	ds_load_u8 v29, v18
	ds_load_u8 v30, v18 offset:4
	v_lshrrev_b32_e32 v24, 3, v28
	v_cndmask_b32_e64 v25, 0, 1, s2
	s_wait_dscnt 0x3
	v_lshlrev_b32_e32 v31, 16, v27
	s_wait_dscnt 0x2
	v_lshlrev_b32_e32 v32, 16, v26
	s_wait_dscnt 0x1
	v_and_b32_e32 v28, 1, v29
	s_wait_dscnt 0x0
	v_cmp_ne_u16_e64 s5, v30, v24
	v_cmp_u_f32_e64 s2, v31, v31
	v_cmp_o_f32_e64 s3, v32, v32
	v_cmp_lt_f32_e64 s4, v32, v31
	s_wait_alu 0xf1ff
	v_cndmask_b32_e64 v31, 0, 1, s5
	v_cmp_eq_u32_e64 s5, 1, v28
	s_and_b32 s2, s2, s3
	s_mov_b32 s3, exec_lo
	s_wait_alu 0xfffe
	s_or_b32 s2, s2, s4
	s_wait_alu 0xfffe
	s_and_b32 s2, s2, s5
	s_wait_alu 0xfffe
	v_cndmask_b32_e64 v28, v31, v25, s2
	s_delay_alu instid0(VALU_DEP_1) | instskip(NEXT) | instid1(VALU_DEP_1)
	v_and_b32_e32 v28, 1, v28
	v_cmpx_eq_u32_e32 1, v28
	s_cbranch_execz .LBB66_25
; %bb.24:
	ds_load_2addr_b64 v[31:34], v20 offset1:4
	s_wait_dscnt 0x0
	ds_store_2addr_b64 v20, v[33:34], v[31:32] offset1:4
	ds_store_b16 v17, v27
	ds_store_b16 v17, v26 offset:8
	ds_store_b8 v18, v30
	ds_store_b8 v18, v29 offset:4
.LBB66_25:
	s_or_b32 exec_lo, exec_lo, s3
	s_wait_loadcnt_dscnt 0x0
	s_barrier_signal -1
	s_barrier_wait -1
	global_inv scope:SCOPE_SE
	ds_load_u16 v27, v10 offset:4
	ds_load_u16 v26, v10
	ds_load_u8 v28, v11
	ds_load_u8 v29, v11 offset:2
	s_wait_dscnt 0x3
	v_lshlrev_b32_e32 v30, 16, v27
	s_wait_dscnt 0x2
	v_lshlrev_b32_e32 v31, 16, v26
	s_wait_dscnt 0x1
	v_and_b32_e32 v32, 1, v28
	s_wait_dscnt 0x0
	v_cmp_ne_u16_e64 s5, v29, v24
	v_cmp_u_f32_e64 s2, v30, v30
	v_cmp_o_f32_e64 s3, v31, v31
	v_cmp_lt_f32_e64 s4, v31, v30
	s_wait_alu 0xf1ff
	v_cndmask_b32_e64 v30, 0, 1, s5
	v_cmp_eq_u32_e64 s5, 1, v32
	s_and_b32 s2, s2, s3
	s_mov_b32 s3, exec_lo
	s_wait_alu 0xfffe
	s_or_b32 s2, s2, s4
	s_wait_alu 0xfffe
	s_and_b32 s2, s2, s5
	s_wait_alu 0xfffe
	v_cndmask_b32_e64 v30, v30, v25, s2
	s_delay_alu instid0(VALU_DEP_1) | instskip(NEXT) | instid1(VALU_DEP_1)
	v_and_b32_e32 v30, 1, v30
	v_cmpx_eq_u32_e32 1, v30
	s_cbranch_execz .LBB66_27
; %bb.26:
	ds_load_2addr_b64 v[30:33], v13 offset1:2
	s_wait_dscnt 0x0
	ds_store_2addr_b64 v13, v[32:33], v[30:31] offset1:2
	ds_store_b16 v10, v27
	ds_store_b16 v10, v26 offset:4
	ds_store_b8 v11, v29
	ds_store_b8 v11, v28 offset:2
.LBB66_27:
	s_or_b32 exec_lo, exec_lo, s3
	s_wait_loadcnt_dscnt 0x0
	s_barrier_signal -1
	s_barrier_wait -1
	global_inv scope:SCOPE_SE
	ds_load_b32 v26, v2
	ds_load_u16 v28, v3
	s_wait_dscnt 0x1
	v_and_b32_e32 v29, 0xffff0000, v26
	v_lshlrev_b32_e32 v30, 16, v26
	s_wait_dscnt 0x0
	v_lshrrev_b16 v27, 8, v28
	v_and_b32_e32 v31, 1, v28
	v_cmp_u_f32_e64 s2, v29, v29
	v_cmp_o_f32_e64 s3, v30, v30
	s_delay_alu instid0(VALU_DEP_4)
	v_cmp_ne_u16_e64 s6, v27, v24
	v_cmp_lt_f32_e64 s4, v30, v29
	v_cmp_eq_u32_e64 s5, 1, v31
	s_and_b32 s2, s2, s3
	v_cndmask_b32_e64 v24, 0, 1, s6
	s_wait_alu 0xfffe
	s_or_b32 s2, s2, s4
	s_mov_b32 s3, exec_lo
	s_wait_alu 0xfffe
	s_and_b32 s2, s2, s5
	s_wait_alu 0xfffe
	v_cndmask_b32_e64 v24, v24, v25, s2
	s_delay_alu instid0(VALU_DEP_1) | instskip(NEXT) | instid1(VALU_DEP_1)
	v_and_b32_e32 v24, 1, v24
	v_cmpx_eq_u32_e32 1, v24
	s_cbranch_execz .LBB66_29
; %bb.28:
	ds_load_b128 v[29:32], v19
	v_lshlrev_b16 v25, 8, v28
	v_alignbit_b32 v24, v26, v26, 16
	s_delay_alu instid0(VALU_DEP_2)
	v_or_b32_e32 v25, v27, v25
	s_wait_dscnt 0x0
	v_dual_mov_b32 v33, v29 :: v_dual_mov_b32 v34, v30
	ds_store_b32 v2, v24
	ds_store_b128 v19, v[31:34]
	ds_store_b16 v3, v25
.LBB66_29:
	s_or_b32 exec_lo, exec_lo, s3
	v_and_b32_e32 v24, 15, v6
	s_wait_loadcnt_dscnt 0x0
	s_barrier_signal -1
	s_barrier_wait -1
	global_inv scope:SCOPE_SE
	v_sub_nc_u32_e32 v16, v16, v24
	s_delay_alu instid0(VALU_DEP_1)
	v_lshl_add_u32 v15, v16, 1, v15
	v_add_nc_u32_e32 v14, v14, v16
	ds_load_u16 v25, v15 offset:32
	ds_load_u16 v24, v15
	ds_load_u8 v26, v14
	ds_load_u8 v27, v14 offset:16
	s_wait_dscnt 0x3
	v_lshlrev_b32_e32 v28, 16, v25
	s_wait_dscnt 0x2
	v_lshlrev_b32_e32 v29, 16, v24
	s_wait_dscnt 0x1
	v_and_b32_e32 v30, 1, v26
	s_wait_dscnt 0x0
	v_and_b32_e32 v27, 0xff, v27
	v_cmp_u_f32_e64 s2, v28, v28
	v_cmp_o_f32_e64 s3, v29, v29
	v_cmp_lt_f32_e64 s4, v29, v28
	v_cmp_eq_u32_e64 s5, 1, v30
	s_and_b32 s2, s2, s3
	s_wait_alu 0xfffe
	s_or_b32 s3, s2, s4
	v_cmp_ne_u16_e64 s2, 0, v27
	s_wait_alu 0xfffe
	s_and_b32 s3, s3, s5
	s_wait_alu 0xfffe
	s_xor_b32 s3, s3, -1
	s_wait_alu 0xfffe
	s_and_b32 s3, s3, s2
	s_wait_alu 0xfffe
	s_and_saveexec_b32 s2, s3
	s_cbranch_execz .LBB66_31
; %bb.30:
	v_lshl_add_u32 v12, v16, 3, v12
	v_mov_b32_e32 v16, 1
	ds_load_2addr_b64 v[27:30], v12 offset1:16
	s_wait_dscnt 0x0
	ds_store_2addr_b64 v12, v[29:30], v[27:28] offset1:16
	ds_store_b16 v15, v25
	ds_store_b16 v15, v24 offset:32
	ds_store_b8 v14, v16
	ds_store_b8 v14, v26 offset:16
.LBB66_31:
	s_wait_alu 0xfffe
	s_or_b32 exec_lo, exec_lo, s2
	s_wait_loadcnt_dscnt 0x0
	s_barrier_signal -1
	s_barrier_wait -1
	global_inv scope:SCOPE_SE
	ds_load_u16 v14, v21 offset:16
	ds_load_u16 v12, v21
	ds_load_u8 v15, v22
	ds_load_u8 v16, v22 offset:8
	s_wait_dscnt 0x3
	v_lshlrev_b32_e32 v24, 16, v14
	s_wait_dscnt 0x2
	v_lshlrev_b32_e32 v25, 16, v12
	s_wait_dscnt 0x1
	v_and_b32_e32 v26, 1, v15
	s_wait_dscnt 0x0
	v_and_b32_e32 v16, 0xff, v16
	v_cmp_u_f32_e64 s2, v24, v24
	v_cmp_o_f32_e64 s3, v25, v25
	v_cmp_lt_f32_e64 s4, v25, v24
	v_cmp_eq_u32_e64 s5, 1, v26
	s_and_b32 s2, s2, s3
	s_wait_alu 0xfffe
	s_or_b32 s3, s2, s4
	v_cmp_ne_u16_e64 s2, 0, v16
	s_wait_alu 0xfffe
	s_and_b32 s3, s3, s5
	s_wait_alu 0xfffe
	s_xor_b32 s3, s3, -1
	s_wait_alu 0xfffe
	s_and_b32 s3, s3, s2
	s_wait_alu 0xfffe
	s_and_saveexec_b32 s2, s3
	s_cbranch_execz .LBB66_33
; %bb.32:
	ds_load_2addr_b64 v[24:27], v23 offset1:8
	v_mov_b32_e32 v16, 1
	s_wait_dscnt 0x0
	ds_store_2addr_b64 v23, v[26:27], v[24:25] offset1:8
	ds_store_b16 v21, v14
	ds_store_b16 v21, v12 offset:16
	ds_store_b8 v22, v16
	ds_store_b8 v22, v15 offset:8
.LBB66_33:
	s_wait_alu 0xfffe
	s_or_b32 exec_lo, exec_lo, s2
	s_wait_loadcnt_dscnt 0x0
	s_barrier_signal -1
	s_barrier_wait -1
	global_inv scope:SCOPE_SE
	ds_load_u16 v14, v17 offset:8
	ds_load_u16 v12, v17
	ds_load_u8 v15, v18
	ds_load_u8 v16, v18 offset:4
	s_wait_dscnt 0x3
	v_lshlrev_b32_e32 v21, 16, v14
	s_wait_dscnt 0x2
	v_lshlrev_b32_e32 v22, 16, v12
	s_wait_dscnt 0x1
	v_and_b32_e32 v23, 1, v15
	s_wait_dscnt 0x0
	v_and_b32_e32 v16, 0xff, v16
	v_cmp_u_f32_e64 s2, v21, v21
	v_cmp_o_f32_e64 s3, v22, v22
	v_cmp_lt_f32_e64 s4, v22, v21
	v_cmp_eq_u32_e64 s5, 1, v23
	s_and_b32 s2, s2, s3
	s_wait_alu 0xfffe
	s_or_b32 s3, s2, s4
	v_cmp_ne_u16_e64 s2, 0, v16
	s_wait_alu 0xfffe
	s_and_b32 s3, s3, s5
	s_wait_alu 0xfffe
	s_xor_b32 s3, s3, -1
	s_wait_alu 0xfffe
	s_and_b32 s3, s3, s2
	s_wait_alu 0xfffe
	s_and_saveexec_b32 s2, s3
	s_cbranch_execz .LBB66_35
; %bb.34:
	ds_load_2addr_b64 v[21:24], v20 offset1:4
	v_mov_b32_e32 v16, 1
	s_wait_dscnt 0x0
	ds_store_2addr_b64 v20, v[23:24], v[21:22] offset1:4
	ds_store_b16 v17, v14
	ds_store_b16 v17, v12 offset:8
	ds_store_b8 v18, v16
	ds_store_b8 v18, v15 offset:4
.LBB66_35:
	;; [unrolled: 45-line block ×3, first 2 shown]
	s_wait_alu 0xfffe
	s_or_b32 exec_lo, exec_lo, s2
	s_wait_loadcnt_dscnt 0x0
	s_barrier_signal -1
	s_barrier_wait -1
	global_inv scope:SCOPE_SE
	ds_load_b32 v10, v2
	ds_load_u16 v11, v3
	s_wait_dscnt 0x1
	v_and_b32_e32 v12, 0xffff0000, v10
	v_lshlrev_b32_e32 v13, 16, v10
	s_wait_dscnt 0x0
	v_and_b32_e32 v14, 1, v11
	s_delay_alu instid0(VALU_DEP_3) | instskip(NEXT) | instid1(VALU_DEP_3)
	v_cmp_u_f32_e64 s2, v12, v12
	v_cmp_o_f32_e64 s3, v13, v13
	v_cmp_lt_f32_e64 s4, v13, v12
	v_lshrrev_b16 v12, 8, v11
	v_cmp_eq_u32_e64 s5, 1, v14
	s_and_b32 s2, s2, s3
	s_wait_alu 0xfffe
	s_or_b32 s3, s2, s4
	v_cmp_ne_u16_e64 s2, 0, v12
	s_wait_alu 0xfffe
	s_and_b32 s3, s3, s5
	s_wait_alu 0xfffe
	s_xor_b32 s3, s3, -1
	s_wait_alu 0xfffe
	s_and_b32 s3, s3, s2
	s_wait_alu 0xfffe
	s_and_saveexec_b32 s2, s3
	s_cbranch_execz .LBB66_39
; %bb.38:
	ds_load_b128 v[12:15], v19
	v_lshlrev_b16 v17, 8, v11
	v_alignbit_b32 v16, v10, v10, 16
	s_wait_dscnt 0x0
	v_dual_mov_b32 v10, v14 :: v_dual_mov_b32 v11, v15
	s_delay_alu instid0(VALU_DEP_3)
	v_or_b32_e32 v14, 1, v17
	ds_store_b32 v2, v16
	ds_store_b128 v19, v[10:13]
	ds_store_b16 v3, v14
.LBB66_39:
	s_wait_alu 0xfffe
	s_or_b32 exec_lo, exec_lo, s2
	s_wait_loadcnt_dscnt 0x0
	s_barrier_signal -1
	s_barrier_wait -1
	global_inv scope:SCOPE_SE
	s_and_saveexec_b32 s2, s0
	s_cbranch_execz .LBB66_44
; %bb.40:
	s_and_saveexec_b32 s0, vcc_lo
	s_cbranch_execz .LBB66_42
; %bb.41:
	v_mad_co_u64_u32 v[2:3], null, v6, s10, v[1:2]
	v_mov_b32_e32 v3, 0
	v_mad_co_u64_u32 v[10:11], null, v6, s7, v[0:1]
	ds_load_u16 v6, v8
	ds_load_b64 v[8:9], v9
	v_mov_b32_e32 v11, v3
	v_lshlrev_b64_e32 v[2:3], 1, v[2:3]
	s_delay_alu instid0(VALU_DEP_2) | instskip(NEXT) | instid1(VALU_DEP_2)
	v_lshlrev_b64_e32 v[10:11], 3, v[10:11]
	v_add_co_u32 v2, vcc_lo, s12, v2
	s_wait_alu 0xfffd
	s_delay_alu instid0(VALU_DEP_3) | instskip(NEXT) | instid1(VALU_DEP_3)
	v_add_co_ci_u32_e64 v3, null, s13, v3, vcc_lo
	v_add_co_u32 v10, vcc_lo, s14, v10
	s_wait_alu 0xfffd
	v_add_co_ci_u32_e64 v11, null, s15, v11, vcc_lo
	s_wait_dscnt 0x1
	global_store_b16 v[2:3], v6, off
	s_wait_dscnt 0x0
	global_store_b64 v[10:11], v[8:9], off
.LBB66_42:
	s_wait_alu 0xfffe
	s_or_b32 exec_lo, exec_lo, s0
	s_delay_alu instid0(SALU_CYCLE_1)
	s_and_b32 exec_lo, exec_lo, s1
	s_cbranch_execz .LBB66_44
; %bb.43:
	v_mad_co_u64_u32 v[1:2], null, v7, s10, v[1:2]
	v_mov_b32_e32 v2, 0
	ds_load_u16 v8, v4
	ds_load_b64 v[3:4], v5
	v_mad_co_u64_u32 v[6:7], null, v7, s7, v[0:1]
	v_mov_b32_e32 v7, v2
	v_lshlrev_b64_e32 v[0:1], 1, v[1:2]
	s_delay_alu instid0(VALU_DEP_2) | instskip(NEXT) | instid1(VALU_DEP_2)
	v_lshlrev_b64_e32 v[5:6], 3, v[6:7]
	v_add_co_u32 v0, vcc_lo, s12, v0
	s_wait_alu 0xfffd
	s_delay_alu instid0(VALU_DEP_3) | instskip(NEXT) | instid1(VALU_DEP_3)
	v_add_co_ci_u32_e64 v1, null, s13, v1, vcc_lo
	v_add_co_u32 v5, vcc_lo, s14, v5
	s_wait_alu 0xfffd
	v_add_co_ci_u32_e64 v6, null, s15, v6, vcc_lo
	s_wait_dscnt 0x1
	global_store_b16 v[0:1], v8, off
	s_wait_dscnt 0x0
	global_store_b64 v[5:6], v[3:4], off
.LBB66_44:
	s_endpgm
	.section	.rodata,"a",@progbits
	.p2align	6, 0x0
	.amdhsa_kernel _ZN2at6native20bitonicSortKVInPlaceILi2ELin1ELi16ELi16EN3c108BFloat16ElNS0_4LTOpIS3_Lb1EEEjEEvNS_4cuda6detail10TensorInfoIT3_T6_EESA_SA_SA_NS8_IT4_SA_EESA_T5_
		.amdhsa_group_segment_fixed_size 5632
		.amdhsa_private_segment_fixed_size 0
		.amdhsa_kernarg_size 712
		.amdhsa_user_sgpr_count 2
		.amdhsa_user_sgpr_dispatch_ptr 0
		.amdhsa_user_sgpr_queue_ptr 0
		.amdhsa_user_sgpr_kernarg_segment_ptr 1
		.amdhsa_user_sgpr_dispatch_id 0
		.amdhsa_user_sgpr_private_segment_size 0
		.amdhsa_wavefront_size32 1
		.amdhsa_uses_dynamic_stack 0
		.amdhsa_enable_private_segment 0
		.amdhsa_system_sgpr_workgroup_id_x 1
		.amdhsa_system_sgpr_workgroup_id_y 1
		.amdhsa_system_sgpr_workgroup_id_z 1
		.amdhsa_system_sgpr_workgroup_info 0
		.amdhsa_system_vgpr_workitem_id 1
		.amdhsa_next_free_vgpr 35
		.amdhsa_next_free_sgpr 19
		.amdhsa_reserve_vcc 1
		.amdhsa_float_round_mode_32 0
		.amdhsa_float_round_mode_16_64 0
		.amdhsa_float_denorm_mode_32 3
		.amdhsa_float_denorm_mode_16_64 3
		.amdhsa_fp16_overflow 0
		.amdhsa_workgroup_processor_mode 1
		.amdhsa_memory_ordered 1
		.amdhsa_forward_progress 1
		.amdhsa_inst_pref_size 43
		.amdhsa_round_robin_scheduling 0
		.amdhsa_exception_fp_ieee_invalid_op 0
		.amdhsa_exception_fp_denorm_src 0
		.amdhsa_exception_fp_ieee_div_zero 0
		.amdhsa_exception_fp_ieee_overflow 0
		.amdhsa_exception_fp_ieee_underflow 0
		.amdhsa_exception_fp_ieee_inexact 0
		.amdhsa_exception_int_div_zero 0
	.end_amdhsa_kernel
	.section	.text._ZN2at6native20bitonicSortKVInPlaceILi2ELin1ELi16ELi16EN3c108BFloat16ElNS0_4LTOpIS3_Lb1EEEjEEvNS_4cuda6detail10TensorInfoIT3_T6_EESA_SA_SA_NS8_IT4_SA_EESA_T5_,"axG",@progbits,_ZN2at6native20bitonicSortKVInPlaceILi2ELin1ELi16ELi16EN3c108BFloat16ElNS0_4LTOpIS3_Lb1EEEjEEvNS_4cuda6detail10TensorInfoIT3_T6_EESA_SA_SA_NS8_IT4_SA_EESA_T5_,comdat
.Lfunc_end66:
	.size	_ZN2at6native20bitonicSortKVInPlaceILi2ELin1ELi16ELi16EN3c108BFloat16ElNS0_4LTOpIS3_Lb1EEEjEEvNS_4cuda6detail10TensorInfoIT3_T6_EESA_SA_SA_NS8_IT4_SA_EESA_T5_, .Lfunc_end66-_ZN2at6native20bitonicSortKVInPlaceILi2ELin1ELi16ELi16EN3c108BFloat16ElNS0_4LTOpIS3_Lb1EEEjEEvNS_4cuda6detail10TensorInfoIT3_T6_EESA_SA_SA_NS8_IT4_SA_EESA_T5_
                                        ; -- End function
	.set _ZN2at6native20bitonicSortKVInPlaceILi2ELin1ELi16ELi16EN3c108BFloat16ElNS0_4LTOpIS3_Lb1EEEjEEvNS_4cuda6detail10TensorInfoIT3_T6_EESA_SA_SA_NS8_IT4_SA_EESA_T5_.num_vgpr, 35
	.set _ZN2at6native20bitonicSortKVInPlaceILi2ELin1ELi16ELi16EN3c108BFloat16ElNS0_4LTOpIS3_Lb1EEEjEEvNS_4cuda6detail10TensorInfoIT3_T6_EESA_SA_SA_NS8_IT4_SA_EESA_T5_.num_agpr, 0
	.set _ZN2at6native20bitonicSortKVInPlaceILi2ELin1ELi16ELi16EN3c108BFloat16ElNS0_4LTOpIS3_Lb1EEEjEEvNS_4cuda6detail10TensorInfoIT3_T6_EESA_SA_SA_NS8_IT4_SA_EESA_T5_.numbered_sgpr, 19
	.set _ZN2at6native20bitonicSortKVInPlaceILi2ELin1ELi16ELi16EN3c108BFloat16ElNS0_4LTOpIS3_Lb1EEEjEEvNS_4cuda6detail10TensorInfoIT3_T6_EESA_SA_SA_NS8_IT4_SA_EESA_T5_.num_named_barrier, 0
	.set _ZN2at6native20bitonicSortKVInPlaceILi2ELin1ELi16ELi16EN3c108BFloat16ElNS0_4LTOpIS3_Lb1EEEjEEvNS_4cuda6detail10TensorInfoIT3_T6_EESA_SA_SA_NS8_IT4_SA_EESA_T5_.private_seg_size, 0
	.set _ZN2at6native20bitonicSortKVInPlaceILi2ELin1ELi16ELi16EN3c108BFloat16ElNS0_4LTOpIS3_Lb1EEEjEEvNS_4cuda6detail10TensorInfoIT3_T6_EESA_SA_SA_NS8_IT4_SA_EESA_T5_.uses_vcc, 1
	.set _ZN2at6native20bitonicSortKVInPlaceILi2ELin1ELi16ELi16EN3c108BFloat16ElNS0_4LTOpIS3_Lb1EEEjEEvNS_4cuda6detail10TensorInfoIT3_T6_EESA_SA_SA_NS8_IT4_SA_EESA_T5_.uses_flat_scratch, 0
	.set _ZN2at6native20bitonicSortKVInPlaceILi2ELin1ELi16ELi16EN3c108BFloat16ElNS0_4LTOpIS3_Lb1EEEjEEvNS_4cuda6detail10TensorInfoIT3_T6_EESA_SA_SA_NS8_IT4_SA_EESA_T5_.has_dyn_sized_stack, 0
	.set _ZN2at6native20bitonicSortKVInPlaceILi2ELin1ELi16ELi16EN3c108BFloat16ElNS0_4LTOpIS3_Lb1EEEjEEvNS_4cuda6detail10TensorInfoIT3_T6_EESA_SA_SA_NS8_IT4_SA_EESA_T5_.has_recursion, 0
	.set _ZN2at6native20bitonicSortKVInPlaceILi2ELin1ELi16ELi16EN3c108BFloat16ElNS0_4LTOpIS3_Lb1EEEjEEvNS_4cuda6detail10TensorInfoIT3_T6_EESA_SA_SA_NS8_IT4_SA_EESA_T5_.has_indirect_call, 0
	.section	.AMDGPU.csdata,"",@progbits
; Kernel info:
; codeLenInByte = 5420
; TotalNumSgprs: 21
; NumVgprs: 35
; ScratchSize: 0
; MemoryBound: 0
; FloatMode: 240
; IeeeMode: 1
; LDSByteSize: 5632 bytes/workgroup (compile time only)
; SGPRBlocks: 0
; VGPRBlocks: 4
; NumSGPRsForWavesPerEU: 21
; NumVGPRsForWavesPerEU: 35
; Occupancy: 16
; WaveLimiterHint : 1
; COMPUTE_PGM_RSRC2:SCRATCH_EN: 0
; COMPUTE_PGM_RSRC2:USER_SGPR: 2
; COMPUTE_PGM_RSRC2:TRAP_HANDLER: 0
; COMPUTE_PGM_RSRC2:TGID_X_EN: 1
; COMPUTE_PGM_RSRC2:TGID_Y_EN: 1
; COMPUTE_PGM_RSRC2:TGID_Z_EN: 1
; COMPUTE_PGM_RSRC2:TIDIG_COMP_CNT: 1
	.section	.text._ZN2at6native20bitonicSortKVInPlaceILi2ELin1ELi16ELi16EN3c108BFloat16ElNS0_4GTOpIS3_Lb1EEEjEEvNS_4cuda6detail10TensorInfoIT3_T6_EESA_SA_SA_NS8_IT4_SA_EESA_T5_,"axG",@progbits,_ZN2at6native20bitonicSortKVInPlaceILi2ELin1ELi16ELi16EN3c108BFloat16ElNS0_4GTOpIS3_Lb1EEEjEEvNS_4cuda6detail10TensorInfoIT3_T6_EESA_SA_SA_NS8_IT4_SA_EESA_T5_,comdat
	.protected	_ZN2at6native20bitonicSortKVInPlaceILi2ELin1ELi16ELi16EN3c108BFloat16ElNS0_4GTOpIS3_Lb1EEEjEEvNS_4cuda6detail10TensorInfoIT3_T6_EESA_SA_SA_NS8_IT4_SA_EESA_T5_ ; -- Begin function _ZN2at6native20bitonicSortKVInPlaceILi2ELin1ELi16ELi16EN3c108BFloat16ElNS0_4GTOpIS3_Lb1EEEjEEvNS_4cuda6detail10TensorInfoIT3_T6_EESA_SA_SA_NS8_IT4_SA_EESA_T5_
	.globl	_ZN2at6native20bitonicSortKVInPlaceILi2ELin1ELi16ELi16EN3c108BFloat16ElNS0_4GTOpIS3_Lb1EEEjEEvNS_4cuda6detail10TensorInfoIT3_T6_EESA_SA_SA_NS8_IT4_SA_EESA_T5_
	.p2align	8
	.type	_ZN2at6native20bitonicSortKVInPlaceILi2ELin1ELi16ELi16EN3c108BFloat16ElNS0_4GTOpIS3_Lb1EEEjEEvNS_4cuda6detail10TensorInfoIT3_T6_EESA_SA_SA_NS8_IT4_SA_EESA_T5_,@function
_ZN2at6native20bitonicSortKVInPlaceILi2ELin1ELi16ELi16EN3c108BFloat16ElNS0_4GTOpIS3_Lb1EEEjEEvNS_4cuda6detail10TensorInfoIT3_T6_EESA_SA_SA_NS8_IT4_SA_EESA_T5_: ; @_ZN2at6native20bitonicSortKVInPlaceILi2ELin1ELi16ELi16EN3c108BFloat16ElNS0_4GTOpIS3_Lb1EEEjEEvNS_4cuda6detail10TensorInfoIT3_T6_EESA_SA_SA_NS8_IT4_SA_EESA_T5_
; %bb.0:
	s_clause 0x2
	s_load_b64 s[2:3], s[0:1], 0x1c8
	s_load_u16 s4, s[0:1], 0x1d6
	s_load_b96 s[8:10], s[0:1], 0xd8
	s_lshr_b32 s5, ttmp7, 16
	s_wait_kmcnt 0x0
	s_mul_i32 s3, s3, s5
	s_and_b32 s5, ttmp7, 0xffff
	s_delay_alu instid0(SALU_CYCLE_1) | instskip(NEXT) | instid1(SALU_CYCLE_1)
	s_add_co_i32 s3, s3, s5
	s_mul_i32 s2, s3, s2
	s_delay_alu instid0(SALU_CYCLE_1) | instskip(NEXT) | instid1(SALU_CYCLE_1)
	s_add_co_i32 s2, s2, ttmp9
	s_mul_i32 s4, s2, s4
	s_delay_alu instid0(SALU_CYCLE_1)
	s_cmp_ge_u32 s4, s8
	s_cbranch_scc1 .LBB67_44
; %bb.1:
	s_clause 0x3
	s_load_b32 s11, s[0:1], 0xc
	s_load_b64 s[2:3], s[0:1], 0x6c
	s_load_b32 s14, s[0:1], 0x1b8
	s_load_b64 s[12:13], s[0:1], 0x0
	v_bfe_u32 v8, v0, 10, 10
	s_mov_b32 s7, 0
	s_delay_alu instid0(VALU_DEP_1) | instskip(SKIP_4) | instid1(SALU_CYCLE_1)
	v_add_nc_u32_e32 v4, s4, v8
	s_wait_kmcnt 0x0
	s_cvt_f32_u32 s5, s11
	s_sub_co_i32 s6, 0, s11
	s_wait_alu 0xfffe
	v_rcp_iflag_f32_e32 v1, s5
	s_delay_alu instid0(TRANS32_DEP_1) | instskip(SKIP_3) | instid1(SALU_CYCLE_2)
	v_readfirstlane_b32 s5, v1
	v_mov_b32_e32 v1, 0
	s_mul_f32 s5, s5, 0x4f7ffffe
	s_wait_alu 0xfffe
	s_cvt_u32_f32 s5, s5
	s_wait_alu 0xfffe
	s_delay_alu instid0(SALU_CYCLE_2) | instskip(NEXT) | instid1(SALU_CYCLE_1)
	s_mul_i32 s6, s6, s5
	s_mul_hi_u32 s4, s5, s6
	s_wait_alu 0xfffe
	s_add_co_i32 s5, s5, s4
	s_cmp_lt_i32 s14, 2
	s_wait_alu 0xfffe
	v_mad_co_u64_u32 v[2:3], null, v4, s5, 0
	s_add_nc_u64 s[4:5], s[0:1], 0xe8
	s_cbranch_scc1 .LBB67_4
; %bb.2:
	s_add_co_i32 s6, s14, -1
	v_mov_b32_e32 v1, 0
	s_lshl_b64 s[6:7], s[6:7], 2
	v_mov_b32_e32 v5, v4
	s_wait_alu 0xfffe
	s_add_nc_u64 s[6:7], s[4:5], s[6:7]
	s_add_co_i32 s14, s14, 1
	s_add_nc_u64 s[6:7], s[6:7], 8
.LBB67_3:                               ; =>This Inner Loop Header: Depth=1
	s_clause 0x1
	s_load_b32 s15, s[6:7], 0x0
	s_load_b32 s16, s[6:7], 0x64
	s_add_co_i32 s14, s14, -1
	s_add_nc_u64 s[6:7], s[6:7], -4
	s_wait_kmcnt 0x0
	s_cvt_f32_u32 s17, s15
	s_sub_co_i32 s18, 0, s15
	s_wait_alu 0xfffe
	s_delay_alu instid0(SALU_CYCLE_1) | instskip(NEXT) | instid1(TRANS32_DEP_1)
	v_rcp_iflag_f32_e32 v2, s17
	v_readfirstlane_b32 s17, v2
	v_mov_b32_e32 v2, v5
	s_mul_f32 s17, s17, 0x4f7ffffe
	s_wait_alu 0xfffe
	s_delay_alu instid0(SALU_CYCLE_2) | instskip(SKIP_1) | instid1(SALU_CYCLE_2)
	s_cvt_u32_f32 s17, s17
	s_wait_alu 0xfffe
	s_mul_i32 s18, s18, s17
	s_delay_alu instid0(SALU_CYCLE_1) | instskip(NEXT) | instid1(SALU_CYCLE_1)
	s_mul_hi_u32 s18, s17, s18
	s_add_co_i32 s17, s17, s18
	s_cmp_gt_u32 s14, 2
	s_wait_alu 0xfffe
	v_mul_hi_u32 v5, v2, s17
	s_delay_alu instid0(VALU_DEP_1) | instskip(SKIP_1) | instid1(VALU_DEP_2)
	v_mul_lo_u32 v6, v5, s15
	v_add_nc_u32_e32 v7, 1, v5
	v_sub_nc_u32_e32 v6, v2, v6
	s_delay_alu instid0(VALU_DEP_1) | instskip(SKIP_2) | instid1(VALU_DEP_2)
	v_subrev_nc_u32_e32 v9, s15, v6
	v_cmp_le_u32_e32 vcc_lo, s15, v6
	s_wait_alu 0xfffd
	v_dual_cndmask_b32 v5, v5, v7 :: v_dual_cndmask_b32 v6, v6, v9
	s_delay_alu instid0(VALU_DEP_1) | instskip(NEXT) | instid1(VALU_DEP_2)
	v_add_nc_u32_e32 v7, 1, v5
	v_cmp_le_u32_e32 vcc_lo, s15, v6
	s_wait_alu 0xfffd
	s_delay_alu instid0(VALU_DEP_2) | instskip(NEXT) | instid1(VALU_DEP_1)
	v_cndmask_b32_e32 v5, v5, v7, vcc_lo
	v_mul_lo_u32 v6, v5, s15
	s_delay_alu instid0(VALU_DEP_1) | instskip(NEXT) | instid1(VALU_DEP_1)
	v_sub_nc_u32_e32 v2, v2, v6
	v_mad_co_u64_u32 v[1:2], null, s16, v2, v[1:2]
	s_cbranch_scc1 .LBB67_3
	s_branch .LBB67_5
.LBB67_4:
	v_mov_b32_e32 v5, v4
.LBB67_5:
	v_mul_lo_u32 v2, v3, s11
	v_add_nc_u32_e32 v6, 1, v3
	s_load_b32 s16, s[4:5], 0x6c
	s_add_nc_u64 s[6:7], s[0:1], 0x1c8
	v_mov_b32_e32 v10, 0
	s_load_b32 s6, s[6:7], 0xc
	s_clause 0x1
	s_load_b32 s7, s[0:1], 0x1c0
	s_load_b64 s[14:15], s[4:5], 0x0
	v_cmp_gt_u32_e64 s0, s8, v4
	v_sub_nc_u32_e32 v2, v4, v2
	v_mov_b32_e32 v11, 0
	s_delay_alu instid0(VALU_DEP_2) | instskip(SKIP_2) | instid1(VALU_DEP_2)
	v_subrev_nc_u32_e32 v7, s11, v2
	v_cmp_le_u32_e32 vcc_lo, s11, v2
	s_wait_alu 0xfffd
	v_dual_cndmask_b32 v3, v3, v6 :: v_dual_cndmask_b32 v2, v2, v7
	s_delay_alu instid0(VALU_DEP_1) | instskip(NEXT) | instid1(VALU_DEP_2)
	v_add_nc_u32_e32 v6, 1, v3
	v_cmp_le_u32_e32 vcc_lo, s11, v2
	s_wait_alu 0xfffd
	s_delay_alu instid0(VALU_DEP_2) | instskip(NEXT) | instid1(VALU_DEP_1)
	v_dual_cndmask_b32 v3, v3, v6 :: v_dual_and_b32 v6, 0x3ff, v0
	v_mul_lo_u32 v2, v3, s11
	s_delay_alu instid0(VALU_DEP_2) | instskip(NEXT) | instid1(VALU_DEP_2)
	v_cmp_gt_u32_e32 vcc_lo, s9, v6
	v_sub_nc_u32_e32 v2, v4, v2
	s_delay_alu instid0(VALU_DEP_1) | instskip(SKIP_1) | instid1(VALU_DEP_1)
	v_mul_lo_u32 v2, v2, s3
	s_wait_kmcnt 0x0
	v_mad_co_u64_u32 v[0:1], null, s16, v5, v[1:2]
	v_mad_co_u64_u32 v[1:2], null, v3, s2, v[2:3]
	v_mov_b32_e32 v2, 0
	v_dual_mov_b32 v4, 0 :: v_dual_mov_b32 v3, 0
	v_mov_b32_e32 v5, 0
	s_and_b32 s2, s0, vcc_lo
	s_wait_alu 0xfffe
	s_and_saveexec_b32 s3, s2
	s_cbranch_execz .LBB67_7
; %bb.6:
	v_mad_co_u64_u32 v[4:5], null, v6, s10, v[1:2]
	v_mov_b32_e32 v5, 0
	v_mad_co_u64_u32 v[11:12], null, v6, s7, v[0:1]
	s_delay_alu instid0(VALU_DEP_2) | instskip(NEXT) | instid1(VALU_DEP_4)
	v_mov_b32_e32 v12, v5
	v_lshlrev_b64_e32 v[4:5], 1, v[4:5]
	s_delay_alu instid0(VALU_DEP_2) | instskip(NEXT) | instid1(VALU_DEP_2)
	v_lshlrev_b64_e32 v[11:12], 3, v[11:12]
	v_add_co_u32 v4, s1, s12, v4
	s_delay_alu instid0(VALU_DEP_1) | instskip(NEXT) | instid1(VALU_DEP_3)
	v_add_co_ci_u32_e64 v5, null, s13, v5, s1
	v_add_co_u32 v13, s1, s14, v11
	s_wait_alu 0xf1ff
	s_delay_alu instid0(VALU_DEP_4)
	v_add_co_ci_u32_e64 v14, null, s15, v12, s1
	global_load_u16 v11, v[4:5], off
	global_load_b64 v[4:5], v[13:14], off
.LBB67_7:
	s_wait_alu 0xfffe
	s_or_b32 exec_lo, exec_lo, s3
	s_and_b32 s3, 0xffff, s6
	v_lshl_add_u32 v15, v8, 6, 0x1000
	s_wait_alu 0xfffe
	v_add_nc_u32_e32 v7, s3, v6
	v_lshlrev_b32_e32 v12, 8, v8
	v_lshl_add_u32 v14, v8, 5, 0x1400
	v_cndmask_b32_e64 v13, 0, 1, s2
	v_lshl_add_u32 v8, v6, 1, v15
	v_cmp_gt_u32_e64 s1, s9, v7
	v_lshl_add_u32 v9, v6, 3, v12
	v_add_nc_u32_e32 v16, v14, v6
	s_wait_loadcnt 0x1
	ds_store_b16 v8, v11
	s_wait_loadcnt 0x0
	ds_store_b64 v9, v[4:5]
	ds_store_b8 v16, v13
	s_and_b32 s4, s0, s1
	s_wait_alu 0xfffe
	s_and_saveexec_b32 s5, s4
	s_cbranch_execz .LBB67_9
; %bb.8:
	v_mad_co_u64_u32 v[2:3], null, v7, s10, v[1:2]
	v_mov_b32_e32 v3, 0
	v_mad_co_u64_u32 v[4:5], null, v7, s7, v[0:1]
	s_delay_alu instid0(VALU_DEP_2) | instskip(NEXT) | instid1(VALU_DEP_4)
	v_mov_b32_e32 v5, v3
	v_lshlrev_b64_e32 v[2:3], 1, v[2:3]
	s_delay_alu instid0(VALU_DEP_2) | instskip(NEXT) | instid1(VALU_DEP_2)
	v_lshlrev_b64_e32 v[4:5], 3, v[4:5]
	v_add_co_u32 v2, s2, s12, v2
	s_wait_alu 0xf1ff
	s_delay_alu instid0(VALU_DEP_3) | instskip(NEXT) | instid1(VALU_DEP_3)
	v_add_co_ci_u32_e64 v3, null, s13, v3, s2
	v_add_co_u32 v4, s2, s14, v4
	s_wait_alu 0xf1ff
	v_add_co_ci_u32_e64 v5, null, s15, v5, s2
	global_load_u16 v10, v[2:3], off
	global_load_b64 v[2:3], v[4:5], off
.LBB67_9:
	s_wait_alu 0xfffe
	s_or_b32 exec_lo, exec_lo, s5
	v_lshl_add_u32 v4, s3, 1, v8
	v_lshlrev_b32_e32 v16, 1, v6
	v_lshl_add_u32 v5, s3, 3, v9
	v_cndmask_b32_e64 v11, 0, 1, s4
	v_add_nc_u32_e32 v13, v14, v7
	s_wait_loadcnt 0x1
	ds_store_b16 v4, v10
	s_wait_loadcnt 0x0
	ds_store_b64 v5, v[2:3]
	ds_store_b8 v13, v11
	v_add_nc_u32_e32 v2, v8, v16
	v_add_nc_u32_e32 v3, v14, v16
	s_wait_dscnt 0x0
	s_barrier_signal -1
	s_barrier_wait -1
	global_inv scope:SCOPE_SE
	ds_load_b32 v11, v2
	ds_load_u16 v13, v3
	v_and_b32_e32 v10, 1, v6
	s_wait_dscnt 0x1
	v_lshlrev_b32_e32 v17, 16, v11
	v_and_b32_e32 v19, 0xffff0000, v11
	s_wait_dscnt 0x0
	v_lshrrev_b16 v18, 8, v13
	v_and_b32_e32 v20, 1, v13
	v_cmp_u_f32_e64 s2, v17, v17
	v_cmp_o_f32_e64 s3, v19, v19
	s_delay_alu instid0(VALU_DEP_4)
	v_cmp_ne_u16_e64 s6, v18, v10
	v_cmp_lt_f32_e64 s4, v19, v17
	v_cmp_eq_u32_e64 s5, 1, v20
	s_and_b32 s2, s2, s3
	v_cndmask_b32_e64 v17, 0, 1, s6
	s_wait_alu 0xfffe
	s_or_b32 s2, s2, s4
	s_wait_alu 0xfffe
	s_and_b32 s2, s2, s5
	s_wait_alu 0xfffe
	v_cndmask_b32_e64 v17, v17, v6, s2
	s_delay_alu instid0(VALU_DEP_1) | instskip(NEXT) | instid1(VALU_DEP_1)
	v_and_b32_e32 v17, 1, v17
	v_cmp_eq_u32_e64 s2, 1, v17
	v_lshl_add_u32 v17, v6, 3, v9
	s_and_saveexec_b32 s3, s2
	s_wait_alu 0xfffe
	s_xor_b32 s2, exec_lo, s3
	s_cbranch_execz .LBB67_11
; %bb.10:
	ds_load_b128 v[19:22], v17
	v_lshlrev_b16 v13, 8, v13
	v_alignbit_b32 v11, v11, v11, 16
	s_delay_alu instid0(VALU_DEP_2)
	v_or_b32_e32 v13, v18, v13
	s_wait_dscnt 0x0
	v_dual_mov_b32 v23, v19 :: v_dual_mov_b32 v24, v20
	ds_store_b32 v2, v11
	ds_store_b128 v17, v[21:24]
	ds_store_b16 v3, v13
.LBB67_11:
	s_wait_alu 0xfffe
	s_or_b32 exec_lo, exec_lo, s2
	v_sub_nc_u32_e32 v13, v16, v10
	s_wait_loadcnt_dscnt 0x0
	s_barrier_signal -1
	s_barrier_wait -1
	global_inv scope:SCOPE_SE
	v_lshl_add_u32 v10, v13, 1, v15
	v_add_nc_u32_e32 v11, v14, v13
	v_bfe_u32 v24, v6, 1, 1
	v_lshl_add_u32 v13, v13, 3, v12
	ds_load_u16 v18, v10
	ds_load_u16 v19, v10 offset:4
	ds_load_u8 v20, v11
	ds_load_u8 v22, v11 offset:2
	s_wait_dscnt 0x3
	v_lshlrev_b32_e32 v21, 16, v18
	s_wait_dscnt 0x2
	v_lshlrev_b32_e32 v23, 16, v19
	s_wait_dscnt 0x1
	v_and_b32_e32 v25, 1, v20
	s_wait_dscnt 0x0
	v_cmp_ne_u16_e64 s5, v22, v24
	v_cmp_u_f32_e64 s2, v21, v21
	v_cmp_o_f32_e64 s3, v23, v23
	v_cmp_lt_f32_e64 s4, v23, v21
	s_wait_alu 0xf1ff
	v_cndmask_b32_e64 v21, 0, 1, s5
	v_cmp_eq_u32_e64 s5, 1, v25
	s_and_b32 s2, s2, s3
	s_wait_alu 0xfffe
	s_or_b32 s2, s2, s4
	s_wait_alu 0xfffe
	s_and_b32 s2, s2, s5
	s_wait_alu 0xfffe
	v_cndmask_b32_e64 v23, v21, v24, s2
	v_and_b32_e32 v21, 2, v6
	s_delay_alu instid0(VALU_DEP_2) | instskip(NEXT) | instid1(VALU_DEP_2)
	v_and_b32_e32 v23, 1, v23
	v_cmp_ne_u32_e64 s2, 0, v21
	s_delay_alu instid0(VALU_DEP_2)
	v_cmp_eq_u32_e64 s3, 1, v23
	s_and_saveexec_b32 s4, s3
	s_wait_alu 0xfffe
	s_xor_b32 s3, exec_lo, s4
	s_cbranch_execz .LBB67_13
; %bb.12:
	ds_load_2addr_b64 v[23:26], v13 offset1:2
	s_wait_dscnt 0x0
	ds_store_2addr_b64 v13, v[25:26], v[23:24] offset1:2
	ds_store_b16 v10, v19
	ds_store_b16 v10, v18 offset:4
	ds_store_b8 v11, v22
	ds_store_b8 v11, v20 offset:2
.LBB67_13:
	s_wait_alu 0xfffe
	s_or_b32 exec_lo, exec_lo, s3
	s_wait_loadcnt_dscnt 0x0
	s_barrier_signal -1
	s_barrier_wait -1
	global_inv scope:SCOPE_SE
	ds_load_b32 v18, v2
	ds_load_u16 v19, v3
	v_lshrrev_b32_e32 v21, 1, v21
	v_cndmask_b32_e64 v24, 0, 1, s2
	s_wait_dscnt 0x1
	v_lshlrev_b32_e32 v22, 16, v18
	v_and_b32_e32 v23, 0xffff0000, v18
	s_wait_dscnt 0x0
	v_lshrrev_b16 v20, 8, v19
	v_and_b32_e32 v25, 1, v19
	v_cmp_u_f32_e64 s2, v22, v22
	v_cmp_o_f32_e64 s3, v23, v23
	s_delay_alu instid0(VALU_DEP_4)
	v_cmp_ne_u16_e64 s6, v20, v21
	v_cmp_lt_f32_e64 s4, v23, v22
	v_cmp_eq_u32_e64 s5, 1, v25
	s_and_b32 s2, s2, s3
	v_cndmask_b32_e64 v21, 0, 1, s6
	s_wait_alu 0xfffe
	s_or_b32 s2, s2, s4
	s_mov_b32 s3, exec_lo
	s_wait_alu 0xfffe
	s_and_b32 s2, s2, s5
	s_wait_alu 0xfffe
	v_cndmask_b32_e64 v21, v21, v24, s2
	s_delay_alu instid0(VALU_DEP_1) | instskip(NEXT) | instid1(VALU_DEP_1)
	v_and_b32_e32 v21, 1, v21
	v_cmpx_eq_u32_e32 1, v21
	s_cbranch_execz .LBB67_15
; %bb.14:
	ds_load_b128 v[21:24], v17
	v_lshlrev_b16 v19, 8, v19
	v_alignbit_b32 v18, v18, v18, 16
	s_delay_alu instid0(VALU_DEP_2)
	v_or_b32_e32 v19, v20, v19
	s_wait_dscnt 0x0
	v_dual_mov_b32 v25, v21 :: v_dual_mov_b32 v26, v22
	ds_store_b32 v2, v18
	ds_store_b128 v17, v[23:26]
	ds_store_b16 v3, v19
.LBB67_15:
	s_or_b32 exec_lo, exec_lo, s3
	v_and_b32_e32 v17, 3, v6
	s_wait_loadcnt_dscnt 0x0
	s_barrier_signal -1
	s_barrier_wait -1
	global_inv scope:SCOPE_SE
	v_sub_nc_u32_e32 v20, v16, v17
	v_bfe_u32 v26, v6, 2, 1
	s_delay_alu instid0(VALU_DEP_2)
	v_lshl_add_u32 v17, v20, 1, v15
	v_add_nc_u32_e32 v18, v14, v20
	v_lshl_add_u32 v20, v20, 3, v12
	ds_load_u16 v19, v17
	ds_load_u16 v21, v17 offset:8
	ds_load_u8 v22, v18
	ds_load_u8 v23, v18 offset:4
	s_wait_dscnt 0x3
	v_lshlrev_b32_e32 v24, 16, v19
	s_wait_dscnt 0x2
	v_lshlrev_b32_e32 v25, 16, v21
	s_wait_dscnt 0x1
	v_and_b32_e32 v27, 1, v22
	s_wait_dscnt 0x0
	v_cmp_ne_u16_e64 s5, v23, v26
	v_cmp_u_f32_e64 s2, v24, v24
	v_cmp_o_f32_e64 s3, v25, v25
	v_cmp_lt_f32_e64 s4, v25, v24
	s_wait_alu 0xf1ff
	v_cndmask_b32_e64 v24, 0, 1, s5
	v_cmp_eq_u32_e64 s5, 1, v27
	s_and_b32 s2, s2, s3
	s_wait_alu 0xfffe
	s_or_b32 s2, s2, s4
	s_mov_b32 s4, exec_lo
	s_wait_alu 0xfffe
	s_and_b32 s2, s2, s5
	s_wait_alu 0xfffe
	v_cndmask_b32_e64 v25, v24, v26, s2
	v_and_b32_e32 v24, 4, v6
	s_delay_alu instid0(VALU_DEP_2) | instskip(NEXT) | instid1(VALU_DEP_2)
	v_and_b32_e32 v25, 1, v25
	v_cmp_ne_u32_e64 s2, 0, v24
	s_delay_alu instid0(VALU_DEP_2)
	v_cmpx_eq_u32_e32 1, v25
	s_cbranch_execz .LBB67_17
; %bb.16:
	ds_load_2addr_b64 v[25:28], v20 offset1:4
	s_wait_dscnt 0x0
	ds_store_2addr_b64 v20, v[27:28], v[25:26] offset1:4
	ds_store_b16 v17, v21
	ds_store_b16 v17, v19 offset:8
	ds_store_b8 v18, v23
	ds_store_b8 v18, v22 offset:4
.LBB67_17:
	s_or_b32 exec_lo, exec_lo, s4
	s_wait_loadcnt_dscnt 0x0
	s_barrier_signal -1
	s_barrier_wait -1
	global_inv scope:SCOPE_SE
	ds_load_u16 v22, v10
	ds_load_u16 v23, v10 offset:4
	ds_load_u8 v25, v11
	ds_load_u8 v26, v11 offset:2
	v_lshrrev_b32_e32 v19, 2, v24
	v_cndmask_b32_e64 v21, 0, 1, s2
	s_wait_dscnt 0x3
	v_lshlrev_b32_e32 v27, 16, v22
	s_wait_dscnt 0x2
	v_lshlrev_b32_e32 v28, 16, v23
	s_wait_dscnt 0x1
	v_and_b32_e32 v24, 1, v25
	s_wait_dscnt 0x0
	v_cmp_ne_u16_e64 s5, v26, v19
	v_cmp_u_f32_e64 s2, v27, v27
	v_cmp_o_f32_e64 s3, v28, v28
	v_cmp_lt_f32_e64 s4, v28, v27
	s_wait_alu 0xf1ff
	v_cndmask_b32_e64 v27, 0, 1, s5
	v_cmp_eq_u32_e64 s5, 1, v24
	s_and_b32 s2, s2, s3
	s_mov_b32 s3, exec_lo
	s_wait_alu 0xfffe
	s_or_b32 s2, s2, s4
	s_wait_alu 0xfffe
	s_and_b32 s2, s2, s5
	s_wait_alu 0xfffe
	v_cndmask_b32_e64 v24, v27, v21, s2
	s_delay_alu instid0(VALU_DEP_1) | instskip(NEXT) | instid1(VALU_DEP_1)
	v_and_b32_e32 v24, 1, v24
	v_cmpx_eq_u32_e32 1, v24
	s_cbranch_execz .LBB67_19
; %bb.18:
	ds_load_2addr_b64 v[27:30], v13 offset1:2
	s_wait_dscnt 0x0
	ds_store_2addr_b64 v13, v[29:30], v[27:28] offset1:2
	ds_store_b16 v10, v23
	ds_store_b16 v10, v22 offset:4
	ds_store_b8 v11, v26
	ds_store_b8 v11, v25 offset:2
.LBB67_19:
	s_or_b32 exec_lo, exec_lo, s3
	s_wait_loadcnt_dscnt 0x0
	s_barrier_signal -1
	s_barrier_wait -1
	global_inv scope:SCOPE_SE
	ds_load_b32 v22, v2
	ds_load_u16 v24, v3
	s_wait_dscnt 0x1
	v_lshlrev_b32_e32 v25, 16, v22
	v_and_b32_e32 v26, 0xffff0000, v22
	s_wait_dscnt 0x0
	v_lshrrev_b16 v23, 8, v24
	v_and_b32_e32 v27, 1, v24
	v_cmp_u_f32_e64 s2, v25, v25
	v_cmp_o_f32_e64 s3, v26, v26
	s_delay_alu instid0(VALU_DEP_4)
	v_cmp_ne_u16_e64 s6, v23, v19
	v_cmp_lt_f32_e64 s4, v26, v25
	v_cmp_eq_u32_e64 s5, 1, v27
	s_and_b32 s2, s2, s3
	v_cndmask_b32_e64 v19, 0, 1, s6
	s_wait_alu 0xfffe
	s_or_b32 s2, s2, s4
	s_wait_alu 0xfffe
	s_and_b32 s2, s2, s5
	s_wait_alu 0xfffe
	v_cndmask_b32_e64 v19, v19, v21, s2
	s_delay_alu instid0(VALU_DEP_1) | instskip(NEXT) | instid1(VALU_DEP_1)
	v_and_b32_e32 v19, 1, v19
	v_cmp_eq_u32_e64 s2, 1, v19
	v_lshl_add_u32 v19, v16, 3, v12
	s_and_saveexec_b32 s3, s2
	s_cbranch_execz .LBB67_21
; %bb.20:
	ds_load_b128 v[25:28], v19
	v_alignbit_b32 v21, v22, v22, 16
	v_lshlrev_b16 v22, 8, v24
	s_delay_alu instid0(VALU_DEP_1)
	v_or_b32_e32 v22, v23, v22
	s_wait_dscnt 0x0
	v_dual_mov_b32 v29, v25 :: v_dual_mov_b32 v30, v26
	ds_store_b32 v2, v21
	ds_store_b128 v19, v[27:30]
	ds_store_b16 v3, v22
.LBB67_21:
	s_wait_alu 0xfffe
	s_or_b32 exec_lo, exec_lo, s3
	v_and_b32_e32 v21, 7, v6
	s_wait_loadcnt_dscnt 0x0
	s_barrier_signal -1
	s_barrier_wait -1
	global_inv scope:SCOPE_SE
	v_sub_nc_u32_e32 v23, v16, v21
	v_bfe_u32 v30, v6, 3, 1
	s_delay_alu instid0(VALU_DEP_2)
	v_lshl_add_u32 v21, v23, 1, v15
	v_add_nc_u32_e32 v22, v14, v23
	v_lshl_add_u32 v23, v23, 3, v12
	ds_load_u16 v24, v21
	ds_load_u16 v25, v21 offset:16
	ds_load_u8 v26, v22
	ds_load_u8 v27, v22 offset:8
	s_wait_dscnt 0x3
	v_lshlrev_b32_e32 v28, 16, v24
	s_wait_dscnt 0x2
	v_lshlrev_b32_e32 v29, 16, v25
	s_wait_dscnt 0x1
	v_and_b32_e32 v31, 1, v26
	s_wait_dscnt 0x0
	v_cmp_ne_u16_e64 s5, v27, v30
	v_cmp_u_f32_e64 s2, v28, v28
	v_cmp_o_f32_e64 s3, v29, v29
	v_cmp_lt_f32_e64 s4, v29, v28
	s_wait_alu 0xf1ff
	v_cndmask_b32_e64 v28, 0, 1, s5
	v_cmp_eq_u32_e64 s5, 1, v31
	s_and_b32 s2, s2, s3
	s_wait_alu 0xfffe
	s_or_b32 s2, s2, s4
	s_mov_b32 s4, exec_lo
	s_wait_alu 0xfffe
	s_and_b32 s2, s2, s5
	s_wait_alu 0xfffe
	v_cndmask_b32_e64 v29, v28, v30, s2
	v_and_b32_e32 v28, 8, v6
	s_delay_alu instid0(VALU_DEP_2) | instskip(NEXT) | instid1(VALU_DEP_2)
	v_and_b32_e32 v29, 1, v29
	v_cmp_ne_u32_e64 s2, 0, v28
	s_delay_alu instid0(VALU_DEP_2)
	v_cmpx_eq_u32_e32 1, v29
	s_cbranch_execz .LBB67_23
; %bb.22:
	ds_load_2addr_b64 v[29:32], v23 offset1:8
	s_wait_dscnt 0x0
	ds_store_2addr_b64 v23, v[31:32], v[29:30] offset1:8
	ds_store_b16 v21, v25
	ds_store_b16 v21, v24 offset:16
	ds_store_b8 v22, v27
	ds_store_b8 v22, v26 offset:8
.LBB67_23:
	s_or_b32 exec_lo, exec_lo, s4
	s_wait_loadcnt_dscnt 0x0
	s_barrier_signal -1
	s_barrier_wait -1
	global_inv scope:SCOPE_SE
	ds_load_u16 v26, v17
	ds_load_u16 v27, v17 offset:8
	ds_load_u8 v29, v18
	ds_load_u8 v30, v18 offset:4
	v_lshrrev_b32_e32 v24, 3, v28
	v_cndmask_b32_e64 v25, 0, 1, s2
	s_wait_dscnt 0x3
	v_lshlrev_b32_e32 v31, 16, v26
	s_wait_dscnt 0x2
	v_lshlrev_b32_e32 v32, 16, v27
	s_wait_dscnt 0x1
	v_and_b32_e32 v28, 1, v29
	s_wait_dscnt 0x0
	v_cmp_ne_u16_e64 s5, v30, v24
	v_cmp_u_f32_e64 s2, v31, v31
	v_cmp_o_f32_e64 s3, v32, v32
	v_cmp_lt_f32_e64 s4, v32, v31
	s_wait_alu 0xf1ff
	v_cndmask_b32_e64 v31, 0, 1, s5
	v_cmp_eq_u32_e64 s5, 1, v28
	s_and_b32 s2, s2, s3
	s_mov_b32 s3, exec_lo
	s_wait_alu 0xfffe
	s_or_b32 s2, s2, s4
	s_wait_alu 0xfffe
	s_and_b32 s2, s2, s5
	s_wait_alu 0xfffe
	v_cndmask_b32_e64 v28, v31, v25, s2
	s_delay_alu instid0(VALU_DEP_1) | instskip(NEXT) | instid1(VALU_DEP_1)
	v_and_b32_e32 v28, 1, v28
	v_cmpx_eq_u32_e32 1, v28
	s_cbranch_execz .LBB67_25
; %bb.24:
	ds_load_2addr_b64 v[31:34], v20 offset1:4
	s_wait_dscnt 0x0
	ds_store_2addr_b64 v20, v[33:34], v[31:32] offset1:4
	ds_store_b16 v17, v27
	ds_store_b16 v17, v26 offset:8
	ds_store_b8 v18, v30
	ds_store_b8 v18, v29 offset:4
.LBB67_25:
	s_or_b32 exec_lo, exec_lo, s3
	s_wait_loadcnt_dscnt 0x0
	s_barrier_signal -1
	s_barrier_wait -1
	global_inv scope:SCOPE_SE
	ds_load_u16 v26, v10
	ds_load_u16 v27, v10 offset:4
	ds_load_u8 v28, v11
	ds_load_u8 v29, v11 offset:2
	s_wait_dscnt 0x3
	v_lshlrev_b32_e32 v30, 16, v26
	s_wait_dscnt 0x2
	v_lshlrev_b32_e32 v31, 16, v27
	s_wait_dscnt 0x1
	v_and_b32_e32 v32, 1, v28
	s_wait_dscnt 0x0
	v_cmp_ne_u16_e64 s5, v29, v24
	v_cmp_u_f32_e64 s2, v30, v30
	v_cmp_o_f32_e64 s3, v31, v31
	v_cmp_lt_f32_e64 s4, v31, v30
	s_wait_alu 0xf1ff
	v_cndmask_b32_e64 v30, 0, 1, s5
	v_cmp_eq_u32_e64 s5, 1, v32
	s_and_b32 s2, s2, s3
	s_mov_b32 s3, exec_lo
	s_wait_alu 0xfffe
	s_or_b32 s2, s2, s4
	s_wait_alu 0xfffe
	s_and_b32 s2, s2, s5
	s_wait_alu 0xfffe
	v_cndmask_b32_e64 v30, v30, v25, s2
	s_delay_alu instid0(VALU_DEP_1) | instskip(NEXT) | instid1(VALU_DEP_1)
	v_and_b32_e32 v30, 1, v30
	v_cmpx_eq_u32_e32 1, v30
	s_cbranch_execz .LBB67_27
; %bb.26:
	ds_load_2addr_b64 v[30:33], v13 offset1:2
	s_wait_dscnt 0x0
	ds_store_2addr_b64 v13, v[32:33], v[30:31] offset1:2
	ds_store_b16 v10, v27
	ds_store_b16 v10, v26 offset:4
	ds_store_b8 v11, v29
	ds_store_b8 v11, v28 offset:2
.LBB67_27:
	s_or_b32 exec_lo, exec_lo, s3
	s_wait_loadcnt_dscnt 0x0
	s_barrier_signal -1
	s_barrier_wait -1
	global_inv scope:SCOPE_SE
	ds_load_b32 v26, v2
	ds_load_u16 v28, v3
	s_wait_dscnt 0x1
	v_lshlrev_b32_e32 v29, 16, v26
	v_and_b32_e32 v30, 0xffff0000, v26
	s_wait_dscnt 0x0
	v_lshrrev_b16 v27, 8, v28
	v_and_b32_e32 v31, 1, v28
	v_cmp_u_f32_e64 s2, v29, v29
	v_cmp_o_f32_e64 s3, v30, v30
	s_delay_alu instid0(VALU_DEP_4)
	v_cmp_ne_u16_e64 s6, v27, v24
	v_cmp_lt_f32_e64 s4, v30, v29
	v_cmp_eq_u32_e64 s5, 1, v31
	s_and_b32 s2, s2, s3
	v_cndmask_b32_e64 v24, 0, 1, s6
	s_wait_alu 0xfffe
	s_or_b32 s2, s2, s4
	s_mov_b32 s3, exec_lo
	s_wait_alu 0xfffe
	s_and_b32 s2, s2, s5
	s_wait_alu 0xfffe
	v_cndmask_b32_e64 v24, v24, v25, s2
	s_delay_alu instid0(VALU_DEP_1) | instskip(NEXT) | instid1(VALU_DEP_1)
	v_and_b32_e32 v24, 1, v24
	v_cmpx_eq_u32_e32 1, v24
	s_cbranch_execz .LBB67_29
; %bb.28:
	ds_load_b128 v[29:32], v19
	v_lshlrev_b16 v25, 8, v28
	v_alignbit_b32 v24, v26, v26, 16
	s_delay_alu instid0(VALU_DEP_2)
	v_or_b32_e32 v25, v27, v25
	s_wait_dscnt 0x0
	v_dual_mov_b32 v33, v29 :: v_dual_mov_b32 v34, v30
	ds_store_b32 v2, v24
	ds_store_b128 v19, v[31:34]
	ds_store_b16 v3, v25
.LBB67_29:
	s_or_b32 exec_lo, exec_lo, s3
	v_and_b32_e32 v24, 15, v6
	s_wait_loadcnt_dscnt 0x0
	s_barrier_signal -1
	s_barrier_wait -1
	global_inv scope:SCOPE_SE
	v_sub_nc_u32_e32 v24, v16, v24
	s_delay_alu instid0(VALU_DEP_1)
	v_lshl_add_u32 v15, v24, 1, v15
	v_add_nc_u32_e32 v14, v14, v24
	ds_load_u16 v16, v15
	ds_load_u16 v25, v15 offset:32
	ds_load_u8 v26, v14
	ds_load_u8 v27, v14 offset:16
	s_wait_dscnt 0x3
	v_lshlrev_b32_e32 v28, 16, v16
	s_wait_dscnt 0x2
	v_lshlrev_b32_e32 v29, 16, v25
	s_wait_dscnt 0x1
	v_and_b32_e32 v30, 1, v26
	s_wait_dscnt 0x0
	v_and_b32_e32 v27, 0xff, v27
	v_cmp_u_f32_e64 s2, v28, v28
	v_cmp_o_f32_e64 s3, v29, v29
	v_cmp_lt_f32_e64 s4, v29, v28
	v_cmp_eq_u32_e64 s5, 1, v30
	s_and_b32 s2, s2, s3
	s_wait_alu 0xfffe
	s_or_b32 s3, s2, s4
	v_cmp_ne_u16_e64 s2, 0, v27
	s_wait_alu 0xfffe
	s_and_b32 s3, s3, s5
	s_wait_alu 0xfffe
	s_xor_b32 s3, s3, -1
	s_wait_alu 0xfffe
	s_and_b32 s3, s3, s2
	s_wait_alu 0xfffe
	s_and_saveexec_b32 s2, s3
	s_cbranch_execz .LBB67_31
; %bb.30:
	v_lshl_add_u32 v12, v24, 3, v12
	v_mov_b32_e32 v24, 1
	ds_load_2addr_b64 v[27:30], v12 offset1:16
	s_wait_dscnt 0x0
	ds_store_2addr_b64 v12, v[29:30], v[27:28] offset1:16
	ds_store_b16 v15, v25
	ds_store_b16 v15, v16 offset:32
	ds_store_b8 v14, v24
	ds_store_b8 v14, v26 offset:16
.LBB67_31:
	s_wait_alu 0xfffe
	s_or_b32 exec_lo, exec_lo, s2
	s_wait_loadcnt_dscnt 0x0
	s_barrier_signal -1
	s_barrier_wait -1
	global_inv scope:SCOPE_SE
	ds_load_u16 v12, v21
	ds_load_u16 v14, v21 offset:16
	ds_load_u8 v15, v22
	ds_load_u8 v16, v22 offset:8
	s_wait_dscnt 0x3
	v_lshlrev_b32_e32 v24, 16, v12
	s_wait_dscnt 0x2
	v_lshlrev_b32_e32 v25, 16, v14
	s_wait_dscnt 0x1
	v_and_b32_e32 v26, 1, v15
	s_wait_dscnt 0x0
	v_and_b32_e32 v16, 0xff, v16
	v_cmp_u_f32_e64 s2, v24, v24
	v_cmp_o_f32_e64 s3, v25, v25
	v_cmp_lt_f32_e64 s4, v25, v24
	v_cmp_eq_u32_e64 s5, 1, v26
	s_and_b32 s2, s2, s3
	s_wait_alu 0xfffe
	s_or_b32 s3, s2, s4
	v_cmp_ne_u16_e64 s2, 0, v16
	s_wait_alu 0xfffe
	s_and_b32 s3, s3, s5
	s_wait_alu 0xfffe
	s_xor_b32 s3, s3, -1
	s_wait_alu 0xfffe
	s_and_b32 s3, s3, s2
	s_wait_alu 0xfffe
	s_and_saveexec_b32 s2, s3
	s_cbranch_execz .LBB67_33
; %bb.32:
	ds_load_2addr_b64 v[24:27], v23 offset1:8
	v_mov_b32_e32 v16, 1
	s_wait_dscnt 0x0
	ds_store_2addr_b64 v23, v[26:27], v[24:25] offset1:8
	ds_store_b16 v21, v14
	ds_store_b16 v21, v12 offset:16
	ds_store_b8 v22, v16
	ds_store_b8 v22, v15 offset:8
.LBB67_33:
	s_wait_alu 0xfffe
	s_or_b32 exec_lo, exec_lo, s2
	s_wait_loadcnt_dscnt 0x0
	s_barrier_signal -1
	s_barrier_wait -1
	global_inv scope:SCOPE_SE
	ds_load_u16 v12, v17
	ds_load_u16 v14, v17 offset:8
	ds_load_u8 v15, v18
	ds_load_u8 v16, v18 offset:4
	s_wait_dscnt 0x3
	v_lshlrev_b32_e32 v21, 16, v12
	s_wait_dscnt 0x2
	v_lshlrev_b32_e32 v22, 16, v14
	s_wait_dscnt 0x1
	v_and_b32_e32 v23, 1, v15
	s_wait_dscnt 0x0
	v_and_b32_e32 v16, 0xff, v16
	v_cmp_u_f32_e64 s2, v21, v21
	v_cmp_o_f32_e64 s3, v22, v22
	v_cmp_lt_f32_e64 s4, v22, v21
	v_cmp_eq_u32_e64 s5, 1, v23
	s_and_b32 s2, s2, s3
	s_wait_alu 0xfffe
	s_or_b32 s3, s2, s4
	v_cmp_ne_u16_e64 s2, 0, v16
	s_wait_alu 0xfffe
	s_and_b32 s3, s3, s5
	s_wait_alu 0xfffe
	s_xor_b32 s3, s3, -1
	s_wait_alu 0xfffe
	s_and_b32 s3, s3, s2
	s_wait_alu 0xfffe
	s_and_saveexec_b32 s2, s3
	s_cbranch_execz .LBB67_35
; %bb.34:
	ds_load_2addr_b64 v[21:24], v20 offset1:4
	v_mov_b32_e32 v16, 1
	s_wait_dscnt 0x0
	ds_store_2addr_b64 v20, v[23:24], v[21:22] offset1:4
	ds_store_b16 v17, v14
	ds_store_b16 v17, v12 offset:8
	ds_store_b8 v18, v16
	ds_store_b8 v18, v15 offset:4
.LBB67_35:
	;; [unrolled: 45-line block ×3, first 2 shown]
	s_wait_alu 0xfffe
	s_or_b32 exec_lo, exec_lo, s2
	s_wait_loadcnt_dscnt 0x0
	s_barrier_signal -1
	s_barrier_wait -1
	global_inv scope:SCOPE_SE
	ds_load_b32 v10, v2
	ds_load_u16 v11, v3
	s_wait_dscnt 0x1
	v_lshlrev_b32_e32 v12, 16, v10
	v_and_b32_e32 v13, 0xffff0000, v10
	s_wait_dscnt 0x0
	v_and_b32_e32 v14, 1, v11
	s_delay_alu instid0(VALU_DEP_3) | instskip(NEXT) | instid1(VALU_DEP_3)
	v_cmp_u_f32_e64 s2, v12, v12
	v_cmp_o_f32_e64 s3, v13, v13
	v_cmp_lt_f32_e64 s4, v13, v12
	v_lshrrev_b16 v12, 8, v11
	v_cmp_eq_u32_e64 s5, 1, v14
	s_and_b32 s2, s2, s3
	s_wait_alu 0xfffe
	s_or_b32 s3, s2, s4
	v_cmp_ne_u16_e64 s2, 0, v12
	s_wait_alu 0xfffe
	s_and_b32 s3, s3, s5
	s_wait_alu 0xfffe
	s_xor_b32 s3, s3, -1
	s_wait_alu 0xfffe
	s_and_b32 s3, s3, s2
	s_wait_alu 0xfffe
	s_and_saveexec_b32 s2, s3
	s_cbranch_execz .LBB67_39
; %bb.38:
	ds_load_b128 v[12:15], v19
	v_lshlrev_b16 v17, 8, v11
	v_alignbit_b32 v16, v10, v10, 16
	s_wait_dscnt 0x0
	v_dual_mov_b32 v10, v14 :: v_dual_mov_b32 v11, v15
	s_delay_alu instid0(VALU_DEP_3)
	v_or_b32_e32 v14, 1, v17
	ds_store_b32 v2, v16
	ds_store_b128 v19, v[10:13]
	ds_store_b16 v3, v14
.LBB67_39:
	s_wait_alu 0xfffe
	s_or_b32 exec_lo, exec_lo, s2
	s_wait_loadcnt_dscnt 0x0
	s_barrier_signal -1
	s_barrier_wait -1
	global_inv scope:SCOPE_SE
	s_and_saveexec_b32 s2, s0
	s_cbranch_execz .LBB67_44
; %bb.40:
	s_and_saveexec_b32 s0, vcc_lo
	s_cbranch_execz .LBB67_42
; %bb.41:
	v_mad_co_u64_u32 v[2:3], null, v6, s10, v[1:2]
	v_mov_b32_e32 v3, 0
	v_mad_co_u64_u32 v[10:11], null, v6, s7, v[0:1]
	ds_load_u16 v6, v8
	ds_load_b64 v[8:9], v9
	v_mov_b32_e32 v11, v3
	v_lshlrev_b64_e32 v[2:3], 1, v[2:3]
	s_delay_alu instid0(VALU_DEP_2) | instskip(NEXT) | instid1(VALU_DEP_2)
	v_lshlrev_b64_e32 v[10:11], 3, v[10:11]
	v_add_co_u32 v2, vcc_lo, s12, v2
	s_wait_alu 0xfffd
	s_delay_alu instid0(VALU_DEP_3) | instskip(NEXT) | instid1(VALU_DEP_3)
	v_add_co_ci_u32_e64 v3, null, s13, v3, vcc_lo
	v_add_co_u32 v10, vcc_lo, s14, v10
	s_wait_alu 0xfffd
	v_add_co_ci_u32_e64 v11, null, s15, v11, vcc_lo
	s_wait_dscnt 0x1
	global_store_b16 v[2:3], v6, off
	s_wait_dscnt 0x0
	global_store_b64 v[10:11], v[8:9], off
.LBB67_42:
	s_wait_alu 0xfffe
	s_or_b32 exec_lo, exec_lo, s0
	s_delay_alu instid0(SALU_CYCLE_1)
	s_and_b32 exec_lo, exec_lo, s1
	s_cbranch_execz .LBB67_44
; %bb.43:
	v_mad_co_u64_u32 v[1:2], null, v7, s10, v[1:2]
	v_mov_b32_e32 v2, 0
	ds_load_u16 v8, v4
	ds_load_b64 v[3:4], v5
	v_mad_co_u64_u32 v[6:7], null, v7, s7, v[0:1]
	v_mov_b32_e32 v7, v2
	v_lshlrev_b64_e32 v[0:1], 1, v[1:2]
	s_delay_alu instid0(VALU_DEP_2) | instskip(NEXT) | instid1(VALU_DEP_2)
	v_lshlrev_b64_e32 v[5:6], 3, v[6:7]
	v_add_co_u32 v0, vcc_lo, s12, v0
	s_wait_alu 0xfffd
	s_delay_alu instid0(VALU_DEP_3) | instskip(NEXT) | instid1(VALU_DEP_3)
	v_add_co_ci_u32_e64 v1, null, s13, v1, vcc_lo
	v_add_co_u32 v5, vcc_lo, s14, v5
	s_wait_alu 0xfffd
	v_add_co_ci_u32_e64 v6, null, s15, v6, vcc_lo
	s_wait_dscnt 0x1
	global_store_b16 v[0:1], v8, off
	s_wait_dscnt 0x0
	global_store_b64 v[5:6], v[3:4], off
.LBB67_44:
	s_endpgm
	.section	.rodata,"a",@progbits
	.p2align	6, 0x0
	.amdhsa_kernel _ZN2at6native20bitonicSortKVInPlaceILi2ELin1ELi16ELi16EN3c108BFloat16ElNS0_4GTOpIS3_Lb1EEEjEEvNS_4cuda6detail10TensorInfoIT3_T6_EESA_SA_SA_NS8_IT4_SA_EESA_T5_
		.amdhsa_group_segment_fixed_size 5632
		.amdhsa_private_segment_fixed_size 0
		.amdhsa_kernarg_size 712
		.amdhsa_user_sgpr_count 2
		.amdhsa_user_sgpr_dispatch_ptr 0
		.amdhsa_user_sgpr_queue_ptr 0
		.amdhsa_user_sgpr_kernarg_segment_ptr 1
		.amdhsa_user_sgpr_dispatch_id 0
		.amdhsa_user_sgpr_private_segment_size 0
		.amdhsa_wavefront_size32 1
		.amdhsa_uses_dynamic_stack 0
		.amdhsa_enable_private_segment 0
		.amdhsa_system_sgpr_workgroup_id_x 1
		.amdhsa_system_sgpr_workgroup_id_y 1
		.amdhsa_system_sgpr_workgroup_id_z 1
		.amdhsa_system_sgpr_workgroup_info 0
		.amdhsa_system_vgpr_workitem_id 1
		.amdhsa_next_free_vgpr 35
		.amdhsa_next_free_sgpr 19
		.amdhsa_reserve_vcc 1
		.amdhsa_float_round_mode_32 0
		.amdhsa_float_round_mode_16_64 0
		.amdhsa_float_denorm_mode_32 3
		.amdhsa_float_denorm_mode_16_64 3
		.amdhsa_fp16_overflow 0
		.amdhsa_workgroup_processor_mode 1
		.amdhsa_memory_ordered 1
		.amdhsa_forward_progress 1
		.amdhsa_inst_pref_size 43
		.amdhsa_round_robin_scheduling 0
		.amdhsa_exception_fp_ieee_invalid_op 0
		.amdhsa_exception_fp_denorm_src 0
		.amdhsa_exception_fp_ieee_div_zero 0
		.amdhsa_exception_fp_ieee_overflow 0
		.amdhsa_exception_fp_ieee_underflow 0
		.amdhsa_exception_fp_ieee_inexact 0
		.amdhsa_exception_int_div_zero 0
	.end_amdhsa_kernel
	.section	.text._ZN2at6native20bitonicSortKVInPlaceILi2ELin1ELi16ELi16EN3c108BFloat16ElNS0_4GTOpIS3_Lb1EEEjEEvNS_4cuda6detail10TensorInfoIT3_T6_EESA_SA_SA_NS8_IT4_SA_EESA_T5_,"axG",@progbits,_ZN2at6native20bitonicSortKVInPlaceILi2ELin1ELi16ELi16EN3c108BFloat16ElNS0_4GTOpIS3_Lb1EEEjEEvNS_4cuda6detail10TensorInfoIT3_T6_EESA_SA_SA_NS8_IT4_SA_EESA_T5_,comdat
.Lfunc_end67:
	.size	_ZN2at6native20bitonicSortKVInPlaceILi2ELin1ELi16ELi16EN3c108BFloat16ElNS0_4GTOpIS3_Lb1EEEjEEvNS_4cuda6detail10TensorInfoIT3_T6_EESA_SA_SA_NS8_IT4_SA_EESA_T5_, .Lfunc_end67-_ZN2at6native20bitonicSortKVInPlaceILi2ELin1ELi16ELi16EN3c108BFloat16ElNS0_4GTOpIS3_Lb1EEEjEEvNS_4cuda6detail10TensorInfoIT3_T6_EESA_SA_SA_NS8_IT4_SA_EESA_T5_
                                        ; -- End function
	.set _ZN2at6native20bitonicSortKVInPlaceILi2ELin1ELi16ELi16EN3c108BFloat16ElNS0_4GTOpIS3_Lb1EEEjEEvNS_4cuda6detail10TensorInfoIT3_T6_EESA_SA_SA_NS8_IT4_SA_EESA_T5_.num_vgpr, 35
	.set _ZN2at6native20bitonicSortKVInPlaceILi2ELin1ELi16ELi16EN3c108BFloat16ElNS0_4GTOpIS3_Lb1EEEjEEvNS_4cuda6detail10TensorInfoIT3_T6_EESA_SA_SA_NS8_IT4_SA_EESA_T5_.num_agpr, 0
	.set _ZN2at6native20bitonicSortKVInPlaceILi2ELin1ELi16ELi16EN3c108BFloat16ElNS0_4GTOpIS3_Lb1EEEjEEvNS_4cuda6detail10TensorInfoIT3_T6_EESA_SA_SA_NS8_IT4_SA_EESA_T5_.numbered_sgpr, 19
	.set _ZN2at6native20bitonicSortKVInPlaceILi2ELin1ELi16ELi16EN3c108BFloat16ElNS0_4GTOpIS3_Lb1EEEjEEvNS_4cuda6detail10TensorInfoIT3_T6_EESA_SA_SA_NS8_IT4_SA_EESA_T5_.num_named_barrier, 0
	.set _ZN2at6native20bitonicSortKVInPlaceILi2ELin1ELi16ELi16EN3c108BFloat16ElNS0_4GTOpIS3_Lb1EEEjEEvNS_4cuda6detail10TensorInfoIT3_T6_EESA_SA_SA_NS8_IT4_SA_EESA_T5_.private_seg_size, 0
	.set _ZN2at6native20bitonicSortKVInPlaceILi2ELin1ELi16ELi16EN3c108BFloat16ElNS0_4GTOpIS3_Lb1EEEjEEvNS_4cuda6detail10TensorInfoIT3_T6_EESA_SA_SA_NS8_IT4_SA_EESA_T5_.uses_vcc, 1
	.set _ZN2at6native20bitonicSortKVInPlaceILi2ELin1ELi16ELi16EN3c108BFloat16ElNS0_4GTOpIS3_Lb1EEEjEEvNS_4cuda6detail10TensorInfoIT3_T6_EESA_SA_SA_NS8_IT4_SA_EESA_T5_.uses_flat_scratch, 0
	.set _ZN2at6native20bitonicSortKVInPlaceILi2ELin1ELi16ELi16EN3c108BFloat16ElNS0_4GTOpIS3_Lb1EEEjEEvNS_4cuda6detail10TensorInfoIT3_T6_EESA_SA_SA_NS8_IT4_SA_EESA_T5_.has_dyn_sized_stack, 0
	.set _ZN2at6native20bitonicSortKVInPlaceILi2ELin1ELi16ELi16EN3c108BFloat16ElNS0_4GTOpIS3_Lb1EEEjEEvNS_4cuda6detail10TensorInfoIT3_T6_EESA_SA_SA_NS8_IT4_SA_EESA_T5_.has_recursion, 0
	.set _ZN2at6native20bitonicSortKVInPlaceILi2ELin1ELi16ELi16EN3c108BFloat16ElNS0_4GTOpIS3_Lb1EEEjEEvNS_4cuda6detail10TensorInfoIT3_T6_EESA_SA_SA_NS8_IT4_SA_EESA_T5_.has_indirect_call, 0
	.section	.AMDGPU.csdata,"",@progbits
; Kernel info:
; codeLenInByte = 5420
; TotalNumSgprs: 21
; NumVgprs: 35
; ScratchSize: 0
; MemoryBound: 0
; FloatMode: 240
; IeeeMode: 1
; LDSByteSize: 5632 bytes/workgroup (compile time only)
; SGPRBlocks: 0
; VGPRBlocks: 4
; NumSGPRsForWavesPerEU: 21
; NumVGPRsForWavesPerEU: 35
; Occupancy: 16
; WaveLimiterHint : 1
; COMPUTE_PGM_RSRC2:SCRATCH_EN: 0
; COMPUTE_PGM_RSRC2:USER_SGPR: 2
; COMPUTE_PGM_RSRC2:TRAP_HANDLER: 0
; COMPUTE_PGM_RSRC2:TGID_X_EN: 1
; COMPUTE_PGM_RSRC2:TGID_Y_EN: 1
; COMPUTE_PGM_RSRC2:TGID_Z_EN: 1
; COMPUTE_PGM_RSRC2:TIDIG_COMP_CNT: 1
	.section	.text._ZN2at6native20bitonicSortKVInPlaceILin1ELin1ELi16ELi16EN3c108BFloat16ElNS0_4LTOpIS3_Lb1EEEjEEvNS_4cuda6detail10TensorInfoIT3_T6_EESA_SA_SA_NS8_IT4_SA_EESA_T5_,"axG",@progbits,_ZN2at6native20bitonicSortKVInPlaceILin1ELin1ELi16ELi16EN3c108BFloat16ElNS0_4LTOpIS3_Lb1EEEjEEvNS_4cuda6detail10TensorInfoIT3_T6_EESA_SA_SA_NS8_IT4_SA_EESA_T5_,comdat
	.protected	_ZN2at6native20bitonicSortKVInPlaceILin1ELin1ELi16ELi16EN3c108BFloat16ElNS0_4LTOpIS3_Lb1EEEjEEvNS_4cuda6detail10TensorInfoIT3_T6_EESA_SA_SA_NS8_IT4_SA_EESA_T5_ ; -- Begin function _ZN2at6native20bitonicSortKVInPlaceILin1ELin1ELi16ELi16EN3c108BFloat16ElNS0_4LTOpIS3_Lb1EEEjEEvNS_4cuda6detail10TensorInfoIT3_T6_EESA_SA_SA_NS8_IT4_SA_EESA_T5_
	.globl	_ZN2at6native20bitonicSortKVInPlaceILin1ELin1ELi16ELi16EN3c108BFloat16ElNS0_4LTOpIS3_Lb1EEEjEEvNS_4cuda6detail10TensorInfoIT3_T6_EESA_SA_SA_NS8_IT4_SA_EESA_T5_
	.p2align	8
	.type	_ZN2at6native20bitonicSortKVInPlaceILin1ELin1ELi16ELi16EN3c108BFloat16ElNS0_4LTOpIS3_Lb1EEEjEEvNS_4cuda6detail10TensorInfoIT3_T6_EESA_SA_SA_NS8_IT4_SA_EESA_T5_,@function
_ZN2at6native20bitonicSortKVInPlaceILin1ELin1ELi16ELi16EN3c108BFloat16ElNS0_4LTOpIS3_Lb1EEEjEEvNS_4cuda6detail10TensorInfoIT3_T6_EESA_SA_SA_NS8_IT4_SA_EESA_T5_: ; @_ZN2at6native20bitonicSortKVInPlaceILin1ELin1ELi16ELi16EN3c108BFloat16ElNS0_4LTOpIS3_Lb1EEEjEEvNS_4cuda6detail10TensorInfoIT3_T6_EESA_SA_SA_NS8_IT4_SA_EESA_T5_
; %bb.0:
	s_clause 0x2
	s_load_b64 s[2:3], s[0:1], 0x1c8
	s_load_u16 s4, s[0:1], 0x1d6
	s_load_b96 s[8:10], s[0:1], 0xd8
	s_lshr_b32 s5, ttmp7, 16
	s_wait_kmcnt 0x0
	s_mul_i32 s3, s3, s5
	s_and_b32 s5, ttmp7, 0xffff
	s_delay_alu instid0(SALU_CYCLE_1) | instskip(NEXT) | instid1(SALU_CYCLE_1)
	s_add_co_i32 s3, s3, s5
	s_mul_i32 s2, s3, s2
	s_delay_alu instid0(SALU_CYCLE_1) | instskip(NEXT) | instid1(SALU_CYCLE_1)
	s_add_co_i32 s3, s2, ttmp9
	s_mul_i32 s3, s3, s4
	s_delay_alu instid0(SALU_CYCLE_1)
	s_cmp_ge_u32 s3, s8
	s_cbranch_scc1 .LBB68_46
; %bb.1:
	s_load_b32 s2, s[0:1], 0xd0
	v_bfe_u32 v8, v0, 10, 10
	s_delay_alu instid0(VALU_DEP_1) | instskip(NEXT) | instid1(VALU_DEP_1)
	v_dual_mov_b32 v1, 0 :: v_dual_add_nc_u32 v6, s3, v8
	v_mov_b32_e32 v3, v6
	s_wait_kmcnt 0x0
	s_cmp_lt_i32 s2, 2
	s_cbranch_scc1 .LBB68_4
; %bb.2:
	s_add_co_i32 s4, s2, -1
	s_mov_b32 s5, 0
	v_mov_b32_e32 v1, 0
	s_lshl_b64 s[4:5], s[4:5], 2
	v_mov_b32_e32 v3, v6
	s_add_nc_u64 s[6:7], s[0:1], s[4:5]
	s_add_co_i32 s4, s2, 1
	s_add_nc_u64 s[2:3], s[6:7], 8
.LBB68_3:                               ; =>This Inner Loop Header: Depth=1
	s_clause 0x1
	s_load_b32 s5, s[2:3], 0x0
	s_load_b32 s6, s[2:3], 0x64
	s_add_co_i32 s4, s4, -1
	s_add_nc_u64 s[2:3], s[2:3], -4
	s_wait_kmcnt 0x0
	s_cvt_f32_u32 s7, s5
	s_sub_co_i32 s11, 0, s5
	s_wait_alu 0xfffe
	s_delay_alu instid0(SALU_CYCLE_1) | instskip(NEXT) | instid1(TRANS32_DEP_1)
	v_rcp_iflag_f32_e32 v2, s7
	v_readfirstlane_b32 s7, v2
	v_mov_b32_e32 v2, v3
	s_mul_f32 s7, s7, 0x4f7ffffe
	s_wait_alu 0xfffe
	s_delay_alu instid0(SALU_CYCLE_2) | instskip(SKIP_1) | instid1(SALU_CYCLE_2)
	s_cvt_u32_f32 s7, s7
	s_wait_alu 0xfffe
	s_mul_i32 s11, s11, s7
	s_delay_alu instid0(SALU_CYCLE_1) | instskip(NEXT) | instid1(SALU_CYCLE_1)
	s_mul_hi_u32 s11, s7, s11
	s_add_co_i32 s7, s7, s11
	s_cmp_gt_u32 s4, 2
	s_wait_alu 0xfffe
	v_mul_hi_u32 v3, v2, s7
	s_delay_alu instid0(VALU_DEP_1) | instskip(SKIP_1) | instid1(VALU_DEP_2)
	v_mul_lo_u32 v4, v3, s5
	v_add_nc_u32_e32 v5, 1, v3
	v_sub_nc_u32_e32 v4, v2, v4
	s_delay_alu instid0(VALU_DEP_1) | instskip(SKIP_2) | instid1(VALU_DEP_2)
	v_subrev_nc_u32_e32 v7, s5, v4
	v_cmp_le_u32_e32 vcc_lo, s5, v4
	s_wait_alu 0xfffd
	v_dual_cndmask_b32 v3, v3, v5 :: v_dual_cndmask_b32 v4, v4, v7
	s_delay_alu instid0(VALU_DEP_1) | instskip(NEXT) | instid1(VALU_DEP_2)
	v_add_nc_u32_e32 v5, 1, v3
	v_cmp_le_u32_e32 vcc_lo, s5, v4
	s_wait_alu 0xfffd
	s_delay_alu instid0(VALU_DEP_2) | instskip(NEXT) | instid1(VALU_DEP_1)
	v_cndmask_b32_e32 v3, v3, v5, vcc_lo
	v_mul_lo_u32 v4, v3, s5
	s_delay_alu instid0(VALU_DEP_1) | instskip(NEXT) | instid1(VALU_DEP_1)
	v_sub_nc_u32_e32 v2, v2, v4
	v_mad_co_u64_u32 v[1:2], null, s6, v2, v[1:2]
	s_cbranch_scc1 .LBB68_3
.LBB68_4:
	s_load_b32 s4, s[0:1], 0x1b8
	v_dual_mov_b32 v4, 0 :: v_dual_mov_b32 v9, v6
	s_add_nc_u64 s[2:3], s[0:1], 0x1c8
	s_wait_kmcnt 0x0
	s_cmp_lt_i32 s4, 2
	s_cbranch_scc1 .LBB68_7
; %bb.5:
	s_add_co_i32 s6, s4, -1
	s_mov_b32 s7, 0
	v_dual_mov_b32 v4, 0 :: v_dual_mov_b32 v9, v6
	s_wait_alu 0xfffe
	s_lshl_b64 s[6:7], s[6:7], 2
	s_wait_alu 0xfffe
	s_add_nc_u64 s[12:13], s[0:1], s[6:7]
	s_add_co_i32 s6, s4, 1
	s_add_nc_u64 s[4:5], s[12:13], 0xf0
.LBB68_6:                               ; =>This Inner Loop Header: Depth=1
	s_clause 0x1
	s_load_b32 s7, s[4:5], 0x0
	s_load_b32 s11, s[4:5], 0x64
	s_add_co_i32 s6, s6, -1
	s_add_nc_u64 s[4:5], s[4:5], -4
	s_wait_kmcnt 0x0
	s_cvt_f32_u32 s12, s7
	s_sub_co_i32 s13, 0, s7
	s_wait_alu 0xfffe
	s_delay_alu instid0(SALU_CYCLE_1) | instskip(NEXT) | instid1(TRANS32_DEP_1)
	v_rcp_iflag_f32_e32 v2, s12
	v_readfirstlane_b32 s12, v2
	v_mov_b32_e32 v2, v9
	s_mul_f32 s12, s12, 0x4f7ffffe
	s_wait_alu 0xfffe
	s_delay_alu instid0(SALU_CYCLE_2) | instskip(SKIP_1) | instid1(SALU_CYCLE_2)
	s_cvt_u32_f32 s12, s12
	s_wait_alu 0xfffe
	s_mul_i32 s13, s13, s12
	s_wait_alu 0xfffe
	s_mul_hi_u32 s13, s12, s13
	s_wait_alu 0xfffe
	s_add_co_i32 s12, s12, s13
	s_cmp_gt_u32 s6, 2
	s_wait_alu 0xfffe
	v_mul_hi_u32 v5, v2, s12
	s_delay_alu instid0(VALU_DEP_1) | instskip(SKIP_1) | instid1(VALU_DEP_2)
	v_mul_lo_u32 v7, v5, s7
	v_add_nc_u32_e32 v9, 1, v5
	v_sub_nc_u32_e32 v7, v2, v7
	s_delay_alu instid0(VALU_DEP_1) | instskip(SKIP_3) | instid1(VALU_DEP_3)
	v_subrev_nc_u32_e32 v10, s7, v7
	v_cmp_le_u32_e32 vcc_lo, s7, v7
	s_wait_alu 0xfffd
	v_cndmask_b32_e32 v5, v5, v9, vcc_lo
	v_cndmask_b32_e32 v7, v7, v10, vcc_lo
	s_delay_alu instid0(VALU_DEP_2) | instskip(NEXT) | instid1(VALU_DEP_2)
	v_add_nc_u32_e32 v9, 1, v5
	v_cmp_le_u32_e32 vcc_lo, s7, v7
	s_wait_alu 0xfffd
	s_delay_alu instid0(VALU_DEP_2) | instskip(NEXT) | instid1(VALU_DEP_1)
	v_cndmask_b32_e32 v9, v5, v9, vcc_lo
	v_mul_lo_u32 v5, v9, s7
	s_delay_alu instid0(VALU_DEP_1) | instskip(NEXT) | instid1(VALU_DEP_1)
	v_sub_nc_u32_e32 v2, v2, v5
	v_mad_co_u64_u32 v[4:5], null, s11, v2, v[4:5]
	s_cbranch_scc1 .LBB68_6
.LBB68_7:
	s_clause 0x1
	s_load_b32 s4, s[0:1], 0x6c
	s_load_b32 s5, s[0:1], 0x154
	;; [unrolled: 1-line block ×3, first 2 shown]
	s_clause 0x2
	s_load_b32 s7, s[0:1], 0x1c0
	s_load_b64 s[14:15], s[0:1], 0x0
	s_load_b64 s[12:13], s[0:1], 0xe8
	v_and_b32_e32 v7, 0x3ff, v0
	v_cmp_gt_u32_e64 s0, s8, v6
	v_dual_mov_b32 v10, 0 :: v_dual_mov_b32 v11, 0
	s_wait_kmcnt 0x0
	v_mad_co_u64_u32 v[2:3], null, s4, v3, v[1:2]
	v_mad_co_u64_u32 v[0:1], null, s5, v9, v[4:5]
	v_mov_b32_e32 v3, 0
	v_mov_b32_e32 v4, 0
	v_cmp_gt_u32_e32 vcc_lo, s9, v7
	v_mov_b32_e32 v5, 0
	v_mov_b32_e32 v6, 0
	s_and_b32 s4, s0, vcc_lo
	s_wait_alu 0xfffe
	s_and_saveexec_b32 s3, s4
	s_cbranch_execz .LBB68_9
; %bb.8:
	v_mad_co_u64_u32 v[5:6], null, v7, s10, v[2:3]
	v_mov_b32_e32 v6, 0
	v_mad_co_u64_u32 v[11:12], null, v7, s7, v[0:1]
	s_delay_alu instid0(VALU_DEP_2) | instskip(NEXT) | instid1(VALU_DEP_4)
	v_mov_b32_e32 v12, v6
	v_lshlrev_b64_e32 v[5:6], 1, v[5:6]
	s_delay_alu instid0(VALU_DEP_2) | instskip(NEXT) | instid1(VALU_DEP_2)
	v_lshlrev_b64_e32 v[11:12], 3, v[11:12]
	v_add_co_u32 v5, s1, s14, v5
	s_delay_alu instid0(VALU_DEP_1) | instskip(NEXT) | instid1(VALU_DEP_3)
	v_add_co_ci_u32_e64 v6, null, s15, v6, s1
	v_add_co_u32 v13, s1, s12, v11
	s_wait_alu 0xf1ff
	s_delay_alu instid0(VALU_DEP_4)
	v_add_co_ci_u32_e64 v14, null, s13, v12, s1
	global_load_u16 v11, v[5:6], off
	global_load_b64 v[5:6], v[13:14], off
.LBB68_9:
	s_wait_alu 0xfffe
	s_or_b32 exec_lo, exec_lo, s3
	s_and_b32 s3, 0xffff, s2
	v_lshl_add_u32 v15, v8, 6, 0x1000
	s_wait_alu 0xfffe
	v_add_nc_u32_e32 v1, s3, v7
	v_lshlrev_b32_e32 v12, 8, v8
	v_lshl_add_u32 v14, v8, 5, 0x1400
	v_cndmask_b32_e64 v13, 0, 1, s4
	v_lshl_add_u32 v8, v7, 1, v15
	v_cmp_gt_u32_e64 s1, s9, v1
	v_lshl_add_u32 v9, v7, 3, v12
	v_add_nc_u32_e32 v16, v14, v7
	s_wait_loadcnt 0x1
	ds_store_b16 v8, v11
	s_wait_loadcnt 0x0
	ds_store_b64 v9, v[5:6]
	ds_store_b8 v16, v13
	s_and_b32 s4, s0, s1
	s_wait_alu 0xfffe
	s_and_saveexec_b32 s5, s4
	s_cbranch_execz .LBB68_11
; %bb.10:
	v_mad_co_u64_u32 v[3:4], null, v1, s10, v[2:3]
	v_mov_b32_e32 v4, 0
	v_mad_co_u64_u32 v[5:6], null, v1, s7, v[0:1]
	s_delay_alu instid0(VALU_DEP_2) | instskip(NEXT) | instid1(VALU_DEP_4)
	v_mov_b32_e32 v6, v4
	v_lshlrev_b64_e32 v[3:4], 1, v[3:4]
	s_delay_alu instid0(VALU_DEP_2) | instskip(NEXT) | instid1(VALU_DEP_2)
	v_lshlrev_b64_e32 v[5:6], 3, v[5:6]
	v_add_co_u32 v3, s2, s14, v3
	s_wait_alu 0xf1ff
	s_delay_alu instid0(VALU_DEP_3) | instskip(NEXT) | instid1(VALU_DEP_3)
	v_add_co_ci_u32_e64 v4, null, s15, v4, s2
	v_add_co_u32 v5, s2, s12, v5
	s_wait_alu 0xf1ff
	v_add_co_ci_u32_e64 v6, null, s13, v6, s2
	global_load_u16 v10, v[3:4], off
	global_load_b64 v[3:4], v[5:6], off
.LBB68_11:
	s_wait_alu 0xfffe
	s_or_b32 exec_lo, exec_lo, s5
	v_lshl_add_u32 v5, s3, 1, v8
	v_lshlrev_b32_e32 v16, 1, v7
	v_lshl_add_u32 v6, s3, 3, v9
	v_cndmask_b32_e64 v11, 0, 1, s4
	v_add_nc_u32_e32 v13, v14, v1
	s_wait_loadcnt 0x1
	ds_store_b16 v5, v10
	s_wait_loadcnt 0x0
	ds_store_b64 v6, v[3:4]
	ds_store_b8 v13, v11
	v_add_nc_u32_e32 v3, v8, v16
	v_add_nc_u32_e32 v4, v14, v16
	s_wait_dscnt 0x0
	s_barrier_signal -1
	s_barrier_wait -1
	global_inv scope:SCOPE_SE
	ds_load_b32 v11, v3
	ds_load_u16 v13, v4
	v_and_b32_e32 v10, 1, v7
	s_wait_dscnt 0x1
	v_and_b32_e32 v17, 0xffff0000, v11
	v_lshlrev_b32_e32 v19, 16, v11
	s_wait_dscnt 0x0
	v_lshrrev_b16 v18, 8, v13
	v_and_b32_e32 v20, 1, v13
	v_cmp_u_f32_e64 s2, v17, v17
	v_cmp_o_f32_e64 s3, v19, v19
	s_delay_alu instid0(VALU_DEP_4)
	v_cmp_ne_u16_e64 s6, v18, v10
	v_cmp_lt_f32_e64 s4, v19, v17
	v_cmp_eq_u32_e64 s5, 1, v20
	s_and_b32 s2, s2, s3
	v_cndmask_b32_e64 v17, 0, 1, s6
	s_wait_alu 0xfffe
	s_or_b32 s2, s2, s4
	s_wait_alu 0xfffe
	s_and_b32 s2, s2, s5
	s_wait_alu 0xfffe
	v_cndmask_b32_e64 v17, v17, v7, s2
	s_delay_alu instid0(VALU_DEP_1) | instskip(NEXT) | instid1(VALU_DEP_1)
	v_and_b32_e32 v17, 1, v17
	v_cmp_eq_u32_e64 s2, 1, v17
	v_lshl_add_u32 v17, v7, 3, v9
	s_and_saveexec_b32 s3, s2
	s_wait_alu 0xfffe
	s_xor_b32 s2, exec_lo, s3
	s_cbranch_execz .LBB68_13
; %bb.12:
	ds_load_b128 v[19:22], v17
	v_lshlrev_b16 v13, 8, v13
	v_alignbit_b32 v11, v11, v11, 16
	s_delay_alu instid0(VALU_DEP_2)
	v_or_b32_e32 v13, v18, v13
	s_wait_dscnt 0x0
	v_dual_mov_b32 v23, v19 :: v_dual_mov_b32 v24, v20
	ds_store_b32 v3, v11
	ds_store_b128 v17, v[21:24]
	ds_store_b16 v4, v13
.LBB68_13:
	s_wait_alu 0xfffe
	s_or_b32 exec_lo, exec_lo, s2
	v_sub_nc_u32_e32 v13, v16, v10
	s_wait_loadcnt_dscnt 0x0
	s_barrier_signal -1
	s_barrier_wait -1
	global_inv scope:SCOPE_SE
	v_lshl_add_u32 v10, v13, 1, v15
	v_add_nc_u32_e32 v11, v14, v13
	v_bfe_u32 v24, v7, 1, 1
	v_lshl_add_u32 v13, v13, 3, v12
	ds_load_u16 v19, v10 offset:4
	ds_load_u16 v18, v10
	ds_load_u8 v20, v11
	ds_load_u8 v22, v11 offset:2
	s_wait_dscnt 0x3
	v_lshlrev_b32_e32 v21, 16, v19
	s_wait_dscnt 0x2
	v_lshlrev_b32_e32 v23, 16, v18
	s_wait_dscnt 0x1
	v_and_b32_e32 v25, 1, v20
	s_wait_dscnt 0x0
	v_cmp_ne_u16_e64 s5, v22, v24
	v_cmp_u_f32_e64 s2, v21, v21
	v_cmp_o_f32_e64 s3, v23, v23
	v_cmp_lt_f32_e64 s4, v23, v21
	s_wait_alu 0xf1ff
	v_cndmask_b32_e64 v21, 0, 1, s5
	v_cmp_eq_u32_e64 s5, 1, v25
	s_and_b32 s2, s2, s3
	s_wait_alu 0xfffe
	s_or_b32 s2, s2, s4
	s_wait_alu 0xfffe
	s_and_b32 s2, s2, s5
	s_wait_alu 0xfffe
	v_cndmask_b32_e64 v23, v21, v24, s2
	v_and_b32_e32 v21, 2, v7
	s_delay_alu instid0(VALU_DEP_2) | instskip(NEXT) | instid1(VALU_DEP_2)
	v_and_b32_e32 v23, 1, v23
	v_cmp_ne_u32_e64 s2, 0, v21
	s_delay_alu instid0(VALU_DEP_2)
	v_cmp_eq_u32_e64 s3, 1, v23
	s_and_saveexec_b32 s4, s3
	s_wait_alu 0xfffe
	s_xor_b32 s3, exec_lo, s4
	s_cbranch_execz .LBB68_15
; %bb.14:
	ds_load_2addr_b64 v[23:26], v13 offset1:2
	s_wait_dscnt 0x0
	ds_store_2addr_b64 v13, v[25:26], v[23:24] offset1:2
	ds_store_b16 v10, v19
	ds_store_b16 v10, v18 offset:4
	ds_store_b8 v11, v22
	ds_store_b8 v11, v20 offset:2
.LBB68_15:
	s_wait_alu 0xfffe
	s_or_b32 exec_lo, exec_lo, s3
	s_wait_loadcnt_dscnt 0x0
	s_barrier_signal -1
	s_barrier_wait -1
	global_inv scope:SCOPE_SE
	ds_load_b32 v18, v3
	ds_load_u16 v19, v4
	v_lshrrev_b32_e32 v21, 1, v21
	v_cndmask_b32_e64 v24, 0, 1, s2
	s_wait_dscnt 0x1
	v_and_b32_e32 v22, 0xffff0000, v18
	v_lshlrev_b32_e32 v23, 16, v18
	s_wait_dscnt 0x0
	v_lshrrev_b16 v20, 8, v19
	v_and_b32_e32 v25, 1, v19
	v_cmp_u_f32_e64 s2, v22, v22
	v_cmp_o_f32_e64 s3, v23, v23
	s_delay_alu instid0(VALU_DEP_4)
	v_cmp_ne_u16_e64 s6, v20, v21
	v_cmp_lt_f32_e64 s4, v23, v22
	v_cmp_eq_u32_e64 s5, 1, v25
	s_and_b32 s2, s2, s3
	v_cndmask_b32_e64 v21, 0, 1, s6
	s_wait_alu 0xfffe
	s_or_b32 s2, s2, s4
	s_mov_b32 s3, exec_lo
	s_wait_alu 0xfffe
	s_and_b32 s2, s2, s5
	s_wait_alu 0xfffe
	v_cndmask_b32_e64 v21, v21, v24, s2
	s_delay_alu instid0(VALU_DEP_1) | instskip(NEXT) | instid1(VALU_DEP_1)
	v_and_b32_e32 v21, 1, v21
	v_cmpx_eq_u32_e32 1, v21
	s_cbranch_execz .LBB68_17
; %bb.16:
	ds_load_b128 v[21:24], v17
	v_lshlrev_b16 v19, 8, v19
	v_alignbit_b32 v18, v18, v18, 16
	s_delay_alu instid0(VALU_DEP_2)
	v_or_b32_e32 v19, v20, v19
	s_wait_dscnt 0x0
	v_dual_mov_b32 v25, v21 :: v_dual_mov_b32 v26, v22
	ds_store_b32 v3, v18
	ds_store_b128 v17, v[23:26]
	ds_store_b16 v4, v19
.LBB68_17:
	s_or_b32 exec_lo, exec_lo, s3
	v_and_b32_e32 v17, 3, v7
	s_wait_loadcnt_dscnt 0x0
	s_barrier_signal -1
	s_barrier_wait -1
	global_inv scope:SCOPE_SE
	v_sub_nc_u32_e32 v20, v16, v17
	v_bfe_u32 v26, v7, 2, 1
	s_delay_alu instid0(VALU_DEP_2)
	v_lshl_add_u32 v17, v20, 1, v15
	v_add_nc_u32_e32 v18, v14, v20
	v_lshl_add_u32 v20, v20, 3, v12
	ds_load_u16 v21, v17 offset:8
	ds_load_u16 v19, v17
	ds_load_u8 v22, v18
	ds_load_u8 v23, v18 offset:4
	s_wait_dscnt 0x3
	v_lshlrev_b32_e32 v24, 16, v21
	s_wait_dscnt 0x2
	v_lshlrev_b32_e32 v25, 16, v19
	s_wait_dscnt 0x1
	v_and_b32_e32 v27, 1, v22
	s_wait_dscnt 0x0
	v_cmp_ne_u16_e64 s5, v23, v26
	v_cmp_u_f32_e64 s2, v24, v24
	v_cmp_o_f32_e64 s3, v25, v25
	v_cmp_lt_f32_e64 s4, v25, v24
	s_wait_alu 0xf1ff
	v_cndmask_b32_e64 v24, 0, 1, s5
	v_cmp_eq_u32_e64 s5, 1, v27
	s_and_b32 s2, s2, s3
	s_wait_alu 0xfffe
	s_or_b32 s2, s2, s4
	s_mov_b32 s4, exec_lo
	s_wait_alu 0xfffe
	s_and_b32 s2, s2, s5
	s_wait_alu 0xfffe
	v_cndmask_b32_e64 v25, v24, v26, s2
	v_and_b32_e32 v24, 4, v7
	s_delay_alu instid0(VALU_DEP_2) | instskip(NEXT) | instid1(VALU_DEP_2)
	v_and_b32_e32 v25, 1, v25
	v_cmp_ne_u32_e64 s2, 0, v24
	s_delay_alu instid0(VALU_DEP_2)
	v_cmpx_eq_u32_e32 1, v25
	s_cbranch_execz .LBB68_19
; %bb.18:
	ds_load_2addr_b64 v[25:28], v20 offset1:4
	s_wait_dscnt 0x0
	ds_store_2addr_b64 v20, v[27:28], v[25:26] offset1:4
	ds_store_b16 v17, v21
	ds_store_b16 v17, v19 offset:8
	ds_store_b8 v18, v23
	ds_store_b8 v18, v22 offset:4
.LBB68_19:
	s_or_b32 exec_lo, exec_lo, s4
	s_wait_loadcnt_dscnt 0x0
	s_barrier_signal -1
	s_barrier_wait -1
	global_inv scope:SCOPE_SE
	ds_load_u16 v23, v10 offset:4
	ds_load_u16 v22, v10
	ds_load_u8 v25, v11
	ds_load_u8 v26, v11 offset:2
	v_lshrrev_b32_e32 v19, 2, v24
	v_cndmask_b32_e64 v21, 0, 1, s2
	s_wait_dscnt 0x3
	v_lshlrev_b32_e32 v27, 16, v23
	s_wait_dscnt 0x2
	v_lshlrev_b32_e32 v28, 16, v22
	s_wait_dscnt 0x1
	v_and_b32_e32 v24, 1, v25
	s_wait_dscnt 0x0
	v_cmp_ne_u16_e64 s5, v26, v19
	v_cmp_u_f32_e64 s2, v27, v27
	v_cmp_o_f32_e64 s3, v28, v28
	v_cmp_lt_f32_e64 s4, v28, v27
	s_wait_alu 0xf1ff
	v_cndmask_b32_e64 v27, 0, 1, s5
	v_cmp_eq_u32_e64 s5, 1, v24
	s_and_b32 s2, s2, s3
	s_mov_b32 s3, exec_lo
	s_wait_alu 0xfffe
	s_or_b32 s2, s2, s4
	s_wait_alu 0xfffe
	s_and_b32 s2, s2, s5
	s_wait_alu 0xfffe
	v_cndmask_b32_e64 v24, v27, v21, s2
	s_delay_alu instid0(VALU_DEP_1) | instskip(NEXT) | instid1(VALU_DEP_1)
	v_and_b32_e32 v24, 1, v24
	v_cmpx_eq_u32_e32 1, v24
	s_cbranch_execz .LBB68_21
; %bb.20:
	ds_load_2addr_b64 v[27:30], v13 offset1:2
	s_wait_dscnt 0x0
	ds_store_2addr_b64 v13, v[29:30], v[27:28] offset1:2
	ds_store_b16 v10, v23
	ds_store_b16 v10, v22 offset:4
	ds_store_b8 v11, v26
	ds_store_b8 v11, v25 offset:2
.LBB68_21:
	s_or_b32 exec_lo, exec_lo, s3
	s_wait_loadcnt_dscnt 0x0
	s_barrier_signal -1
	s_barrier_wait -1
	global_inv scope:SCOPE_SE
	ds_load_b32 v22, v3
	ds_load_u16 v24, v4
	s_wait_dscnt 0x1
	v_and_b32_e32 v25, 0xffff0000, v22
	v_lshlrev_b32_e32 v26, 16, v22
	s_wait_dscnt 0x0
	v_lshrrev_b16 v23, 8, v24
	v_and_b32_e32 v27, 1, v24
	v_cmp_u_f32_e64 s2, v25, v25
	v_cmp_o_f32_e64 s3, v26, v26
	s_delay_alu instid0(VALU_DEP_4)
	v_cmp_ne_u16_e64 s6, v23, v19
	v_cmp_lt_f32_e64 s4, v26, v25
	v_cmp_eq_u32_e64 s5, 1, v27
	s_and_b32 s2, s2, s3
	v_cndmask_b32_e64 v19, 0, 1, s6
	s_wait_alu 0xfffe
	s_or_b32 s2, s2, s4
	s_wait_alu 0xfffe
	s_and_b32 s2, s2, s5
	s_wait_alu 0xfffe
	v_cndmask_b32_e64 v19, v19, v21, s2
	s_delay_alu instid0(VALU_DEP_1) | instskip(NEXT) | instid1(VALU_DEP_1)
	v_and_b32_e32 v19, 1, v19
	v_cmp_eq_u32_e64 s2, 1, v19
	v_lshl_add_u32 v19, v16, 3, v12
	s_and_saveexec_b32 s3, s2
	s_cbranch_execz .LBB68_23
; %bb.22:
	ds_load_b128 v[25:28], v19
	v_alignbit_b32 v21, v22, v22, 16
	v_lshlrev_b16 v22, 8, v24
	s_delay_alu instid0(VALU_DEP_1)
	v_or_b32_e32 v22, v23, v22
	s_wait_dscnt 0x0
	v_dual_mov_b32 v29, v25 :: v_dual_mov_b32 v30, v26
	ds_store_b32 v3, v21
	ds_store_b128 v19, v[27:30]
	ds_store_b16 v4, v22
.LBB68_23:
	s_wait_alu 0xfffe
	s_or_b32 exec_lo, exec_lo, s3
	v_and_b32_e32 v21, 7, v7
	s_wait_loadcnt_dscnt 0x0
	s_barrier_signal -1
	s_barrier_wait -1
	global_inv scope:SCOPE_SE
	v_sub_nc_u32_e32 v23, v16, v21
	v_bfe_u32 v30, v7, 3, 1
	s_delay_alu instid0(VALU_DEP_2)
	v_lshl_add_u32 v21, v23, 1, v15
	v_add_nc_u32_e32 v22, v14, v23
	v_lshl_add_u32 v23, v23, 3, v12
	ds_load_u16 v25, v21 offset:16
	ds_load_u16 v24, v21
	ds_load_u8 v26, v22
	ds_load_u8 v27, v22 offset:8
	s_wait_dscnt 0x3
	v_lshlrev_b32_e32 v28, 16, v25
	s_wait_dscnt 0x2
	v_lshlrev_b32_e32 v29, 16, v24
	s_wait_dscnt 0x1
	v_and_b32_e32 v31, 1, v26
	s_wait_dscnt 0x0
	v_cmp_ne_u16_e64 s5, v27, v30
	v_cmp_u_f32_e64 s2, v28, v28
	v_cmp_o_f32_e64 s3, v29, v29
	v_cmp_lt_f32_e64 s4, v29, v28
	s_wait_alu 0xf1ff
	v_cndmask_b32_e64 v28, 0, 1, s5
	v_cmp_eq_u32_e64 s5, 1, v31
	s_and_b32 s2, s2, s3
	s_wait_alu 0xfffe
	s_or_b32 s2, s2, s4
	s_mov_b32 s4, exec_lo
	s_wait_alu 0xfffe
	s_and_b32 s2, s2, s5
	s_wait_alu 0xfffe
	v_cndmask_b32_e64 v29, v28, v30, s2
	v_and_b32_e32 v28, 8, v7
	s_delay_alu instid0(VALU_DEP_2) | instskip(NEXT) | instid1(VALU_DEP_2)
	v_and_b32_e32 v29, 1, v29
	v_cmp_ne_u32_e64 s2, 0, v28
	s_delay_alu instid0(VALU_DEP_2)
	v_cmpx_eq_u32_e32 1, v29
	s_cbranch_execz .LBB68_25
; %bb.24:
	ds_load_2addr_b64 v[29:32], v23 offset1:8
	s_wait_dscnt 0x0
	ds_store_2addr_b64 v23, v[31:32], v[29:30] offset1:8
	ds_store_b16 v21, v25
	ds_store_b16 v21, v24 offset:16
	ds_store_b8 v22, v27
	ds_store_b8 v22, v26 offset:8
.LBB68_25:
	s_or_b32 exec_lo, exec_lo, s4
	s_wait_loadcnt_dscnt 0x0
	s_barrier_signal -1
	s_barrier_wait -1
	global_inv scope:SCOPE_SE
	ds_load_u16 v27, v17 offset:8
	ds_load_u16 v26, v17
	ds_load_u8 v29, v18
	ds_load_u8 v30, v18 offset:4
	v_lshrrev_b32_e32 v24, 3, v28
	v_cndmask_b32_e64 v25, 0, 1, s2
	s_wait_dscnt 0x3
	v_lshlrev_b32_e32 v31, 16, v27
	s_wait_dscnt 0x2
	v_lshlrev_b32_e32 v32, 16, v26
	s_wait_dscnt 0x1
	v_and_b32_e32 v28, 1, v29
	s_wait_dscnt 0x0
	v_cmp_ne_u16_e64 s5, v30, v24
	v_cmp_u_f32_e64 s2, v31, v31
	v_cmp_o_f32_e64 s3, v32, v32
	v_cmp_lt_f32_e64 s4, v32, v31
	s_wait_alu 0xf1ff
	v_cndmask_b32_e64 v31, 0, 1, s5
	v_cmp_eq_u32_e64 s5, 1, v28
	s_and_b32 s2, s2, s3
	s_mov_b32 s3, exec_lo
	s_wait_alu 0xfffe
	s_or_b32 s2, s2, s4
	s_wait_alu 0xfffe
	s_and_b32 s2, s2, s5
	s_wait_alu 0xfffe
	v_cndmask_b32_e64 v28, v31, v25, s2
	s_delay_alu instid0(VALU_DEP_1) | instskip(NEXT) | instid1(VALU_DEP_1)
	v_and_b32_e32 v28, 1, v28
	v_cmpx_eq_u32_e32 1, v28
	s_cbranch_execz .LBB68_27
; %bb.26:
	ds_load_2addr_b64 v[31:34], v20 offset1:4
	s_wait_dscnt 0x0
	ds_store_2addr_b64 v20, v[33:34], v[31:32] offset1:4
	ds_store_b16 v17, v27
	ds_store_b16 v17, v26 offset:8
	ds_store_b8 v18, v30
	ds_store_b8 v18, v29 offset:4
.LBB68_27:
	s_or_b32 exec_lo, exec_lo, s3
	s_wait_loadcnt_dscnt 0x0
	s_barrier_signal -1
	s_barrier_wait -1
	global_inv scope:SCOPE_SE
	ds_load_u16 v27, v10 offset:4
	ds_load_u16 v26, v10
	ds_load_u8 v28, v11
	ds_load_u8 v29, v11 offset:2
	s_wait_dscnt 0x3
	v_lshlrev_b32_e32 v30, 16, v27
	s_wait_dscnt 0x2
	v_lshlrev_b32_e32 v31, 16, v26
	s_wait_dscnt 0x1
	v_and_b32_e32 v32, 1, v28
	s_wait_dscnt 0x0
	v_cmp_ne_u16_e64 s5, v29, v24
	v_cmp_u_f32_e64 s2, v30, v30
	v_cmp_o_f32_e64 s3, v31, v31
	v_cmp_lt_f32_e64 s4, v31, v30
	s_wait_alu 0xf1ff
	v_cndmask_b32_e64 v30, 0, 1, s5
	v_cmp_eq_u32_e64 s5, 1, v32
	s_and_b32 s2, s2, s3
	s_mov_b32 s3, exec_lo
	s_wait_alu 0xfffe
	s_or_b32 s2, s2, s4
	s_wait_alu 0xfffe
	s_and_b32 s2, s2, s5
	s_wait_alu 0xfffe
	v_cndmask_b32_e64 v30, v30, v25, s2
	s_delay_alu instid0(VALU_DEP_1) | instskip(NEXT) | instid1(VALU_DEP_1)
	v_and_b32_e32 v30, 1, v30
	v_cmpx_eq_u32_e32 1, v30
	s_cbranch_execz .LBB68_29
; %bb.28:
	ds_load_2addr_b64 v[30:33], v13 offset1:2
	s_wait_dscnt 0x0
	ds_store_2addr_b64 v13, v[32:33], v[30:31] offset1:2
	ds_store_b16 v10, v27
	ds_store_b16 v10, v26 offset:4
	ds_store_b8 v11, v29
	ds_store_b8 v11, v28 offset:2
.LBB68_29:
	s_or_b32 exec_lo, exec_lo, s3
	s_wait_loadcnt_dscnt 0x0
	s_barrier_signal -1
	s_barrier_wait -1
	global_inv scope:SCOPE_SE
	ds_load_b32 v26, v3
	ds_load_u16 v28, v4
	s_wait_dscnt 0x1
	v_and_b32_e32 v29, 0xffff0000, v26
	v_lshlrev_b32_e32 v30, 16, v26
	s_wait_dscnt 0x0
	v_lshrrev_b16 v27, 8, v28
	v_and_b32_e32 v31, 1, v28
	v_cmp_u_f32_e64 s2, v29, v29
	v_cmp_o_f32_e64 s3, v30, v30
	s_delay_alu instid0(VALU_DEP_4)
	v_cmp_ne_u16_e64 s6, v27, v24
	v_cmp_lt_f32_e64 s4, v30, v29
	v_cmp_eq_u32_e64 s5, 1, v31
	s_and_b32 s2, s2, s3
	v_cndmask_b32_e64 v24, 0, 1, s6
	s_wait_alu 0xfffe
	s_or_b32 s2, s2, s4
	s_mov_b32 s3, exec_lo
	s_wait_alu 0xfffe
	s_and_b32 s2, s2, s5
	s_wait_alu 0xfffe
	v_cndmask_b32_e64 v24, v24, v25, s2
	s_delay_alu instid0(VALU_DEP_1) | instskip(NEXT) | instid1(VALU_DEP_1)
	v_and_b32_e32 v24, 1, v24
	v_cmpx_eq_u32_e32 1, v24
	s_cbranch_execz .LBB68_31
; %bb.30:
	ds_load_b128 v[29:32], v19
	v_lshlrev_b16 v25, 8, v28
	v_alignbit_b32 v24, v26, v26, 16
	s_delay_alu instid0(VALU_DEP_2)
	v_or_b32_e32 v25, v27, v25
	s_wait_dscnt 0x0
	v_dual_mov_b32 v33, v29 :: v_dual_mov_b32 v34, v30
	ds_store_b32 v3, v24
	ds_store_b128 v19, v[31:34]
	ds_store_b16 v4, v25
.LBB68_31:
	s_or_b32 exec_lo, exec_lo, s3
	v_and_b32_e32 v24, 15, v7
	s_wait_loadcnt_dscnt 0x0
	s_barrier_signal -1
	s_barrier_wait -1
	global_inv scope:SCOPE_SE
	v_sub_nc_u32_e32 v16, v16, v24
	s_delay_alu instid0(VALU_DEP_1)
	v_lshl_add_u32 v15, v16, 1, v15
	v_add_nc_u32_e32 v14, v14, v16
	ds_load_u16 v25, v15 offset:32
	ds_load_u16 v24, v15
	ds_load_u8 v26, v14
	ds_load_u8 v27, v14 offset:16
	s_wait_dscnt 0x3
	v_lshlrev_b32_e32 v28, 16, v25
	s_wait_dscnt 0x2
	v_lshlrev_b32_e32 v29, 16, v24
	s_wait_dscnt 0x1
	v_and_b32_e32 v30, 1, v26
	s_wait_dscnt 0x0
	v_and_b32_e32 v27, 0xff, v27
	v_cmp_u_f32_e64 s2, v28, v28
	v_cmp_o_f32_e64 s3, v29, v29
	v_cmp_lt_f32_e64 s4, v29, v28
	v_cmp_eq_u32_e64 s5, 1, v30
	s_and_b32 s2, s2, s3
	s_wait_alu 0xfffe
	s_or_b32 s3, s2, s4
	v_cmp_ne_u16_e64 s2, 0, v27
	s_wait_alu 0xfffe
	s_and_b32 s3, s3, s5
	s_wait_alu 0xfffe
	s_xor_b32 s3, s3, -1
	s_wait_alu 0xfffe
	s_and_b32 s3, s3, s2
	s_wait_alu 0xfffe
	s_and_saveexec_b32 s2, s3
	s_cbranch_execz .LBB68_33
; %bb.32:
	v_lshl_add_u32 v12, v16, 3, v12
	v_mov_b32_e32 v16, 1
	ds_load_2addr_b64 v[27:30], v12 offset1:16
	s_wait_dscnt 0x0
	ds_store_2addr_b64 v12, v[29:30], v[27:28] offset1:16
	ds_store_b16 v15, v25
	ds_store_b16 v15, v24 offset:32
	ds_store_b8 v14, v16
	ds_store_b8 v14, v26 offset:16
.LBB68_33:
	s_wait_alu 0xfffe
	s_or_b32 exec_lo, exec_lo, s2
	s_wait_loadcnt_dscnt 0x0
	s_barrier_signal -1
	s_barrier_wait -1
	global_inv scope:SCOPE_SE
	ds_load_u16 v14, v21 offset:16
	ds_load_u16 v12, v21
	ds_load_u8 v15, v22
	ds_load_u8 v16, v22 offset:8
	s_wait_dscnt 0x3
	v_lshlrev_b32_e32 v24, 16, v14
	s_wait_dscnt 0x2
	v_lshlrev_b32_e32 v25, 16, v12
	s_wait_dscnt 0x1
	v_and_b32_e32 v26, 1, v15
	s_wait_dscnt 0x0
	v_and_b32_e32 v16, 0xff, v16
	v_cmp_u_f32_e64 s2, v24, v24
	v_cmp_o_f32_e64 s3, v25, v25
	v_cmp_lt_f32_e64 s4, v25, v24
	v_cmp_eq_u32_e64 s5, 1, v26
	s_and_b32 s2, s2, s3
	s_wait_alu 0xfffe
	s_or_b32 s3, s2, s4
	v_cmp_ne_u16_e64 s2, 0, v16
	s_wait_alu 0xfffe
	s_and_b32 s3, s3, s5
	s_wait_alu 0xfffe
	s_xor_b32 s3, s3, -1
	s_wait_alu 0xfffe
	s_and_b32 s3, s3, s2
	s_wait_alu 0xfffe
	s_and_saveexec_b32 s2, s3
	s_cbranch_execz .LBB68_35
; %bb.34:
	ds_load_2addr_b64 v[24:27], v23 offset1:8
	v_mov_b32_e32 v16, 1
	s_wait_dscnt 0x0
	ds_store_2addr_b64 v23, v[26:27], v[24:25] offset1:8
	ds_store_b16 v21, v14
	ds_store_b16 v21, v12 offset:16
	ds_store_b8 v22, v16
	ds_store_b8 v22, v15 offset:8
.LBB68_35:
	s_wait_alu 0xfffe
	s_or_b32 exec_lo, exec_lo, s2
	s_wait_loadcnt_dscnt 0x0
	s_barrier_signal -1
	s_barrier_wait -1
	global_inv scope:SCOPE_SE
	ds_load_u16 v14, v17 offset:8
	ds_load_u16 v12, v17
	ds_load_u8 v15, v18
	ds_load_u8 v16, v18 offset:4
	s_wait_dscnt 0x3
	v_lshlrev_b32_e32 v21, 16, v14
	s_wait_dscnt 0x2
	v_lshlrev_b32_e32 v22, 16, v12
	s_wait_dscnt 0x1
	v_and_b32_e32 v23, 1, v15
	s_wait_dscnt 0x0
	v_and_b32_e32 v16, 0xff, v16
	v_cmp_u_f32_e64 s2, v21, v21
	v_cmp_o_f32_e64 s3, v22, v22
	v_cmp_lt_f32_e64 s4, v22, v21
	v_cmp_eq_u32_e64 s5, 1, v23
	s_and_b32 s2, s2, s3
	s_wait_alu 0xfffe
	s_or_b32 s3, s2, s4
	v_cmp_ne_u16_e64 s2, 0, v16
	s_wait_alu 0xfffe
	s_and_b32 s3, s3, s5
	s_wait_alu 0xfffe
	s_xor_b32 s3, s3, -1
	s_wait_alu 0xfffe
	s_and_b32 s3, s3, s2
	s_wait_alu 0xfffe
	s_and_saveexec_b32 s2, s3
	s_cbranch_execz .LBB68_37
; %bb.36:
	ds_load_2addr_b64 v[21:24], v20 offset1:4
	v_mov_b32_e32 v16, 1
	s_wait_dscnt 0x0
	ds_store_2addr_b64 v20, v[23:24], v[21:22] offset1:4
	ds_store_b16 v17, v14
	ds_store_b16 v17, v12 offset:8
	ds_store_b8 v18, v16
	ds_store_b8 v18, v15 offset:4
.LBB68_37:
	;; [unrolled: 45-line block ×3, first 2 shown]
	s_wait_alu 0xfffe
	s_or_b32 exec_lo, exec_lo, s2
	s_wait_loadcnt_dscnt 0x0
	s_barrier_signal -1
	s_barrier_wait -1
	global_inv scope:SCOPE_SE
	ds_load_b32 v10, v3
	ds_load_u16 v11, v4
	s_wait_dscnt 0x1
	v_and_b32_e32 v12, 0xffff0000, v10
	v_lshlrev_b32_e32 v13, 16, v10
	s_wait_dscnt 0x0
	v_and_b32_e32 v14, 1, v11
	s_delay_alu instid0(VALU_DEP_3) | instskip(NEXT) | instid1(VALU_DEP_3)
	v_cmp_u_f32_e64 s2, v12, v12
	v_cmp_o_f32_e64 s3, v13, v13
	v_cmp_lt_f32_e64 s4, v13, v12
	v_lshrrev_b16 v12, 8, v11
	v_cmp_eq_u32_e64 s5, 1, v14
	s_and_b32 s2, s2, s3
	s_wait_alu 0xfffe
	s_or_b32 s3, s2, s4
	v_cmp_ne_u16_e64 s2, 0, v12
	s_wait_alu 0xfffe
	s_and_b32 s3, s3, s5
	s_wait_alu 0xfffe
	s_xor_b32 s3, s3, -1
	s_wait_alu 0xfffe
	s_and_b32 s3, s3, s2
	s_wait_alu 0xfffe
	s_and_saveexec_b32 s2, s3
	s_cbranch_execz .LBB68_41
; %bb.40:
	ds_load_b128 v[12:15], v19
	v_lshlrev_b16 v17, 8, v11
	v_alignbit_b32 v16, v10, v10, 16
	s_wait_dscnt 0x0
	v_dual_mov_b32 v10, v14 :: v_dual_mov_b32 v11, v15
	s_delay_alu instid0(VALU_DEP_3)
	v_or_b32_e32 v14, 1, v17
	ds_store_b32 v3, v16
	ds_store_b128 v19, v[10:13]
	ds_store_b16 v4, v14
.LBB68_41:
	s_wait_alu 0xfffe
	s_or_b32 exec_lo, exec_lo, s2
	s_wait_loadcnt_dscnt 0x0
	s_barrier_signal -1
	s_barrier_wait -1
	global_inv scope:SCOPE_SE
	s_and_saveexec_b32 s2, s0
	s_cbranch_execz .LBB68_46
; %bb.42:
	s_and_saveexec_b32 s0, vcc_lo
	s_cbranch_execz .LBB68_44
; %bb.43:
	v_mad_co_u64_u32 v[3:4], null, v7, s10, v[2:3]
	v_mov_b32_e32 v4, 0
	v_mad_co_u64_u32 v[10:11], null, v7, s7, v[0:1]
	ds_load_u16 v12, v8
	ds_load_b64 v[7:8], v9
	v_mov_b32_e32 v11, v4
	v_lshlrev_b64_e32 v[3:4], 1, v[3:4]
	s_delay_alu instid0(VALU_DEP_2) | instskip(NEXT) | instid1(VALU_DEP_2)
	v_lshlrev_b64_e32 v[9:10], 3, v[10:11]
	v_add_co_u32 v3, vcc_lo, s14, v3
	s_wait_alu 0xfffd
	s_delay_alu instid0(VALU_DEP_3) | instskip(NEXT) | instid1(VALU_DEP_3)
	v_add_co_ci_u32_e64 v4, null, s15, v4, vcc_lo
	v_add_co_u32 v9, vcc_lo, s12, v9
	s_wait_alu 0xfffd
	v_add_co_ci_u32_e64 v10, null, s13, v10, vcc_lo
	s_wait_dscnt 0x1
	global_store_b16 v[3:4], v12, off
	s_wait_dscnt 0x0
	global_store_b64 v[9:10], v[7:8], off
.LBB68_44:
	s_wait_alu 0xfffe
	s_or_b32 exec_lo, exec_lo, s0
	s_delay_alu instid0(SALU_CYCLE_1)
	s_and_b32 exec_lo, exec_lo, s1
	s_cbranch_execz .LBB68_46
; %bb.45:
	v_mad_co_u64_u32 v[2:3], null, v1, s10, v[2:3]
	v_mov_b32_e32 v3, 0
	v_mad_co_u64_u32 v[0:1], null, v1, s7, v[0:1]
	ds_load_u16 v7, v5
	ds_load_b64 v[4:5], v6
	v_mov_b32_e32 v1, v3
	v_lshlrev_b64_e32 v[2:3], 1, v[2:3]
	s_delay_alu instid0(VALU_DEP_2) | instskip(NEXT) | instid1(VALU_DEP_2)
	v_lshlrev_b64_e32 v[0:1], 3, v[0:1]
	v_add_co_u32 v2, vcc_lo, s14, v2
	s_wait_alu 0xfffd
	s_delay_alu instid0(VALU_DEP_3) | instskip(NEXT) | instid1(VALU_DEP_3)
	v_add_co_ci_u32_e64 v3, null, s15, v3, vcc_lo
	v_add_co_u32 v0, vcc_lo, s12, v0
	s_wait_alu 0xfffd
	v_add_co_ci_u32_e64 v1, null, s13, v1, vcc_lo
	s_wait_dscnt 0x1
	global_store_b16 v[2:3], v7, off
	s_wait_dscnt 0x0
	global_store_b64 v[0:1], v[4:5], off
.LBB68_46:
	s_endpgm
	.section	.rodata,"a",@progbits
	.p2align	6, 0x0
	.amdhsa_kernel _ZN2at6native20bitonicSortKVInPlaceILin1ELin1ELi16ELi16EN3c108BFloat16ElNS0_4LTOpIS3_Lb1EEEjEEvNS_4cuda6detail10TensorInfoIT3_T6_EESA_SA_SA_NS8_IT4_SA_EESA_T5_
		.amdhsa_group_segment_fixed_size 5632
		.amdhsa_private_segment_fixed_size 0
		.amdhsa_kernarg_size 712
		.amdhsa_user_sgpr_count 2
		.amdhsa_user_sgpr_dispatch_ptr 0
		.amdhsa_user_sgpr_queue_ptr 0
		.amdhsa_user_sgpr_kernarg_segment_ptr 1
		.amdhsa_user_sgpr_dispatch_id 0
		.amdhsa_user_sgpr_private_segment_size 0
		.amdhsa_wavefront_size32 1
		.amdhsa_uses_dynamic_stack 0
		.amdhsa_enable_private_segment 0
		.amdhsa_system_sgpr_workgroup_id_x 1
		.amdhsa_system_sgpr_workgroup_id_y 1
		.amdhsa_system_sgpr_workgroup_id_z 1
		.amdhsa_system_sgpr_workgroup_info 0
		.amdhsa_system_vgpr_workitem_id 1
		.amdhsa_next_free_vgpr 35
		.amdhsa_next_free_sgpr 16
		.amdhsa_reserve_vcc 1
		.amdhsa_float_round_mode_32 0
		.amdhsa_float_round_mode_16_64 0
		.amdhsa_float_denorm_mode_32 3
		.amdhsa_float_denorm_mode_16_64 3
		.amdhsa_fp16_overflow 0
		.amdhsa_workgroup_processor_mode 1
		.amdhsa_memory_ordered 1
		.amdhsa_forward_progress 1
		.amdhsa_inst_pref_size 44
		.amdhsa_round_robin_scheduling 0
		.amdhsa_exception_fp_ieee_invalid_op 0
		.amdhsa_exception_fp_denorm_src 0
		.amdhsa_exception_fp_ieee_div_zero 0
		.amdhsa_exception_fp_ieee_overflow 0
		.amdhsa_exception_fp_ieee_underflow 0
		.amdhsa_exception_fp_ieee_inexact 0
		.amdhsa_exception_int_div_zero 0
	.end_amdhsa_kernel
	.section	.text._ZN2at6native20bitonicSortKVInPlaceILin1ELin1ELi16ELi16EN3c108BFloat16ElNS0_4LTOpIS3_Lb1EEEjEEvNS_4cuda6detail10TensorInfoIT3_T6_EESA_SA_SA_NS8_IT4_SA_EESA_T5_,"axG",@progbits,_ZN2at6native20bitonicSortKVInPlaceILin1ELin1ELi16ELi16EN3c108BFloat16ElNS0_4LTOpIS3_Lb1EEEjEEvNS_4cuda6detail10TensorInfoIT3_T6_EESA_SA_SA_NS8_IT4_SA_EESA_T5_,comdat
.Lfunc_end68:
	.size	_ZN2at6native20bitonicSortKVInPlaceILin1ELin1ELi16ELi16EN3c108BFloat16ElNS0_4LTOpIS3_Lb1EEEjEEvNS_4cuda6detail10TensorInfoIT3_T6_EESA_SA_SA_NS8_IT4_SA_EESA_T5_, .Lfunc_end68-_ZN2at6native20bitonicSortKVInPlaceILin1ELin1ELi16ELi16EN3c108BFloat16ElNS0_4LTOpIS3_Lb1EEEjEEvNS_4cuda6detail10TensorInfoIT3_T6_EESA_SA_SA_NS8_IT4_SA_EESA_T5_
                                        ; -- End function
	.set _ZN2at6native20bitonicSortKVInPlaceILin1ELin1ELi16ELi16EN3c108BFloat16ElNS0_4LTOpIS3_Lb1EEEjEEvNS_4cuda6detail10TensorInfoIT3_T6_EESA_SA_SA_NS8_IT4_SA_EESA_T5_.num_vgpr, 35
	.set _ZN2at6native20bitonicSortKVInPlaceILin1ELin1ELi16ELi16EN3c108BFloat16ElNS0_4LTOpIS3_Lb1EEEjEEvNS_4cuda6detail10TensorInfoIT3_T6_EESA_SA_SA_NS8_IT4_SA_EESA_T5_.num_agpr, 0
	.set _ZN2at6native20bitonicSortKVInPlaceILin1ELin1ELi16ELi16EN3c108BFloat16ElNS0_4LTOpIS3_Lb1EEEjEEvNS_4cuda6detail10TensorInfoIT3_T6_EESA_SA_SA_NS8_IT4_SA_EESA_T5_.numbered_sgpr, 16
	.set _ZN2at6native20bitonicSortKVInPlaceILin1ELin1ELi16ELi16EN3c108BFloat16ElNS0_4LTOpIS3_Lb1EEEjEEvNS_4cuda6detail10TensorInfoIT3_T6_EESA_SA_SA_NS8_IT4_SA_EESA_T5_.num_named_barrier, 0
	.set _ZN2at6native20bitonicSortKVInPlaceILin1ELin1ELi16ELi16EN3c108BFloat16ElNS0_4LTOpIS3_Lb1EEEjEEvNS_4cuda6detail10TensorInfoIT3_T6_EESA_SA_SA_NS8_IT4_SA_EESA_T5_.private_seg_size, 0
	.set _ZN2at6native20bitonicSortKVInPlaceILin1ELin1ELi16ELi16EN3c108BFloat16ElNS0_4LTOpIS3_Lb1EEEjEEvNS_4cuda6detail10TensorInfoIT3_T6_EESA_SA_SA_NS8_IT4_SA_EESA_T5_.uses_vcc, 1
	.set _ZN2at6native20bitonicSortKVInPlaceILin1ELin1ELi16ELi16EN3c108BFloat16ElNS0_4LTOpIS3_Lb1EEEjEEvNS_4cuda6detail10TensorInfoIT3_T6_EESA_SA_SA_NS8_IT4_SA_EESA_T5_.uses_flat_scratch, 0
	.set _ZN2at6native20bitonicSortKVInPlaceILin1ELin1ELi16ELi16EN3c108BFloat16ElNS0_4LTOpIS3_Lb1EEEjEEvNS_4cuda6detail10TensorInfoIT3_T6_EESA_SA_SA_NS8_IT4_SA_EESA_T5_.has_dyn_sized_stack, 0
	.set _ZN2at6native20bitonicSortKVInPlaceILin1ELin1ELi16ELi16EN3c108BFloat16ElNS0_4LTOpIS3_Lb1EEEjEEvNS_4cuda6detail10TensorInfoIT3_T6_EESA_SA_SA_NS8_IT4_SA_EESA_T5_.has_recursion, 0
	.set _ZN2at6native20bitonicSortKVInPlaceILin1ELin1ELi16ELi16EN3c108BFloat16ElNS0_4LTOpIS3_Lb1EEEjEEvNS_4cuda6detail10TensorInfoIT3_T6_EESA_SA_SA_NS8_IT4_SA_EESA_T5_.has_indirect_call, 0
	.section	.AMDGPU.csdata,"",@progbits
; Kernel info:
; codeLenInByte = 5516
; TotalNumSgprs: 18
; NumVgprs: 35
; ScratchSize: 0
; MemoryBound: 0
; FloatMode: 240
; IeeeMode: 1
; LDSByteSize: 5632 bytes/workgroup (compile time only)
; SGPRBlocks: 0
; VGPRBlocks: 4
; NumSGPRsForWavesPerEU: 18
; NumVGPRsForWavesPerEU: 35
; Occupancy: 16
; WaveLimiterHint : 1
; COMPUTE_PGM_RSRC2:SCRATCH_EN: 0
; COMPUTE_PGM_RSRC2:USER_SGPR: 2
; COMPUTE_PGM_RSRC2:TRAP_HANDLER: 0
; COMPUTE_PGM_RSRC2:TGID_X_EN: 1
; COMPUTE_PGM_RSRC2:TGID_Y_EN: 1
; COMPUTE_PGM_RSRC2:TGID_Z_EN: 1
; COMPUTE_PGM_RSRC2:TIDIG_COMP_CNT: 1
	.section	.text._ZN2at6native20bitonicSortKVInPlaceILin1ELin1ELi16ELi16EN3c108BFloat16ElNS0_4GTOpIS3_Lb1EEEjEEvNS_4cuda6detail10TensorInfoIT3_T6_EESA_SA_SA_NS8_IT4_SA_EESA_T5_,"axG",@progbits,_ZN2at6native20bitonicSortKVInPlaceILin1ELin1ELi16ELi16EN3c108BFloat16ElNS0_4GTOpIS3_Lb1EEEjEEvNS_4cuda6detail10TensorInfoIT3_T6_EESA_SA_SA_NS8_IT4_SA_EESA_T5_,comdat
	.protected	_ZN2at6native20bitonicSortKVInPlaceILin1ELin1ELi16ELi16EN3c108BFloat16ElNS0_4GTOpIS3_Lb1EEEjEEvNS_4cuda6detail10TensorInfoIT3_T6_EESA_SA_SA_NS8_IT4_SA_EESA_T5_ ; -- Begin function _ZN2at6native20bitonicSortKVInPlaceILin1ELin1ELi16ELi16EN3c108BFloat16ElNS0_4GTOpIS3_Lb1EEEjEEvNS_4cuda6detail10TensorInfoIT3_T6_EESA_SA_SA_NS8_IT4_SA_EESA_T5_
	.globl	_ZN2at6native20bitonicSortKVInPlaceILin1ELin1ELi16ELi16EN3c108BFloat16ElNS0_4GTOpIS3_Lb1EEEjEEvNS_4cuda6detail10TensorInfoIT3_T6_EESA_SA_SA_NS8_IT4_SA_EESA_T5_
	.p2align	8
	.type	_ZN2at6native20bitonicSortKVInPlaceILin1ELin1ELi16ELi16EN3c108BFloat16ElNS0_4GTOpIS3_Lb1EEEjEEvNS_4cuda6detail10TensorInfoIT3_T6_EESA_SA_SA_NS8_IT4_SA_EESA_T5_,@function
_ZN2at6native20bitonicSortKVInPlaceILin1ELin1ELi16ELi16EN3c108BFloat16ElNS0_4GTOpIS3_Lb1EEEjEEvNS_4cuda6detail10TensorInfoIT3_T6_EESA_SA_SA_NS8_IT4_SA_EESA_T5_: ; @_ZN2at6native20bitonicSortKVInPlaceILin1ELin1ELi16ELi16EN3c108BFloat16ElNS0_4GTOpIS3_Lb1EEEjEEvNS_4cuda6detail10TensorInfoIT3_T6_EESA_SA_SA_NS8_IT4_SA_EESA_T5_
; %bb.0:
	s_clause 0x2
	s_load_b64 s[2:3], s[0:1], 0x1c8
	s_load_u16 s4, s[0:1], 0x1d6
	s_load_b96 s[8:10], s[0:1], 0xd8
	s_lshr_b32 s5, ttmp7, 16
	s_wait_kmcnt 0x0
	s_mul_i32 s3, s3, s5
	s_and_b32 s5, ttmp7, 0xffff
	s_delay_alu instid0(SALU_CYCLE_1) | instskip(NEXT) | instid1(SALU_CYCLE_1)
	s_add_co_i32 s3, s3, s5
	s_mul_i32 s2, s3, s2
	s_delay_alu instid0(SALU_CYCLE_1) | instskip(NEXT) | instid1(SALU_CYCLE_1)
	s_add_co_i32 s3, s2, ttmp9
	s_mul_i32 s3, s3, s4
	s_delay_alu instid0(SALU_CYCLE_1)
	s_cmp_ge_u32 s3, s8
	s_cbranch_scc1 .LBB69_46
; %bb.1:
	s_load_b32 s2, s[0:1], 0xd0
	v_bfe_u32 v8, v0, 10, 10
	s_delay_alu instid0(VALU_DEP_1) | instskip(NEXT) | instid1(VALU_DEP_1)
	v_dual_mov_b32 v1, 0 :: v_dual_add_nc_u32 v6, s3, v8
	v_mov_b32_e32 v3, v6
	s_wait_kmcnt 0x0
	s_cmp_lt_i32 s2, 2
	s_cbranch_scc1 .LBB69_4
; %bb.2:
	s_add_co_i32 s4, s2, -1
	s_mov_b32 s5, 0
	v_mov_b32_e32 v1, 0
	s_lshl_b64 s[4:5], s[4:5], 2
	v_mov_b32_e32 v3, v6
	s_add_nc_u64 s[6:7], s[0:1], s[4:5]
	s_add_co_i32 s4, s2, 1
	s_add_nc_u64 s[2:3], s[6:7], 8
.LBB69_3:                               ; =>This Inner Loop Header: Depth=1
	s_clause 0x1
	s_load_b32 s5, s[2:3], 0x0
	s_load_b32 s6, s[2:3], 0x64
	s_add_co_i32 s4, s4, -1
	s_add_nc_u64 s[2:3], s[2:3], -4
	s_wait_kmcnt 0x0
	s_cvt_f32_u32 s7, s5
	s_sub_co_i32 s11, 0, s5
	s_wait_alu 0xfffe
	s_delay_alu instid0(SALU_CYCLE_1) | instskip(NEXT) | instid1(TRANS32_DEP_1)
	v_rcp_iflag_f32_e32 v2, s7
	v_readfirstlane_b32 s7, v2
	v_mov_b32_e32 v2, v3
	s_mul_f32 s7, s7, 0x4f7ffffe
	s_wait_alu 0xfffe
	s_delay_alu instid0(SALU_CYCLE_2) | instskip(SKIP_1) | instid1(SALU_CYCLE_2)
	s_cvt_u32_f32 s7, s7
	s_wait_alu 0xfffe
	s_mul_i32 s11, s11, s7
	s_delay_alu instid0(SALU_CYCLE_1) | instskip(NEXT) | instid1(SALU_CYCLE_1)
	s_mul_hi_u32 s11, s7, s11
	s_add_co_i32 s7, s7, s11
	s_cmp_gt_u32 s4, 2
	s_wait_alu 0xfffe
	v_mul_hi_u32 v3, v2, s7
	s_delay_alu instid0(VALU_DEP_1) | instskip(SKIP_1) | instid1(VALU_DEP_2)
	v_mul_lo_u32 v4, v3, s5
	v_add_nc_u32_e32 v5, 1, v3
	v_sub_nc_u32_e32 v4, v2, v4
	s_delay_alu instid0(VALU_DEP_1) | instskip(SKIP_2) | instid1(VALU_DEP_2)
	v_subrev_nc_u32_e32 v7, s5, v4
	v_cmp_le_u32_e32 vcc_lo, s5, v4
	s_wait_alu 0xfffd
	v_dual_cndmask_b32 v3, v3, v5 :: v_dual_cndmask_b32 v4, v4, v7
	s_delay_alu instid0(VALU_DEP_1) | instskip(NEXT) | instid1(VALU_DEP_2)
	v_add_nc_u32_e32 v5, 1, v3
	v_cmp_le_u32_e32 vcc_lo, s5, v4
	s_wait_alu 0xfffd
	s_delay_alu instid0(VALU_DEP_2) | instskip(NEXT) | instid1(VALU_DEP_1)
	v_cndmask_b32_e32 v3, v3, v5, vcc_lo
	v_mul_lo_u32 v4, v3, s5
	s_delay_alu instid0(VALU_DEP_1) | instskip(NEXT) | instid1(VALU_DEP_1)
	v_sub_nc_u32_e32 v2, v2, v4
	v_mad_co_u64_u32 v[1:2], null, s6, v2, v[1:2]
	s_cbranch_scc1 .LBB69_3
.LBB69_4:
	s_load_b32 s4, s[0:1], 0x1b8
	v_dual_mov_b32 v4, 0 :: v_dual_mov_b32 v9, v6
	s_add_nc_u64 s[2:3], s[0:1], 0x1c8
	s_wait_kmcnt 0x0
	s_cmp_lt_i32 s4, 2
	s_cbranch_scc1 .LBB69_7
; %bb.5:
	s_add_co_i32 s6, s4, -1
	s_mov_b32 s7, 0
	v_dual_mov_b32 v4, 0 :: v_dual_mov_b32 v9, v6
	s_wait_alu 0xfffe
	s_lshl_b64 s[6:7], s[6:7], 2
	s_wait_alu 0xfffe
	s_add_nc_u64 s[12:13], s[0:1], s[6:7]
	s_add_co_i32 s6, s4, 1
	s_add_nc_u64 s[4:5], s[12:13], 0xf0
.LBB69_6:                               ; =>This Inner Loop Header: Depth=1
	s_clause 0x1
	s_load_b32 s7, s[4:5], 0x0
	s_load_b32 s11, s[4:5], 0x64
	s_add_co_i32 s6, s6, -1
	s_add_nc_u64 s[4:5], s[4:5], -4
	s_wait_kmcnt 0x0
	s_cvt_f32_u32 s12, s7
	s_sub_co_i32 s13, 0, s7
	s_wait_alu 0xfffe
	s_delay_alu instid0(SALU_CYCLE_1) | instskip(NEXT) | instid1(TRANS32_DEP_1)
	v_rcp_iflag_f32_e32 v2, s12
	v_readfirstlane_b32 s12, v2
	v_mov_b32_e32 v2, v9
	s_mul_f32 s12, s12, 0x4f7ffffe
	s_wait_alu 0xfffe
	s_delay_alu instid0(SALU_CYCLE_2) | instskip(SKIP_1) | instid1(SALU_CYCLE_2)
	s_cvt_u32_f32 s12, s12
	s_wait_alu 0xfffe
	s_mul_i32 s13, s13, s12
	s_wait_alu 0xfffe
	s_mul_hi_u32 s13, s12, s13
	s_wait_alu 0xfffe
	s_add_co_i32 s12, s12, s13
	s_cmp_gt_u32 s6, 2
	s_wait_alu 0xfffe
	v_mul_hi_u32 v5, v2, s12
	s_delay_alu instid0(VALU_DEP_1) | instskip(SKIP_1) | instid1(VALU_DEP_2)
	v_mul_lo_u32 v7, v5, s7
	v_add_nc_u32_e32 v9, 1, v5
	v_sub_nc_u32_e32 v7, v2, v7
	s_delay_alu instid0(VALU_DEP_1) | instskip(SKIP_3) | instid1(VALU_DEP_3)
	v_subrev_nc_u32_e32 v10, s7, v7
	v_cmp_le_u32_e32 vcc_lo, s7, v7
	s_wait_alu 0xfffd
	v_cndmask_b32_e32 v5, v5, v9, vcc_lo
	v_cndmask_b32_e32 v7, v7, v10, vcc_lo
	s_delay_alu instid0(VALU_DEP_2) | instskip(NEXT) | instid1(VALU_DEP_2)
	v_add_nc_u32_e32 v9, 1, v5
	v_cmp_le_u32_e32 vcc_lo, s7, v7
	s_wait_alu 0xfffd
	s_delay_alu instid0(VALU_DEP_2) | instskip(NEXT) | instid1(VALU_DEP_1)
	v_cndmask_b32_e32 v9, v5, v9, vcc_lo
	v_mul_lo_u32 v5, v9, s7
	s_delay_alu instid0(VALU_DEP_1) | instskip(NEXT) | instid1(VALU_DEP_1)
	v_sub_nc_u32_e32 v2, v2, v5
	v_mad_co_u64_u32 v[4:5], null, s11, v2, v[4:5]
	s_cbranch_scc1 .LBB69_6
.LBB69_7:
	s_clause 0x1
	s_load_b32 s4, s[0:1], 0x6c
	s_load_b32 s5, s[0:1], 0x154
	;; [unrolled: 1-line block ×3, first 2 shown]
	s_clause 0x2
	s_load_b32 s7, s[0:1], 0x1c0
	s_load_b64 s[14:15], s[0:1], 0x0
	s_load_b64 s[12:13], s[0:1], 0xe8
	v_and_b32_e32 v7, 0x3ff, v0
	v_cmp_gt_u32_e64 s0, s8, v6
	v_dual_mov_b32 v10, 0 :: v_dual_mov_b32 v11, 0
	s_wait_kmcnt 0x0
	v_mad_co_u64_u32 v[2:3], null, s4, v3, v[1:2]
	v_mad_co_u64_u32 v[0:1], null, s5, v9, v[4:5]
	v_mov_b32_e32 v3, 0
	v_mov_b32_e32 v4, 0
	v_cmp_gt_u32_e32 vcc_lo, s9, v7
	v_mov_b32_e32 v5, 0
	v_mov_b32_e32 v6, 0
	s_and_b32 s4, s0, vcc_lo
	s_wait_alu 0xfffe
	s_and_saveexec_b32 s3, s4
	s_cbranch_execz .LBB69_9
; %bb.8:
	v_mad_co_u64_u32 v[5:6], null, v7, s10, v[2:3]
	v_mov_b32_e32 v6, 0
	v_mad_co_u64_u32 v[11:12], null, v7, s7, v[0:1]
	s_delay_alu instid0(VALU_DEP_2) | instskip(NEXT) | instid1(VALU_DEP_4)
	v_mov_b32_e32 v12, v6
	v_lshlrev_b64_e32 v[5:6], 1, v[5:6]
	s_delay_alu instid0(VALU_DEP_2) | instskip(NEXT) | instid1(VALU_DEP_2)
	v_lshlrev_b64_e32 v[11:12], 3, v[11:12]
	v_add_co_u32 v5, s1, s14, v5
	s_delay_alu instid0(VALU_DEP_1) | instskip(NEXT) | instid1(VALU_DEP_3)
	v_add_co_ci_u32_e64 v6, null, s15, v6, s1
	v_add_co_u32 v13, s1, s12, v11
	s_wait_alu 0xf1ff
	s_delay_alu instid0(VALU_DEP_4)
	v_add_co_ci_u32_e64 v14, null, s13, v12, s1
	global_load_u16 v11, v[5:6], off
	global_load_b64 v[5:6], v[13:14], off
.LBB69_9:
	s_wait_alu 0xfffe
	s_or_b32 exec_lo, exec_lo, s3
	s_and_b32 s3, 0xffff, s2
	v_lshl_add_u32 v15, v8, 6, 0x1000
	s_wait_alu 0xfffe
	v_add_nc_u32_e32 v1, s3, v7
	v_lshlrev_b32_e32 v12, 8, v8
	v_lshl_add_u32 v14, v8, 5, 0x1400
	v_cndmask_b32_e64 v13, 0, 1, s4
	v_lshl_add_u32 v8, v7, 1, v15
	v_cmp_gt_u32_e64 s1, s9, v1
	v_lshl_add_u32 v9, v7, 3, v12
	v_add_nc_u32_e32 v16, v14, v7
	s_wait_loadcnt 0x1
	ds_store_b16 v8, v11
	s_wait_loadcnt 0x0
	ds_store_b64 v9, v[5:6]
	ds_store_b8 v16, v13
	s_and_b32 s4, s0, s1
	s_wait_alu 0xfffe
	s_and_saveexec_b32 s5, s4
	s_cbranch_execz .LBB69_11
; %bb.10:
	v_mad_co_u64_u32 v[3:4], null, v1, s10, v[2:3]
	v_mov_b32_e32 v4, 0
	v_mad_co_u64_u32 v[5:6], null, v1, s7, v[0:1]
	s_delay_alu instid0(VALU_DEP_2) | instskip(NEXT) | instid1(VALU_DEP_4)
	v_mov_b32_e32 v6, v4
	v_lshlrev_b64_e32 v[3:4], 1, v[3:4]
	s_delay_alu instid0(VALU_DEP_2) | instskip(NEXT) | instid1(VALU_DEP_2)
	v_lshlrev_b64_e32 v[5:6], 3, v[5:6]
	v_add_co_u32 v3, s2, s14, v3
	s_wait_alu 0xf1ff
	s_delay_alu instid0(VALU_DEP_3) | instskip(NEXT) | instid1(VALU_DEP_3)
	v_add_co_ci_u32_e64 v4, null, s15, v4, s2
	v_add_co_u32 v5, s2, s12, v5
	s_wait_alu 0xf1ff
	v_add_co_ci_u32_e64 v6, null, s13, v6, s2
	global_load_u16 v10, v[3:4], off
	global_load_b64 v[3:4], v[5:6], off
.LBB69_11:
	s_wait_alu 0xfffe
	s_or_b32 exec_lo, exec_lo, s5
	v_lshl_add_u32 v5, s3, 1, v8
	v_lshlrev_b32_e32 v16, 1, v7
	v_lshl_add_u32 v6, s3, 3, v9
	v_cndmask_b32_e64 v11, 0, 1, s4
	v_add_nc_u32_e32 v13, v14, v1
	s_wait_loadcnt 0x1
	ds_store_b16 v5, v10
	s_wait_loadcnt 0x0
	ds_store_b64 v6, v[3:4]
	ds_store_b8 v13, v11
	v_add_nc_u32_e32 v3, v8, v16
	v_add_nc_u32_e32 v4, v14, v16
	s_wait_dscnt 0x0
	s_barrier_signal -1
	s_barrier_wait -1
	global_inv scope:SCOPE_SE
	ds_load_b32 v11, v3
	ds_load_u16 v13, v4
	v_and_b32_e32 v10, 1, v7
	s_wait_dscnt 0x1
	v_lshlrev_b32_e32 v17, 16, v11
	v_and_b32_e32 v19, 0xffff0000, v11
	s_wait_dscnt 0x0
	v_lshrrev_b16 v18, 8, v13
	v_and_b32_e32 v20, 1, v13
	v_cmp_u_f32_e64 s2, v17, v17
	v_cmp_o_f32_e64 s3, v19, v19
	s_delay_alu instid0(VALU_DEP_4)
	v_cmp_ne_u16_e64 s6, v18, v10
	v_cmp_lt_f32_e64 s4, v19, v17
	v_cmp_eq_u32_e64 s5, 1, v20
	s_and_b32 s2, s2, s3
	v_cndmask_b32_e64 v17, 0, 1, s6
	s_wait_alu 0xfffe
	s_or_b32 s2, s2, s4
	s_wait_alu 0xfffe
	s_and_b32 s2, s2, s5
	s_wait_alu 0xfffe
	v_cndmask_b32_e64 v17, v17, v7, s2
	s_delay_alu instid0(VALU_DEP_1) | instskip(NEXT) | instid1(VALU_DEP_1)
	v_and_b32_e32 v17, 1, v17
	v_cmp_eq_u32_e64 s2, 1, v17
	v_lshl_add_u32 v17, v7, 3, v9
	s_and_saveexec_b32 s3, s2
	s_wait_alu 0xfffe
	s_xor_b32 s2, exec_lo, s3
	s_cbranch_execz .LBB69_13
; %bb.12:
	ds_load_b128 v[19:22], v17
	v_lshlrev_b16 v13, 8, v13
	v_alignbit_b32 v11, v11, v11, 16
	s_delay_alu instid0(VALU_DEP_2)
	v_or_b32_e32 v13, v18, v13
	s_wait_dscnt 0x0
	v_dual_mov_b32 v23, v19 :: v_dual_mov_b32 v24, v20
	ds_store_b32 v3, v11
	ds_store_b128 v17, v[21:24]
	ds_store_b16 v4, v13
.LBB69_13:
	s_wait_alu 0xfffe
	s_or_b32 exec_lo, exec_lo, s2
	v_sub_nc_u32_e32 v13, v16, v10
	s_wait_loadcnt_dscnt 0x0
	s_barrier_signal -1
	s_barrier_wait -1
	global_inv scope:SCOPE_SE
	v_lshl_add_u32 v10, v13, 1, v15
	v_add_nc_u32_e32 v11, v14, v13
	v_bfe_u32 v24, v7, 1, 1
	v_lshl_add_u32 v13, v13, 3, v12
	ds_load_u16 v18, v10
	ds_load_u16 v19, v10 offset:4
	ds_load_u8 v20, v11
	ds_load_u8 v22, v11 offset:2
	s_wait_dscnt 0x3
	v_lshlrev_b32_e32 v21, 16, v18
	s_wait_dscnt 0x2
	v_lshlrev_b32_e32 v23, 16, v19
	s_wait_dscnt 0x1
	v_and_b32_e32 v25, 1, v20
	s_wait_dscnt 0x0
	v_cmp_ne_u16_e64 s5, v22, v24
	v_cmp_u_f32_e64 s2, v21, v21
	v_cmp_o_f32_e64 s3, v23, v23
	v_cmp_lt_f32_e64 s4, v23, v21
	s_wait_alu 0xf1ff
	v_cndmask_b32_e64 v21, 0, 1, s5
	v_cmp_eq_u32_e64 s5, 1, v25
	s_and_b32 s2, s2, s3
	s_wait_alu 0xfffe
	s_or_b32 s2, s2, s4
	s_wait_alu 0xfffe
	s_and_b32 s2, s2, s5
	s_wait_alu 0xfffe
	v_cndmask_b32_e64 v23, v21, v24, s2
	v_and_b32_e32 v21, 2, v7
	s_delay_alu instid0(VALU_DEP_2) | instskip(NEXT) | instid1(VALU_DEP_2)
	v_and_b32_e32 v23, 1, v23
	v_cmp_ne_u32_e64 s2, 0, v21
	s_delay_alu instid0(VALU_DEP_2)
	v_cmp_eq_u32_e64 s3, 1, v23
	s_and_saveexec_b32 s4, s3
	s_wait_alu 0xfffe
	s_xor_b32 s3, exec_lo, s4
	s_cbranch_execz .LBB69_15
; %bb.14:
	ds_load_2addr_b64 v[23:26], v13 offset1:2
	s_wait_dscnt 0x0
	ds_store_2addr_b64 v13, v[25:26], v[23:24] offset1:2
	ds_store_b16 v10, v19
	ds_store_b16 v10, v18 offset:4
	ds_store_b8 v11, v22
	ds_store_b8 v11, v20 offset:2
.LBB69_15:
	s_wait_alu 0xfffe
	s_or_b32 exec_lo, exec_lo, s3
	s_wait_loadcnt_dscnt 0x0
	s_barrier_signal -1
	s_barrier_wait -1
	global_inv scope:SCOPE_SE
	ds_load_b32 v18, v3
	ds_load_u16 v19, v4
	v_lshrrev_b32_e32 v21, 1, v21
	v_cndmask_b32_e64 v24, 0, 1, s2
	s_wait_dscnt 0x1
	v_lshlrev_b32_e32 v22, 16, v18
	v_and_b32_e32 v23, 0xffff0000, v18
	s_wait_dscnt 0x0
	v_lshrrev_b16 v20, 8, v19
	v_and_b32_e32 v25, 1, v19
	v_cmp_u_f32_e64 s2, v22, v22
	v_cmp_o_f32_e64 s3, v23, v23
	s_delay_alu instid0(VALU_DEP_4)
	v_cmp_ne_u16_e64 s6, v20, v21
	v_cmp_lt_f32_e64 s4, v23, v22
	v_cmp_eq_u32_e64 s5, 1, v25
	s_and_b32 s2, s2, s3
	v_cndmask_b32_e64 v21, 0, 1, s6
	s_wait_alu 0xfffe
	s_or_b32 s2, s2, s4
	s_mov_b32 s3, exec_lo
	s_wait_alu 0xfffe
	s_and_b32 s2, s2, s5
	s_wait_alu 0xfffe
	v_cndmask_b32_e64 v21, v21, v24, s2
	s_delay_alu instid0(VALU_DEP_1) | instskip(NEXT) | instid1(VALU_DEP_1)
	v_and_b32_e32 v21, 1, v21
	v_cmpx_eq_u32_e32 1, v21
	s_cbranch_execz .LBB69_17
; %bb.16:
	ds_load_b128 v[21:24], v17
	v_lshlrev_b16 v19, 8, v19
	v_alignbit_b32 v18, v18, v18, 16
	s_delay_alu instid0(VALU_DEP_2)
	v_or_b32_e32 v19, v20, v19
	s_wait_dscnt 0x0
	v_dual_mov_b32 v25, v21 :: v_dual_mov_b32 v26, v22
	ds_store_b32 v3, v18
	ds_store_b128 v17, v[23:26]
	ds_store_b16 v4, v19
.LBB69_17:
	s_or_b32 exec_lo, exec_lo, s3
	v_and_b32_e32 v17, 3, v7
	s_wait_loadcnt_dscnt 0x0
	s_barrier_signal -1
	s_barrier_wait -1
	global_inv scope:SCOPE_SE
	v_sub_nc_u32_e32 v20, v16, v17
	v_bfe_u32 v26, v7, 2, 1
	s_delay_alu instid0(VALU_DEP_2)
	v_lshl_add_u32 v17, v20, 1, v15
	v_add_nc_u32_e32 v18, v14, v20
	v_lshl_add_u32 v20, v20, 3, v12
	ds_load_u16 v19, v17
	ds_load_u16 v21, v17 offset:8
	ds_load_u8 v22, v18
	ds_load_u8 v23, v18 offset:4
	s_wait_dscnt 0x3
	v_lshlrev_b32_e32 v24, 16, v19
	s_wait_dscnt 0x2
	v_lshlrev_b32_e32 v25, 16, v21
	s_wait_dscnt 0x1
	v_and_b32_e32 v27, 1, v22
	s_wait_dscnt 0x0
	v_cmp_ne_u16_e64 s5, v23, v26
	v_cmp_u_f32_e64 s2, v24, v24
	v_cmp_o_f32_e64 s3, v25, v25
	v_cmp_lt_f32_e64 s4, v25, v24
	s_wait_alu 0xf1ff
	v_cndmask_b32_e64 v24, 0, 1, s5
	v_cmp_eq_u32_e64 s5, 1, v27
	s_and_b32 s2, s2, s3
	s_wait_alu 0xfffe
	s_or_b32 s2, s2, s4
	s_mov_b32 s4, exec_lo
	s_wait_alu 0xfffe
	s_and_b32 s2, s2, s5
	s_wait_alu 0xfffe
	v_cndmask_b32_e64 v25, v24, v26, s2
	v_and_b32_e32 v24, 4, v7
	s_delay_alu instid0(VALU_DEP_2) | instskip(NEXT) | instid1(VALU_DEP_2)
	v_and_b32_e32 v25, 1, v25
	v_cmp_ne_u32_e64 s2, 0, v24
	s_delay_alu instid0(VALU_DEP_2)
	v_cmpx_eq_u32_e32 1, v25
	s_cbranch_execz .LBB69_19
; %bb.18:
	ds_load_2addr_b64 v[25:28], v20 offset1:4
	s_wait_dscnt 0x0
	ds_store_2addr_b64 v20, v[27:28], v[25:26] offset1:4
	ds_store_b16 v17, v21
	ds_store_b16 v17, v19 offset:8
	ds_store_b8 v18, v23
	ds_store_b8 v18, v22 offset:4
.LBB69_19:
	s_or_b32 exec_lo, exec_lo, s4
	s_wait_loadcnt_dscnt 0x0
	s_barrier_signal -1
	s_barrier_wait -1
	global_inv scope:SCOPE_SE
	ds_load_u16 v22, v10
	ds_load_u16 v23, v10 offset:4
	ds_load_u8 v25, v11
	ds_load_u8 v26, v11 offset:2
	v_lshrrev_b32_e32 v19, 2, v24
	v_cndmask_b32_e64 v21, 0, 1, s2
	s_wait_dscnt 0x3
	v_lshlrev_b32_e32 v27, 16, v22
	s_wait_dscnt 0x2
	v_lshlrev_b32_e32 v28, 16, v23
	s_wait_dscnt 0x1
	v_and_b32_e32 v24, 1, v25
	s_wait_dscnt 0x0
	v_cmp_ne_u16_e64 s5, v26, v19
	v_cmp_u_f32_e64 s2, v27, v27
	v_cmp_o_f32_e64 s3, v28, v28
	v_cmp_lt_f32_e64 s4, v28, v27
	s_wait_alu 0xf1ff
	v_cndmask_b32_e64 v27, 0, 1, s5
	v_cmp_eq_u32_e64 s5, 1, v24
	s_and_b32 s2, s2, s3
	s_mov_b32 s3, exec_lo
	s_wait_alu 0xfffe
	s_or_b32 s2, s2, s4
	s_wait_alu 0xfffe
	s_and_b32 s2, s2, s5
	s_wait_alu 0xfffe
	v_cndmask_b32_e64 v24, v27, v21, s2
	s_delay_alu instid0(VALU_DEP_1) | instskip(NEXT) | instid1(VALU_DEP_1)
	v_and_b32_e32 v24, 1, v24
	v_cmpx_eq_u32_e32 1, v24
	s_cbranch_execz .LBB69_21
; %bb.20:
	ds_load_2addr_b64 v[27:30], v13 offset1:2
	s_wait_dscnt 0x0
	ds_store_2addr_b64 v13, v[29:30], v[27:28] offset1:2
	ds_store_b16 v10, v23
	ds_store_b16 v10, v22 offset:4
	ds_store_b8 v11, v26
	ds_store_b8 v11, v25 offset:2
.LBB69_21:
	s_or_b32 exec_lo, exec_lo, s3
	s_wait_loadcnt_dscnt 0x0
	s_barrier_signal -1
	s_barrier_wait -1
	global_inv scope:SCOPE_SE
	ds_load_b32 v22, v3
	ds_load_u16 v24, v4
	s_wait_dscnt 0x1
	v_lshlrev_b32_e32 v25, 16, v22
	v_and_b32_e32 v26, 0xffff0000, v22
	s_wait_dscnt 0x0
	v_lshrrev_b16 v23, 8, v24
	v_and_b32_e32 v27, 1, v24
	v_cmp_u_f32_e64 s2, v25, v25
	v_cmp_o_f32_e64 s3, v26, v26
	s_delay_alu instid0(VALU_DEP_4)
	v_cmp_ne_u16_e64 s6, v23, v19
	v_cmp_lt_f32_e64 s4, v26, v25
	v_cmp_eq_u32_e64 s5, 1, v27
	s_and_b32 s2, s2, s3
	v_cndmask_b32_e64 v19, 0, 1, s6
	s_wait_alu 0xfffe
	s_or_b32 s2, s2, s4
	s_wait_alu 0xfffe
	s_and_b32 s2, s2, s5
	s_wait_alu 0xfffe
	v_cndmask_b32_e64 v19, v19, v21, s2
	s_delay_alu instid0(VALU_DEP_1) | instskip(NEXT) | instid1(VALU_DEP_1)
	v_and_b32_e32 v19, 1, v19
	v_cmp_eq_u32_e64 s2, 1, v19
	v_lshl_add_u32 v19, v16, 3, v12
	s_and_saveexec_b32 s3, s2
	s_cbranch_execz .LBB69_23
; %bb.22:
	ds_load_b128 v[25:28], v19
	v_alignbit_b32 v21, v22, v22, 16
	v_lshlrev_b16 v22, 8, v24
	s_delay_alu instid0(VALU_DEP_1)
	v_or_b32_e32 v22, v23, v22
	s_wait_dscnt 0x0
	v_dual_mov_b32 v29, v25 :: v_dual_mov_b32 v30, v26
	ds_store_b32 v3, v21
	ds_store_b128 v19, v[27:30]
	ds_store_b16 v4, v22
.LBB69_23:
	s_wait_alu 0xfffe
	s_or_b32 exec_lo, exec_lo, s3
	v_and_b32_e32 v21, 7, v7
	s_wait_loadcnt_dscnt 0x0
	s_barrier_signal -1
	s_barrier_wait -1
	global_inv scope:SCOPE_SE
	v_sub_nc_u32_e32 v23, v16, v21
	v_bfe_u32 v30, v7, 3, 1
	s_delay_alu instid0(VALU_DEP_2)
	v_lshl_add_u32 v21, v23, 1, v15
	v_add_nc_u32_e32 v22, v14, v23
	v_lshl_add_u32 v23, v23, 3, v12
	ds_load_u16 v24, v21
	ds_load_u16 v25, v21 offset:16
	ds_load_u8 v26, v22
	ds_load_u8 v27, v22 offset:8
	s_wait_dscnt 0x3
	v_lshlrev_b32_e32 v28, 16, v24
	s_wait_dscnt 0x2
	v_lshlrev_b32_e32 v29, 16, v25
	s_wait_dscnt 0x1
	v_and_b32_e32 v31, 1, v26
	s_wait_dscnt 0x0
	v_cmp_ne_u16_e64 s5, v27, v30
	v_cmp_u_f32_e64 s2, v28, v28
	v_cmp_o_f32_e64 s3, v29, v29
	v_cmp_lt_f32_e64 s4, v29, v28
	s_wait_alu 0xf1ff
	v_cndmask_b32_e64 v28, 0, 1, s5
	v_cmp_eq_u32_e64 s5, 1, v31
	s_and_b32 s2, s2, s3
	s_wait_alu 0xfffe
	s_or_b32 s2, s2, s4
	s_mov_b32 s4, exec_lo
	s_wait_alu 0xfffe
	s_and_b32 s2, s2, s5
	s_wait_alu 0xfffe
	v_cndmask_b32_e64 v29, v28, v30, s2
	v_and_b32_e32 v28, 8, v7
	s_delay_alu instid0(VALU_DEP_2) | instskip(NEXT) | instid1(VALU_DEP_2)
	v_and_b32_e32 v29, 1, v29
	v_cmp_ne_u32_e64 s2, 0, v28
	s_delay_alu instid0(VALU_DEP_2)
	v_cmpx_eq_u32_e32 1, v29
	s_cbranch_execz .LBB69_25
; %bb.24:
	ds_load_2addr_b64 v[29:32], v23 offset1:8
	s_wait_dscnt 0x0
	ds_store_2addr_b64 v23, v[31:32], v[29:30] offset1:8
	ds_store_b16 v21, v25
	ds_store_b16 v21, v24 offset:16
	ds_store_b8 v22, v27
	ds_store_b8 v22, v26 offset:8
.LBB69_25:
	s_or_b32 exec_lo, exec_lo, s4
	s_wait_loadcnt_dscnt 0x0
	s_barrier_signal -1
	s_barrier_wait -1
	global_inv scope:SCOPE_SE
	ds_load_u16 v26, v17
	ds_load_u16 v27, v17 offset:8
	ds_load_u8 v29, v18
	ds_load_u8 v30, v18 offset:4
	v_lshrrev_b32_e32 v24, 3, v28
	v_cndmask_b32_e64 v25, 0, 1, s2
	s_wait_dscnt 0x3
	v_lshlrev_b32_e32 v31, 16, v26
	s_wait_dscnt 0x2
	v_lshlrev_b32_e32 v32, 16, v27
	s_wait_dscnt 0x1
	v_and_b32_e32 v28, 1, v29
	s_wait_dscnt 0x0
	v_cmp_ne_u16_e64 s5, v30, v24
	v_cmp_u_f32_e64 s2, v31, v31
	v_cmp_o_f32_e64 s3, v32, v32
	v_cmp_lt_f32_e64 s4, v32, v31
	s_wait_alu 0xf1ff
	v_cndmask_b32_e64 v31, 0, 1, s5
	v_cmp_eq_u32_e64 s5, 1, v28
	s_and_b32 s2, s2, s3
	s_mov_b32 s3, exec_lo
	s_wait_alu 0xfffe
	s_or_b32 s2, s2, s4
	s_wait_alu 0xfffe
	s_and_b32 s2, s2, s5
	s_wait_alu 0xfffe
	v_cndmask_b32_e64 v28, v31, v25, s2
	s_delay_alu instid0(VALU_DEP_1) | instskip(NEXT) | instid1(VALU_DEP_1)
	v_and_b32_e32 v28, 1, v28
	v_cmpx_eq_u32_e32 1, v28
	s_cbranch_execz .LBB69_27
; %bb.26:
	ds_load_2addr_b64 v[31:34], v20 offset1:4
	s_wait_dscnt 0x0
	ds_store_2addr_b64 v20, v[33:34], v[31:32] offset1:4
	ds_store_b16 v17, v27
	ds_store_b16 v17, v26 offset:8
	ds_store_b8 v18, v30
	ds_store_b8 v18, v29 offset:4
.LBB69_27:
	s_or_b32 exec_lo, exec_lo, s3
	s_wait_loadcnt_dscnt 0x0
	s_barrier_signal -1
	s_barrier_wait -1
	global_inv scope:SCOPE_SE
	ds_load_u16 v26, v10
	ds_load_u16 v27, v10 offset:4
	ds_load_u8 v28, v11
	ds_load_u8 v29, v11 offset:2
	s_wait_dscnt 0x3
	v_lshlrev_b32_e32 v30, 16, v26
	s_wait_dscnt 0x2
	v_lshlrev_b32_e32 v31, 16, v27
	s_wait_dscnt 0x1
	v_and_b32_e32 v32, 1, v28
	s_wait_dscnt 0x0
	v_cmp_ne_u16_e64 s5, v29, v24
	v_cmp_u_f32_e64 s2, v30, v30
	v_cmp_o_f32_e64 s3, v31, v31
	v_cmp_lt_f32_e64 s4, v31, v30
	s_wait_alu 0xf1ff
	v_cndmask_b32_e64 v30, 0, 1, s5
	v_cmp_eq_u32_e64 s5, 1, v32
	s_and_b32 s2, s2, s3
	s_mov_b32 s3, exec_lo
	s_wait_alu 0xfffe
	s_or_b32 s2, s2, s4
	s_wait_alu 0xfffe
	s_and_b32 s2, s2, s5
	s_wait_alu 0xfffe
	v_cndmask_b32_e64 v30, v30, v25, s2
	s_delay_alu instid0(VALU_DEP_1) | instskip(NEXT) | instid1(VALU_DEP_1)
	v_and_b32_e32 v30, 1, v30
	v_cmpx_eq_u32_e32 1, v30
	s_cbranch_execz .LBB69_29
; %bb.28:
	ds_load_2addr_b64 v[30:33], v13 offset1:2
	s_wait_dscnt 0x0
	ds_store_2addr_b64 v13, v[32:33], v[30:31] offset1:2
	ds_store_b16 v10, v27
	ds_store_b16 v10, v26 offset:4
	ds_store_b8 v11, v29
	ds_store_b8 v11, v28 offset:2
.LBB69_29:
	s_or_b32 exec_lo, exec_lo, s3
	s_wait_loadcnt_dscnt 0x0
	s_barrier_signal -1
	s_barrier_wait -1
	global_inv scope:SCOPE_SE
	ds_load_b32 v26, v3
	ds_load_u16 v28, v4
	s_wait_dscnt 0x1
	v_lshlrev_b32_e32 v29, 16, v26
	v_and_b32_e32 v30, 0xffff0000, v26
	s_wait_dscnt 0x0
	v_lshrrev_b16 v27, 8, v28
	v_and_b32_e32 v31, 1, v28
	v_cmp_u_f32_e64 s2, v29, v29
	v_cmp_o_f32_e64 s3, v30, v30
	s_delay_alu instid0(VALU_DEP_4)
	v_cmp_ne_u16_e64 s6, v27, v24
	v_cmp_lt_f32_e64 s4, v30, v29
	v_cmp_eq_u32_e64 s5, 1, v31
	s_and_b32 s2, s2, s3
	v_cndmask_b32_e64 v24, 0, 1, s6
	s_wait_alu 0xfffe
	s_or_b32 s2, s2, s4
	s_mov_b32 s3, exec_lo
	s_wait_alu 0xfffe
	s_and_b32 s2, s2, s5
	s_wait_alu 0xfffe
	v_cndmask_b32_e64 v24, v24, v25, s2
	s_delay_alu instid0(VALU_DEP_1) | instskip(NEXT) | instid1(VALU_DEP_1)
	v_and_b32_e32 v24, 1, v24
	v_cmpx_eq_u32_e32 1, v24
	s_cbranch_execz .LBB69_31
; %bb.30:
	ds_load_b128 v[29:32], v19
	v_lshlrev_b16 v25, 8, v28
	v_alignbit_b32 v24, v26, v26, 16
	s_delay_alu instid0(VALU_DEP_2)
	v_or_b32_e32 v25, v27, v25
	s_wait_dscnt 0x0
	v_dual_mov_b32 v33, v29 :: v_dual_mov_b32 v34, v30
	ds_store_b32 v3, v24
	ds_store_b128 v19, v[31:34]
	ds_store_b16 v4, v25
.LBB69_31:
	s_or_b32 exec_lo, exec_lo, s3
	v_and_b32_e32 v24, 15, v7
	s_wait_loadcnt_dscnt 0x0
	s_barrier_signal -1
	s_barrier_wait -1
	global_inv scope:SCOPE_SE
	v_sub_nc_u32_e32 v24, v16, v24
	s_delay_alu instid0(VALU_DEP_1)
	v_lshl_add_u32 v15, v24, 1, v15
	v_add_nc_u32_e32 v14, v14, v24
	ds_load_u16 v16, v15
	ds_load_u16 v25, v15 offset:32
	ds_load_u8 v26, v14
	ds_load_u8 v27, v14 offset:16
	s_wait_dscnt 0x3
	v_lshlrev_b32_e32 v28, 16, v16
	s_wait_dscnt 0x2
	v_lshlrev_b32_e32 v29, 16, v25
	s_wait_dscnt 0x1
	v_and_b32_e32 v30, 1, v26
	s_wait_dscnt 0x0
	v_and_b32_e32 v27, 0xff, v27
	v_cmp_u_f32_e64 s2, v28, v28
	v_cmp_o_f32_e64 s3, v29, v29
	v_cmp_lt_f32_e64 s4, v29, v28
	v_cmp_eq_u32_e64 s5, 1, v30
	s_and_b32 s2, s2, s3
	s_wait_alu 0xfffe
	s_or_b32 s3, s2, s4
	v_cmp_ne_u16_e64 s2, 0, v27
	s_wait_alu 0xfffe
	s_and_b32 s3, s3, s5
	s_wait_alu 0xfffe
	s_xor_b32 s3, s3, -1
	s_wait_alu 0xfffe
	s_and_b32 s3, s3, s2
	s_wait_alu 0xfffe
	s_and_saveexec_b32 s2, s3
	s_cbranch_execz .LBB69_33
; %bb.32:
	v_lshl_add_u32 v12, v24, 3, v12
	v_mov_b32_e32 v24, 1
	ds_load_2addr_b64 v[27:30], v12 offset1:16
	s_wait_dscnt 0x0
	ds_store_2addr_b64 v12, v[29:30], v[27:28] offset1:16
	ds_store_b16 v15, v25
	ds_store_b16 v15, v16 offset:32
	ds_store_b8 v14, v24
	ds_store_b8 v14, v26 offset:16
.LBB69_33:
	s_wait_alu 0xfffe
	s_or_b32 exec_lo, exec_lo, s2
	s_wait_loadcnt_dscnt 0x0
	s_barrier_signal -1
	s_barrier_wait -1
	global_inv scope:SCOPE_SE
	ds_load_u16 v12, v21
	ds_load_u16 v14, v21 offset:16
	ds_load_u8 v15, v22
	ds_load_u8 v16, v22 offset:8
	s_wait_dscnt 0x3
	v_lshlrev_b32_e32 v24, 16, v12
	s_wait_dscnt 0x2
	v_lshlrev_b32_e32 v25, 16, v14
	s_wait_dscnt 0x1
	v_and_b32_e32 v26, 1, v15
	s_wait_dscnt 0x0
	v_and_b32_e32 v16, 0xff, v16
	v_cmp_u_f32_e64 s2, v24, v24
	v_cmp_o_f32_e64 s3, v25, v25
	v_cmp_lt_f32_e64 s4, v25, v24
	v_cmp_eq_u32_e64 s5, 1, v26
	s_and_b32 s2, s2, s3
	s_wait_alu 0xfffe
	s_or_b32 s3, s2, s4
	v_cmp_ne_u16_e64 s2, 0, v16
	s_wait_alu 0xfffe
	s_and_b32 s3, s3, s5
	s_wait_alu 0xfffe
	s_xor_b32 s3, s3, -1
	s_wait_alu 0xfffe
	s_and_b32 s3, s3, s2
	s_wait_alu 0xfffe
	s_and_saveexec_b32 s2, s3
	s_cbranch_execz .LBB69_35
; %bb.34:
	ds_load_2addr_b64 v[24:27], v23 offset1:8
	v_mov_b32_e32 v16, 1
	s_wait_dscnt 0x0
	ds_store_2addr_b64 v23, v[26:27], v[24:25] offset1:8
	ds_store_b16 v21, v14
	ds_store_b16 v21, v12 offset:16
	ds_store_b8 v22, v16
	ds_store_b8 v22, v15 offset:8
.LBB69_35:
	s_wait_alu 0xfffe
	s_or_b32 exec_lo, exec_lo, s2
	s_wait_loadcnt_dscnt 0x0
	s_barrier_signal -1
	s_barrier_wait -1
	global_inv scope:SCOPE_SE
	ds_load_u16 v12, v17
	ds_load_u16 v14, v17 offset:8
	ds_load_u8 v15, v18
	ds_load_u8 v16, v18 offset:4
	s_wait_dscnt 0x3
	v_lshlrev_b32_e32 v21, 16, v12
	s_wait_dscnt 0x2
	v_lshlrev_b32_e32 v22, 16, v14
	s_wait_dscnt 0x1
	v_and_b32_e32 v23, 1, v15
	s_wait_dscnt 0x0
	v_and_b32_e32 v16, 0xff, v16
	v_cmp_u_f32_e64 s2, v21, v21
	v_cmp_o_f32_e64 s3, v22, v22
	v_cmp_lt_f32_e64 s4, v22, v21
	v_cmp_eq_u32_e64 s5, 1, v23
	s_and_b32 s2, s2, s3
	s_wait_alu 0xfffe
	s_or_b32 s3, s2, s4
	v_cmp_ne_u16_e64 s2, 0, v16
	s_wait_alu 0xfffe
	s_and_b32 s3, s3, s5
	s_wait_alu 0xfffe
	s_xor_b32 s3, s3, -1
	s_wait_alu 0xfffe
	s_and_b32 s3, s3, s2
	s_wait_alu 0xfffe
	s_and_saveexec_b32 s2, s3
	s_cbranch_execz .LBB69_37
; %bb.36:
	ds_load_2addr_b64 v[21:24], v20 offset1:4
	v_mov_b32_e32 v16, 1
	s_wait_dscnt 0x0
	ds_store_2addr_b64 v20, v[23:24], v[21:22] offset1:4
	ds_store_b16 v17, v14
	ds_store_b16 v17, v12 offset:8
	ds_store_b8 v18, v16
	ds_store_b8 v18, v15 offset:4
.LBB69_37:
	;; [unrolled: 45-line block ×3, first 2 shown]
	s_wait_alu 0xfffe
	s_or_b32 exec_lo, exec_lo, s2
	s_wait_loadcnt_dscnt 0x0
	s_barrier_signal -1
	s_barrier_wait -1
	global_inv scope:SCOPE_SE
	ds_load_b32 v10, v3
	ds_load_u16 v11, v4
	s_wait_dscnt 0x1
	v_lshlrev_b32_e32 v12, 16, v10
	v_and_b32_e32 v13, 0xffff0000, v10
	s_wait_dscnt 0x0
	v_and_b32_e32 v14, 1, v11
	s_delay_alu instid0(VALU_DEP_3) | instskip(NEXT) | instid1(VALU_DEP_3)
	v_cmp_u_f32_e64 s2, v12, v12
	v_cmp_o_f32_e64 s3, v13, v13
	v_cmp_lt_f32_e64 s4, v13, v12
	v_lshrrev_b16 v12, 8, v11
	v_cmp_eq_u32_e64 s5, 1, v14
	s_and_b32 s2, s2, s3
	s_wait_alu 0xfffe
	s_or_b32 s3, s2, s4
	v_cmp_ne_u16_e64 s2, 0, v12
	s_wait_alu 0xfffe
	s_and_b32 s3, s3, s5
	s_wait_alu 0xfffe
	s_xor_b32 s3, s3, -1
	s_wait_alu 0xfffe
	s_and_b32 s3, s3, s2
	s_wait_alu 0xfffe
	s_and_saveexec_b32 s2, s3
	s_cbranch_execz .LBB69_41
; %bb.40:
	ds_load_b128 v[12:15], v19
	v_lshlrev_b16 v17, 8, v11
	v_alignbit_b32 v16, v10, v10, 16
	s_wait_dscnt 0x0
	v_dual_mov_b32 v10, v14 :: v_dual_mov_b32 v11, v15
	s_delay_alu instid0(VALU_DEP_3)
	v_or_b32_e32 v14, 1, v17
	ds_store_b32 v3, v16
	ds_store_b128 v19, v[10:13]
	ds_store_b16 v4, v14
.LBB69_41:
	s_wait_alu 0xfffe
	s_or_b32 exec_lo, exec_lo, s2
	s_wait_loadcnt_dscnt 0x0
	s_barrier_signal -1
	s_barrier_wait -1
	global_inv scope:SCOPE_SE
	s_and_saveexec_b32 s2, s0
	s_cbranch_execz .LBB69_46
; %bb.42:
	s_and_saveexec_b32 s0, vcc_lo
	s_cbranch_execz .LBB69_44
; %bb.43:
	v_mad_co_u64_u32 v[3:4], null, v7, s10, v[2:3]
	v_mov_b32_e32 v4, 0
	v_mad_co_u64_u32 v[10:11], null, v7, s7, v[0:1]
	ds_load_u16 v12, v8
	ds_load_b64 v[7:8], v9
	v_mov_b32_e32 v11, v4
	v_lshlrev_b64_e32 v[3:4], 1, v[3:4]
	s_delay_alu instid0(VALU_DEP_2) | instskip(NEXT) | instid1(VALU_DEP_2)
	v_lshlrev_b64_e32 v[9:10], 3, v[10:11]
	v_add_co_u32 v3, vcc_lo, s14, v3
	s_wait_alu 0xfffd
	s_delay_alu instid0(VALU_DEP_3) | instskip(NEXT) | instid1(VALU_DEP_3)
	v_add_co_ci_u32_e64 v4, null, s15, v4, vcc_lo
	v_add_co_u32 v9, vcc_lo, s12, v9
	s_wait_alu 0xfffd
	v_add_co_ci_u32_e64 v10, null, s13, v10, vcc_lo
	s_wait_dscnt 0x1
	global_store_b16 v[3:4], v12, off
	s_wait_dscnt 0x0
	global_store_b64 v[9:10], v[7:8], off
.LBB69_44:
	s_wait_alu 0xfffe
	s_or_b32 exec_lo, exec_lo, s0
	s_delay_alu instid0(SALU_CYCLE_1)
	s_and_b32 exec_lo, exec_lo, s1
	s_cbranch_execz .LBB69_46
; %bb.45:
	v_mad_co_u64_u32 v[2:3], null, v1, s10, v[2:3]
	v_mov_b32_e32 v3, 0
	v_mad_co_u64_u32 v[0:1], null, v1, s7, v[0:1]
	ds_load_u16 v7, v5
	ds_load_b64 v[4:5], v6
	v_mov_b32_e32 v1, v3
	v_lshlrev_b64_e32 v[2:3], 1, v[2:3]
	s_delay_alu instid0(VALU_DEP_2) | instskip(NEXT) | instid1(VALU_DEP_2)
	v_lshlrev_b64_e32 v[0:1], 3, v[0:1]
	v_add_co_u32 v2, vcc_lo, s14, v2
	s_wait_alu 0xfffd
	s_delay_alu instid0(VALU_DEP_3) | instskip(NEXT) | instid1(VALU_DEP_3)
	v_add_co_ci_u32_e64 v3, null, s15, v3, vcc_lo
	v_add_co_u32 v0, vcc_lo, s12, v0
	s_wait_alu 0xfffd
	v_add_co_ci_u32_e64 v1, null, s13, v1, vcc_lo
	s_wait_dscnt 0x1
	global_store_b16 v[2:3], v7, off
	s_wait_dscnt 0x0
	global_store_b64 v[0:1], v[4:5], off
.LBB69_46:
	s_endpgm
	.section	.rodata,"a",@progbits
	.p2align	6, 0x0
	.amdhsa_kernel _ZN2at6native20bitonicSortKVInPlaceILin1ELin1ELi16ELi16EN3c108BFloat16ElNS0_4GTOpIS3_Lb1EEEjEEvNS_4cuda6detail10TensorInfoIT3_T6_EESA_SA_SA_NS8_IT4_SA_EESA_T5_
		.amdhsa_group_segment_fixed_size 5632
		.amdhsa_private_segment_fixed_size 0
		.amdhsa_kernarg_size 712
		.amdhsa_user_sgpr_count 2
		.amdhsa_user_sgpr_dispatch_ptr 0
		.amdhsa_user_sgpr_queue_ptr 0
		.amdhsa_user_sgpr_kernarg_segment_ptr 1
		.amdhsa_user_sgpr_dispatch_id 0
		.amdhsa_user_sgpr_private_segment_size 0
		.amdhsa_wavefront_size32 1
		.amdhsa_uses_dynamic_stack 0
		.amdhsa_enable_private_segment 0
		.amdhsa_system_sgpr_workgroup_id_x 1
		.amdhsa_system_sgpr_workgroup_id_y 1
		.amdhsa_system_sgpr_workgroup_id_z 1
		.amdhsa_system_sgpr_workgroup_info 0
		.amdhsa_system_vgpr_workitem_id 1
		.amdhsa_next_free_vgpr 35
		.amdhsa_next_free_sgpr 16
		.amdhsa_reserve_vcc 1
		.amdhsa_float_round_mode_32 0
		.amdhsa_float_round_mode_16_64 0
		.amdhsa_float_denorm_mode_32 3
		.amdhsa_float_denorm_mode_16_64 3
		.amdhsa_fp16_overflow 0
		.amdhsa_workgroup_processor_mode 1
		.amdhsa_memory_ordered 1
		.amdhsa_forward_progress 1
		.amdhsa_inst_pref_size 44
		.amdhsa_round_robin_scheduling 0
		.amdhsa_exception_fp_ieee_invalid_op 0
		.amdhsa_exception_fp_denorm_src 0
		.amdhsa_exception_fp_ieee_div_zero 0
		.amdhsa_exception_fp_ieee_overflow 0
		.amdhsa_exception_fp_ieee_underflow 0
		.amdhsa_exception_fp_ieee_inexact 0
		.amdhsa_exception_int_div_zero 0
	.end_amdhsa_kernel
	.section	.text._ZN2at6native20bitonicSortKVInPlaceILin1ELin1ELi16ELi16EN3c108BFloat16ElNS0_4GTOpIS3_Lb1EEEjEEvNS_4cuda6detail10TensorInfoIT3_T6_EESA_SA_SA_NS8_IT4_SA_EESA_T5_,"axG",@progbits,_ZN2at6native20bitonicSortKVInPlaceILin1ELin1ELi16ELi16EN3c108BFloat16ElNS0_4GTOpIS3_Lb1EEEjEEvNS_4cuda6detail10TensorInfoIT3_T6_EESA_SA_SA_NS8_IT4_SA_EESA_T5_,comdat
.Lfunc_end69:
	.size	_ZN2at6native20bitonicSortKVInPlaceILin1ELin1ELi16ELi16EN3c108BFloat16ElNS0_4GTOpIS3_Lb1EEEjEEvNS_4cuda6detail10TensorInfoIT3_T6_EESA_SA_SA_NS8_IT4_SA_EESA_T5_, .Lfunc_end69-_ZN2at6native20bitonicSortKVInPlaceILin1ELin1ELi16ELi16EN3c108BFloat16ElNS0_4GTOpIS3_Lb1EEEjEEvNS_4cuda6detail10TensorInfoIT3_T6_EESA_SA_SA_NS8_IT4_SA_EESA_T5_
                                        ; -- End function
	.set _ZN2at6native20bitonicSortKVInPlaceILin1ELin1ELi16ELi16EN3c108BFloat16ElNS0_4GTOpIS3_Lb1EEEjEEvNS_4cuda6detail10TensorInfoIT3_T6_EESA_SA_SA_NS8_IT4_SA_EESA_T5_.num_vgpr, 35
	.set _ZN2at6native20bitonicSortKVInPlaceILin1ELin1ELi16ELi16EN3c108BFloat16ElNS0_4GTOpIS3_Lb1EEEjEEvNS_4cuda6detail10TensorInfoIT3_T6_EESA_SA_SA_NS8_IT4_SA_EESA_T5_.num_agpr, 0
	.set _ZN2at6native20bitonicSortKVInPlaceILin1ELin1ELi16ELi16EN3c108BFloat16ElNS0_4GTOpIS3_Lb1EEEjEEvNS_4cuda6detail10TensorInfoIT3_T6_EESA_SA_SA_NS8_IT4_SA_EESA_T5_.numbered_sgpr, 16
	.set _ZN2at6native20bitonicSortKVInPlaceILin1ELin1ELi16ELi16EN3c108BFloat16ElNS0_4GTOpIS3_Lb1EEEjEEvNS_4cuda6detail10TensorInfoIT3_T6_EESA_SA_SA_NS8_IT4_SA_EESA_T5_.num_named_barrier, 0
	.set _ZN2at6native20bitonicSortKVInPlaceILin1ELin1ELi16ELi16EN3c108BFloat16ElNS0_4GTOpIS3_Lb1EEEjEEvNS_4cuda6detail10TensorInfoIT3_T6_EESA_SA_SA_NS8_IT4_SA_EESA_T5_.private_seg_size, 0
	.set _ZN2at6native20bitonicSortKVInPlaceILin1ELin1ELi16ELi16EN3c108BFloat16ElNS0_4GTOpIS3_Lb1EEEjEEvNS_4cuda6detail10TensorInfoIT3_T6_EESA_SA_SA_NS8_IT4_SA_EESA_T5_.uses_vcc, 1
	.set _ZN2at6native20bitonicSortKVInPlaceILin1ELin1ELi16ELi16EN3c108BFloat16ElNS0_4GTOpIS3_Lb1EEEjEEvNS_4cuda6detail10TensorInfoIT3_T6_EESA_SA_SA_NS8_IT4_SA_EESA_T5_.uses_flat_scratch, 0
	.set _ZN2at6native20bitonicSortKVInPlaceILin1ELin1ELi16ELi16EN3c108BFloat16ElNS0_4GTOpIS3_Lb1EEEjEEvNS_4cuda6detail10TensorInfoIT3_T6_EESA_SA_SA_NS8_IT4_SA_EESA_T5_.has_dyn_sized_stack, 0
	.set _ZN2at6native20bitonicSortKVInPlaceILin1ELin1ELi16ELi16EN3c108BFloat16ElNS0_4GTOpIS3_Lb1EEEjEEvNS_4cuda6detail10TensorInfoIT3_T6_EESA_SA_SA_NS8_IT4_SA_EESA_T5_.has_recursion, 0
	.set _ZN2at6native20bitonicSortKVInPlaceILin1ELin1ELi16ELi16EN3c108BFloat16ElNS0_4GTOpIS3_Lb1EEEjEEvNS_4cuda6detail10TensorInfoIT3_T6_EESA_SA_SA_NS8_IT4_SA_EESA_T5_.has_indirect_call, 0
	.section	.AMDGPU.csdata,"",@progbits
; Kernel info:
; codeLenInByte = 5516
; TotalNumSgprs: 18
; NumVgprs: 35
; ScratchSize: 0
; MemoryBound: 0
; FloatMode: 240
; IeeeMode: 1
; LDSByteSize: 5632 bytes/workgroup (compile time only)
; SGPRBlocks: 0
; VGPRBlocks: 4
; NumSGPRsForWavesPerEU: 18
; NumVGPRsForWavesPerEU: 35
; Occupancy: 16
; WaveLimiterHint : 1
; COMPUTE_PGM_RSRC2:SCRATCH_EN: 0
; COMPUTE_PGM_RSRC2:USER_SGPR: 2
; COMPUTE_PGM_RSRC2:TRAP_HANDLER: 0
; COMPUTE_PGM_RSRC2:TGID_X_EN: 1
; COMPUTE_PGM_RSRC2:TGID_Y_EN: 1
; COMPUTE_PGM_RSRC2:TGID_Z_EN: 1
; COMPUTE_PGM_RSRC2:TIDIG_COMP_CNT: 1
	.section	.text._ZN2at6native20bitonicSortKVInPlaceILin1ELin1ELi16ELi16EN3c108BFloat16ElNS0_4LTOpIS3_Lb1EEEmEEvNS_4cuda6detail10TensorInfoIT3_T6_EESA_SA_SA_NS8_IT4_SA_EESA_T5_,"axG",@progbits,_ZN2at6native20bitonicSortKVInPlaceILin1ELin1ELi16ELi16EN3c108BFloat16ElNS0_4LTOpIS3_Lb1EEEmEEvNS_4cuda6detail10TensorInfoIT3_T6_EESA_SA_SA_NS8_IT4_SA_EESA_T5_,comdat
	.protected	_ZN2at6native20bitonicSortKVInPlaceILin1ELin1ELi16ELi16EN3c108BFloat16ElNS0_4LTOpIS3_Lb1EEEmEEvNS_4cuda6detail10TensorInfoIT3_T6_EESA_SA_SA_NS8_IT4_SA_EESA_T5_ ; -- Begin function _ZN2at6native20bitonicSortKVInPlaceILin1ELin1ELi16ELi16EN3c108BFloat16ElNS0_4LTOpIS3_Lb1EEEmEEvNS_4cuda6detail10TensorInfoIT3_T6_EESA_SA_SA_NS8_IT4_SA_EESA_T5_
	.globl	_ZN2at6native20bitonicSortKVInPlaceILin1ELin1ELi16ELi16EN3c108BFloat16ElNS0_4LTOpIS3_Lb1EEEmEEvNS_4cuda6detail10TensorInfoIT3_T6_EESA_SA_SA_NS8_IT4_SA_EESA_T5_
	.p2align	8
	.type	_ZN2at6native20bitonicSortKVInPlaceILin1ELin1ELi16ELi16EN3c108BFloat16ElNS0_4LTOpIS3_Lb1EEEmEEvNS_4cuda6detail10TensorInfoIT3_T6_EESA_SA_SA_NS8_IT4_SA_EESA_T5_,@function
_ZN2at6native20bitonicSortKVInPlaceILin1ELin1ELi16ELi16EN3c108BFloat16ElNS0_4LTOpIS3_Lb1EEEmEEvNS_4cuda6detail10TensorInfoIT3_T6_EESA_SA_SA_NS8_IT4_SA_EESA_T5_: ; @_ZN2at6native20bitonicSortKVInPlaceILin1ELin1ELi16ELi16EN3c108BFloat16ElNS0_4LTOpIS3_Lb1EEEmEEvNS_4cuda6detail10TensorInfoIT3_T6_EESA_SA_SA_NS8_IT4_SA_EESA_T5_
; %bb.0:
	v_mov_b32_e32 v1, 0
	s_lshr_b32 s8, ttmp7, 16
	s_and_b32 s9, ttmp7, 0xffff
	global_load_u16 v1, v1, s[0:1] offset:886
	s_clause 0x1
	s_load_b64 s[2:3], s[0:1], 0x368
	s_load_b128 s[4:7], s[0:1], 0x1a0
	s_wait_kmcnt 0x0
	s_mul_i32 s3, s3, s8
	s_delay_alu instid0(SALU_CYCLE_1) | instskip(NEXT) | instid1(SALU_CYCLE_1)
	s_add_co_i32 s3, s3, s9
	s_mul_i32 s2, s3, s2
	s_delay_alu instid0(SALU_CYCLE_1) | instskip(SKIP_2) | instid1(VALU_DEP_1)
	s_add_co_i32 s2, s2, ttmp9
	s_wait_loadcnt 0x0
	v_and_b32_e32 v1, 0xffff, v1
	v_mul_hi_u32 v2, v1, s2
	v_mul_lo_u32 v1, v1, s2
	s_delay_alu instid0(VALU_DEP_1)
	v_cmp_le_u64_e32 vcc_lo, s[4:5], v[1:2]
	s_cbranch_vccnz .LBB70_56
; %bb.1:
	s_clause 0x1
	s_load_b32 s10, s[0:1], 0x198
	s_load_b64 s[8:9], s[0:1], 0x1b0
	v_bfe_u32 v16, v0, 10, 10
	s_delay_alu instid0(VALU_DEP_1) | instskip(NEXT) | instid1(VALU_DEP_1)
	v_add_co_u32 v4, vcc_lo, v1, v16
	v_add_co_ci_u32_e64 v5, null, 0, v2, vcc_lo
	v_mov_b32_e32 v2, 0
	v_mov_b32_e32 v3, 0
	s_delay_alu instid0(VALU_DEP_3)
	v_dual_mov_b32 v7, v5 :: v_dual_mov_b32 v6, v4
	s_wait_kmcnt 0x0
	s_cmp_lt_i32 s10, 2
	s_cbranch_scc1 .LBB70_9
; %bb.2:
	s_add_co_i32 s2, s10, -1
	s_mov_b32 s3, 0
	v_dual_mov_b32 v2, 0 :: v_dual_mov_b32 v11, v5
	s_wait_alu 0xfffe
	s_lshl_b64 s[12:13], s[2:3], 3
	v_dual_mov_b32 v3, 0 :: v_dual_mov_b32 v8, 0
	v_mov_b32_e32 v10, v4
	s_add_nc_u64 s[12:13], s[0:1], s[12:13]
	s_add_co_i32 s14, s10, 1
	s_add_nc_u64 s[10:11], s[12:13], 8
.LBB70_3:                               ; =>This Inner Loop Header: Depth=1
	s_load_b64 s[12:13], s[10:11], 0x0
                                        ; implicit-def: $vgpr6_vgpr7
	s_mov_b32 s2, exec_lo
	s_wait_kmcnt 0x0
	v_or_b32_e32 v9, s13, v11
	s_delay_alu instid0(VALU_DEP_1)
	v_cmpx_ne_u64_e32 0, v[8:9]
	s_wait_alu 0xfffe
	s_xor_b32 s15, exec_lo, s2
	s_cbranch_execz .LBB70_5
; %bb.4:                                ;   in Loop: Header=BB70_3 Depth=1
	s_cvt_f32_u32 s2, s12
	s_cvt_f32_u32 s16, s13
	s_sub_nc_u64 s[18:19], 0, s[12:13]
	s_wait_alu 0xfffe
	s_delay_alu instid0(SALU_CYCLE_1) | instskip(SKIP_1) | instid1(SALU_CYCLE_2)
	s_fmamk_f32 s2, s16, 0x4f800000, s2
	s_wait_alu 0xfffe
	v_s_rcp_f32 s2, s2
	s_delay_alu instid0(TRANS32_DEP_1) | instskip(SKIP_1) | instid1(SALU_CYCLE_2)
	s_mul_f32 s2, s2, 0x5f7ffffc
	s_wait_alu 0xfffe
	s_mul_f32 s16, s2, 0x2f800000
	s_wait_alu 0xfffe
	s_delay_alu instid0(SALU_CYCLE_2) | instskip(SKIP_1) | instid1(SALU_CYCLE_2)
	s_trunc_f32 s16, s16
	s_wait_alu 0xfffe
	s_fmamk_f32 s2, s16, 0xcf800000, s2
	s_cvt_u32_f32 s17, s16
	s_wait_alu 0xfffe
	s_delay_alu instid0(SALU_CYCLE_1) | instskip(SKIP_1) | instid1(SALU_CYCLE_2)
	s_cvt_u32_f32 s16, s2
	s_wait_alu 0xfffe
	s_mul_u64 s[20:21], s[18:19], s[16:17]
	s_delay_alu instid0(SALU_CYCLE_1)
	s_mul_hi_u32 s23, s16, s21
	s_mul_i32 s22, s16, s21
	s_mul_hi_u32 s2, s16, s20
	s_mul_i32 s25, s17, s20
	s_wait_alu 0xfffe
	s_add_nc_u64 s[22:23], s[2:3], s[22:23]
	s_mul_hi_u32 s24, s17, s20
	s_mul_hi_u32 s26, s17, s21
	s_add_co_u32 s2, s22, s25
	s_add_co_ci_u32 s2, s23, s24
	s_mul_i32 s20, s17, s21
	s_add_co_ci_u32 s21, s26, 0
	s_wait_alu 0xfffe
	s_add_nc_u64 s[20:21], s[2:3], s[20:21]
	s_delay_alu instid0(SALU_CYCLE_1)
	s_add_co_u32 s16, s16, s20
	s_cselect_b32 s2, -1, 0
	s_wait_alu 0xfffe
	s_cmp_lg_u32 s2, 0
	s_add_co_ci_u32 s17, s17, s21
	s_wait_alu 0xfffe
	s_mul_u64 s[18:19], s[18:19], s[16:17]
	s_delay_alu instid0(SALU_CYCLE_1)
	s_mul_hi_u32 s21, s16, s19
	s_mul_i32 s20, s16, s19
	s_mul_hi_u32 s2, s16, s18
	s_mul_i32 s23, s17, s18
	s_wait_alu 0xfffe
	s_add_nc_u64 s[20:21], s[2:3], s[20:21]
	s_mul_hi_u32 s22, s17, s18
	s_mul_hi_u32 s24, s17, s19
	s_add_co_u32 s2, s20, s23
	s_add_co_ci_u32 s2, s21, s22
	s_mul_i32 s18, s17, s19
	s_add_co_ci_u32 s19, s24, 0
	s_wait_alu 0xfffe
	s_add_nc_u64 s[18:19], s[2:3], s[18:19]
	s_delay_alu instid0(SALU_CYCLE_1)
	s_add_co_u32 s2, s16, s18
	s_cselect_b32 s16, -1, 0
	s_wait_alu 0xfffe
	v_mul_hi_u32 v1, v10, s2
	s_cmp_lg_u32 s16, 0
	v_mad_co_u64_u32 v[12:13], null, v11, s2, 0
	s_add_co_ci_u32 s16, s17, s19
	s_wait_alu 0xfffe
	v_mad_co_u64_u32 v[6:7], null, v10, s16, 0
	v_mad_co_u64_u32 v[14:15], null, v11, s16, 0
	s_delay_alu instid0(VALU_DEP_2) | instskip(SKIP_1) | instid1(VALU_DEP_3)
	v_add_co_u32 v1, vcc_lo, v1, v6
	s_wait_alu 0xfffd
	v_add_co_ci_u32_e64 v6, null, 0, v7, vcc_lo
	s_delay_alu instid0(VALU_DEP_2) | instskip(SKIP_1) | instid1(VALU_DEP_2)
	v_add_co_u32 v1, vcc_lo, v1, v12
	s_wait_alu 0xfffd
	v_add_co_ci_u32_e32 v1, vcc_lo, v6, v13, vcc_lo
	s_wait_alu 0xfffd
	v_add_co_ci_u32_e32 v6, vcc_lo, 0, v15, vcc_lo
	s_delay_alu instid0(VALU_DEP_2) | instskip(SKIP_1) | instid1(VALU_DEP_2)
	v_add_co_u32 v1, vcc_lo, v1, v14
	s_wait_alu 0xfffd
	v_add_co_ci_u32_e64 v9, null, 0, v6, vcc_lo
	s_delay_alu instid0(VALU_DEP_2) | instskip(SKIP_1) | instid1(VALU_DEP_3)
	v_mul_lo_u32 v12, s13, v1
	v_mad_co_u64_u32 v[6:7], null, s12, v1, 0
	v_mul_lo_u32 v13, s12, v9
	s_delay_alu instid0(VALU_DEP_2) | instskip(NEXT) | instid1(VALU_DEP_2)
	v_sub_co_u32 v6, vcc_lo, v10, v6
	v_add3_u32 v7, v7, v13, v12
	v_add_co_u32 v13, s2, v1, 2
	s_wait_alu 0xf1ff
	v_add_co_ci_u32_e64 v14, null, 0, v9, s2
	s_delay_alu instid0(VALU_DEP_3) | instskip(SKIP_3) | instid1(VALU_DEP_3)
	v_sub_nc_u32_e32 v12, v11, v7
	v_sub_co_u32 v15, s2, v6, s12
	s_wait_alu 0xfffd
	v_sub_co_ci_u32_e64 v7, null, v11, v7, vcc_lo
	v_subrev_co_ci_u32_e64 v12, null, s13, v12, vcc_lo
	s_delay_alu instid0(VALU_DEP_3) | instskip(SKIP_1) | instid1(VALU_DEP_2)
	v_cmp_le_u32_e32 vcc_lo, s12, v15
	s_wait_alu 0xf1ff
	v_subrev_co_ci_u32_e64 v12, null, 0, v12, s2
	s_wait_alu 0xfffd
	v_cndmask_b32_e64 v15, 0, -1, vcc_lo
	v_cmp_eq_u32_e64 s2, s13, v7
	s_delay_alu instid0(VALU_DEP_3)
	v_cmp_le_u32_e32 vcc_lo, s13, v12
	s_wait_alu 0xfffd
	v_cndmask_b32_e64 v17, 0, -1, vcc_lo
	v_cmp_le_u32_e32 vcc_lo, s12, v6
	s_wait_alu 0xfffd
	v_cndmask_b32_e64 v6, 0, -1, vcc_lo
	;; [unrolled: 3-line block ×3, first 2 shown]
	v_cmp_eq_u32_e32 vcc_lo, s13, v12
	s_wait_alu 0xf1ff
	s_delay_alu instid0(VALU_DEP_2)
	v_cndmask_b32_e64 v6, v18, v6, s2
	s_wait_alu 0xfffd
	v_cndmask_b32_e32 v12, v17, v15, vcc_lo
	v_add_co_u32 v15, vcc_lo, v1, 1
	s_wait_alu 0xfffd
	v_add_co_ci_u32_e64 v17, null, 0, v9, vcc_lo
	s_delay_alu instid0(VALU_DEP_3) | instskip(SKIP_1) | instid1(VALU_DEP_2)
	v_cmp_ne_u32_e32 vcc_lo, 0, v12
	s_wait_alu 0xfffd
	v_dual_cndmask_b32 v7, v17, v14 :: v_dual_cndmask_b32 v12, v15, v13
	v_cmp_ne_u32_e32 vcc_lo, 0, v6
	s_wait_alu 0xfffd
	s_delay_alu instid0(VALU_DEP_2) | instskip(NEXT) | instid1(VALU_DEP_3)
	v_cndmask_b32_e32 v7, v9, v7, vcc_lo
	v_cndmask_b32_e32 v6, v1, v12, vcc_lo
.LBB70_5:                               ;   in Loop: Header=BB70_3 Depth=1
	s_wait_alu 0xfffe
	s_and_not1_saveexec_b32 s2, s15
	s_cbranch_execz .LBB70_7
; %bb.6:                                ;   in Loop: Header=BB70_3 Depth=1
	v_cvt_f32_u32_e32 v1, s12
	s_sub_co_i32 s15, 0, s12
	s_delay_alu instid0(VALU_DEP_1) | instskip(NEXT) | instid1(TRANS32_DEP_1)
	v_rcp_iflag_f32_e32 v1, v1
	v_mul_f32_e32 v1, 0x4f7ffffe, v1
	s_delay_alu instid0(VALU_DEP_1) | instskip(SKIP_1) | instid1(VALU_DEP_1)
	v_cvt_u32_f32_e32 v1, v1
	s_wait_alu 0xfffe
	v_mul_lo_u32 v6, s15, v1
	s_delay_alu instid0(VALU_DEP_1) | instskip(NEXT) | instid1(VALU_DEP_1)
	v_mul_hi_u32 v6, v1, v6
	v_add_nc_u32_e32 v1, v1, v6
	s_delay_alu instid0(VALU_DEP_1) | instskip(NEXT) | instid1(VALU_DEP_1)
	v_mul_hi_u32 v1, v10, v1
	v_mul_lo_u32 v6, v1, s12
	v_add_nc_u32_e32 v7, 1, v1
	s_delay_alu instid0(VALU_DEP_2) | instskip(NEXT) | instid1(VALU_DEP_1)
	v_sub_nc_u32_e32 v6, v10, v6
	v_subrev_nc_u32_e32 v9, s12, v6
	v_cmp_le_u32_e32 vcc_lo, s12, v6
	s_wait_alu 0xfffd
	s_delay_alu instid0(VALU_DEP_2) | instskip(NEXT) | instid1(VALU_DEP_1)
	v_dual_cndmask_b32 v6, v6, v9 :: v_dual_cndmask_b32 v1, v1, v7
	v_cmp_le_u32_e32 vcc_lo, s12, v6
	s_delay_alu instid0(VALU_DEP_2) | instskip(SKIP_1) | instid1(VALU_DEP_1)
	v_add_nc_u32_e32 v7, 1, v1
	s_wait_alu 0xfffd
	v_dual_cndmask_b32 v6, v1, v7 :: v_dual_mov_b32 v7, v8
.LBB70_7:                               ;   in Loop: Header=BB70_3 Depth=1
	s_wait_alu 0xfffe
	s_or_b32 exec_lo, exec_lo, s2
	s_load_b64 s[16:17], s[10:11], 0xc8
	s_delay_alu instid0(VALU_DEP_1)
	v_mul_lo_u32 v1, v7, s12
	v_mul_lo_u32 v9, v6, s13
	v_mad_co_u64_u32 v[12:13], null, v6, s12, 0
	s_add_co_i32 s14, s14, -1
	s_add_nc_u64 s[10:11], s[10:11], -8
	s_wait_alu 0xfffe
	s_cmp_gt_u32 s14, 2
	v_add3_u32 v1, v13, v9, v1
	v_sub_co_u32 v9, vcc_lo, v10, v12
	s_wait_alu 0xfffd
	s_delay_alu instid0(VALU_DEP_2) | instskip(SKIP_1) | instid1(VALU_DEP_2)
	v_sub_co_ci_u32_e64 v1, null, v11, v1, vcc_lo
	s_wait_kmcnt 0x0
	v_mul_lo_u32 v10, s17, v9
	s_delay_alu instid0(VALU_DEP_2) | instskip(SKIP_1) | instid1(VALU_DEP_1)
	v_mul_lo_u32 v1, s16, v1
	v_mad_co_u64_u32 v[2:3], null, s16, v9, v[2:3]
	v_add3_u32 v3, v10, v3, v1
	s_cbranch_scc0 .LBB70_9
; %bb.8:                                ;   in Loop: Header=BB70_3 Depth=1
	v_dual_mov_b32 v11, v7 :: v_dual_mov_b32 v10, v6
	s_branch .LBB70_3
.LBB70_9:
	s_clause 0x1
	s_load_b32 s14, s[0:1], 0x350
	s_load_b64 s[10:11], s[0:1], 0xd0
	v_dual_mov_b32 v8, 0 :: v_dual_mov_b32 v15, v5
	v_dual_mov_b32 v9, 0 :: v_dual_mov_b32 v14, v4
	s_add_nc_u64 s[12:13], s[0:1], 0x368
	s_wait_kmcnt 0x0
	s_cmp_lt_i32 s14, 2
	s_cbranch_scc1 .LBB70_17
; %bb.10:
	s_add_co_i32 s2, s14, -1
	s_mov_b32 s3, 0
	v_dual_mov_b32 v8, 0 :: v_dual_mov_b32 v13, v5
	s_wait_alu 0xfffe
	s_lshl_b64 s[16:17], s[2:3], 3
	v_dual_mov_b32 v9, 0 :: v_dual_mov_b32 v10, 0
	v_mov_b32_e32 v12, v4
	s_wait_alu 0xfffe
	s_add_nc_u64 s[16:17], s[0:1], s[16:17]
	s_add_co_i32 s18, s14, 1
	s_wait_alu 0xfffe
	s_add_nc_u64 s[14:15], s[16:17], 0x1c0
.LBB70_11:                              ; =>This Inner Loop Header: Depth=1
	s_load_b64 s[16:17], s[14:15], 0x0
                                        ; implicit-def: $vgpr14_vgpr15
	s_mov_b32 s2, exec_lo
	s_wait_kmcnt 0x0
	v_or_b32_e32 v11, s17, v13
	s_delay_alu instid0(VALU_DEP_1)
	v_cmpx_ne_u64_e32 0, v[10:11]
	s_wait_alu 0xfffe
	s_xor_b32 s19, exec_lo, s2
	s_cbranch_execz .LBB70_13
; %bb.12:                               ;   in Loop: Header=BB70_11 Depth=1
	s_cvt_f32_u32 s2, s16
	s_cvt_f32_u32 s20, s17
	s_sub_nc_u64 s[22:23], 0, s[16:17]
	s_wait_alu 0xfffe
	s_delay_alu instid0(SALU_CYCLE_1) | instskip(SKIP_1) | instid1(SALU_CYCLE_2)
	s_fmamk_f32 s2, s20, 0x4f800000, s2
	s_wait_alu 0xfffe
	v_s_rcp_f32 s2, s2
	s_delay_alu instid0(TRANS32_DEP_1) | instskip(SKIP_1) | instid1(SALU_CYCLE_2)
	s_mul_f32 s2, s2, 0x5f7ffffc
	s_wait_alu 0xfffe
	s_mul_f32 s20, s2, 0x2f800000
	s_wait_alu 0xfffe
	s_delay_alu instid0(SALU_CYCLE_2) | instskip(SKIP_1) | instid1(SALU_CYCLE_2)
	s_trunc_f32 s20, s20
	s_wait_alu 0xfffe
	s_fmamk_f32 s2, s20, 0xcf800000, s2
	s_cvt_u32_f32 s21, s20
	s_wait_alu 0xfffe
	s_delay_alu instid0(SALU_CYCLE_1) | instskip(SKIP_1) | instid1(SALU_CYCLE_2)
	s_cvt_u32_f32 s20, s2
	s_wait_alu 0xfffe
	s_mul_u64 s[24:25], s[22:23], s[20:21]
	s_delay_alu instid0(SALU_CYCLE_1)
	s_mul_hi_u32 s27, s20, s25
	s_mul_i32 s26, s20, s25
	s_mul_hi_u32 s2, s20, s24
	s_mul_i32 s29, s21, s24
	s_wait_alu 0xfffe
	s_add_nc_u64 s[26:27], s[2:3], s[26:27]
	s_mul_hi_u32 s28, s21, s24
	s_mul_hi_u32 s30, s21, s25
	s_add_co_u32 s2, s26, s29
	s_add_co_ci_u32 s2, s27, s28
	s_mul_i32 s24, s21, s25
	s_add_co_ci_u32 s25, s30, 0
	s_wait_alu 0xfffe
	s_add_nc_u64 s[24:25], s[2:3], s[24:25]
	s_delay_alu instid0(SALU_CYCLE_1)
	s_add_co_u32 s20, s20, s24
	s_cselect_b32 s2, -1, 0
	s_wait_alu 0xfffe
	s_cmp_lg_u32 s2, 0
	s_add_co_ci_u32 s21, s21, s25
	s_wait_alu 0xfffe
	s_mul_u64 s[22:23], s[22:23], s[20:21]
	s_delay_alu instid0(SALU_CYCLE_1)
	s_mul_hi_u32 s25, s20, s23
	s_mul_i32 s24, s20, s23
	s_mul_hi_u32 s2, s20, s22
	s_mul_i32 s27, s21, s22
	s_wait_alu 0xfffe
	s_add_nc_u64 s[24:25], s[2:3], s[24:25]
	s_mul_hi_u32 s26, s21, s22
	s_mul_hi_u32 s28, s21, s23
	s_add_co_u32 s2, s24, s27
	s_add_co_ci_u32 s2, s25, s26
	s_mul_i32 s22, s21, s23
	s_add_co_ci_u32 s23, s28, 0
	s_wait_alu 0xfffe
	s_add_nc_u64 s[22:23], s[2:3], s[22:23]
	s_delay_alu instid0(SALU_CYCLE_1)
	s_add_co_u32 s2, s20, s22
	s_cselect_b32 s20, -1, 0
	s_wait_alu 0xfffe
	v_mul_hi_u32 v1, v12, s2
	s_cmp_lg_u32 s20, 0
	v_mad_co_u64_u32 v[17:18], null, v13, s2, 0
	s_add_co_ci_u32 s20, s21, s23
	s_wait_alu 0xfffe
	v_mad_co_u64_u32 v[14:15], null, v12, s20, 0
	v_mad_co_u64_u32 v[19:20], null, v13, s20, 0
	s_delay_alu instid0(VALU_DEP_2) | instskip(SKIP_1) | instid1(VALU_DEP_3)
	v_add_co_u32 v1, vcc_lo, v1, v14
	s_wait_alu 0xfffd
	v_add_co_ci_u32_e64 v11, null, 0, v15, vcc_lo
	s_delay_alu instid0(VALU_DEP_2) | instskip(SKIP_1) | instid1(VALU_DEP_2)
	v_add_co_u32 v1, vcc_lo, v1, v17
	s_wait_alu 0xfffd
	v_add_co_ci_u32_e32 v1, vcc_lo, v11, v18, vcc_lo
	s_wait_alu 0xfffd
	v_add_co_ci_u32_e32 v11, vcc_lo, 0, v20, vcc_lo
	s_delay_alu instid0(VALU_DEP_2) | instskip(SKIP_1) | instid1(VALU_DEP_2)
	v_add_co_u32 v1, vcc_lo, v1, v19
	s_wait_alu 0xfffd
	v_add_co_ci_u32_e64 v11, null, 0, v11, vcc_lo
	s_delay_alu instid0(VALU_DEP_2) | instskip(SKIP_1) | instid1(VALU_DEP_3)
	v_mul_lo_u32 v17, s17, v1
	v_mad_co_u64_u32 v[14:15], null, s16, v1, 0
	v_mul_lo_u32 v18, s16, v11
	s_delay_alu instid0(VALU_DEP_2) | instskip(NEXT) | instid1(VALU_DEP_2)
	v_sub_co_u32 v14, vcc_lo, v12, v14
	v_add3_u32 v15, v15, v18, v17
	v_add_co_u32 v18, s2, v1, 2
	s_wait_alu 0xf1ff
	v_add_co_ci_u32_e64 v19, null, 0, v11, s2
	s_delay_alu instid0(VALU_DEP_3) | instskip(SKIP_3) | instid1(VALU_DEP_3)
	v_sub_nc_u32_e32 v17, v13, v15
	v_sub_co_u32 v20, s2, v14, s16
	s_wait_alu 0xfffd
	v_sub_co_ci_u32_e64 v15, null, v13, v15, vcc_lo
	v_subrev_co_ci_u32_e64 v17, null, s17, v17, vcc_lo
	s_delay_alu instid0(VALU_DEP_3) | instskip(SKIP_1) | instid1(VALU_DEP_2)
	v_cmp_le_u32_e32 vcc_lo, s16, v20
	s_wait_alu 0xf1ff
	v_subrev_co_ci_u32_e64 v17, null, 0, v17, s2
	s_wait_alu 0xfffd
	v_cndmask_b32_e64 v20, 0, -1, vcc_lo
	v_cmp_eq_u32_e64 s2, s17, v15
	s_delay_alu instid0(VALU_DEP_3)
	v_cmp_le_u32_e32 vcc_lo, s17, v17
	s_wait_alu 0xfffd
	v_cndmask_b32_e64 v21, 0, -1, vcc_lo
	v_cmp_le_u32_e32 vcc_lo, s16, v14
	s_wait_alu 0xfffd
	v_cndmask_b32_e64 v14, 0, -1, vcc_lo
	;; [unrolled: 3-line block ×3, first 2 shown]
	v_cmp_eq_u32_e32 vcc_lo, s17, v17
	s_wait_alu 0xf1ff
	s_delay_alu instid0(VALU_DEP_2)
	v_cndmask_b32_e64 v14, v22, v14, s2
	s_wait_alu 0xfffd
	v_cndmask_b32_e32 v17, v21, v20, vcc_lo
	v_add_co_u32 v20, vcc_lo, v1, 1
	s_wait_alu 0xfffd
	v_add_co_ci_u32_e64 v21, null, 0, v11, vcc_lo
	s_delay_alu instid0(VALU_DEP_3) | instskip(SKIP_1) | instid1(VALU_DEP_2)
	v_cmp_ne_u32_e32 vcc_lo, 0, v17
	s_wait_alu 0xfffd
	v_cndmask_b32_e32 v15, v21, v19, vcc_lo
	v_cndmask_b32_e32 v17, v20, v18, vcc_lo
	v_cmp_ne_u32_e32 vcc_lo, 0, v14
	s_wait_alu 0xfffd
	s_delay_alu instid0(VALU_DEP_2)
	v_dual_cndmask_b32 v15, v11, v15 :: v_dual_cndmask_b32 v14, v1, v17
.LBB70_13:                              ;   in Loop: Header=BB70_11 Depth=1
	s_wait_alu 0xfffe
	s_and_not1_saveexec_b32 s2, s19
	s_cbranch_execz .LBB70_15
; %bb.14:                               ;   in Loop: Header=BB70_11 Depth=1
	v_cvt_f32_u32_e32 v1, s16
	s_sub_co_i32 s19, 0, s16
	s_delay_alu instid0(VALU_DEP_1) | instskip(NEXT) | instid1(TRANS32_DEP_1)
	v_rcp_iflag_f32_e32 v1, v1
	v_mul_f32_e32 v1, 0x4f7ffffe, v1
	s_delay_alu instid0(VALU_DEP_1) | instskip(SKIP_1) | instid1(VALU_DEP_1)
	v_cvt_u32_f32_e32 v1, v1
	s_wait_alu 0xfffe
	v_mul_lo_u32 v11, s19, v1
	s_delay_alu instid0(VALU_DEP_1) | instskip(NEXT) | instid1(VALU_DEP_1)
	v_mul_hi_u32 v11, v1, v11
	v_add_nc_u32_e32 v1, v1, v11
	s_delay_alu instid0(VALU_DEP_1) | instskip(NEXT) | instid1(VALU_DEP_1)
	v_mul_hi_u32 v1, v12, v1
	v_mul_lo_u32 v11, v1, s16
	s_delay_alu instid0(VALU_DEP_1) | instskip(NEXT) | instid1(VALU_DEP_1)
	v_sub_nc_u32_e32 v11, v12, v11
	v_subrev_nc_u32_e32 v15, s16, v11
	v_cmp_le_u32_e32 vcc_lo, s16, v11
	s_wait_alu 0xfffd
	s_delay_alu instid0(VALU_DEP_2) | instskip(NEXT) | instid1(VALU_DEP_1)
	v_dual_cndmask_b32 v11, v11, v15 :: v_dual_add_nc_u32 v14, 1, v1
	v_cndmask_b32_e32 v1, v1, v14, vcc_lo
	v_mov_b32_e32 v15, v10
	s_delay_alu instid0(VALU_DEP_3) | instskip(NEXT) | instid1(VALU_DEP_3)
	v_cmp_le_u32_e32 vcc_lo, s16, v11
	v_add_nc_u32_e32 v14, 1, v1
	s_wait_alu 0xfffd
	s_delay_alu instid0(VALU_DEP_1)
	v_cndmask_b32_e32 v14, v1, v14, vcc_lo
.LBB70_15:                              ;   in Loop: Header=BB70_11 Depth=1
	s_wait_alu 0xfffe
	s_or_b32 exec_lo, exec_lo, s2
	s_load_b64 s[20:21], s[14:15], 0xc8
	v_mul_lo_u32 v1, v15, s16
	v_mul_lo_u32 v11, v14, s17
	v_mad_co_u64_u32 v[17:18], null, v14, s16, 0
	s_add_co_i32 s18, s18, -1
	s_add_nc_u64 s[14:15], s[14:15], -8
	s_wait_alu 0xfffe
	s_cmp_gt_u32 s18, 2
	v_add3_u32 v1, v18, v11, v1
	v_sub_co_u32 v11, vcc_lo, v12, v17
	s_wait_alu 0xfffd
	s_delay_alu instid0(VALU_DEP_2) | instskip(SKIP_1) | instid1(VALU_DEP_2)
	v_sub_co_ci_u32_e64 v1, null, v13, v1, vcc_lo
	s_wait_kmcnt 0x0
	v_mul_lo_u32 v12, s21, v11
	s_delay_alu instid0(VALU_DEP_2) | instskip(SKIP_1) | instid1(VALU_DEP_1)
	v_mul_lo_u32 v1, s20, v1
	v_mad_co_u64_u32 v[8:9], null, s20, v11, v[8:9]
	v_add3_u32 v9, v12, v9, v1
	s_cbranch_scc0 .LBB70_17
; %bb.16:                               ;   in Loop: Header=BB70_11 Depth=1
	v_dual_mov_b32 v12, v14 :: v_dual_mov_b32 v13, v15
	s_branch .LBB70_11
.LBB70_17:
	s_load_b64 s[2:3], s[0:1], 0x288
	v_mul_lo_u32 v17, s11, v6
	v_mul_lo_u32 v18, s10, v7
	v_mad_co_u64_u32 v[6:7], null, s10, v6, 0
	v_cmp_gt_u64_e32 vcc_lo, s[4:5], v[4:5]
	s_clause 0x2
	s_load_b64 s[10:11], s[0:1], 0x358
	s_load_b64 s[4:5], s[0:1], 0x0
	;; [unrolled: 1-line block ×3, first 2 shown]
	v_mov_b32_e32 v1, 0
	v_lshlrev_b64_e32 v[12:13], 1, v[2:3]
	v_and_b32_e32 v2, 0x3ff, v0
	v_add3_u32 v7, v7, v18, v17
	s_delay_alu instid0(VALU_DEP_4)
	v_mov_b32_e32 v3, v1
	s_wait_kmcnt 0x0
	v_mul_lo_u32 v4, s3, v14
	v_mul_lo_u32 v5, s2, v15
	v_mad_co_u64_u32 v[10:11], null, s2, v14, 0
	s_load_b32 s2, s[12:13], 0xc
	v_lshlrev_b64_e32 v[14:15], 3, v[8:9]
	v_lshlrev_b64_e32 v[8:9], 1, v[6:7]
	v_mov_b32_e32 v6, 0
	v_mov_b32_e32 v7, 0
	v_add3_u32 v11, v11, v5, v4
	v_mov_b32_e32 v4, 0
	v_add_co_u32 v0, s1, s4, v8
	s_delay_alu instid0(VALU_DEP_1) | instskip(NEXT) | instid1(VALU_DEP_4)
	v_add_co_ci_u32_e64 v8, null, s5, v9, s1
	v_lshlrev_b64_e32 v[10:11], 3, v[10:11]
	v_cmp_gt_u64_e64 s0, s[6:7], v[2:3]
	v_mov_b32_e32 v5, 0
	s_delay_alu instid0(VALU_DEP_3) | instskip(SKIP_1) | instid1(VALU_DEP_4)
	v_add_co_u32 v9, s1, s14, v10
	s_wait_alu 0xf1ff
	v_add_co_ci_u32_e64 v10, null, s15, v11, s1
	v_add_co_u32 v3, s1, v0, v12
	s_wait_alu 0xf1ff
	v_add_co_ci_u32_e64 v8, null, v8, v13, s1
	;; [unrolled: 3-line block ×3, first 2 shown]
	v_mov_b32_e32 v13, 0
	s_and_b32 s4, vcc_lo, s0
	s_wait_alu 0xfffe
	s_and_saveexec_b32 s3, s4
	s_cbranch_execz .LBB70_19
; %bb.18:
	v_mad_co_u64_u32 v[6:7], null, s8, v2, 0
	v_mad_co_u64_u32 v[11:12], null, s10, v2, 0
	s_delay_alu instid0(VALU_DEP_1) | instskip(NEXT) | instid1(VALU_DEP_1)
	v_dual_mov_b32 v0, v7 :: v_dual_mov_b32 v7, v12
	v_mad_co_u64_u32 v[12:13], null, s9, v2, v[0:1]
	s_delay_alu instid0(VALU_DEP_2) | instskip(NEXT) | instid1(VALU_DEP_1)
	v_mad_co_u64_u32 v[13:14], null, s11, v2, v[7:8]
	v_dual_mov_b32 v7, v12 :: v_dual_mov_b32 v12, v13
	s_delay_alu instid0(VALU_DEP_1) | instskip(NEXT) | instid1(VALU_DEP_2)
	v_lshlrev_b64_e32 v[6:7], 1, v[6:7]
	v_lshlrev_b64_e32 v[11:12], 3, v[11:12]
	s_delay_alu instid0(VALU_DEP_2) | instskip(SKIP_1) | instid1(VALU_DEP_3)
	v_add_co_u32 v6, s1, v3, v6
	s_wait_alu 0xf1ff
	v_add_co_ci_u32_e64 v7, null, v8, v7, s1
	s_delay_alu instid0(VALU_DEP_3)
	v_add_co_u32 v11, s1, v9, v11
	s_wait_alu 0xf1ff
	v_add_co_ci_u32_e64 v12, null, v10, v12, s1
	global_load_u16 v13, v[6:7], off
	global_load_b64 v[6:7], v[11:12], off
.LBB70_19:
	s_wait_alu 0xfffe
	s_or_b32 exec_lo, exec_lo, s3
	s_wait_kmcnt 0x0
	s_and_b32 s3, 0xffff, s2
	v_lshl_add_u32 v17, v16, 6, 0x1000
	s_wait_alu 0xfffe
	v_add_nc_u32_e32 v0, s3, v2
	v_lshlrev_b32_e32 v14, 8, v16
	v_lshl_add_u32 v16, v16, 5, 0x1400
	v_cndmask_b32_e64 v15, 0, 1, s4
	v_lshl_add_u32 v11, v2, 1, v17
	v_cmp_gt_u64_e64 s1, s[6:7], v[0:1]
	v_lshl_add_u32 v12, v2, 3, v14
	v_add_nc_u32_e32 v18, v16, v2
	s_wait_loadcnt 0x1
	ds_store_b16 v11, v13
	s_wait_loadcnt 0x0
	ds_store_b64 v12, v[6:7]
	ds_store_b8 v18, v15
	s_and_b32 s4, vcc_lo, s1
	s_wait_alu 0xfffe
	s_and_saveexec_b32 s5, s4
	s_cbranch_execz .LBB70_21
; %bb.20:
	v_mad_co_u64_u32 v[4:5], null, s8, v0, 0
	v_mad_co_u64_u32 v[6:7], null, s10, v0, 0
	s_delay_alu instid0(VALU_DEP_2) | instskip(NEXT) | instid1(VALU_DEP_2)
	v_mov_b32_e32 v1, v5
	v_mov_b32_e32 v5, v7
	s_delay_alu instid0(VALU_DEP_2) | instskip(NEXT) | instid1(VALU_DEP_2)
	v_mad_co_u64_u32 v[18:19], null, s9, v0, v[1:2]
	v_mad_co_u64_u32 v[19:20], null, s11, v0, v[5:6]
	s_delay_alu instid0(VALU_DEP_2) | instskip(NEXT) | instid1(VALU_DEP_2)
	v_mov_b32_e32 v5, v18
	v_mov_b32_e32 v7, v19
	s_delay_alu instid0(VALU_DEP_2) | instskip(NEXT) | instid1(VALU_DEP_2)
	v_lshlrev_b64_e32 v[4:5], 1, v[4:5]
	v_lshlrev_b64_e32 v[6:7], 3, v[6:7]
	s_delay_alu instid0(VALU_DEP_2) | instskip(SKIP_1) | instid1(VALU_DEP_3)
	v_add_co_u32 v4, s2, v3, v4
	s_wait_alu 0xf1ff
	v_add_co_ci_u32_e64 v5, null, v8, v5, s2
	s_delay_alu instid0(VALU_DEP_3)
	v_add_co_u32 v6, s2, v9, v6
	s_wait_alu 0xf1ff
	v_add_co_ci_u32_e64 v7, null, v10, v7, s2
	global_load_u16 v1, v[4:5], off
	global_load_b64 v[4:5], v[6:7], off
.LBB70_21:
	s_wait_alu 0xfffe
	s_or_b32 exec_lo, exec_lo, s5
	v_lshl_add_u32 v6, s3, 1, v11
	v_lshlrev_b32_e32 v18, 1, v2
	v_lshl_add_u32 v7, s3, 3, v12
	v_cndmask_b32_e64 v13, 0, 1, s4
	v_add_nc_u32_e32 v15, v16, v0
	s_wait_loadcnt 0x1
	ds_store_b16 v6, v1
	s_wait_loadcnt 0x0
	ds_store_b64 v7, v[4:5]
	ds_store_b8 v15, v13
	v_add_nc_u32_e32 v1, v11, v18
	v_add_nc_u32_e32 v4, v16, v18
	s_wait_dscnt 0x0
	s_barrier_signal -1
	s_barrier_wait -1
	global_inv scope:SCOPE_SE
	ds_load_b32 v13, v1
	ds_load_u16 v15, v4
	v_and_b32_e32 v5, 1, v2
	s_wait_dscnt 0x1
	v_and_b32_e32 v19, 0xffff0000, v13
	v_lshlrev_b32_e32 v21, 16, v13
	s_wait_dscnt 0x0
	v_lshrrev_b16 v20, 8, v15
	v_and_b32_e32 v22, 1, v15
	v_cmp_u_f32_e64 s2, v19, v19
	v_cmp_o_f32_e64 s3, v21, v21
	s_delay_alu instid0(VALU_DEP_4)
	v_cmp_ne_u16_e64 s6, v20, v5
	v_cmp_lt_f32_e64 s4, v21, v19
	v_cmp_eq_u32_e64 s5, 1, v22
	s_and_b32 s2, s2, s3
	v_cndmask_b32_e64 v19, 0, 1, s6
	s_wait_alu 0xfffe
	s_or_b32 s2, s2, s4
	s_wait_alu 0xfffe
	s_and_b32 s2, s2, s5
	s_wait_alu 0xfffe
	v_cndmask_b32_e64 v19, v19, v2, s2
	s_delay_alu instid0(VALU_DEP_1) | instskip(NEXT) | instid1(VALU_DEP_1)
	v_and_b32_e32 v19, 1, v19
	v_cmp_eq_u32_e64 s2, 1, v19
	v_lshl_add_u32 v19, v2, 3, v12
	s_and_saveexec_b32 s3, s2
	s_wait_alu 0xfffe
	s_xor_b32 s2, exec_lo, s3
	s_cbranch_execz .LBB70_23
; %bb.22:
	ds_load_b128 v[21:24], v19
	v_lshlrev_b16 v15, 8, v15
	v_alignbit_b32 v13, v13, v13, 16
	s_delay_alu instid0(VALU_DEP_2)
	v_or_b32_e32 v15, v20, v15
	s_wait_dscnt 0x0
	v_dual_mov_b32 v25, v21 :: v_dual_mov_b32 v26, v22
	ds_store_b32 v1, v13
	ds_store_b128 v19, v[23:26]
	ds_store_b16 v4, v15
.LBB70_23:
	s_wait_alu 0xfffe
	s_or_b32 exec_lo, exec_lo, s2
	v_sub_nc_u32_e32 v15, v18, v5
	s_wait_loadcnt_dscnt 0x0
	s_barrier_signal -1
	s_barrier_wait -1
	global_inv scope:SCOPE_SE
	v_lshl_add_u32 v5, v15, 1, v17
	v_add_nc_u32_e32 v13, v16, v15
	v_bfe_u32 v26, v2, 1, 1
	v_lshl_add_u32 v15, v15, 3, v14
	ds_load_u16 v21, v5 offset:4
	ds_load_u16 v20, v5
	ds_load_u8 v22, v13
	ds_load_u8 v24, v13 offset:2
	s_wait_dscnt 0x3
	v_lshlrev_b32_e32 v23, 16, v21
	s_wait_dscnt 0x2
	v_lshlrev_b32_e32 v25, 16, v20
	s_wait_dscnt 0x1
	v_and_b32_e32 v27, 1, v22
	s_wait_dscnt 0x0
	v_cmp_ne_u16_e64 s5, v24, v26
	v_cmp_u_f32_e64 s2, v23, v23
	v_cmp_o_f32_e64 s3, v25, v25
	v_cmp_lt_f32_e64 s4, v25, v23
	s_wait_alu 0xf1ff
	v_cndmask_b32_e64 v23, 0, 1, s5
	v_cmp_eq_u32_e64 s5, 1, v27
	s_and_b32 s2, s2, s3
	s_wait_alu 0xfffe
	s_or_b32 s2, s2, s4
	s_wait_alu 0xfffe
	s_and_b32 s2, s2, s5
	s_wait_alu 0xfffe
	v_cndmask_b32_e64 v25, v23, v26, s2
	v_and_b32_e32 v23, 2, v2
	s_delay_alu instid0(VALU_DEP_2) | instskip(NEXT) | instid1(VALU_DEP_2)
	v_and_b32_e32 v25, 1, v25
	v_cmp_ne_u32_e64 s2, 0, v23
	s_delay_alu instid0(VALU_DEP_2)
	v_cmp_eq_u32_e64 s3, 1, v25
	s_and_saveexec_b32 s4, s3
	s_wait_alu 0xfffe
	s_xor_b32 s3, exec_lo, s4
	s_cbranch_execz .LBB70_25
; %bb.24:
	ds_load_2addr_b64 v[25:28], v15 offset1:2
	s_wait_dscnt 0x0
	ds_store_2addr_b64 v15, v[27:28], v[25:26] offset1:2
	ds_store_b16 v5, v21
	ds_store_b16 v5, v20 offset:4
	ds_store_b8 v13, v24
	ds_store_b8 v13, v22 offset:2
.LBB70_25:
	s_wait_alu 0xfffe
	s_or_b32 exec_lo, exec_lo, s3
	s_wait_loadcnt_dscnt 0x0
	s_barrier_signal -1
	s_barrier_wait -1
	global_inv scope:SCOPE_SE
	ds_load_b32 v20, v1
	ds_load_u16 v21, v4
	v_lshrrev_b32_e32 v23, 1, v23
	v_cndmask_b32_e64 v26, 0, 1, s2
	s_wait_dscnt 0x1
	v_and_b32_e32 v24, 0xffff0000, v20
	v_lshlrev_b32_e32 v25, 16, v20
	s_wait_dscnt 0x0
	v_lshrrev_b16 v22, 8, v21
	v_and_b32_e32 v27, 1, v21
	v_cmp_u_f32_e64 s2, v24, v24
	v_cmp_o_f32_e64 s3, v25, v25
	s_delay_alu instid0(VALU_DEP_4)
	v_cmp_ne_u16_e64 s6, v22, v23
	v_cmp_lt_f32_e64 s4, v25, v24
	v_cmp_eq_u32_e64 s5, 1, v27
	s_and_b32 s2, s2, s3
	v_cndmask_b32_e64 v23, 0, 1, s6
	s_wait_alu 0xfffe
	s_or_b32 s2, s2, s4
	s_mov_b32 s3, exec_lo
	s_wait_alu 0xfffe
	s_and_b32 s2, s2, s5
	s_wait_alu 0xfffe
	v_cndmask_b32_e64 v23, v23, v26, s2
	s_delay_alu instid0(VALU_DEP_1) | instskip(NEXT) | instid1(VALU_DEP_1)
	v_and_b32_e32 v23, 1, v23
	v_cmpx_eq_u32_e32 1, v23
	s_cbranch_execz .LBB70_27
; %bb.26:
	ds_load_b128 v[23:26], v19
	v_lshlrev_b16 v21, 8, v21
	v_alignbit_b32 v20, v20, v20, 16
	s_delay_alu instid0(VALU_DEP_2)
	v_or_b32_e32 v21, v22, v21
	s_wait_dscnt 0x0
	v_dual_mov_b32 v27, v23 :: v_dual_mov_b32 v28, v24
	ds_store_b32 v1, v20
	ds_store_b128 v19, v[25:28]
	ds_store_b16 v4, v21
.LBB70_27:
	s_or_b32 exec_lo, exec_lo, s3
	v_and_b32_e32 v19, 3, v2
	s_wait_loadcnt_dscnt 0x0
	s_barrier_signal -1
	s_barrier_wait -1
	global_inv scope:SCOPE_SE
	v_sub_nc_u32_e32 v22, v18, v19
	v_bfe_u32 v28, v2, 2, 1
	s_delay_alu instid0(VALU_DEP_2)
	v_lshl_add_u32 v19, v22, 1, v17
	v_add_nc_u32_e32 v20, v16, v22
	v_lshl_add_u32 v22, v22, 3, v14
	ds_load_u16 v23, v19 offset:8
	ds_load_u16 v21, v19
	ds_load_u8 v24, v20
	ds_load_u8 v25, v20 offset:4
	s_wait_dscnt 0x3
	v_lshlrev_b32_e32 v26, 16, v23
	s_wait_dscnt 0x2
	v_lshlrev_b32_e32 v27, 16, v21
	s_wait_dscnt 0x1
	v_and_b32_e32 v29, 1, v24
	s_wait_dscnt 0x0
	v_cmp_ne_u16_e64 s5, v25, v28
	v_cmp_u_f32_e64 s2, v26, v26
	v_cmp_o_f32_e64 s3, v27, v27
	v_cmp_lt_f32_e64 s4, v27, v26
	s_wait_alu 0xf1ff
	v_cndmask_b32_e64 v26, 0, 1, s5
	v_cmp_eq_u32_e64 s5, 1, v29
	s_and_b32 s2, s2, s3
	s_wait_alu 0xfffe
	s_or_b32 s2, s2, s4
	s_mov_b32 s4, exec_lo
	s_wait_alu 0xfffe
	s_and_b32 s2, s2, s5
	s_wait_alu 0xfffe
	v_cndmask_b32_e64 v27, v26, v28, s2
	v_and_b32_e32 v26, 4, v2
	s_delay_alu instid0(VALU_DEP_2) | instskip(NEXT) | instid1(VALU_DEP_2)
	v_and_b32_e32 v27, 1, v27
	v_cmp_ne_u32_e64 s2, 0, v26
	s_delay_alu instid0(VALU_DEP_2)
	v_cmpx_eq_u32_e32 1, v27
	s_cbranch_execz .LBB70_29
; %bb.28:
	ds_load_2addr_b64 v[27:30], v22 offset1:4
	s_wait_dscnt 0x0
	ds_store_2addr_b64 v22, v[29:30], v[27:28] offset1:4
	ds_store_b16 v19, v23
	ds_store_b16 v19, v21 offset:8
	ds_store_b8 v20, v25
	ds_store_b8 v20, v24 offset:4
.LBB70_29:
	s_or_b32 exec_lo, exec_lo, s4
	s_wait_loadcnt_dscnt 0x0
	s_barrier_signal -1
	s_barrier_wait -1
	global_inv scope:SCOPE_SE
	ds_load_u16 v25, v5 offset:4
	ds_load_u16 v24, v5
	ds_load_u8 v27, v13
	ds_load_u8 v28, v13 offset:2
	v_lshrrev_b32_e32 v21, 2, v26
	v_cndmask_b32_e64 v23, 0, 1, s2
	s_wait_dscnt 0x3
	v_lshlrev_b32_e32 v29, 16, v25
	s_wait_dscnt 0x2
	v_lshlrev_b32_e32 v30, 16, v24
	s_wait_dscnt 0x1
	v_and_b32_e32 v26, 1, v27
	s_wait_dscnt 0x0
	v_cmp_ne_u16_e64 s5, v28, v21
	v_cmp_u_f32_e64 s2, v29, v29
	v_cmp_o_f32_e64 s3, v30, v30
	v_cmp_lt_f32_e64 s4, v30, v29
	s_wait_alu 0xf1ff
	v_cndmask_b32_e64 v29, 0, 1, s5
	v_cmp_eq_u32_e64 s5, 1, v26
	s_and_b32 s2, s2, s3
	s_mov_b32 s3, exec_lo
	s_wait_alu 0xfffe
	s_or_b32 s2, s2, s4
	s_wait_alu 0xfffe
	s_and_b32 s2, s2, s5
	s_wait_alu 0xfffe
	v_cndmask_b32_e64 v26, v29, v23, s2
	s_delay_alu instid0(VALU_DEP_1) | instskip(NEXT) | instid1(VALU_DEP_1)
	v_and_b32_e32 v26, 1, v26
	v_cmpx_eq_u32_e32 1, v26
	s_cbranch_execz .LBB70_31
; %bb.30:
	ds_load_2addr_b64 v[29:32], v15 offset1:2
	s_wait_dscnt 0x0
	ds_store_2addr_b64 v15, v[31:32], v[29:30] offset1:2
	ds_store_b16 v5, v25
	ds_store_b16 v5, v24 offset:4
	ds_store_b8 v13, v28
	ds_store_b8 v13, v27 offset:2
.LBB70_31:
	s_or_b32 exec_lo, exec_lo, s3
	s_wait_loadcnt_dscnt 0x0
	s_barrier_signal -1
	s_barrier_wait -1
	global_inv scope:SCOPE_SE
	ds_load_b32 v24, v1
	ds_load_u16 v26, v4
	s_wait_dscnt 0x1
	v_and_b32_e32 v27, 0xffff0000, v24
	v_lshlrev_b32_e32 v28, 16, v24
	s_wait_dscnt 0x0
	v_lshrrev_b16 v25, 8, v26
	v_and_b32_e32 v29, 1, v26
	v_cmp_u_f32_e64 s2, v27, v27
	v_cmp_o_f32_e64 s3, v28, v28
	s_delay_alu instid0(VALU_DEP_4)
	v_cmp_ne_u16_e64 s6, v25, v21
	v_cmp_lt_f32_e64 s4, v28, v27
	v_cmp_eq_u32_e64 s5, 1, v29
	s_and_b32 s2, s2, s3
	v_cndmask_b32_e64 v21, 0, 1, s6
	s_wait_alu 0xfffe
	s_or_b32 s2, s2, s4
	s_wait_alu 0xfffe
	s_and_b32 s2, s2, s5
	s_wait_alu 0xfffe
	v_cndmask_b32_e64 v21, v21, v23, s2
	s_delay_alu instid0(VALU_DEP_1) | instskip(NEXT) | instid1(VALU_DEP_1)
	v_and_b32_e32 v21, 1, v21
	v_cmp_eq_u32_e64 s2, 1, v21
	v_lshl_add_u32 v21, v18, 3, v14
	s_and_saveexec_b32 s3, s2
	s_cbranch_execz .LBB70_33
; %bb.32:
	ds_load_b128 v[27:30], v21
	v_alignbit_b32 v23, v24, v24, 16
	v_lshlrev_b16 v24, 8, v26
	s_delay_alu instid0(VALU_DEP_1)
	v_or_b32_e32 v24, v25, v24
	s_wait_dscnt 0x0
	v_dual_mov_b32 v31, v27 :: v_dual_mov_b32 v32, v28
	ds_store_b32 v1, v23
	ds_store_b128 v21, v[29:32]
	ds_store_b16 v4, v24
.LBB70_33:
	s_wait_alu 0xfffe
	s_or_b32 exec_lo, exec_lo, s3
	v_and_b32_e32 v23, 7, v2
	s_wait_loadcnt_dscnt 0x0
	s_barrier_signal -1
	s_barrier_wait -1
	global_inv scope:SCOPE_SE
	v_sub_nc_u32_e32 v25, v18, v23
	v_bfe_u32 v32, v2, 3, 1
	s_delay_alu instid0(VALU_DEP_2)
	v_lshl_add_u32 v23, v25, 1, v17
	v_add_nc_u32_e32 v24, v16, v25
	v_lshl_add_u32 v25, v25, 3, v14
	ds_load_u16 v27, v23 offset:16
	ds_load_u16 v26, v23
	ds_load_u8 v28, v24
	ds_load_u8 v29, v24 offset:8
	s_wait_dscnt 0x3
	v_lshlrev_b32_e32 v30, 16, v27
	s_wait_dscnt 0x2
	v_lshlrev_b32_e32 v31, 16, v26
	s_wait_dscnt 0x1
	v_and_b32_e32 v33, 1, v28
	s_wait_dscnt 0x0
	v_cmp_ne_u16_e64 s5, v29, v32
	v_cmp_u_f32_e64 s2, v30, v30
	v_cmp_o_f32_e64 s3, v31, v31
	v_cmp_lt_f32_e64 s4, v31, v30
	s_wait_alu 0xf1ff
	v_cndmask_b32_e64 v30, 0, 1, s5
	v_cmp_eq_u32_e64 s5, 1, v33
	s_and_b32 s2, s2, s3
	s_wait_alu 0xfffe
	s_or_b32 s2, s2, s4
	s_mov_b32 s4, exec_lo
	s_wait_alu 0xfffe
	s_and_b32 s2, s2, s5
	s_wait_alu 0xfffe
	v_cndmask_b32_e64 v31, v30, v32, s2
	v_and_b32_e32 v30, 8, v2
	s_delay_alu instid0(VALU_DEP_2) | instskip(NEXT) | instid1(VALU_DEP_2)
	v_and_b32_e32 v31, 1, v31
	v_cmp_ne_u32_e64 s2, 0, v30
	s_delay_alu instid0(VALU_DEP_2)
	v_cmpx_eq_u32_e32 1, v31
	s_cbranch_execz .LBB70_35
; %bb.34:
	ds_load_2addr_b64 v[31:34], v25 offset1:8
	s_wait_dscnt 0x0
	ds_store_2addr_b64 v25, v[33:34], v[31:32] offset1:8
	ds_store_b16 v23, v27
	ds_store_b16 v23, v26 offset:16
	ds_store_b8 v24, v29
	ds_store_b8 v24, v28 offset:8
.LBB70_35:
	s_or_b32 exec_lo, exec_lo, s4
	s_wait_loadcnt_dscnt 0x0
	s_barrier_signal -1
	s_barrier_wait -1
	global_inv scope:SCOPE_SE
	ds_load_u16 v29, v19 offset:8
	ds_load_u16 v28, v19
	ds_load_u8 v31, v20
	ds_load_u8 v32, v20 offset:4
	v_lshrrev_b32_e32 v26, 3, v30
	v_cndmask_b32_e64 v27, 0, 1, s2
	s_wait_dscnt 0x3
	v_lshlrev_b32_e32 v33, 16, v29
	s_wait_dscnt 0x2
	v_lshlrev_b32_e32 v34, 16, v28
	s_wait_dscnt 0x1
	v_and_b32_e32 v30, 1, v31
	s_wait_dscnt 0x0
	v_cmp_ne_u16_e64 s5, v32, v26
	v_cmp_u_f32_e64 s2, v33, v33
	v_cmp_o_f32_e64 s3, v34, v34
	v_cmp_lt_f32_e64 s4, v34, v33
	s_wait_alu 0xf1ff
	v_cndmask_b32_e64 v33, 0, 1, s5
	v_cmp_eq_u32_e64 s5, 1, v30
	s_and_b32 s2, s2, s3
	s_mov_b32 s3, exec_lo
	s_wait_alu 0xfffe
	s_or_b32 s2, s2, s4
	s_wait_alu 0xfffe
	s_and_b32 s2, s2, s5
	s_wait_alu 0xfffe
	v_cndmask_b32_e64 v30, v33, v27, s2
	s_delay_alu instid0(VALU_DEP_1) | instskip(NEXT) | instid1(VALU_DEP_1)
	v_and_b32_e32 v30, 1, v30
	v_cmpx_eq_u32_e32 1, v30
	s_cbranch_execz .LBB70_37
; %bb.36:
	ds_load_2addr_b64 v[33:36], v22 offset1:4
	s_wait_dscnt 0x0
	ds_store_2addr_b64 v22, v[35:36], v[33:34] offset1:4
	ds_store_b16 v19, v29
	ds_store_b16 v19, v28 offset:8
	ds_store_b8 v20, v32
	ds_store_b8 v20, v31 offset:4
.LBB70_37:
	s_or_b32 exec_lo, exec_lo, s3
	s_wait_loadcnt_dscnt 0x0
	s_barrier_signal -1
	s_barrier_wait -1
	global_inv scope:SCOPE_SE
	ds_load_u16 v29, v5 offset:4
	ds_load_u16 v28, v5
	ds_load_u8 v30, v13
	ds_load_u8 v31, v13 offset:2
	s_wait_dscnt 0x3
	v_lshlrev_b32_e32 v32, 16, v29
	s_wait_dscnt 0x2
	v_lshlrev_b32_e32 v33, 16, v28
	s_wait_dscnt 0x1
	v_and_b32_e32 v34, 1, v30
	s_wait_dscnt 0x0
	v_cmp_ne_u16_e64 s5, v31, v26
	v_cmp_u_f32_e64 s2, v32, v32
	v_cmp_o_f32_e64 s3, v33, v33
	v_cmp_lt_f32_e64 s4, v33, v32
	s_wait_alu 0xf1ff
	v_cndmask_b32_e64 v32, 0, 1, s5
	v_cmp_eq_u32_e64 s5, 1, v34
	s_and_b32 s2, s2, s3
	s_mov_b32 s3, exec_lo
	s_wait_alu 0xfffe
	s_or_b32 s2, s2, s4
	s_wait_alu 0xfffe
	s_and_b32 s2, s2, s5
	s_wait_alu 0xfffe
	v_cndmask_b32_e64 v32, v32, v27, s2
	s_delay_alu instid0(VALU_DEP_1) | instskip(NEXT) | instid1(VALU_DEP_1)
	v_and_b32_e32 v32, 1, v32
	v_cmpx_eq_u32_e32 1, v32
	s_cbranch_execz .LBB70_39
; %bb.38:
	ds_load_2addr_b64 v[32:35], v15 offset1:2
	s_wait_dscnt 0x0
	ds_store_2addr_b64 v15, v[34:35], v[32:33] offset1:2
	ds_store_b16 v5, v29
	ds_store_b16 v5, v28 offset:4
	ds_store_b8 v13, v31
	ds_store_b8 v13, v30 offset:2
.LBB70_39:
	s_or_b32 exec_lo, exec_lo, s3
	s_wait_loadcnt_dscnt 0x0
	s_barrier_signal -1
	s_barrier_wait -1
	global_inv scope:SCOPE_SE
	ds_load_b32 v28, v1
	ds_load_u16 v30, v4
	s_wait_dscnt 0x1
	v_and_b32_e32 v31, 0xffff0000, v28
	v_lshlrev_b32_e32 v32, 16, v28
	s_wait_dscnt 0x0
	v_lshrrev_b16 v29, 8, v30
	v_and_b32_e32 v33, 1, v30
	v_cmp_u_f32_e64 s2, v31, v31
	v_cmp_o_f32_e64 s3, v32, v32
	s_delay_alu instid0(VALU_DEP_4)
	v_cmp_ne_u16_e64 s6, v29, v26
	v_cmp_lt_f32_e64 s4, v32, v31
	v_cmp_eq_u32_e64 s5, 1, v33
	s_and_b32 s2, s2, s3
	v_cndmask_b32_e64 v26, 0, 1, s6
	s_wait_alu 0xfffe
	s_or_b32 s2, s2, s4
	s_mov_b32 s3, exec_lo
	s_wait_alu 0xfffe
	s_and_b32 s2, s2, s5
	s_wait_alu 0xfffe
	v_cndmask_b32_e64 v26, v26, v27, s2
	s_delay_alu instid0(VALU_DEP_1) | instskip(NEXT) | instid1(VALU_DEP_1)
	v_and_b32_e32 v26, 1, v26
	v_cmpx_eq_u32_e32 1, v26
	s_cbranch_execz .LBB70_41
; %bb.40:
	ds_load_b128 v[31:34], v21
	v_lshlrev_b16 v27, 8, v30
	v_alignbit_b32 v26, v28, v28, 16
	s_delay_alu instid0(VALU_DEP_2)
	v_or_b32_e32 v27, v29, v27
	s_wait_dscnt 0x0
	v_dual_mov_b32 v35, v31 :: v_dual_mov_b32 v36, v32
	ds_store_b32 v1, v26
	ds_store_b128 v21, v[33:36]
	ds_store_b16 v4, v27
.LBB70_41:
	s_or_b32 exec_lo, exec_lo, s3
	v_and_b32_e32 v26, 15, v2
	s_wait_loadcnt_dscnt 0x0
	s_barrier_signal -1
	s_barrier_wait -1
	global_inv scope:SCOPE_SE
	v_sub_nc_u32_e32 v18, v18, v26
	s_delay_alu instid0(VALU_DEP_1)
	v_lshl_add_u32 v17, v18, 1, v17
	v_add_nc_u32_e32 v16, v16, v18
	ds_load_u16 v27, v17 offset:32
	ds_load_u16 v26, v17
	ds_load_u8 v28, v16
	ds_load_u8 v29, v16 offset:16
	s_wait_dscnt 0x3
	v_lshlrev_b32_e32 v30, 16, v27
	s_wait_dscnt 0x2
	v_lshlrev_b32_e32 v31, 16, v26
	s_wait_dscnt 0x1
	v_and_b32_e32 v32, 1, v28
	s_wait_dscnt 0x0
	v_and_b32_e32 v29, 0xff, v29
	v_cmp_u_f32_e64 s2, v30, v30
	v_cmp_o_f32_e64 s3, v31, v31
	v_cmp_lt_f32_e64 s4, v31, v30
	v_cmp_eq_u32_e64 s5, 1, v32
	s_and_b32 s2, s2, s3
	s_wait_alu 0xfffe
	s_or_b32 s3, s2, s4
	v_cmp_ne_u16_e64 s2, 0, v29
	s_wait_alu 0xfffe
	s_and_b32 s3, s3, s5
	s_wait_alu 0xfffe
	s_xor_b32 s3, s3, -1
	s_wait_alu 0xfffe
	s_and_b32 s3, s3, s2
	s_wait_alu 0xfffe
	s_and_saveexec_b32 s2, s3
	s_cbranch_execz .LBB70_43
; %bb.42:
	v_lshl_add_u32 v14, v18, 3, v14
	v_mov_b32_e32 v18, 1
	ds_load_2addr_b64 v[29:32], v14 offset1:16
	s_wait_dscnt 0x0
	ds_store_2addr_b64 v14, v[31:32], v[29:30] offset1:16
	ds_store_b16 v17, v27
	ds_store_b16 v17, v26 offset:32
	ds_store_b8 v16, v18
	ds_store_b8 v16, v28 offset:16
.LBB70_43:
	s_wait_alu 0xfffe
	s_or_b32 exec_lo, exec_lo, s2
	s_wait_loadcnt_dscnt 0x0
	s_barrier_signal -1
	s_barrier_wait -1
	global_inv scope:SCOPE_SE
	ds_load_u16 v16, v23 offset:16
	ds_load_u16 v14, v23
	ds_load_u8 v17, v24
	ds_load_u8 v18, v24 offset:8
	s_wait_dscnt 0x3
	v_lshlrev_b32_e32 v26, 16, v16
	s_wait_dscnt 0x2
	v_lshlrev_b32_e32 v27, 16, v14
	s_wait_dscnt 0x1
	v_and_b32_e32 v28, 1, v17
	s_wait_dscnt 0x0
	v_and_b32_e32 v18, 0xff, v18
	v_cmp_u_f32_e64 s2, v26, v26
	v_cmp_o_f32_e64 s3, v27, v27
	v_cmp_lt_f32_e64 s4, v27, v26
	v_cmp_eq_u32_e64 s5, 1, v28
	s_and_b32 s2, s2, s3
	s_wait_alu 0xfffe
	s_or_b32 s3, s2, s4
	v_cmp_ne_u16_e64 s2, 0, v18
	s_wait_alu 0xfffe
	s_and_b32 s3, s3, s5
	s_wait_alu 0xfffe
	s_xor_b32 s3, s3, -1
	s_wait_alu 0xfffe
	s_and_b32 s3, s3, s2
	s_wait_alu 0xfffe
	s_and_saveexec_b32 s2, s3
	s_cbranch_execz .LBB70_45
; %bb.44:
	ds_load_2addr_b64 v[26:29], v25 offset1:8
	v_mov_b32_e32 v18, 1
	s_wait_dscnt 0x0
	ds_store_2addr_b64 v25, v[28:29], v[26:27] offset1:8
	ds_store_b16 v23, v16
	ds_store_b16 v23, v14 offset:16
	ds_store_b8 v24, v18
	ds_store_b8 v24, v17 offset:8
.LBB70_45:
	s_wait_alu 0xfffe
	s_or_b32 exec_lo, exec_lo, s2
	s_wait_loadcnt_dscnt 0x0
	s_barrier_signal -1
	s_barrier_wait -1
	global_inv scope:SCOPE_SE
	ds_load_u16 v16, v19 offset:8
	ds_load_u16 v14, v19
	ds_load_u8 v17, v20
	ds_load_u8 v18, v20 offset:4
	s_wait_dscnt 0x3
	v_lshlrev_b32_e32 v23, 16, v16
	s_wait_dscnt 0x2
	v_lshlrev_b32_e32 v24, 16, v14
	s_wait_dscnt 0x1
	v_and_b32_e32 v25, 1, v17
	s_wait_dscnt 0x0
	v_and_b32_e32 v18, 0xff, v18
	v_cmp_u_f32_e64 s2, v23, v23
	v_cmp_o_f32_e64 s3, v24, v24
	v_cmp_lt_f32_e64 s4, v24, v23
	v_cmp_eq_u32_e64 s5, 1, v25
	s_and_b32 s2, s2, s3
	s_wait_alu 0xfffe
	s_or_b32 s3, s2, s4
	v_cmp_ne_u16_e64 s2, 0, v18
	s_wait_alu 0xfffe
	s_and_b32 s3, s3, s5
	s_wait_alu 0xfffe
	s_xor_b32 s3, s3, -1
	s_wait_alu 0xfffe
	s_and_b32 s3, s3, s2
	s_wait_alu 0xfffe
	s_and_saveexec_b32 s2, s3
	s_cbranch_execz .LBB70_47
; %bb.46:
	ds_load_2addr_b64 v[23:26], v22 offset1:4
	v_mov_b32_e32 v18, 1
	s_wait_dscnt 0x0
	ds_store_2addr_b64 v22, v[25:26], v[23:24] offset1:4
	ds_store_b16 v19, v16
	ds_store_b16 v19, v14 offset:8
	ds_store_b8 v20, v18
	ds_store_b8 v20, v17 offset:4
.LBB70_47:
	;; [unrolled: 45-line block ×3, first 2 shown]
	s_wait_alu 0xfffe
	s_or_b32 exec_lo, exec_lo, s2
	s_wait_loadcnt_dscnt 0x0
	s_barrier_signal -1
	s_barrier_wait -1
	global_inv scope:SCOPE_SE
	ds_load_b32 v5, v1
	ds_load_u16 v13, v4
	s_wait_dscnt 0x1
	v_and_b32_e32 v14, 0xffff0000, v5
	v_lshlrev_b32_e32 v15, 16, v5
	s_wait_dscnt 0x0
	v_and_b32_e32 v16, 1, v13
	s_delay_alu instid0(VALU_DEP_3) | instskip(NEXT) | instid1(VALU_DEP_3)
	v_cmp_u_f32_e64 s2, v14, v14
	v_cmp_o_f32_e64 s3, v15, v15
	v_cmp_lt_f32_e64 s4, v15, v14
	v_lshrrev_b16 v14, 8, v13
	v_cmp_eq_u32_e64 s5, 1, v16
	s_and_b32 s2, s2, s3
	s_wait_alu 0xfffe
	s_or_b32 s3, s2, s4
	v_cmp_ne_u16_e64 s2, 0, v14
	s_wait_alu 0xfffe
	s_and_b32 s3, s3, s5
	s_wait_alu 0xfffe
	s_xor_b32 s3, s3, -1
	s_wait_alu 0xfffe
	s_and_b32 s3, s3, s2
	s_wait_alu 0xfffe
	s_and_saveexec_b32 s2, s3
	s_cbranch_execz .LBB70_51
; %bb.50:
	ds_load_b128 v[14:17], v21
	v_lshlrev_b16 v13, 8, v13
	v_alignbit_b32 v5, v5, v5, 16
	s_delay_alu instid0(VALU_DEP_2)
	v_or_b32_e32 v13, 1, v13
	s_wait_dscnt 0x0
	v_dual_mov_b32 v18, v14 :: v_dual_mov_b32 v19, v15
	ds_store_b32 v1, v5
	ds_store_b128 v21, v[16:19]
	ds_store_b16 v4, v13
.LBB70_51:
	s_wait_alu 0xfffe
	s_or_b32 exec_lo, exec_lo, s2
	s_wait_loadcnt_dscnt 0x0
	s_barrier_signal -1
	s_barrier_wait -1
	global_inv scope:SCOPE_SE
	s_and_saveexec_b32 s2, vcc_lo
	s_cbranch_execz .LBB70_56
; %bb.52:
	s_and_saveexec_b32 s2, s0
	s_cbranch_execz .LBB70_54
; %bb.53:
	v_mad_co_u64_u32 v[4:5], null, s8, v2, 0
	v_mad_co_u64_u32 v[13:14], null, s10, v2, 0
	s_delay_alu instid0(VALU_DEP_2) | instskip(NEXT) | instid1(VALU_DEP_2)
	v_mov_b32_e32 v1, v5
	v_mov_b32_e32 v5, v14
	s_delay_alu instid0(VALU_DEP_2) | instskip(NEXT) | instid1(VALU_DEP_2)
	v_mad_co_u64_u32 v[14:15], null, s9, v2, v[1:2]
	v_mad_co_u64_u32 v[1:2], null, s11, v2, v[5:6]
	ds_load_u16 v15, v11
	ds_load_b64 v[11:12], v12
	v_dual_mov_b32 v5, v14 :: v_dual_mov_b32 v14, v1
	s_delay_alu instid0(VALU_DEP_1) | instskip(NEXT) | instid1(VALU_DEP_2)
	v_lshlrev_b64_e32 v[1:2], 1, v[4:5]
	v_lshlrev_b64_e32 v[4:5], 3, v[13:14]
	s_delay_alu instid0(VALU_DEP_2) | instskip(SKIP_1) | instid1(VALU_DEP_3)
	v_add_co_u32 v1, vcc_lo, v3, v1
	s_wait_alu 0xfffd
	v_add_co_ci_u32_e64 v2, null, v8, v2, vcc_lo
	s_delay_alu instid0(VALU_DEP_3)
	v_add_co_u32 v4, vcc_lo, v9, v4
	s_wait_alu 0xfffd
	v_add_co_ci_u32_e64 v5, null, v10, v5, vcc_lo
	s_wait_dscnt 0x1
	global_store_b16 v[1:2], v15, off
	s_wait_dscnt 0x0
	global_store_b64 v[4:5], v[11:12], off
.LBB70_54:
	s_wait_alu 0xfffe
	s_or_b32 exec_lo, exec_lo, s2
	s_delay_alu instid0(SALU_CYCLE_1)
	s_and_b32 exec_lo, exec_lo, s1
	s_cbranch_execz .LBB70_56
; %bb.55:
	v_mad_co_u64_u32 v[1:2], null, s8, v0, 0
	v_mad_co_u64_u32 v[4:5], null, s10, v0, 0
	s_delay_alu instid0(VALU_DEP_2) | instskip(NEXT) | instid1(VALU_DEP_2)
	v_mad_co_u64_u32 v[11:12], null, s9, v0, v[2:3]
	v_mad_co_u64_u32 v[12:13], null, s11, v0, v[5:6]
	s_delay_alu instid0(VALU_DEP_2) | instskip(SKIP_4) | instid1(VALU_DEP_2)
	v_mov_b32_e32 v2, v11
	ds_load_u16 v11, v6
	ds_load_b64 v[6:7], v7
	v_mov_b32_e32 v5, v12
	v_lshlrev_b64_e32 v[0:1], 1, v[1:2]
	v_lshlrev_b64_e32 v[4:5], 3, v[4:5]
	s_delay_alu instid0(VALU_DEP_2) | instskip(SKIP_1) | instid1(VALU_DEP_3)
	v_add_co_u32 v0, vcc_lo, v3, v0
	s_wait_alu 0xfffd
	v_add_co_ci_u32_e64 v1, null, v8, v1, vcc_lo
	s_delay_alu instid0(VALU_DEP_3)
	v_add_co_u32 v2, vcc_lo, v9, v4
	s_wait_alu 0xfffd
	v_add_co_ci_u32_e64 v3, null, v10, v5, vcc_lo
	s_wait_dscnt 0x1
	global_store_b16 v[0:1], v11, off
	s_wait_dscnt 0x0
	global_store_b64 v[2:3], v[6:7], off
.LBB70_56:
	s_endpgm
	.section	.rodata,"a",@progbits
	.p2align	6, 0x0
	.amdhsa_kernel _ZN2at6native20bitonicSortKVInPlaceILin1ELin1ELi16ELi16EN3c108BFloat16ElNS0_4LTOpIS3_Lb1EEEmEEvNS_4cuda6detail10TensorInfoIT3_T6_EESA_SA_SA_NS8_IT4_SA_EESA_T5_
		.amdhsa_group_segment_fixed_size 5632
		.amdhsa_private_segment_fixed_size 0
		.amdhsa_kernarg_size 1128
		.amdhsa_user_sgpr_count 2
		.amdhsa_user_sgpr_dispatch_ptr 0
		.amdhsa_user_sgpr_queue_ptr 0
		.amdhsa_user_sgpr_kernarg_segment_ptr 1
		.amdhsa_user_sgpr_dispatch_id 0
		.amdhsa_user_sgpr_private_segment_size 0
		.amdhsa_wavefront_size32 1
		.amdhsa_uses_dynamic_stack 0
		.amdhsa_enable_private_segment 0
		.amdhsa_system_sgpr_workgroup_id_x 1
		.amdhsa_system_sgpr_workgroup_id_y 1
		.amdhsa_system_sgpr_workgroup_id_z 1
		.amdhsa_system_sgpr_workgroup_info 0
		.amdhsa_system_vgpr_workitem_id 1
		.amdhsa_next_free_vgpr 37
		.amdhsa_next_free_sgpr 31
		.amdhsa_reserve_vcc 1
		.amdhsa_float_round_mode_32 0
		.amdhsa_float_round_mode_16_64 0
		.amdhsa_float_denorm_mode_32 3
		.amdhsa_float_denorm_mode_16_64 3
		.amdhsa_fp16_overflow 0
		.amdhsa_workgroup_processor_mode 1
		.amdhsa_memory_ordered 1
		.amdhsa_forward_progress 1
		.amdhsa_inst_pref_size 59
		.amdhsa_round_robin_scheduling 0
		.amdhsa_exception_fp_ieee_invalid_op 0
		.amdhsa_exception_fp_denorm_src 0
		.amdhsa_exception_fp_ieee_div_zero 0
		.amdhsa_exception_fp_ieee_overflow 0
		.amdhsa_exception_fp_ieee_underflow 0
		.amdhsa_exception_fp_ieee_inexact 0
		.amdhsa_exception_int_div_zero 0
	.end_amdhsa_kernel
	.section	.text._ZN2at6native20bitonicSortKVInPlaceILin1ELin1ELi16ELi16EN3c108BFloat16ElNS0_4LTOpIS3_Lb1EEEmEEvNS_4cuda6detail10TensorInfoIT3_T6_EESA_SA_SA_NS8_IT4_SA_EESA_T5_,"axG",@progbits,_ZN2at6native20bitonicSortKVInPlaceILin1ELin1ELi16ELi16EN3c108BFloat16ElNS0_4LTOpIS3_Lb1EEEmEEvNS_4cuda6detail10TensorInfoIT3_T6_EESA_SA_SA_NS8_IT4_SA_EESA_T5_,comdat
.Lfunc_end70:
	.size	_ZN2at6native20bitonicSortKVInPlaceILin1ELin1ELi16ELi16EN3c108BFloat16ElNS0_4LTOpIS3_Lb1EEEmEEvNS_4cuda6detail10TensorInfoIT3_T6_EESA_SA_SA_NS8_IT4_SA_EESA_T5_, .Lfunc_end70-_ZN2at6native20bitonicSortKVInPlaceILin1ELin1ELi16ELi16EN3c108BFloat16ElNS0_4LTOpIS3_Lb1EEEmEEvNS_4cuda6detail10TensorInfoIT3_T6_EESA_SA_SA_NS8_IT4_SA_EESA_T5_
                                        ; -- End function
	.set _ZN2at6native20bitonicSortKVInPlaceILin1ELin1ELi16ELi16EN3c108BFloat16ElNS0_4LTOpIS3_Lb1EEEmEEvNS_4cuda6detail10TensorInfoIT3_T6_EESA_SA_SA_NS8_IT4_SA_EESA_T5_.num_vgpr, 37
	.set _ZN2at6native20bitonicSortKVInPlaceILin1ELin1ELi16ELi16EN3c108BFloat16ElNS0_4LTOpIS3_Lb1EEEmEEvNS_4cuda6detail10TensorInfoIT3_T6_EESA_SA_SA_NS8_IT4_SA_EESA_T5_.num_agpr, 0
	.set _ZN2at6native20bitonicSortKVInPlaceILin1ELin1ELi16ELi16EN3c108BFloat16ElNS0_4LTOpIS3_Lb1EEEmEEvNS_4cuda6detail10TensorInfoIT3_T6_EESA_SA_SA_NS8_IT4_SA_EESA_T5_.numbered_sgpr, 31
	.set _ZN2at6native20bitonicSortKVInPlaceILin1ELin1ELi16ELi16EN3c108BFloat16ElNS0_4LTOpIS3_Lb1EEEmEEvNS_4cuda6detail10TensorInfoIT3_T6_EESA_SA_SA_NS8_IT4_SA_EESA_T5_.num_named_barrier, 0
	.set _ZN2at6native20bitonicSortKVInPlaceILin1ELin1ELi16ELi16EN3c108BFloat16ElNS0_4LTOpIS3_Lb1EEEmEEvNS_4cuda6detail10TensorInfoIT3_T6_EESA_SA_SA_NS8_IT4_SA_EESA_T5_.private_seg_size, 0
	.set _ZN2at6native20bitonicSortKVInPlaceILin1ELin1ELi16ELi16EN3c108BFloat16ElNS0_4LTOpIS3_Lb1EEEmEEvNS_4cuda6detail10TensorInfoIT3_T6_EESA_SA_SA_NS8_IT4_SA_EESA_T5_.uses_vcc, 1
	.set _ZN2at6native20bitonicSortKVInPlaceILin1ELin1ELi16ELi16EN3c108BFloat16ElNS0_4LTOpIS3_Lb1EEEmEEvNS_4cuda6detail10TensorInfoIT3_T6_EESA_SA_SA_NS8_IT4_SA_EESA_T5_.uses_flat_scratch, 0
	.set _ZN2at6native20bitonicSortKVInPlaceILin1ELin1ELi16ELi16EN3c108BFloat16ElNS0_4LTOpIS3_Lb1EEEmEEvNS_4cuda6detail10TensorInfoIT3_T6_EESA_SA_SA_NS8_IT4_SA_EESA_T5_.has_dyn_sized_stack, 0
	.set _ZN2at6native20bitonicSortKVInPlaceILin1ELin1ELi16ELi16EN3c108BFloat16ElNS0_4LTOpIS3_Lb1EEEmEEvNS_4cuda6detail10TensorInfoIT3_T6_EESA_SA_SA_NS8_IT4_SA_EESA_T5_.has_recursion, 0
	.set _ZN2at6native20bitonicSortKVInPlaceILin1ELin1ELi16ELi16EN3c108BFloat16ElNS0_4LTOpIS3_Lb1EEEmEEvNS_4cuda6detail10TensorInfoIT3_T6_EESA_SA_SA_NS8_IT4_SA_EESA_T5_.has_indirect_call, 0
	.section	.AMDGPU.csdata,"",@progbits
; Kernel info:
; codeLenInByte = 7532
; TotalNumSgprs: 33
; NumVgprs: 37
; ScratchSize: 0
; MemoryBound: 0
; FloatMode: 240
; IeeeMode: 1
; LDSByteSize: 5632 bytes/workgroup (compile time only)
; SGPRBlocks: 0
; VGPRBlocks: 4
; NumSGPRsForWavesPerEU: 33
; NumVGPRsForWavesPerEU: 37
; Occupancy: 16
; WaveLimiterHint : 1
; COMPUTE_PGM_RSRC2:SCRATCH_EN: 0
; COMPUTE_PGM_RSRC2:USER_SGPR: 2
; COMPUTE_PGM_RSRC2:TRAP_HANDLER: 0
; COMPUTE_PGM_RSRC2:TGID_X_EN: 1
; COMPUTE_PGM_RSRC2:TGID_Y_EN: 1
; COMPUTE_PGM_RSRC2:TGID_Z_EN: 1
; COMPUTE_PGM_RSRC2:TIDIG_COMP_CNT: 1
	.section	.text._ZN2at6native20bitonicSortKVInPlaceILin1ELin1ELi16ELi16EN3c108BFloat16ElNS0_4GTOpIS3_Lb1EEEmEEvNS_4cuda6detail10TensorInfoIT3_T6_EESA_SA_SA_NS8_IT4_SA_EESA_T5_,"axG",@progbits,_ZN2at6native20bitonicSortKVInPlaceILin1ELin1ELi16ELi16EN3c108BFloat16ElNS0_4GTOpIS3_Lb1EEEmEEvNS_4cuda6detail10TensorInfoIT3_T6_EESA_SA_SA_NS8_IT4_SA_EESA_T5_,comdat
	.protected	_ZN2at6native20bitonicSortKVInPlaceILin1ELin1ELi16ELi16EN3c108BFloat16ElNS0_4GTOpIS3_Lb1EEEmEEvNS_4cuda6detail10TensorInfoIT3_T6_EESA_SA_SA_NS8_IT4_SA_EESA_T5_ ; -- Begin function _ZN2at6native20bitonicSortKVInPlaceILin1ELin1ELi16ELi16EN3c108BFloat16ElNS0_4GTOpIS3_Lb1EEEmEEvNS_4cuda6detail10TensorInfoIT3_T6_EESA_SA_SA_NS8_IT4_SA_EESA_T5_
	.globl	_ZN2at6native20bitonicSortKVInPlaceILin1ELin1ELi16ELi16EN3c108BFloat16ElNS0_4GTOpIS3_Lb1EEEmEEvNS_4cuda6detail10TensorInfoIT3_T6_EESA_SA_SA_NS8_IT4_SA_EESA_T5_
	.p2align	8
	.type	_ZN2at6native20bitonicSortKVInPlaceILin1ELin1ELi16ELi16EN3c108BFloat16ElNS0_4GTOpIS3_Lb1EEEmEEvNS_4cuda6detail10TensorInfoIT3_T6_EESA_SA_SA_NS8_IT4_SA_EESA_T5_,@function
_ZN2at6native20bitonicSortKVInPlaceILin1ELin1ELi16ELi16EN3c108BFloat16ElNS0_4GTOpIS3_Lb1EEEmEEvNS_4cuda6detail10TensorInfoIT3_T6_EESA_SA_SA_NS8_IT4_SA_EESA_T5_: ; @_ZN2at6native20bitonicSortKVInPlaceILin1ELin1ELi16ELi16EN3c108BFloat16ElNS0_4GTOpIS3_Lb1EEEmEEvNS_4cuda6detail10TensorInfoIT3_T6_EESA_SA_SA_NS8_IT4_SA_EESA_T5_
; %bb.0:
	v_mov_b32_e32 v1, 0
	s_lshr_b32 s8, ttmp7, 16
	s_and_b32 s9, ttmp7, 0xffff
	global_load_u16 v1, v1, s[0:1] offset:886
	s_clause 0x1
	s_load_b64 s[2:3], s[0:1], 0x368
	s_load_b128 s[4:7], s[0:1], 0x1a0
	s_wait_kmcnt 0x0
	s_mul_i32 s3, s3, s8
	s_delay_alu instid0(SALU_CYCLE_1) | instskip(NEXT) | instid1(SALU_CYCLE_1)
	s_add_co_i32 s3, s3, s9
	s_mul_i32 s2, s3, s2
	s_delay_alu instid0(SALU_CYCLE_1) | instskip(SKIP_2) | instid1(VALU_DEP_1)
	s_add_co_i32 s2, s2, ttmp9
	s_wait_loadcnt 0x0
	v_and_b32_e32 v1, 0xffff, v1
	v_mul_hi_u32 v2, v1, s2
	v_mul_lo_u32 v1, v1, s2
	s_delay_alu instid0(VALU_DEP_1)
	v_cmp_le_u64_e32 vcc_lo, s[4:5], v[1:2]
	s_cbranch_vccnz .LBB71_56
; %bb.1:
	s_clause 0x1
	s_load_b32 s10, s[0:1], 0x198
	s_load_b64 s[8:9], s[0:1], 0x1b0
	v_bfe_u32 v16, v0, 10, 10
	s_delay_alu instid0(VALU_DEP_1) | instskip(NEXT) | instid1(VALU_DEP_1)
	v_add_co_u32 v4, vcc_lo, v1, v16
	v_add_co_ci_u32_e64 v5, null, 0, v2, vcc_lo
	v_mov_b32_e32 v2, 0
	v_mov_b32_e32 v3, 0
	s_delay_alu instid0(VALU_DEP_3)
	v_dual_mov_b32 v7, v5 :: v_dual_mov_b32 v6, v4
	s_wait_kmcnt 0x0
	s_cmp_lt_i32 s10, 2
	s_cbranch_scc1 .LBB71_9
; %bb.2:
	s_add_co_i32 s2, s10, -1
	s_mov_b32 s3, 0
	v_dual_mov_b32 v2, 0 :: v_dual_mov_b32 v11, v5
	s_wait_alu 0xfffe
	s_lshl_b64 s[12:13], s[2:3], 3
	v_dual_mov_b32 v3, 0 :: v_dual_mov_b32 v8, 0
	v_mov_b32_e32 v10, v4
	s_add_nc_u64 s[12:13], s[0:1], s[12:13]
	s_add_co_i32 s14, s10, 1
	s_add_nc_u64 s[10:11], s[12:13], 8
.LBB71_3:                               ; =>This Inner Loop Header: Depth=1
	s_load_b64 s[12:13], s[10:11], 0x0
                                        ; implicit-def: $vgpr6_vgpr7
	s_mov_b32 s2, exec_lo
	s_wait_kmcnt 0x0
	v_or_b32_e32 v9, s13, v11
	s_delay_alu instid0(VALU_DEP_1)
	v_cmpx_ne_u64_e32 0, v[8:9]
	s_wait_alu 0xfffe
	s_xor_b32 s15, exec_lo, s2
	s_cbranch_execz .LBB71_5
; %bb.4:                                ;   in Loop: Header=BB71_3 Depth=1
	s_cvt_f32_u32 s2, s12
	s_cvt_f32_u32 s16, s13
	s_sub_nc_u64 s[18:19], 0, s[12:13]
	s_wait_alu 0xfffe
	s_delay_alu instid0(SALU_CYCLE_1) | instskip(SKIP_1) | instid1(SALU_CYCLE_2)
	s_fmamk_f32 s2, s16, 0x4f800000, s2
	s_wait_alu 0xfffe
	v_s_rcp_f32 s2, s2
	s_delay_alu instid0(TRANS32_DEP_1) | instskip(SKIP_1) | instid1(SALU_CYCLE_2)
	s_mul_f32 s2, s2, 0x5f7ffffc
	s_wait_alu 0xfffe
	s_mul_f32 s16, s2, 0x2f800000
	s_wait_alu 0xfffe
	s_delay_alu instid0(SALU_CYCLE_2) | instskip(SKIP_1) | instid1(SALU_CYCLE_2)
	s_trunc_f32 s16, s16
	s_wait_alu 0xfffe
	s_fmamk_f32 s2, s16, 0xcf800000, s2
	s_cvt_u32_f32 s17, s16
	s_wait_alu 0xfffe
	s_delay_alu instid0(SALU_CYCLE_1) | instskip(SKIP_1) | instid1(SALU_CYCLE_2)
	s_cvt_u32_f32 s16, s2
	s_wait_alu 0xfffe
	s_mul_u64 s[20:21], s[18:19], s[16:17]
	s_delay_alu instid0(SALU_CYCLE_1)
	s_mul_hi_u32 s23, s16, s21
	s_mul_i32 s22, s16, s21
	s_mul_hi_u32 s2, s16, s20
	s_mul_i32 s25, s17, s20
	s_wait_alu 0xfffe
	s_add_nc_u64 s[22:23], s[2:3], s[22:23]
	s_mul_hi_u32 s24, s17, s20
	s_mul_hi_u32 s26, s17, s21
	s_add_co_u32 s2, s22, s25
	s_add_co_ci_u32 s2, s23, s24
	s_mul_i32 s20, s17, s21
	s_add_co_ci_u32 s21, s26, 0
	s_wait_alu 0xfffe
	s_add_nc_u64 s[20:21], s[2:3], s[20:21]
	s_delay_alu instid0(SALU_CYCLE_1)
	s_add_co_u32 s16, s16, s20
	s_cselect_b32 s2, -1, 0
	s_wait_alu 0xfffe
	s_cmp_lg_u32 s2, 0
	s_add_co_ci_u32 s17, s17, s21
	s_wait_alu 0xfffe
	s_mul_u64 s[18:19], s[18:19], s[16:17]
	s_delay_alu instid0(SALU_CYCLE_1)
	s_mul_hi_u32 s21, s16, s19
	s_mul_i32 s20, s16, s19
	s_mul_hi_u32 s2, s16, s18
	s_mul_i32 s23, s17, s18
	s_wait_alu 0xfffe
	s_add_nc_u64 s[20:21], s[2:3], s[20:21]
	s_mul_hi_u32 s22, s17, s18
	s_mul_hi_u32 s24, s17, s19
	s_add_co_u32 s2, s20, s23
	s_add_co_ci_u32 s2, s21, s22
	s_mul_i32 s18, s17, s19
	s_add_co_ci_u32 s19, s24, 0
	s_wait_alu 0xfffe
	s_add_nc_u64 s[18:19], s[2:3], s[18:19]
	s_delay_alu instid0(SALU_CYCLE_1)
	s_add_co_u32 s2, s16, s18
	s_cselect_b32 s16, -1, 0
	s_wait_alu 0xfffe
	v_mul_hi_u32 v1, v10, s2
	s_cmp_lg_u32 s16, 0
	v_mad_co_u64_u32 v[12:13], null, v11, s2, 0
	s_add_co_ci_u32 s16, s17, s19
	s_wait_alu 0xfffe
	v_mad_co_u64_u32 v[6:7], null, v10, s16, 0
	v_mad_co_u64_u32 v[14:15], null, v11, s16, 0
	s_delay_alu instid0(VALU_DEP_2) | instskip(SKIP_1) | instid1(VALU_DEP_3)
	v_add_co_u32 v1, vcc_lo, v1, v6
	s_wait_alu 0xfffd
	v_add_co_ci_u32_e64 v6, null, 0, v7, vcc_lo
	s_delay_alu instid0(VALU_DEP_2) | instskip(SKIP_1) | instid1(VALU_DEP_2)
	v_add_co_u32 v1, vcc_lo, v1, v12
	s_wait_alu 0xfffd
	v_add_co_ci_u32_e32 v1, vcc_lo, v6, v13, vcc_lo
	s_wait_alu 0xfffd
	v_add_co_ci_u32_e32 v6, vcc_lo, 0, v15, vcc_lo
	s_delay_alu instid0(VALU_DEP_2) | instskip(SKIP_1) | instid1(VALU_DEP_2)
	v_add_co_u32 v1, vcc_lo, v1, v14
	s_wait_alu 0xfffd
	v_add_co_ci_u32_e64 v9, null, 0, v6, vcc_lo
	s_delay_alu instid0(VALU_DEP_2) | instskip(SKIP_1) | instid1(VALU_DEP_3)
	v_mul_lo_u32 v12, s13, v1
	v_mad_co_u64_u32 v[6:7], null, s12, v1, 0
	v_mul_lo_u32 v13, s12, v9
	s_delay_alu instid0(VALU_DEP_2) | instskip(NEXT) | instid1(VALU_DEP_2)
	v_sub_co_u32 v6, vcc_lo, v10, v6
	v_add3_u32 v7, v7, v13, v12
	v_add_co_u32 v13, s2, v1, 2
	s_wait_alu 0xf1ff
	v_add_co_ci_u32_e64 v14, null, 0, v9, s2
	s_delay_alu instid0(VALU_DEP_3) | instskip(SKIP_3) | instid1(VALU_DEP_3)
	v_sub_nc_u32_e32 v12, v11, v7
	v_sub_co_u32 v15, s2, v6, s12
	s_wait_alu 0xfffd
	v_sub_co_ci_u32_e64 v7, null, v11, v7, vcc_lo
	v_subrev_co_ci_u32_e64 v12, null, s13, v12, vcc_lo
	s_delay_alu instid0(VALU_DEP_3) | instskip(SKIP_1) | instid1(VALU_DEP_2)
	v_cmp_le_u32_e32 vcc_lo, s12, v15
	s_wait_alu 0xf1ff
	v_subrev_co_ci_u32_e64 v12, null, 0, v12, s2
	s_wait_alu 0xfffd
	v_cndmask_b32_e64 v15, 0, -1, vcc_lo
	v_cmp_eq_u32_e64 s2, s13, v7
	s_delay_alu instid0(VALU_DEP_3)
	v_cmp_le_u32_e32 vcc_lo, s13, v12
	s_wait_alu 0xfffd
	v_cndmask_b32_e64 v17, 0, -1, vcc_lo
	v_cmp_le_u32_e32 vcc_lo, s12, v6
	s_wait_alu 0xfffd
	v_cndmask_b32_e64 v6, 0, -1, vcc_lo
	;; [unrolled: 3-line block ×3, first 2 shown]
	v_cmp_eq_u32_e32 vcc_lo, s13, v12
	s_wait_alu 0xf1ff
	s_delay_alu instid0(VALU_DEP_2)
	v_cndmask_b32_e64 v6, v18, v6, s2
	s_wait_alu 0xfffd
	v_cndmask_b32_e32 v12, v17, v15, vcc_lo
	v_add_co_u32 v15, vcc_lo, v1, 1
	s_wait_alu 0xfffd
	v_add_co_ci_u32_e64 v17, null, 0, v9, vcc_lo
	s_delay_alu instid0(VALU_DEP_3) | instskip(SKIP_1) | instid1(VALU_DEP_2)
	v_cmp_ne_u32_e32 vcc_lo, 0, v12
	s_wait_alu 0xfffd
	v_dual_cndmask_b32 v7, v17, v14 :: v_dual_cndmask_b32 v12, v15, v13
	v_cmp_ne_u32_e32 vcc_lo, 0, v6
	s_wait_alu 0xfffd
	s_delay_alu instid0(VALU_DEP_2) | instskip(NEXT) | instid1(VALU_DEP_3)
	v_cndmask_b32_e32 v7, v9, v7, vcc_lo
	v_cndmask_b32_e32 v6, v1, v12, vcc_lo
.LBB71_5:                               ;   in Loop: Header=BB71_3 Depth=1
	s_wait_alu 0xfffe
	s_and_not1_saveexec_b32 s2, s15
	s_cbranch_execz .LBB71_7
; %bb.6:                                ;   in Loop: Header=BB71_3 Depth=1
	v_cvt_f32_u32_e32 v1, s12
	s_sub_co_i32 s15, 0, s12
	s_delay_alu instid0(VALU_DEP_1) | instskip(NEXT) | instid1(TRANS32_DEP_1)
	v_rcp_iflag_f32_e32 v1, v1
	v_mul_f32_e32 v1, 0x4f7ffffe, v1
	s_delay_alu instid0(VALU_DEP_1) | instskip(SKIP_1) | instid1(VALU_DEP_1)
	v_cvt_u32_f32_e32 v1, v1
	s_wait_alu 0xfffe
	v_mul_lo_u32 v6, s15, v1
	s_delay_alu instid0(VALU_DEP_1) | instskip(NEXT) | instid1(VALU_DEP_1)
	v_mul_hi_u32 v6, v1, v6
	v_add_nc_u32_e32 v1, v1, v6
	s_delay_alu instid0(VALU_DEP_1) | instskip(NEXT) | instid1(VALU_DEP_1)
	v_mul_hi_u32 v1, v10, v1
	v_mul_lo_u32 v6, v1, s12
	v_add_nc_u32_e32 v7, 1, v1
	s_delay_alu instid0(VALU_DEP_2) | instskip(NEXT) | instid1(VALU_DEP_1)
	v_sub_nc_u32_e32 v6, v10, v6
	v_subrev_nc_u32_e32 v9, s12, v6
	v_cmp_le_u32_e32 vcc_lo, s12, v6
	s_wait_alu 0xfffd
	s_delay_alu instid0(VALU_DEP_2) | instskip(NEXT) | instid1(VALU_DEP_1)
	v_dual_cndmask_b32 v6, v6, v9 :: v_dual_cndmask_b32 v1, v1, v7
	v_cmp_le_u32_e32 vcc_lo, s12, v6
	s_delay_alu instid0(VALU_DEP_2) | instskip(SKIP_1) | instid1(VALU_DEP_1)
	v_add_nc_u32_e32 v7, 1, v1
	s_wait_alu 0xfffd
	v_dual_cndmask_b32 v6, v1, v7 :: v_dual_mov_b32 v7, v8
.LBB71_7:                               ;   in Loop: Header=BB71_3 Depth=1
	s_wait_alu 0xfffe
	s_or_b32 exec_lo, exec_lo, s2
	s_load_b64 s[16:17], s[10:11], 0xc8
	s_delay_alu instid0(VALU_DEP_1)
	v_mul_lo_u32 v1, v7, s12
	v_mul_lo_u32 v9, v6, s13
	v_mad_co_u64_u32 v[12:13], null, v6, s12, 0
	s_add_co_i32 s14, s14, -1
	s_add_nc_u64 s[10:11], s[10:11], -8
	s_wait_alu 0xfffe
	s_cmp_gt_u32 s14, 2
	v_add3_u32 v1, v13, v9, v1
	v_sub_co_u32 v9, vcc_lo, v10, v12
	s_wait_alu 0xfffd
	s_delay_alu instid0(VALU_DEP_2) | instskip(SKIP_1) | instid1(VALU_DEP_2)
	v_sub_co_ci_u32_e64 v1, null, v11, v1, vcc_lo
	s_wait_kmcnt 0x0
	v_mul_lo_u32 v10, s17, v9
	s_delay_alu instid0(VALU_DEP_2) | instskip(SKIP_1) | instid1(VALU_DEP_1)
	v_mul_lo_u32 v1, s16, v1
	v_mad_co_u64_u32 v[2:3], null, s16, v9, v[2:3]
	v_add3_u32 v3, v10, v3, v1
	s_cbranch_scc0 .LBB71_9
; %bb.8:                                ;   in Loop: Header=BB71_3 Depth=1
	v_dual_mov_b32 v11, v7 :: v_dual_mov_b32 v10, v6
	s_branch .LBB71_3
.LBB71_9:
	s_clause 0x1
	s_load_b32 s14, s[0:1], 0x350
	s_load_b64 s[10:11], s[0:1], 0xd0
	v_dual_mov_b32 v8, 0 :: v_dual_mov_b32 v15, v5
	v_dual_mov_b32 v9, 0 :: v_dual_mov_b32 v14, v4
	s_add_nc_u64 s[12:13], s[0:1], 0x368
	s_wait_kmcnt 0x0
	s_cmp_lt_i32 s14, 2
	s_cbranch_scc1 .LBB71_17
; %bb.10:
	s_add_co_i32 s2, s14, -1
	s_mov_b32 s3, 0
	v_dual_mov_b32 v8, 0 :: v_dual_mov_b32 v13, v5
	s_wait_alu 0xfffe
	s_lshl_b64 s[16:17], s[2:3], 3
	v_dual_mov_b32 v9, 0 :: v_dual_mov_b32 v10, 0
	v_mov_b32_e32 v12, v4
	s_wait_alu 0xfffe
	s_add_nc_u64 s[16:17], s[0:1], s[16:17]
	s_add_co_i32 s18, s14, 1
	s_wait_alu 0xfffe
	s_add_nc_u64 s[14:15], s[16:17], 0x1c0
.LBB71_11:                              ; =>This Inner Loop Header: Depth=1
	s_load_b64 s[16:17], s[14:15], 0x0
                                        ; implicit-def: $vgpr14_vgpr15
	s_mov_b32 s2, exec_lo
	s_wait_kmcnt 0x0
	v_or_b32_e32 v11, s17, v13
	s_delay_alu instid0(VALU_DEP_1)
	v_cmpx_ne_u64_e32 0, v[10:11]
	s_wait_alu 0xfffe
	s_xor_b32 s19, exec_lo, s2
	s_cbranch_execz .LBB71_13
; %bb.12:                               ;   in Loop: Header=BB71_11 Depth=1
	s_cvt_f32_u32 s2, s16
	s_cvt_f32_u32 s20, s17
	s_sub_nc_u64 s[22:23], 0, s[16:17]
	s_wait_alu 0xfffe
	s_delay_alu instid0(SALU_CYCLE_1) | instskip(SKIP_1) | instid1(SALU_CYCLE_2)
	s_fmamk_f32 s2, s20, 0x4f800000, s2
	s_wait_alu 0xfffe
	v_s_rcp_f32 s2, s2
	s_delay_alu instid0(TRANS32_DEP_1) | instskip(SKIP_1) | instid1(SALU_CYCLE_2)
	s_mul_f32 s2, s2, 0x5f7ffffc
	s_wait_alu 0xfffe
	s_mul_f32 s20, s2, 0x2f800000
	s_wait_alu 0xfffe
	s_delay_alu instid0(SALU_CYCLE_2) | instskip(SKIP_1) | instid1(SALU_CYCLE_2)
	s_trunc_f32 s20, s20
	s_wait_alu 0xfffe
	s_fmamk_f32 s2, s20, 0xcf800000, s2
	s_cvt_u32_f32 s21, s20
	s_wait_alu 0xfffe
	s_delay_alu instid0(SALU_CYCLE_1) | instskip(SKIP_1) | instid1(SALU_CYCLE_2)
	s_cvt_u32_f32 s20, s2
	s_wait_alu 0xfffe
	s_mul_u64 s[24:25], s[22:23], s[20:21]
	s_delay_alu instid0(SALU_CYCLE_1)
	s_mul_hi_u32 s27, s20, s25
	s_mul_i32 s26, s20, s25
	s_mul_hi_u32 s2, s20, s24
	s_mul_i32 s29, s21, s24
	s_wait_alu 0xfffe
	s_add_nc_u64 s[26:27], s[2:3], s[26:27]
	s_mul_hi_u32 s28, s21, s24
	s_mul_hi_u32 s30, s21, s25
	s_add_co_u32 s2, s26, s29
	s_add_co_ci_u32 s2, s27, s28
	s_mul_i32 s24, s21, s25
	s_add_co_ci_u32 s25, s30, 0
	s_wait_alu 0xfffe
	s_add_nc_u64 s[24:25], s[2:3], s[24:25]
	s_delay_alu instid0(SALU_CYCLE_1)
	s_add_co_u32 s20, s20, s24
	s_cselect_b32 s2, -1, 0
	s_wait_alu 0xfffe
	s_cmp_lg_u32 s2, 0
	s_add_co_ci_u32 s21, s21, s25
	s_wait_alu 0xfffe
	s_mul_u64 s[22:23], s[22:23], s[20:21]
	s_delay_alu instid0(SALU_CYCLE_1)
	s_mul_hi_u32 s25, s20, s23
	s_mul_i32 s24, s20, s23
	s_mul_hi_u32 s2, s20, s22
	s_mul_i32 s27, s21, s22
	s_wait_alu 0xfffe
	s_add_nc_u64 s[24:25], s[2:3], s[24:25]
	s_mul_hi_u32 s26, s21, s22
	s_mul_hi_u32 s28, s21, s23
	s_add_co_u32 s2, s24, s27
	s_add_co_ci_u32 s2, s25, s26
	s_mul_i32 s22, s21, s23
	s_add_co_ci_u32 s23, s28, 0
	s_wait_alu 0xfffe
	s_add_nc_u64 s[22:23], s[2:3], s[22:23]
	s_delay_alu instid0(SALU_CYCLE_1)
	s_add_co_u32 s2, s20, s22
	s_cselect_b32 s20, -1, 0
	s_wait_alu 0xfffe
	v_mul_hi_u32 v1, v12, s2
	s_cmp_lg_u32 s20, 0
	v_mad_co_u64_u32 v[17:18], null, v13, s2, 0
	s_add_co_ci_u32 s20, s21, s23
	s_wait_alu 0xfffe
	v_mad_co_u64_u32 v[14:15], null, v12, s20, 0
	v_mad_co_u64_u32 v[19:20], null, v13, s20, 0
	s_delay_alu instid0(VALU_DEP_2) | instskip(SKIP_1) | instid1(VALU_DEP_3)
	v_add_co_u32 v1, vcc_lo, v1, v14
	s_wait_alu 0xfffd
	v_add_co_ci_u32_e64 v11, null, 0, v15, vcc_lo
	s_delay_alu instid0(VALU_DEP_2) | instskip(SKIP_1) | instid1(VALU_DEP_2)
	v_add_co_u32 v1, vcc_lo, v1, v17
	s_wait_alu 0xfffd
	v_add_co_ci_u32_e32 v1, vcc_lo, v11, v18, vcc_lo
	s_wait_alu 0xfffd
	v_add_co_ci_u32_e32 v11, vcc_lo, 0, v20, vcc_lo
	s_delay_alu instid0(VALU_DEP_2) | instskip(SKIP_1) | instid1(VALU_DEP_2)
	v_add_co_u32 v1, vcc_lo, v1, v19
	s_wait_alu 0xfffd
	v_add_co_ci_u32_e64 v11, null, 0, v11, vcc_lo
	s_delay_alu instid0(VALU_DEP_2) | instskip(SKIP_1) | instid1(VALU_DEP_3)
	v_mul_lo_u32 v17, s17, v1
	v_mad_co_u64_u32 v[14:15], null, s16, v1, 0
	v_mul_lo_u32 v18, s16, v11
	s_delay_alu instid0(VALU_DEP_2) | instskip(NEXT) | instid1(VALU_DEP_2)
	v_sub_co_u32 v14, vcc_lo, v12, v14
	v_add3_u32 v15, v15, v18, v17
	v_add_co_u32 v18, s2, v1, 2
	s_wait_alu 0xf1ff
	v_add_co_ci_u32_e64 v19, null, 0, v11, s2
	s_delay_alu instid0(VALU_DEP_3) | instskip(SKIP_3) | instid1(VALU_DEP_3)
	v_sub_nc_u32_e32 v17, v13, v15
	v_sub_co_u32 v20, s2, v14, s16
	s_wait_alu 0xfffd
	v_sub_co_ci_u32_e64 v15, null, v13, v15, vcc_lo
	v_subrev_co_ci_u32_e64 v17, null, s17, v17, vcc_lo
	s_delay_alu instid0(VALU_DEP_3) | instskip(SKIP_1) | instid1(VALU_DEP_2)
	v_cmp_le_u32_e32 vcc_lo, s16, v20
	s_wait_alu 0xf1ff
	v_subrev_co_ci_u32_e64 v17, null, 0, v17, s2
	s_wait_alu 0xfffd
	v_cndmask_b32_e64 v20, 0, -1, vcc_lo
	v_cmp_eq_u32_e64 s2, s17, v15
	s_delay_alu instid0(VALU_DEP_3)
	v_cmp_le_u32_e32 vcc_lo, s17, v17
	s_wait_alu 0xfffd
	v_cndmask_b32_e64 v21, 0, -1, vcc_lo
	v_cmp_le_u32_e32 vcc_lo, s16, v14
	s_wait_alu 0xfffd
	v_cndmask_b32_e64 v14, 0, -1, vcc_lo
	;; [unrolled: 3-line block ×3, first 2 shown]
	v_cmp_eq_u32_e32 vcc_lo, s17, v17
	s_wait_alu 0xf1ff
	s_delay_alu instid0(VALU_DEP_2)
	v_cndmask_b32_e64 v14, v22, v14, s2
	s_wait_alu 0xfffd
	v_cndmask_b32_e32 v17, v21, v20, vcc_lo
	v_add_co_u32 v20, vcc_lo, v1, 1
	s_wait_alu 0xfffd
	v_add_co_ci_u32_e64 v21, null, 0, v11, vcc_lo
	s_delay_alu instid0(VALU_DEP_3) | instskip(SKIP_1) | instid1(VALU_DEP_2)
	v_cmp_ne_u32_e32 vcc_lo, 0, v17
	s_wait_alu 0xfffd
	v_cndmask_b32_e32 v15, v21, v19, vcc_lo
	v_cndmask_b32_e32 v17, v20, v18, vcc_lo
	v_cmp_ne_u32_e32 vcc_lo, 0, v14
	s_wait_alu 0xfffd
	s_delay_alu instid0(VALU_DEP_2)
	v_dual_cndmask_b32 v15, v11, v15 :: v_dual_cndmask_b32 v14, v1, v17
.LBB71_13:                              ;   in Loop: Header=BB71_11 Depth=1
	s_wait_alu 0xfffe
	s_and_not1_saveexec_b32 s2, s19
	s_cbranch_execz .LBB71_15
; %bb.14:                               ;   in Loop: Header=BB71_11 Depth=1
	v_cvt_f32_u32_e32 v1, s16
	s_sub_co_i32 s19, 0, s16
	s_delay_alu instid0(VALU_DEP_1) | instskip(NEXT) | instid1(TRANS32_DEP_1)
	v_rcp_iflag_f32_e32 v1, v1
	v_mul_f32_e32 v1, 0x4f7ffffe, v1
	s_delay_alu instid0(VALU_DEP_1) | instskip(SKIP_1) | instid1(VALU_DEP_1)
	v_cvt_u32_f32_e32 v1, v1
	s_wait_alu 0xfffe
	v_mul_lo_u32 v11, s19, v1
	s_delay_alu instid0(VALU_DEP_1) | instskip(NEXT) | instid1(VALU_DEP_1)
	v_mul_hi_u32 v11, v1, v11
	v_add_nc_u32_e32 v1, v1, v11
	s_delay_alu instid0(VALU_DEP_1) | instskip(NEXT) | instid1(VALU_DEP_1)
	v_mul_hi_u32 v1, v12, v1
	v_mul_lo_u32 v11, v1, s16
	s_delay_alu instid0(VALU_DEP_1) | instskip(NEXT) | instid1(VALU_DEP_1)
	v_sub_nc_u32_e32 v11, v12, v11
	v_subrev_nc_u32_e32 v15, s16, v11
	v_cmp_le_u32_e32 vcc_lo, s16, v11
	s_wait_alu 0xfffd
	s_delay_alu instid0(VALU_DEP_2) | instskip(NEXT) | instid1(VALU_DEP_1)
	v_dual_cndmask_b32 v11, v11, v15 :: v_dual_add_nc_u32 v14, 1, v1
	v_cndmask_b32_e32 v1, v1, v14, vcc_lo
	v_mov_b32_e32 v15, v10
	s_delay_alu instid0(VALU_DEP_3) | instskip(NEXT) | instid1(VALU_DEP_3)
	v_cmp_le_u32_e32 vcc_lo, s16, v11
	v_add_nc_u32_e32 v14, 1, v1
	s_wait_alu 0xfffd
	s_delay_alu instid0(VALU_DEP_1)
	v_cndmask_b32_e32 v14, v1, v14, vcc_lo
.LBB71_15:                              ;   in Loop: Header=BB71_11 Depth=1
	s_wait_alu 0xfffe
	s_or_b32 exec_lo, exec_lo, s2
	s_load_b64 s[20:21], s[14:15], 0xc8
	v_mul_lo_u32 v1, v15, s16
	v_mul_lo_u32 v11, v14, s17
	v_mad_co_u64_u32 v[17:18], null, v14, s16, 0
	s_add_co_i32 s18, s18, -1
	s_add_nc_u64 s[14:15], s[14:15], -8
	s_wait_alu 0xfffe
	s_cmp_gt_u32 s18, 2
	v_add3_u32 v1, v18, v11, v1
	v_sub_co_u32 v11, vcc_lo, v12, v17
	s_wait_alu 0xfffd
	s_delay_alu instid0(VALU_DEP_2) | instskip(SKIP_1) | instid1(VALU_DEP_2)
	v_sub_co_ci_u32_e64 v1, null, v13, v1, vcc_lo
	s_wait_kmcnt 0x0
	v_mul_lo_u32 v12, s21, v11
	s_delay_alu instid0(VALU_DEP_2) | instskip(SKIP_1) | instid1(VALU_DEP_1)
	v_mul_lo_u32 v1, s20, v1
	v_mad_co_u64_u32 v[8:9], null, s20, v11, v[8:9]
	v_add3_u32 v9, v12, v9, v1
	s_cbranch_scc0 .LBB71_17
; %bb.16:                               ;   in Loop: Header=BB71_11 Depth=1
	v_dual_mov_b32 v12, v14 :: v_dual_mov_b32 v13, v15
	s_branch .LBB71_11
.LBB71_17:
	s_load_b64 s[2:3], s[0:1], 0x288
	v_mul_lo_u32 v17, s11, v6
	v_mul_lo_u32 v18, s10, v7
	v_mad_co_u64_u32 v[6:7], null, s10, v6, 0
	v_cmp_gt_u64_e32 vcc_lo, s[4:5], v[4:5]
	s_clause 0x2
	s_load_b64 s[10:11], s[0:1], 0x358
	s_load_b64 s[4:5], s[0:1], 0x0
	;; [unrolled: 1-line block ×3, first 2 shown]
	v_mov_b32_e32 v1, 0
	v_lshlrev_b64_e32 v[12:13], 1, v[2:3]
	v_and_b32_e32 v2, 0x3ff, v0
	v_add3_u32 v7, v7, v18, v17
	s_delay_alu instid0(VALU_DEP_4)
	v_mov_b32_e32 v3, v1
	s_wait_kmcnt 0x0
	v_mul_lo_u32 v4, s3, v14
	v_mul_lo_u32 v5, s2, v15
	v_mad_co_u64_u32 v[10:11], null, s2, v14, 0
	s_load_b32 s2, s[12:13], 0xc
	v_lshlrev_b64_e32 v[14:15], 3, v[8:9]
	v_lshlrev_b64_e32 v[8:9], 1, v[6:7]
	v_mov_b32_e32 v6, 0
	v_mov_b32_e32 v7, 0
	v_add3_u32 v11, v11, v5, v4
	v_mov_b32_e32 v4, 0
	v_add_co_u32 v0, s1, s4, v8
	s_delay_alu instid0(VALU_DEP_1) | instskip(NEXT) | instid1(VALU_DEP_4)
	v_add_co_ci_u32_e64 v8, null, s5, v9, s1
	v_lshlrev_b64_e32 v[10:11], 3, v[10:11]
	v_cmp_gt_u64_e64 s0, s[6:7], v[2:3]
	v_mov_b32_e32 v5, 0
	s_delay_alu instid0(VALU_DEP_3) | instskip(SKIP_1) | instid1(VALU_DEP_4)
	v_add_co_u32 v9, s1, s14, v10
	s_wait_alu 0xf1ff
	v_add_co_ci_u32_e64 v10, null, s15, v11, s1
	v_add_co_u32 v3, s1, v0, v12
	s_wait_alu 0xf1ff
	v_add_co_ci_u32_e64 v8, null, v8, v13, s1
	v_add_co_u32 v9, s1, v9, v14
	s_wait_alu 0xf1ff
	v_add_co_ci_u32_e64 v10, null, v10, v15, s1
	v_mov_b32_e32 v13, 0
	s_and_b32 s4, vcc_lo, s0
	s_wait_alu 0xfffe
	s_and_saveexec_b32 s3, s4
	s_cbranch_execz .LBB71_19
; %bb.18:
	v_mad_co_u64_u32 v[6:7], null, s8, v2, 0
	v_mad_co_u64_u32 v[11:12], null, s10, v2, 0
	s_delay_alu instid0(VALU_DEP_1) | instskip(NEXT) | instid1(VALU_DEP_1)
	v_dual_mov_b32 v0, v7 :: v_dual_mov_b32 v7, v12
	v_mad_co_u64_u32 v[12:13], null, s9, v2, v[0:1]
	s_delay_alu instid0(VALU_DEP_2) | instskip(NEXT) | instid1(VALU_DEP_1)
	v_mad_co_u64_u32 v[13:14], null, s11, v2, v[7:8]
	v_dual_mov_b32 v7, v12 :: v_dual_mov_b32 v12, v13
	s_delay_alu instid0(VALU_DEP_1) | instskip(NEXT) | instid1(VALU_DEP_2)
	v_lshlrev_b64_e32 v[6:7], 1, v[6:7]
	v_lshlrev_b64_e32 v[11:12], 3, v[11:12]
	s_delay_alu instid0(VALU_DEP_2) | instskip(SKIP_1) | instid1(VALU_DEP_3)
	v_add_co_u32 v6, s1, v3, v6
	s_wait_alu 0xf1ff
	v_add_co_ci_u32_e64 v7, null, v8, v7, s1
	s_delay_alu instid0(VALU_DEP_3)
	v_add_co_u32 v11, s1, v9, v11
	s_wait_alu 0xf1ff
	v_add_co_ci_u32_e64 v12, null, v10, v12, s1
	global_load_u16 v13, v[6:7], off
	global_load_b64 v[6:7], v[11:12], off
.LBB71_19:
	s_wait_alu 0xfffe
	s_or_b32 exec_lo, exec_lo, s3
	s_wait_kmcnt 0x0
	s_and_b32 s3, 0xffff, s2
	v_lshl_add_u32 v17, v16, 6, 0x1000
	s_wait_alu 0xfffe
	v_add_nc_u32_e32 v0, s3, v2
	v_lshlrev_b32_e32 v14, 8, v16
	v_lshl_add_u32 v16, v16, 5, 0x1400
	v_cndmask_b32_e64 v15, 0, 1, s4
	v_lshl_add_u32 v11, v2, 1, v17
	v_cmp_gt_u64_e64 s1, s[6:7], v[0:1]
	v_lshl_add_u32 v12, v2, 3, v14
	v_add_nc_u32_e32 v18, v16, v2
	s_wait_loadcnt 0x1
	ds_store_b16 v11, v13
	s_wait_loadcnt 0x0
	ds_store_b64 v12, v[6:7]
	ds_store_b8 v18, v15
	s_and_b32 s4, vcc_lo, s1
	s_wait_alu 0xfffe
	s_and_saveexec_b32 s5, s4
	s_cbranch_execz .LBB71_21
; %bb.20:
	v_mad_co_u64_u32 v[4:5], null, s8, v0, 0
	v_mad_co_u64_u32 v[6:7], null, s10, v0, 0
	s_delay_alu instid0(VALU_DEP_2) | instskip(NEXT) | instid1(VALU_DEP_2)
	v_mov_b32_e32 v1, v5
	v_mov_b32_e32 v5, v7
	s_delay_alu instid0(VALU_DEP_2) | instskip(NEXT) | instid1(VALU_DEP_2)
	v_mad_co_u64_u32 v[18:19], null, s9, v0, v[1:2]
	v_mad_co_u64_u32 v[19:20], null, s11, v0, v[5:6]
	s_delay_alu instid0(VALU_DEP_2) | instskip(NEXT) | instid1(VALU_DEP_2)
	v_mov_b32_e32 v5, v18
	v_mov_b32_e32 v7, v19
	s_delay_alu instid0(VALU_DEP_2) | instskip(NEXT) | instid1(VALU_DEP_2)
	v_lshlrev_b64_e32 v[4:5], 1, v[4:5]
	v_lshlrev_b64_e32 v[6:7], 3, v[6:7]
	s_delay_alu instid0(VALU_DEP_2) | instskip(SKIP_1) | instid1(VALU_DEP_3)
	v_add_co_u32 v4, s2, v3, v4
	s_wait_alu 0xf1ff
	v_add_co_ci_u32_e64 v5, null, v8, v5, s2
	s_delay_alu instid0(VALU_DEP_3)
	v_add_co_u32 v6, s2, v9, v6
	s_wait_alu 0xf1ff
	v_add_co_ci_u32_e64 v7, null, v10, v7, s2
	global_load_u16 v1, v[4:5], off
	global_load_b64 v[4:5], v[6:7], off
.LBB71_21:
	s_wait_alu 0xfffe
	s_or_b32 exec_lo, exec_lo, s5
	v_lshl_add_u32 v6, s3, 1, v11
	v_lshlrev_b32_e32 v18, 1, v2
	v_lshl_add_u32 v7, s3, 3, v12
	v_cndmask_b32_e64 v13, 0, 1, s4
	v_add_nc_u32_e32 v15, v16, v0
	s_wait_loadcnt 0x1
	ds_store_b16 v6, v1
	s_wait_loadcnt 0x0
	ds_store_b64 v7, v[4:5]
	ds_store_b8 v15, v13
	v_add_nc_u32_e32 v1, v11, v18
	v_add_nc_u32_e32 v4, v16, v18
	s_wait_dscnt 0x0
	s_barrier_signal -1
	s_barrier_wait -1
	global_inv scope:SCOPE_SE
	ds_load_b32 v13, v1
	ds_load_u16 v15, v4
	v_and_b32_e32 v5, 1, v2
	s_wait_dscnt 0x1
	v_lshlrev_b32_e32 v19, 16, v13
	v_and_b32_e32 v21, 0xffff0000, v13
	s_wait_dscnt 0x0
	v_lshrrev_b16 v20, 8, v15
	v_and_b32_e32 v22, 1, v15
	v_cmp_u_f32_e64 s2, v19, v19
	v_cmp_o_f32_e64 s3, v21, v21
	s_delay_alu instid0(VALU_DEP_4)
	v_cmp_ne_u16_e64 s6, v20, v5
	v_cmp_lt_f32_e64 s4, v21, v19
	v_cmp_eq_u32_e64 s5, 1, v22
	s_and_b32 s2, s2, s3
	v_cndmask_b32_e64 v19, 0, 1, s6
	s_wait_alu 0xfffe
	s_or_b32 s2, s2, s4
	s_wait_alu 0xfffe
	s_and_b32 s2, s2, s5
	s_wait_alu 0xfffe
	v_cndmask_b32_e64 v19, v19, v2, s2
	s_delay_alu instid0(VALU_DEP_1) | instskip(NEXT) | instid1(VALU_DEP_1)
	v_and_b32_e32 v19, 1, v19
	v_cmp_eq_u32_e64 s2, 1, v19
	v_lshl_add_u32 v19, v2, 3, v12
	s_and_saveexec_b32 s3, s2
	s_wait_alu 0xfffe
	s_xor_b32 s2, exec_lo, s3
	s_cbranch_execz .LBB71_23
; %bb.22:
	ds_load_b128 v[21:24], v19
	v_lshlrev_b16 v15, 8, v15
	v_alignbit_b32 v13, v13, v13, 16
	s_delay_alu instid0(VALU_DEP_2)
	v_or_b32_e32 v15, v20, v15
	s_wait_dscnt 0x0
	v_dual_mov_b32 v25, v21 :: v_dual_mov_b32 v26, v22
	ds_store_b32 v1, v13
	ds_store_b128 v19, v[23:26]
	ds_store_b16 v4, v15
.LBB71_23:
	s_wait_alu 0xfffe
	s_or_b32 exec_lo, exec_lo, s2
	v_sub_nc_u32_e32 v15, v18, v5
	s_wait_loadcnt_dscnt 0x0
	s_barrier_signal -1
	s_barrier_wait -1
	global_inv scope:SCOPE_SE
	v_lshl_add_u32 v5, v15, 1, v17
	v_add_nc_u32_e32 v13, v16, v15
	v_bfe_u32 v26, v2, 1, 1
	v_lshl_add_u32 v15, v15, 3, v14
	ds_load_u16 v20, v5
	ds_load_u16 v21, v5 offset:4
	ds_load_u8 v22, v13
	ds_load_u8 v24, v13 offset:2
	s_wait_dscnt 0x3
	v_lshlrev_b32_e32 v23, 16, v20
	s_wait_dscnt 0x2
	v_lshlrev_b32_e32 v25, 16, v21
	s_wait_dscnt 0x1
	v_and_b32_e32 v27, 1, v22
	s_wait_dscnt 0x0
	v_cmp_ne_u16_e64 s5, v24, v26
	v_cmp_u_f32_e64 s2, v23, v23
	v_cmp_o_f32_e64 s3, v25, v25
	v_cmp_lt_f32_e64 s4, v25, v23
	s_wait_alu 0xf1ff
	v_cndmask_b32_e64 v23, 0, 1, s5
	v_cmp_eq_u32_e64 s5, 1, v27
	s_and_b32 s2, s2, s3
	s_wait_alu 0xfffe
	s_or_b32 s2, s2, s4
	s_wait_alu 0xfffe
	s_and_b32 s2, s2, s5
	s_wait_alu 0xfffe
	v_cndmask_b32_e64 v25, v23, v26, s2
	v_and_b32_e32 v23, 2, v2
	s_delay_alu instid0(VALU_DEP_2) | instskip(NEXT) | instid1(VALU_DEP_2)
	v_and_b32_e32 v25, 1, v25
	v_cmp_ne_u32_e64 s2, 0, v23
	s_delay_alu instid0(VALU_DEP_2)
	v_cmp_eq_u32_e64 s3, 1, v25
	s_and_saveexec_b32 s4, s3
	s_wait_alu 0xfffe
	s_xor_b32 s3, exec_lo, s4
	s_cbranch_execz .LBB71_25
; %bb.24:
	ds_load_2addr_b64 v[25:28], v15 offset1:2
	s_wait_dscnt 0x0
	ds_store_2addr_b64 v15, v[27:28], v[25:26] offset1:2
	ds_store_b16 v5, v21
	ds_store_b16 v5, v20 offset:4
	ds_store_b8 v13, v24
	ds_store_b8 v13, v22 offset:2
.LBB71_25:
	s_wait_alu 0xfffe
	s_or_b32 exec_lo, exec_lo, s3
	s_wait_loadcnt_dscnt 0x0
	s_barrier_signal -1
	s_barrier_wait -1
	global_inv scope:SCOPE_SE
	ds_load_b32 v20, v1
	ds_load_u16 v21, v4
	v_lshrrev_b32_e32 v23, 1, v23
	v_cndmask_b32_e64 v26, 0, 1, s2
	s_wait_dscnt 0x1
	v_lshlrev_b32_e32 v24, 16, v20
	v_and_b32_e32 v25, 0xffff0000, v20
	s_wait_dscnt 0x0
	v_lshrrev_b16 v22, 8, v21
	v_and_b32_e32 v27, 1, v21
	v_cmp_u_f32_e64 s2, v24, v24
	v_cmp_o_f32_e64 s3, v25, v25
	s_delay_alu instid0(VALU_DEP_4)
	v_cmp_ne_u16_e64 s6, v22, v23
	v_cmp_lt_f32_e64 s4, v25, v24
	v_cmp_eq_u32_e64 s5, 1, v27
	s_and_b32 s2, s2, s3
	v_cndmask_b32_e64 v23, 0, 1, s6
	s_wait_alu 0xfffe
	s_or_b32 s2, s2, s4
	s_mov_b32 s3, exec_lo
	s_wait_alu 0xfffe
	s_and_b32 s2, s2, s5
	s_wait_alu 0xfffe
	v_cndmask_b32_e64 v23, v23, v26, s2
	s_delay_alu instid0(VALU_DEP_1) | instskip(NEXT) | instid1(VALU_DEP_1)
	v_and_b32_e32 v23, 1, v23
	v_cmpx_eq_u32_e32 1, v23
	s_cbranch_execz .LBB71_27
; %bb.26:
	ds_load_b128 v[23:26], v19
	v_lshlrev_b16 v21, 8, v21
	v_alignbit_b32 v20, v20, v20, 16
	s_delay_alu instid0(VALU_DEP_2)
	v_or_b32_e32 v21, v22, v21
	s_wait_dscnt 0x0
	v_dual_mov_b32 v27, v23 :: v_dual_mov_b32 v28, v24
	ds_store_b32 v1, v20
	ds_store_b128 v19, v[25:28]
	ds_store_b16 v4, v21
.LBB71_27:
	s_or_b32 exec_lo, exec_lo, s3
	v_and_b32_e32 v19, 3, v2
	s_wait_loadcnt_dscnt 0x0
	s_barrier_signal -1
	s_barrier_wait -1
	global_inv scope:SCOPE_SE
	v_sub_nc_u32_e32 v22, v18, v19
	v_bfe_u32 v28, v2, 2, 1
	s_delay_alu instid0(VALU_DEP_2)
	v_lshl_add_u32 v19, v22, 1, v17
	v_add_nc_u32_e32 v20, v16, v22
	v_lshl_add_u32 v22, v22, 3, v14
	ds_load_u16 v21, v19
	ds_load_u16 v23, v19 offset:8
	ds_load_u8 v24, v20
	ds_load_u8 v25, v20 offset:4
	s_wait_dscnt 0x3
	v_lshlrev_b32_e32 v26, 16, v21
	s_wait_dscnt 0x2
	v_lshlrev_b32_e32 v27, 16, v23
	s_wait_dscnt 0x1
	v_and_b32_e32 v29, 1, v24
	s_wait_dscnt 0x0
	v_cmp_ne_u16_e64 s5, v25, v28
	v_cmp_u_f32_e64 s2, v26, v26
	v_cmp_o_f32_e64 s3, v27, v27
	v_cmp_lt_f32_e64 s4, v27, v26
	s_wait_alu 0xf1ff
	v_cndmask_b32_e64 v26, 0, 1, s5
	v_cmp_eq_u32_e64 s5, 1, v29
	s_and_b32 s2, s2, s3
	s_wait_alu 0xfffe
	s_or_b32 s2, s2, s4
	s_mov_b32 s4, exec_lo
	s_wait_alu 0xfffe
	s_and_b32 s2, s2, s5
	s_wait_alu 0xfffe
	v_cndmask_b32_e64 v27, v26, v28, s2
	v_and_b32_e32 v26, 4, v2
	s_delay_alu instid0(VALU_DEP_2) | instskip(NEXT) | instid1(VALU_DEP_2)
	v_and_b32_e32 v27, 1, v27
	v_cmp_ne_u32_e64 s2, 0, v26
	s_delay_alu instid0(VALU_DEP_2)
	v_cmpx_eq_u32_e32 1, v27
	s_cbranch_execz .LBB71_29
; %bb.28:
	ds_load_2addr_b64 v[27:30], v22 offset1:4
	s_wait_dscnt 0x0
	ds_store_2addr_b64 v22, v[29:30], v[27:28] offset1:4
	ds_store_b16 v19, v23
	ds_store_b16 v19, v21 offset:8
	ds_store_b8 v20, v25
	ds_store_b8 v20, v24 offset:4
.LBB71_29:
	s_or_b32 exec_lo, exec_lo, s4
	s_wait_loadcnt_dscnt 0x0
	s_barrier_signal -1
	s_barrier_wait -1
	global_inv scope:SCOPE_SE
	ds_load_u16 v24, v5
	ds_load_u16 v25, v5 offset:4
	ds_load_u8 v27, v13
	ds_load_u8 v28, v13 offset:2
	v_lshrrev_b32_e32 v21, 2, v26
	v_cndmask_b32_e64 v23, 0, 1, s2
	s_wait_dscnt 0x3
	v_lshlrev_b32_e32 v29, 16, v24
	s_wait_dscnt 0x2
	v_lshlrev_b32_e32 v30, 16, v25
	s_wait_dscnt 0x1
	v_and_b32_e32 v26, 1, v27
	s_wait_dscnt 0x0
	v_cmp_ne_u16_e64 s5, v28, v21
	v_cmp_u_f32_e64 s2, v29, v29
	v_cmp_o_f32_e64 s3, v30, v30
	v_cmp_lt_f32_e64 s4, v30, v29
	s_wait_alu 0xf1ff
	v_cndmask_b32_e64 v29, 0, 1, s5
	v_cmp_eq_u32_e64 s5, 1, v26
	s_and_b32 s2, s2, s3
	s_mov_b32 s3, exec_lo
	s_wait_alu 0xfffe
	s_or_b32 s2, s2, s4
	s_wait_alu 0xfffe
	s_and_b32 s2, s2, s5
	s_wait_alu 0xfffe
	v_cndmask_b32_e64 v26, v29, v23, s2
	s_delay_alu instid0(VALU_DEP_1) | instskip(NEXT) | instid1(VALU_DEP_1)
	v_and_b32_e32 v26, 1, v26
	v_cmpx_eq_u32_e32 1, v26
	s_cbranch_execz .LBB71_31
; %bb.30:
	ds_load_2addr_b64 v[29:32], v15 offset1:2
	s_wait_dscnt 0x0
	ds_store_2addr_b64 v15, v[31:32], v[29:30] offset1:2
	ds_store_b16 v5, v25
	ds_store_b16 v5, v24 offset:4
	ds_store_b8 v13, v28
	ds_store_b8 v13, v27 offset:2
.LBB71_31:
	s_or_b32 exec_lo, exec_lo, s3
	s_wait_loadcnt_dscnt 0x0
	s_barrier_signal -1
	s_barrier_wait -1
	global_inv scope:SCOPE_SE
	ds_load_b32 v24, v1
	ds_load_u16 v26, v4
	s_wait_dscnt 0x1
	v_lshlrev_b32_e32 v27, 16, v24
	v_and_b32_e32 v28, 0xffff0000, v24
	s_wait_dscnt 0x0
	v_lshrrev_b16 v25, 8, v26
	v_and_b32_e32 v29, 1, v26
	v_cmp_u_f32_e64 s2, v27, v27
	v_cmp_o_f32_e64 s3, v28, v28
	s_delay_alu instid0(VALU_DEP_4)
	v_cmp_ne_u16_e64 s6, v25, v21
	v_cmp_lt_f32_e64 s4, v28, v27
	v_cmp_eq_u32_e64 s5, 1, v29
	s_and_b32 s2, s2, s3
	v_cndmask_b32_e64 v21, 0, 1, s6
	s_wait_alu 0xfffe
	s_or_b32 s2, s2, s4
	s_wait_alu 0xfffe
	s_and_b32 s2, s2, s5
	s_wait_alu 0xfffe
	v_cndmask_b32_e64 v21, v21, v23, s2
	s_delay_alu instid0(VALU_DEP_1) | instskip(NEXT) | instid1(VALU_DEP_1)
	v_and_b32_e32 v21, 1, v21
	v_cmp_eq_u32_e64 s2, 1, v21
	v_lshl_add_u32 v21, v18, 3, v14
	s_and_saveexec_b32 s3, s2
	s_cbranch_execz .LBB71_33
; %bb.32:
	ds_load_b128 v[27:30], v21
	v_alignbit_b32 v23, v24, v24, 16
	v_lshlrev_b16 v24, 8, v26
	s_delay_alu instid0(VALU_DEP_1)
	v_or_b32_e32 v24, v25, v24
	s_wait_dscnt 0x0
	v_dual_mov_b32 v31, v27 :: v_dual_mov_b32 v32, v28
	ds_store_b32 v1, v23
	ds_store_b128 v21, v[29:32]
	ds_store_b16 v4, v24
.LBB71_33:
	s_wait_alu 0xfffe
	s_or_b32 exec_lo, exec_lo, s3
	v_and_b32_e32 v23, 7, v2
	s_wait_loadcnt_dscnt 0x0
	s_barrier_signal -1
	s_barrier_wait -1
	global_inv scope:SCOPE_SE
	v_sub_nc_u32_e32 v25, v18, v23
	v_bfe_u32 v32, v2, 3, 1
	s_delay_alu instid0(VALU_DEP_2)
	v_lshl_add_u32 v23, v25, 1, v17
	v_add_nc_u32_e32 v24, v16, v25
	v_lshl_add_u32 v25, v25, 3, v14
	ds_load_u16 v26, v23
	ds_load_u16 v27, v23 offset:16
	ds_load_u8 v28, v24
	ds_load_u8 v29, v24 offset:8
	s_wait_dscnt 0x3
	v_lshlrev_b32_e32 v30, 16, v26
	s_wait_dscnt 0x2
	v_lshlrev_b32_e32 v31, 16, v27
	s_wait_dscnt 0x1
	v_and_b32_e32 v33, 1, v28
	s_wait_dscnt 0x0
	v_cmp_ne_u16_e64 s5, v29, v32
	v_cmp_u_f32_e64 s2, v30, v30
	v_cmp_o_f32_e64 s3, v31, v31
	v_cmp_lt_f32_e64 s4, v31, v30
	s_wait_alu 0xf1ff
	v_cndmask_b32_e64 v30, 0, 1, s5
	v_cmp_eq_u32_e64 s5, 1, v33
	s_and_b32 s2, s2, s3
	s_wait_alu 0xfffe
	s_or_b32 s2, s2, s4
	s_mov_b32 s4, exec_lo
	s_wait_alu 0xfffe
	s_and_b32 s2, s2, s5
	s_wait_alu 0xfffe
	v_cndmask_b32_e64 v31, v30, v32, s2
	v_and_b32_e32 v30, 8, v2
	s_delay_alu instid0(VALU_DEP_2) | instskip(NEXT) | instid1(VALU_DEP_2)
	v_and_b32_e32 v31, 1, v31
	v_cmp_ne_u32_e64 s2, 0, v30
	s_delay_alu instid0(VALU_DEP_2)
	v_cmpx_eq_u32_e32 1, v31
	s_cbranch_execz .LBB71_35
; %bb.34:
	ds_load_2addr_b64 v[31:34], v25 offset1:8
	s_wait_dscnt 0x0
	ds_store_2addr_b64 v25, v[33:34], v[31:32] offset1:8
	ds_store_b16 v23, v27
	ds_store_b16 v23, v26 offset:16
	ds_store_b8 v24, v29
	ds_store_b8 v24, v28 offset:8
.LBB71_35:
	s_or_b32 exec_lo, exec_lo, s4
	s_wait_loadcnt_dscnt 0x0
	s_barrier_signal -1
	s_barrier_wait -1
	global_inv scope:SCOPE_SE
	ds_load_u16 v28, v19
	ds_load_u16 v29, v19 offset:8
	ds_load_u8 v31, v20
	ds_load_u8 v32, v20 offset:4
	v_lshrrev_b32_e32 v26, 3, v30
	v_cndmask_b32_e64 v27, 0, 1, s2
	s_wait_dscnt 0x3
	v_lshlrev_b32_e32 v33, 16, v28
	s_wait_dscnt 0x2
	v_lshlrev_b32_e32 v34, 16, v29
	s_wait_dscnt 0x1
	v_and_b32_e32 v30, 1, v31
	s_wait_dscnt 0x0
	v_cmp_ne_u16_e64 s5, v32, v26
	v_cmp_u_f32_e64 s2, v33, v33
	v_cmp_o_f32_e64 s3, v34, v34
	v_cmp_lt_f32_e64 s4, v34, v33
	s_wait_alu 0xf1ff
	v_cndmask_b32_e64 v33, 0, 1, s5
	v_cmp_eq_u32_e64 s5, 1, v30
	s_and_b32 s2, s2, s3
	s_mov_b32 s3, exec_lo
	s_wait_alu 0xfffe
	s_or_b32 s2, s2, s4
	s_wait_alu 0xfffe
	s_and_b32 s2, s2, s5
	s_wait_alu 0xfffe
	v_cndmask_b32_e64 v30, v33, v27, s2
	s_delay_alu instid0(VALU_DEP_1) | instskip(NEXT) | instid1(VALU_DEP_1)
	v_and_b32_e32 v30, 1, v30
	v_cmpx_eq_u32_e32 1, v30
	s_cbranch_execz .LBB71_37
; %bb.36:
	ds_load_2addr_b64 v[33:36], v22 offset1:4
	s_wait_dscnt 0x0
	ds_store_2addr_b64 v22, v[35:36], v[33:34] offset1:4
	ds_store_b16 v19, v29
	ds_store_b16 v19, v28 offset:8
	ds_store_b8 v20, v32
	ds_store_b8 v20, v31 offset:4
.LBB71_37:
	s_or_b32 exec_lo, exec_lo, s3
	s_wait_loadcnt_dscnt 0x0
	s_barrier_signal -1
	s_barrier_wait -1
	global_inv scope:SCOPE_SE
	ds_load_u16 v28, v5
	ds_load_u16 v29, v5 offset:4
	ds_load_u8 v30, v13
	ds_load_u8 v31, v13 offset:2
	s_wait_dscnt 0x3
	v_lshlrev_b32_e32 v32, 16, v28
	s_wait_dscnt 0x2
	v_lshlrev_b32_e32 v33, 16, v29
	s_wait_dscnt 0x1
	v_and_b32_e32 v34, 1, v30
	s_wait_dscnt 0x0
	v_cmp_ne_u16_e64 s5, v31, v26
	v_cmp_u_f32_e64 s2, v32, v32
	v_cmp_o_f32_e64 s3, v33, v33
	v_cmp_lt_f32_e64 s4, v33, v32
	s_wait_alu 0xf1ff
	v_cndmask_b32_e64 v32, 0, 1, s5
	v_cmp_eq_u32_e64 s5, 1, v34
	s_and_b32 s2, s2, s3
	s_mov_b32 s3, exec_lo
	s_wait_alu 0xfffe
	s_or_b32 s2, s2, s4
	s_wait_alu 0xfffe
	s_and_b32 s2, s2, s5
	s_wait_alu 0xfffe
	v_cndmask_b32_e64 v32, v32, v27, s2
	s_delay_alu instid0(VALU_DEP_1) | instskip(NEXT) | instid1(VALU_DEP_1)
	v_and_b32_e32 v32, 1, v32
	v_cmpx_eq_u32_e32 1, v32
	s_cbranch_execz .LBB71_39
; %bb.38:
	ds_load_2addr_b64 v[32:35], v15 offset1:2
	s_wait_dscnt 0x0
	ds_store_2addr_b64 v15, v[34:35], v[32:33] offset1:2
	ds_store_b16 v5, v29
	ds_store_b16 v5, v28 offset:4
	ds_store_b8 v13, v31
	ds_store_b8 v13, v30 offset:2
.LBB71_39:
	s_or_b32 exec_lo, exec_lo, s3
	s_wait_loadcnt_dscnt 0x0
	s_barrier_signal -1
	s_barrier_wait -1
	global_inv scope:SCOPE_SE
	ds_load_b32 v28, v1
	ds_load_u16 v30, v4
	s_wait_dscnt 0x1
	v_lshlrev_b32_e32 v31, 16, v28
	v_and_b32_e32 v32, 0xffff0000, v28
	s_wait_dscnt 0x0
	v_lshrrev_b16 v29, 8, v30
	v_and_b32_e32 v33, 1, v30
	v_cmp_u_f32_e64 s2, v31, v31
	v_cmp_o_f32_e64 s3, v32, v32
	s_delay_alu instid0(VALU_DEP_4)
	v_cmp_ne_u16_e64 s6, v29, v26
	v_cmp_lt_f32_e64 s4, v32, v31
	v_cmp_eq_u32_e64 s5, 1, v33
	s_and_b32 s2, s2, s3
	v_cndmask_b32_e64 v26, 0, 1, s6
	s_wait_alu 0xfffe
	s_or_b32 s2, s2, s4
	s_mov_b32 s3, exec_lo
	s_wait_alu 0xfffe
	s_and_b32 s2, s2, s5
	s_wait_alu 0xfffe
	v_cndmask_b32_e64 v26, v26, v27, s2
	s_delay_alu instid0(VALU_DEP_1) | instskip(NEXT) | instid1(VALU_DEP_1)
	v_and_b32_e32 v26, 1, v26
	v_cmpx_eq_u32_e32 1, v26
	s_cbranch_execz .LBB71_41
; %bb.40:
	ds_load_b128 v[31:34], v21
	v_lshlrev_b16 v27, 8, v30
	v_alignbit_b32 v26, v28, v28, 16
	s_delay_alu instid0(VALU_DEP_2)
	v_or_b32_e32 v27, v29, v27
	s_wait_dscnt 0x0
	v_dual_mov_b32 v35, v31 :: v_dual_mov_b32 v36, v32
	ds_store_b32 v1, v26
	ds_store_b128 v21, v[33:36]
	ds_store_b16 v4, v27
.LBB71_41:
	s_or_b32 exec_lo, exec_lo, s3
	v_and_b32_e32 v26, 15, v2
	s_wait_loadcnt_dscnt 0x0
	s_barrier_signal -1
	s_barrier_wait -1
	global_inv scope:SCOPE_SE
	v_sub_nc_u32_e32 v26, v18, v26
	s_delay_alu instid0(VALU_DEP_1)
	v_lshl_add_u32 v17, v26, 1, v17
	v_add_nc_u32_e32 v16, v16, v26
	ds_load_u16 v18, v17
	ds_load_u16 v27, v17 offset:32
	ds_load_u8 v28, v16
	ds_load_u8 v29, v16 offset:16
	s_wait_dscnt 0x3
	v_lshlrev_b32_e32 v30, 16, v18
	s_wait_dscnt 0x2
	v_lshlrev_b32_e32 v31, 16, v27
	s_wait_dscnt 0x1
	v_and_b32_e32 v32, 1, v28
	s_wait_dscnt 0x0
	v_and_b32_e32 v29, 0xff, v29
	v_cmp_u_f32_e64 s2, v30, v30
	v_cmp_o_f32_e64 s3, v31, v31
	v_cmp_lt_f32_e64 s4, v31, v30
	v_cmp_eq_u32_e64 s5, 1, v32
	s_and_b32 s2, s2, s3
	s_wait_alu 0xfffe
	s_or_b32 s3, s2, s4
	v_cmp_ne_u16_e64 s2, 0, v29
	s_wait_alu 0xfffe
	s_and_b32 s3, s3, s5
	s_wait_alu 0xfffe
	s_xor_b32 s3, s3, -1
	s_wait_alu 0xfffe
	s_and_b32 s3, s3, s2
	s_wait_alu 0xfffe
	s_and_saveexec_b32 s2, s3
	s_cbranch_execz .LBB71_43
; %bb.42:
	v_lshl_add_u32 v14, v26, 3, v14
	v_mov_b32_e32 v26, 1
	ds_load_2addr_b64 v[29:32], v14 offset1:16
	s_wait_dscnt 0x0
	ds_store_2addr_b64 v14, v[31:32], v[29:30] offset1:16
	ds_store_b16 v17, v27
	ds_store_b16 v17, v18 offset:32
	ds_store_b8 v16, v26
	ds_store_b8 v16, v28 offset:16
.LBB71_43:
	s_wait_alu 0xfffe
	s_or_b32 exec_lo, exec_lo, s2
	s_wait_loadcnt_dscnt 0x0
	s_barrier_signal -1
	s_barrier_wait -1
	global_inv scope:SCOPE_SE
	ds_load_u16 v14, v23
	ds_load_u16 v16, v23 offset:16
	ds_load_u8 v17, v24
	ds_load_u8 v18, v24 offset:8
	s_wait_dscnt 0x3
	v_lshlrev_b32_e32 v26, 16, v14
	s_wait_dscnt 0x2
	v_lshlrev_b32_e32 v27, 16, v16
	s_wait_dscnt 0x1
	v_and_b32_e32 v28, 1, v17
	s_wait_dscnt 0x0
	v_and_b32_e32 v18, 0xff, v18
	v_cmp_u_f32_e64 s2, v26, v26
	v_cmp_o_f32_e64 s3, v27, v27
	v_cmp_lt_f32_e64 s4, v27, v26
	v_cmp_eq_u32_e64 s5, 1, v28
	s_and_b32 s2, s2, s3
	s_wait_alu 0xfffe
	s_or_b32 s3, s2, s4
	v_cmp_ne_u16_e64 s2, 0, v18
	s_wait_alu 0xfffe
	s_and_b32 s3, s3, s5
	s_wait_alu 0xfffe
	s_xor_b32 s3, s3, -1
	s_wait_alu 0xfffe
	s_and_b32 s3, s3, s2
	s_wait_alu 0xfffe
	s_and_saveexec_b32 s2, s3
	s_cbranch_execz .LBB71_45
; %bb.44:
	ds_load_2addr_b64 v[26:29], v25 offset1:8
	v_mov_b32_e32 v18, 1
	s_wait_dscnt 0x0
	ds_store_2addr_b64 v25, v[28:29], v[26:27] offset1:8
	ds_store_b16 v23, v16
	ds_store_b16 v23, v14 offset:16
	ds_store_b8 v24, v18
	ds_store_b8 v24, v17 offset:8
.LBB71_45:
	s_wait_alu 0xfffe
	s_or_b32 exec_lo, exec_lo, s2
	s_wait_loadcnt_dscnt 0x0
	s_barrier_signal -1
	s_barrier_wait -1
	global_inv scope:SCOPE_SE
	ds_load_u16 v14, v19
	ds_load_u16 v16, v19 offset:8
	ds_load_u8 v17, v20
	ds_load_u8 v18, v20 offset:4
	s_wait_dscnt 0x3
	v_lshlrev_b32_e32 v23, 16, v14
	s_wait_dscnt 0x2
	v_lshlrev_b32_e32 v24, 16, v16
	s_wait_dscnt 0x1
	v_and_b32_e32 v25, 1, v17
	s_wait_dscnt 0x0
	v_and_b32_e32 v18, 0xff, v18
	v_cmp_u_f32_e64 s2, v23, v23
	v_cmp_o_f32_e64 s3, v24, v24
	v_cmp_lt_f32_e64 s4, v24, v23
	v_cmp_eq_u32_e64 s5, 1, v25
	s_and_b32 s2, s2, s3
	s_wait_alu 0xfffe
	s_or_b32 s3, s2, s4
	v_cmp_ne_u16_e64 s2, 0, v18
	s_wait_alu 0xfffe
	s_and_b32 s3, s3, s5
	s_wait_alu 0xfffe
	s_xor_b32 s3, s3, -1
	s_wait_alu 0xfffe
	s_and_b32 s3, s3, s2
	s_wait_alu 0xfffe
	s_and_saveexec_b32 s2, s3
	s_cbranch_execz .LBB71_47
; %bb.46:
	ds_load_2addr_b64 v[23:26], v22 offset1:4
	v_mov_b32_e32 v18, 1
	s_wait_dscnt 0x0
	ds_store_2addr_b64 v22, v[25:26], v[23:24] offset1:4
	ds_store_b16 v19, v16
	ds_store_b16 v19, v14 offset:8
	ds_store_b8 v20, v18
	ds_store_b8 v20, v17 offset:4
.LBB71_47:
	;; [unrolled: 45-line block ×3, first 2 shown]
	s_wait_alu 0xfffe
	s_or_b32 exec_lo, exec_lo, s2
	s_wait_loadcnt_dscnt 0x0
	s_barrier_signal -1
	s_barrier_wait -1
	global_inv scope:SCOPE_SE
	ds_load_b32 v5, v1
	ds_load_u16 v13, v4
	s_wait_dscnt 0x1
	v_lshlrev_b32_e32 v14, 16, v5
	v_and_b32_e32 v15, 0xffff0000, v5
	s_wait_dscnt 0x0
	v_and_b32_e32 v16, 1, v13
	s_delay_alu instid0(VALU_DEP_3) | instskip(NEXT) | instid1(VALU_DEP_3)
	v_cmp_u_f32_e64 s2, v14, v14
	v_cmp_o_f32_e64 s3, v15, v15
	v_cmp_lt_f32_e64 s4, v15, v14
	v_lshrrev_b16 v14, 8, v13
	v_cmp_eq_u32_e64 s5, 1, v16
	s_and_b32 s2, s2, s3
	s_wait_alu 0xfffe
	s_or_b32 s3, s2, s4
	v_cmp_ne_u16_e64 s2, 0, v14
	s_wait_alu 0xfffe
	s_and_b32 s3, s3, s5
	s_wait_alu 0xfffe
	s_xor_b32 s3, s3, -1
	s_wait_alu 0xfffe
	s_and_b32 s3, s3, s2
	s_wait_alu 0xfffe
	s_and_saveexec_b32 s2, s3
	s_cbranch_execz .LBB71_51
; %bb.50:
	ds_load_b128 v[14:17], v21
	v_lshlrev_b16 v13, 8, v13
	v_alignbit_b32 v5, v5, v5, 16
	s_delay_alu instid0(VALU_DEP_2)
	v_or_b32_e32 v13, 1, v13
	s_wait_dscnt 0x0
	v_dual_mov_b32 v18, v14 :: v_dual_mov_b32 v19, v15
	ds_store_b32 v1, v5
	ds_store_b128 v21, v[16:19]
	ds_store_b16 v4, v13
.LBB71_51:
	s_wait_alu 0xfffe
	s_or_b32 exec_lo, exec_lo, s2
	s_wait_loadcnt_dscnt 0x0
	s_barrier_signal -1
	s_barrier_wait -1
	global_inv scope:SCOPE_SE
	s_and_saveexec_b32 s2, vcc_lo
	s_cbranch_execz .LBB71_56
; %bb.52:
	s_and_saveexec_b32 s2, s0
	s_cbranch_execz .LBB71_54
; %bb.53:
	v_mad_co_u64_u32 v[4:5], null, s8, v2, 0
	v_mad_co_u64_u32 v[13:14], null, s10, v2, 0
	s_delay_alu instid0(VALU_DEP_2) | instskip(NEXT) | instid1(VALU_DEP_2)
	v_mov_b32_e32 v1, v5
	v_mov_b32_e32 v5, v14
	s_delay_alu instid0(VALU_DEP_2) | instskip(NEXT) | instid1(VALU_DEP_2)
	v_mad_co_u64_u32 v[14:15], null, s9, v2, v[1:2]
	v_mad_co_u64_u32 v[1:2], null, s11, v2, v[5:6]
	ds_load_u16 v15, v11
	ds_load_b64 v[11:12], v12
	v_dual_mov_b32 v5, v14 :: v_dual_mov_b32 v14, v1
	s_delay_alu instid0(VALU_DEP_1) | instskip(NEXT) | instid1(VALU_DEP_2)
	v_lshlrev_b64_e32 v[1:2], 1, v[4:5]
	v_lshlrev_b64_e32 v[4:5], 3, v[13:14]
	s_delay_alu instid0(VALU_DEP_2) | instskip(SKIP_1) | instid1(VALU_DEP_3)
	v_add_co_u32 v1, vcc_lo, v3, v1
	s_wait_alu 0xfffd
	v_add_co_ci_u32_e64 v2, null, v8, v2, vcc_lo
	s_delay_alu instid0(VALU_DEP_3)
	v_add_co_u32 v4, vcc_lo, v9, v4
	s_wait_alu 0xfffd
	v_add_co_ci_u32_e64 v5, null, v10, v5, vcc_lo
	s_wait_dscnt 0x1
	global_store_b16 v[1:2], v15, off
	s_wait_dscnt 0x0
	global_store_b64 v[4:5], v[11:12], off
.LBB71_54:
	s_wait_alu 0xfffe
	s_or_b32 exec_lo, exec_lo, s2
	s_delay_alu instid0(SALU_CYCLE_1)
	s_and_b32 exec_lo, exec_lo, s1
	s_cbranch_execz .LBB71_56
; %bb.55:
	v_mad_co_u64_u32 v[1:2], null, s8, v0, 0
	v_mad_co_u64_u32 v[4:5], null, s10, v0, 0
	s_delay_alu instid0(VALU_DEP_2) | instskip(NEXT) | instid1(VALU_DEP_2)
	v_mad_co_u64_u32 v[11:12], null, s9, v0, v[2:3]
	v_mad_co_u64_u32 v[12:13], null, s11, v0, v[5:6]
	s_delay_alu instid0(VALU_DEP_2) | instskip(SKIP_4) | instid1(VALU_DEP_2)
	v_mov_b32_e32 v2, v11
	ds_load_u16 v11, v6
	ds_load_b64 v[6:7], v7
	v_mov_b32_e32 v5, v12
	v_lshlrev_b64_e32 v[0:1], 1, v[1:2]
	v_lshlrev_b64_e32 v[4:5], 3, v[4:5]
	s_delay_alu instid0(VALU_DEP_2) | instskip(SKIP_1) | instid1(VALU_DEP_3)
	v_add_co_u32 v0, vcc_lo, v3, v0
	s_wait_alu 0xfffd
	v_add_co_ci_u32_e64 v1, null, v8, v1, vcc_lo
	s_delay_alu instid0(VALU_DEP_3)
	v_add_co_u32 v2, vcc_lo, v9, v4
	s_wait_alu 0xfffd
	v_add_co_ci_u32_e64 v3, null, v10, v5, vcc_lo
	s_wait_dscnt 0x1
	global_store_b16 v[0:1], v11, off
	s_wait_dscnt 0x0
	global_store_b64 v[2:3], v[6:7], off
.LBB71_56:
	s_endpgm
	.section	.rodata,"a",@progbits
	.p2align	6, 0x0
	.amdhsa_kernel _ZN2at6native20bitonicSortKVInPlaceILin1ELin1ELi16ELi16EN3c108BFloat16ElNS0_4GTOpIS3_Lb1EEEmEEvNS_4cuda6detail10TensorInfoIT3_T6_EESA_SA_SA_NS8_IT4_SA_EESA_T5_
		.amdhsa_group_segment_fixed_size 5632
		.amdhsa_private_segment_fixed_size 0
		.amdhsa_kernarg_size 1128
		.amdhsa_user_sgpr_count 2
		.amdhsa_user_sgpr_dispatch_ptr 0
		.amdhsa_user_sgpr_queue_ptr 0
		.amdhsa_user_sgpr_kernarg_segment_ptr 1
		.amdhsa_user_sgpr_dispatch_id 0
		.amdhsa_user_sgpr_private_segment_size 0
		.amdhsa_wavefront_size32 1
		.amdhsa_uses_dynamic_stack 0
		.amdhsa_enable_private_segment 0
		.amdhsa_system_sgpr_workgroup_id_x 1
		.amdhsa_system_sgpr_workgroup_id_y 1
		.amdhsa_system_sgpr_workgroup_id_z 1
		.amdhsa_system_sgpr_workgroup_info 0
		.amdhsa_system_vgpr_workitem_id 1
		.amdhsa_next_free_vgpr 37
		.amdhsa_next_free_sgpr 31
		.amdhsa_reserve_vcc 1
		.amdhsa_float_round_mode_32 0
		.amdhsa_float_round_mode_16_64 0
		.amdhsa_float_denorm_mode_32 3
		.amdhsa_float_denorm_mode_16_64 3
		.amdhsa_fp16_overflow 0
		.amdhsa_workgroup_processor_mode 1
		.amdhsa_memory_ordered 1
		.amdhsa_forward_progress 1
		.amdhsa_inst_pref_size 59
		.amdhsa_round_robin_scheduling 0
		.amdhsa_exception_fp_ieee_invalid_op 0
		.amdhsa_exception_fp_denorm_src 0
		.amdhsa_exception_fp_ieee_div_zero 0
		.amdhsa_exception_fp_ieee_overflow 0
		.amdhsa_exception_fp_ieee_underflow 0
		.amdhsa_exception_fp_ieee_inexact 0
		.amdhsa_exception_int_div_zero 0
	.end_amdhsa_kernel
	.section	.text._ZN2at6native20bitonicSortKVInPlaceILin1ELin1ELi16ELi16EN3c108BFloat16ElNS0_4GTOpIS3_Lb1EEEmEEvNS_4cuda6detail10TensorInfoIT3_T6_EESA_SA_SA_NS8_IT4_SA_EESA_T5_,"axG",@progbits,_ZN2at6native20bitonicSortKVInPlaceILin1ELin1ELi16ELi16EN3c108BFloat16ElNS0_4GTOpIS3_Lb1EEEmEEvNS_4cuda6detail10TensorInfoIT3_T6_EESA_SA_SA_NS8_IT4_SA_EESA_T5_,comdat
.Lfunc_end71:
	.size	_ZN2at6native20bitonicSortKVInPlaceILin1ELin1ELi16ELi16EN3c108BFloat16ElNS0_4GTOpIS3_Lb1EEEmEEvNS_4cuda6detail10TensorInfoIT3_T6_EESA_SA_SA_NS8_IT4_SA_EESA_T5_, .Lfunc_end71-_ZN2at6native20bitonicSortKVInPlaceILin1ELin1ELi16ELi16EN3c108BFloat16ElNS0_4GTOpIS3_Lb1EEEmEEvNS_4cuda6detail10TensorInfoIT3_T6_EESA_SA_SA_NS8_IT4_SA_EESA_T5_
                                        ; -- End function
	.set _ZN2at6native20bitonicSortKVInPlaceILin1ELin1ELi16ELi16EN3c108BFloat16ElNS0_4GTOpIS3_Lb1EEEmEEvNS_4cuda6detail10TensorInfoIT3_T6_EESA_SA_SA_NS8_IT4_SA_EESA_T5_.num_vgpr, 37
	.set _ZN2at6native20bitonicSortKVInPlaceILin1ELin1ELi16ELi16EN3c108BFloat16ElNS0_4GTOpIS3_Lb1EEEmEEvNS_4cuda6detail10TensorInfoIT3_T6_EESA_SA_SA_NS8_IT4_SA_EESA_T5_.num_agpr, 0
	.set _ZN2at6native20bitonicSortKVInPlaceILin1ELin1ELi16ELi16EN3c108BFloat16ElNS0_4GTOpIS3_Lb1EEEmEEvNS_4cuda6detail10TensorInfoIT3_T6_EESA_SA_SA_NS8_IT4_SA_EESA_T5_.numbered_sgpr, 31
	.set _ZN2at6native20bitonicSortKVInPlaceILin1ELin1ELi16ELi16EN3c108BFloat16ElNS0_4GTOpIS3_Lb1EEEmEEvNS_4cuda6detail10TensorInfoIT3_T6_EESA_SA_SA_NS8_IT4_SA_EESA_T5_.num_named_barrier, 0
	.set _ZN2at6native20bitonicSortKVInPlaceILin1ELin1ELi16ELi16EN3c108BFloat16ElNS0_4GTOpIS3_Lb1EEEmEEvNS_4cuda6detail10TensorInfoIT3_T6_EESA_SA_SA_NS8_IT4_SA_EESA_T5_.private_seg_size, 0
	.set _ZN2at6native20bitonicSortKVInPlaceILin1ELin1ELi16ELi16EN3c108BFloat16ElNS0_4GTOpIS3_Lb1EEEmEEvNS_4cuda6detail10TensorInfoIT3_T6_EESA_SA_SA_NS8_IT4_SA_EESA_T5_.uses_vcc, 1
	.set _ZN2at6native20bitonicSortKVInPlaceILin1ELin1ELi16ELi16EN3c108BFloat16ElNS0_4GTOpIS3_Lb1EEEmEEvNS_4cuda6detail10TensorInfoIT3_T6_EESA_SA_SA_NS8_IT4_SA_EESA_T5_.uses_flat_scratch, 0
	.set _ZN2at6native20bitonicSortKVInPlaceILin1ELin1ELi16ELi16EN3c108BFloat16ElNS0_4GTOpIS3_Lb1EEEmEEvNS_4cuda6detail10TensorInfoIT3_T6_EESA_SA_SA_NS8_IT4_SA_EESA_T5_.has_dyn_sized_stack, 0
	.set _ZN2at6native20bitonicSortKVInPlaceILin1ELin1ELi16ELi16EN3c108BFloat16ElNS0_4GTOpIS3_Lb1EEEmEEvNS_4cuda6detail10TensorInfoIT3_T6_EESA_SA_SA_NS8_IT4_SA_EESA_T5_.has_recursion, 0
	.set _ZN2at6native20bitonicSortKVInPlaceILin1ELin1ELi16ELi16EN3c108BFloat16ElNS0_4GTOpIS3_Lb1EEEmEEvNS_4cuda6detail10TensorInfoIT3_T6_EESA_SA_SA_NS8_IT4_SA_EESA_T5_.has_indirect_call, 0
	.section	.AMDGPU.csdata,"",@progbits
; Kernel info:
; codeLenInByte = 7532
; TotalNumSgprs: 33
; NumVgprs: 37
; ScratchSize: 0
; MemoryBound: 0
; FloatMode: 240
; IeeeMode: 1
; LDSByteSize: 5632 bytes/workgroup (compile time only)
; SGPRBlocks: 0
; VGPRBlocks: 4
; NumSGPRsForWavesPerEU: 33
; NumVGPRsForWavesPerEU: 37
; Occupancy: 16
; WaveLimiterHint : 1
; COMPUTE_PGM_RSRC2:SCRATCH_EN: 0
; COMPUTE_PGM_RSRC2:USER_SGPR: 2
; COMPUTE_PGM_RSRC2:TRAP_HANDLER: 0
; COMPUTE_PGM_RSRC2:TGID_X_EN: 1
; COMPUTE_PGM_RSRC2:TGID_Y_EN: 1
; COMPUTE_PGM_RSRC2:TGID_Z_EN: 1
; COMPUTE_PGM_RSRC2:TIDIG_COMP_CNT: 1
	.section	.text._ZN2at6native20bitonicSortKVInPlaceILin2ELin1ELi16ELi16EblNS0_4LTOpIbLb1EEEjEEvNS_4cuda6detail10TensorInfoIT3_T6_EES8_S8_S8_NS6_IT4_S8_EES8_T5_,"axG",@progbits,_ZN2at6native20bitonicSortKVInPlaceILin2ELin1ELi16ELi16EblNS0_4LTOpIbLb1EEEjEEvNS_4cuda6detail10TensorInfoIT3_T6_EES8_S8_S8_NS6_IT4_S8_EES8_T5_,comdat
	.protected	_ZN2at6native20bitonicSortKVInPlaceILin2ELin1ELi16ELi16EblNS0_4LTOpIbLb1EEEjEEvNS_4cuda6detail10TensorInfoIT3_T6_EES8_S8_S8_NS6_IT4_S8_EES8_T5_ ; -- Begin function _ZN2at6native20bitonicSortKVInPlaceILin2ELin1ELi16ELi16EblNS0_4LTOpIbLb1EEEjEEvNS_4cuda6detail10TensorInfoIT3_T6_EES8_S8_S8_NS6_IT4_S8_EES8_T5_
	.globl	_ZN2at6native20bitonicSortKVInPlaceILin2ELin1ELi16ELi16EblNS0_4LTOpIbLb1EEEjEEvNS_4cuda6detail10TensorInfoIT3_T6_EES8_S8_S8_NS6_IT4_S8_EES8_T5_
	.p2align	8
	.type	_ZN2at6native20bitonicSortKVInPlaceILin2ELin1ELi16ELi16EblNS0_4LTOpIbLb1EEEjEEvNS_4cuda6detail10TensorInfoIT3_T6_EES8_S8_S8_NS6_IT4_S8_EES8_T5_,@function
_ZN2at6native20bitonicSortKVInPlaceILin2ELin1ELi16ELi16EblNS0_4LTOpIbLb1EEEjEEvNS_4cuda6detail10TensorInfoIT3_T6_EES8_S8_S8_NS6_IT4_S8_EES8_T5_: ; @_ZN2at6native20bitonicSortKVInPlaceILin2ELin1ELi16ELi16EblNS0_4LTOpIbLb1EEEjEEvNS_4cuda6detail10TensorInfoIT3_T6_EES8_S8_S8_NS6_IT4_S8_EES8_T5_
; %bb.0:
	s_clause 0x2
	s_load_b64 s[2:3], s[0:1], 0x1c8
	s_load_u16 s7, s[0:1], 0x1d6
	s_load_b96 s[4:6], s[0:1], 0xd8
	s_lshr_b32 s8, ttmp7, 16
	s_wait_kmcnt 0x0
	s_mul_i32 s3, s3, s8
	s_and_b32 s8, ttmp7, 0xffff
	s_delay_alu instid0(SALU_CYCLE_1) | instskip(NEXT) | instid1(SALU_CYCLE_1)
	s_add_co_i32 s3, s3, s8
	s_mul_i32 s2, s3, s2
	s_delay_alu instid0(SALU_CYCLE_1) | instskip(NEXT) | instid1(SALU_CYCLE_1)
	s_add_co_i32 s2, s2, ttmp9
	s_mul_i32 s2, s2, s7
	s_delay_alu instid0(SALU_CYCLE_1)
	s_cmp_ge_u32 s2, s4
	s_cbranch_scc1 .LBB72_43
; %bb.1:
	s_clause 0x1
	s_load_b32 s7, s[0:1], 0x1b8
	s_load_b64 s[8:9], s[0:1], 0x0
	v_bfe_u32 v8, v0, 10, 10
	s_delay_alu instid0(VALU_DEP_1) | instskip(SKIP_2) | instid1(VALU_DEP_2)
	v_add_nc_u32_e32 v3, s2, v8
	v_mov_b32_e32 v1, 0
	s_add_nc_u64 s[2:3], s[0:1], 0xe8
	v_mov_b32_e32 v4, v3
	s_wait_kmcnt 0x0
	s_cmp_lt_i32 s7, 2
	s_cbranch_scc1 .LBB72_4
; %bb.2:
	s_add_co_i32 s10, s7, -1
	s_mov_b32 s11, 0
	v_dual_mov_b32 v1, 0 :: v_dual_mov_b32 v4, v3
	s_lshl_b64 s[10:11], s[10:11], 2
	s_add_co_i32 s7, s7, 1
	s_wait_alu 0xfffe
	s_add_nc_u64 s[10:11], s[2:3], s[10:11]
	s_delay_alu instid0(SALU_CYCLE_1)
	s_add_nc_u64 s[10:11], s[10:11], 8
.LBB72_3:                               ; =>This Inner Loop Header: Depth=1
	s_clause 0x1
	s_load_b32 s12, s[10:11], 0x0
	s_load_b32 s13, s[10:11], 0x64
	s_add_co_i32 s7, s7, -1
	s_add_nc_u64 s[10:11], s[10:11], -4
	s_wait_kmcnt 0x0
	s_cvt_f32_u32 s14, s12
	s_sub_co_i32 s15, 0, s12
	s_wait_alu 0xfffe
	s_delay_alu instid0(SALU_CYCLE_1) | instskip(NEXT) | instid1(TRANS32_DEP_1)
	v_rcp_iflag_f32_e32 v2, s14
	v_readfirstlane_b32 s14, v2
	v_mov_b32_e32 v2, v4
	s_mul_f32 s14, s14, 0x4f7ffffe
	s_wait_alu 0xfffe
	s_delay_alu instid0(SALU_CYCLE_2) | instskip(SKIP_1) | instid1(SALU_CYCLE_2)
	s_cvt_u32_f32 s14, s14
	s_wait_alu 0xfffe
	s_mul_i32 s15, s15, s14
	s_wait_alu 0xfffe
	s_mul_hi_u32 s15, s14, s15
	s_wait_alu 0xfffe
	s_add_co_i32 s14, s14, s15
	s_cmp_gt_u32 s7, 2
	s_wait_alu 0xfffe
	v_mul_hi_u32 v4, v2, s14
	s_delay_alu instid0(VALU_DEP_1) | instskip(SKIP_1) | instid1(VALU_DEP_2)
	v_mul_lo_u32 v5, v4, s12
	v_add_nc_u32_e32 v6, 1, v4
	v_sub_nc_u32_e32 v5, v2, v5
	s_delay_alu instid0(VALU_DEP_1) | instskip(SKIP_2) | instid1(VALU_DEP_2)
	v_subrev_nc_u32_e32 v7, s12, v5
	v_cmp_le_u32_e32 vcc_lo, s12, v5
	s_wait_alu 0xfffd
	v_dual_cndmask_b32 v4, v4, v6 :: v_dual_cndmask_b32 v5, v5, v7
	s_delay_alu instid0(VALU_DEP_1) | instskip(NEXT) | instid1(VALU_DEP_2)
	v_add_nc_u32_e32 v6, 1, v4
	v_cmp_le_u32_e32 vcc_lo, s12, v5
	s_wait_alu 0xfffd
	s_delay_alu instid0(VALU_DEP_2) | instskip(NEXT) | instid1(VALU_DEP_1)
	v_cndmask_b32_e32 v4, v4, v6, vcc_lo
	v_mul_lo_u32 v5, v4, s12
	s_delay_alu instid0(VALU_DEP_1) | instskip(NEXT) | instid1(VALU_DEP_1)
	v_sub_nc_u32_e32 v2, v2, v5
	v_mad_co_u64_u32 v[1:2], null, s13, v2, v[1:2]
	s_cbranch_scc1 .LBB72_3
.LBB72_4:
	s_load_b32 s13, s[0:1], 0x6c
	s_add_nc_u64 s[10:11], s[0:1], 0x1c8
	s_load_b32 s14, s[2:3], 0x6c
	s_load_b32 s12, s[10:11], 0xc
	s_clause 0x1
	s_load_b32 s7, s[0:1], 0x1c0
	s_load_b64 s[10:11], s[2:3], 0x0
	v_and_b32_e32 v6, 0x3ff, v0
	v_cmp_gt_u32_e64 s0, s4, v3
	v_dual_mov_b32 v10, 0 :: v_dual_mov_b32 v11, 0
	s_wait_kmcnt 0x0
	v_mad_co_u64_u32 v[1:2], null, s14, v4, v[1:2]
	v_mul_lo_u32 v0, s13, v3
	v_mov_b32_e32 v2, 0
	v_mov_b32_e32 v3, 0
	v_cmp_gt_u32_e32 vcc_lo, s5, v6
	v_mov_b32_e32 v4, 0
	v_mov_b32_e32 v5, 0
	s_and_b32 s2, s0, vcc_lo
	s_wait_alu 0xfffe
	s_and_saveexec_b32 s3, s2
	s_cbranch_execz .LBB72_6
; %bb.5:
	v_mad_co_u64_u32 v[4:5], null, v6, s7, v[1:2]
	v_mov_b32_e32 v5, 0
	v_mad_co_u64_u32 v[11:12], null, v6, s6, v[0:1]
	s_delay_alu instid0(VALU_DEP_2) | instskip(NEXT) | instid1(VALU_DEP_1)
	v_lshlrev_b64_e32 v[4:5], 3, v[4:5]
	v_add_co_u32 v4, s1, s10, v4
	s_delay_alu instid0(VALU_DEP_1)
	v_add_co_ci_u32_e64 v5, null, s11, v5, s1
	global_load_u8 v11, v11, s[8:9]
	global_load_b64 v[4:5], v[4:5], off
.LBB72_6:
	s_wait_alu 0xfffe
	s_or_b32 exec_lo, exec_lo, s3
	v_lshlrev_b32_e32 v9, 5, v8
	s_and_b32 s3, 0xffff, s12
	v_lshlrev_b32_e32 v12, 8, v8
	s_wait_alu 0xfffe
	v_add_nc_u32_e32 v7, s3, v6
	v_cndmask_b32_e64 v14, 0, 1, s2
	v_add_nc_u32_e32 v13, 0x1000, v9
	v_add_nc_u32_e32 v15, 0x1200, v9
	v_lshl_add_u32 v8, v6, 3, v12
	v_cmp_gt_u32_e64 s1, s5, v7
	s_delay_alu instid0(VALU_DEP_4) | instskip(NEXT) | instid1(VALU_DEP_4)
	v_add_nc_u32_e32 v9, v13, v6
	v_add_nc_u32_e32 v16, v15, v6
	s_wait_loadcnt 0x1
	ds_store_b8 v9, v11
	s_wait_loadcnt 0x0
	ds_store_b64 v8, v[4:5]
	ds_store_b8 v16, v14
	s_and_b32 s4, s0, s1
	s_wait_alu 0xfffe
	s_and_saveexec_b32 s5, s4
	s_cbranch_execz .LBB72_8
; %bb.7:
	v_mad_co_u64_u32 v[2:3], null, v7, s7, v[1:2]
	v_mov_b32_e32 v3, 0
	v_mad_co_u64_u32 v[4:5], null, v7, s6, v[0:1]
	s_delay_alu instid0(VALU_DEP_2) | instskip(NEXT) | instid1(VALU_DEP_1)
	v_lshlrev_b64_e32 v[2:3], 3, v[2:3]
	v_add_co_u32 v2, s2, s10, v2
	s_wait_alu 0xf1ff
	s_delay_alu instid0(VALU_DEP_2)
	v_add_co_ci_u32_e64 v3, null, s11, v3, s2
	global_load_u8 v10, v4, s[8:9]
	global_load_b64 v[2:3], v[2:3], off
.LBB72_8:
	s_wait_alu 0xfffe
	s_or_b32 exec_lo, exec_lo, s5
	v_add_nc_u32_e32 v4, v13, v7
	v_lshlrev_b32_e32 v16, 1, v6
	v_lshl_add_u32 v5, s3, 3, v8
	v_cndmask_b32_e64 v11, 0, 1, s4
	v_add_nc_u32_e32 v14, v15, v7
	s_wait_loadcnt 0x1
	ds_store_b8 v4, v10
	s_wait_loadcnt 0x0
	ds_store_b64 v5, v[2:3]
	ds_store_b8 v14, v11
	v_add_nc_u32_e32 v2, v13, v16
	v_add_nc_u32_e32 v3, v15, v16
	s_wait_dscnt 0x0
	s_barrier_signal -1
	s_barrier_wait -1
	global_inv scope:SCOPE_SE
	ds_load_u16 v18, v2
	ds_load_u16 v14, v3
	v_and_b32_e32 v10, 1, v6
	s_wait_dscnt 0x1
	v_and_b32_e32 v17, 0xff, v18
	s_wait_dscnt 0x0
	v_lshrrev_b16 v11, 8, v14
	v_lshrrev_b16 v19, 8, v18
	v_and_b32_e32 v20, 1, v14
	s_delay_alu instid0(VALU_DEP_3) | instskip(NEXT) | instid1(VALU_DEP_3)
	v_cmp_ne_u16_e64 s4, v11, v10
	v_cmp_lt_u16_e64 s2, v17, v19
	s_delay_alu instid0(VALU_DEP_3) | instskip(SKIP_1) | instid1(VALU_DEP_3)
	v_cmp_eq_u32_e64 s3, 1, v20
	s_wait_alu 0xf1ff
	v_cndmask_b32_e64 v17, 0, 1, s4
	s_and_b32 s2, s2, s3
	s_wait_alu 0xfffe
	s_delay_alu instid0(VALU_DEP_1) | instskip(NEXT) | instid1(VALU_DEP_1)
	v_cndmask_b32_e64 v17, v17, v6, s2
	v_and_b32_e32 v17, 1, v17
	s_delay_alu instid0(VALU_DEP_1)
	v_cmp_eq_u32_e64 s2, 1, v17
	v_lshl_add_u32 v17, v6, 3, v8
	s_and_saveexec_b32 s3, s2
	s_wait_alu 0xfffe
	s_xor_b32 s2, exec_lo, s3
	s_cbranch_execz .LBB72_10
; %bb.9:
	ds_load_b128 v[20:23], v17
	v_lshlrev_b16 v18, 8, v18
	v_lshlrev_b16 v14, 8, v14
	s_delay_alu instid0(VALU_DEP_2) | instskip(NEXT) | instid1(VALU_DEP_2)
	v_or_b32_e32 v24, v19, v18
	v_or_b32_e32 v11, v11, v14
	s_wait_dscnt 0x0
	v_dual_mov_b32 v18, v22 :: v_dual_mov_b32 v19, v23
	ds_store_b16 v2, v24
	ds_store_b128 v17, v[18:21]
	ds_store_b16 v3, v11
.LBB72_10:
	s_wait_alu 0xfffe
	s_or_b32 exec_lo, exec_lo, s2
	v_sub_nc_u32_e32 v14, v16, v10
	s_wait_loadcnt_dscnt 0x0
	s_barrier_signal -1
	s_barrier_wait -1
	global_inv scope:SCOPE_SE
	v_add_nc_u32_e32 v10, v15, v14
	v_add_nc_u32_e32 v11, v13, v14
	v_bfe_u32 v23, v6, 1, 1
	v_lshl_add_u32 v14, v14, 3, v12
	ds_load_u8 v19, v10
	ds_load_u8 v20, v11
	ds_load_u8 v22, v11 offset:2
	ds_load_u8 v21, v10 offset:2
	s_wait_dscnt 0x3
	v_and_b32_e32 v18, 1, v19
	s_wait_dscnt 0x1
	v_cmp_lt_u16_e64 s2, v20, v22
	s_wait_dscnt 0x0
	v_cmp_ne_u16_e64 s4, v21, v23
	v_cmp_eq_u32_e64 s3, 1, v18
	s_wait_alu 0xf1ff
	s_delay_alu instid0(VALU_DEP_2) | instskip(SKIP_2) | instid1(VALU_DEP_1)
	v_cndmask_b32_e64 v18, 0, 1, s4
	s_and_b32 s2, s2, s3
	s_wait_alu 0xfffe
	v_cndmask_b32_e64 v23, v18, v23, s2
	v_and_b32_e32 v18, 2, v6
	s_delay_alu instid0(VALU_DEP_2) | instskip(NEXT) | instid1(VALU_DEP_2)
	v_and_b32_e32 v23, 1, v23
	v_cmp_ne_u32_e64 s2, 0, v18
	s_delay_alu instid0(VALU_DEP_2)
	v_cmp_eq_u32_e64 s3, 1, v23
	s_and_saveexec_b32 s4, s3
	s_wait_alu 0xfffe
	s_xor_b32 s3, exec_lo, s4
	s_cbranch_execz .LBB72_12
; %bb.11:
	ds_load_2addr_b64 v[23:26], v14 offset1:2
	s_wait_dscnt 0x0
	ds_store_2addr_b64 v14, v[25:26], v[23:24] offset1:2
	ds_store_b8 v11, v22
	ds_store_b8 v11, v20 offset:2
	ds_store_b8 v10, v21
	ds_store_b8 v10, v19 offset:2
.LBB72_12:
	s_wait_alu 0xfffe
	s_or_b32 exec_lo, exec_lo, s3
	s_wait_loadcnt_dscnt 0x0
	s_barrier_signal -1
	s_barrier_wait -1
	global_inv scope:SCOPE_SE
	ds_load_u16 v20, v2
	ds_load_u16 v19, v3
	v_lshrrev_b32_e32 v22, 1, v18
	v_cndmask_b32_e64 v25, 0, 1, s2
	s_wait_dscnt 0x1
	v_and_b32_e32 v23, 0xff, v20
	s_wait_dscnt 0x0
	v_lshrrev_b16 v18, 8, v19
	v_lshrrev_b16 v21, 8, v20
	v_and_b32_e32 v24, 1, v19
	s_delay_alu instid0(VALU_DEP_3) | instskip(NEXT) | instid1(VALU_DEP_3)
	v_cmp_ne_u16_e64 s4, v18, v22
	v_cmp_lt_u16_e64 s2, v23, v21
	s_delay_alu instid0(VALU_DEP_3) | instskip(SKIP_1) | instid1(VALU_DEP_3)
	v_cmp_eq_u32_e64 s3, 1, v24
	s_wait_alu 0xf1ff
	v_cndmask_b32_e64 v22, 0, 1, s4
	s_and_b32 s2, s2, s3
	s_mov_b32 s3, exec_lo
	s_wait_alu 0xfffe
	s_delay_alu instid0(VALU_DEP_1) | instskip(NEXT) | instid1(VALU_DEP_1)
	v_cndmask_b32_e64 v22, v22, v25, s2
	v_and_b32_e32 v22, 1, v22
	s_delay_alu instid0(VALU_DEP_1)
	v_cmpx_eq_u32_e32 1, v22
	s_cbranch_execz .LBB72_14
; %bb.13:
	ds_load_b128 v[22:25], v17
	v_lshlrev_b16 v20, 8, v20
	v_lshlrev_b16 v26, 8, v19
	s_delay_alu instid0(VALU_DEP_2) | instskip(NEXT) | instid1(VALU_DEP_2)
	v_or_b32_e32 v27, v21, v20
	v_or_b32_e32 v18, v18, v26
	s_wait_dscnt 0x0
	v_dual_mov_b32 v19, v24 :: v_dual_mov_b32 v20, v25
	v_dual_mov_b32 v21, v22 :: v_dual_mov_b32 v22, v23
	ds_store_b16 v2, v27
	ds_store_b128 v17, v[19:22]
	ds_store_b16 v3, v18
.LBB72_14:
	s_or_b32 exec_lo, exec_lo, s3
	v_and_b32_e32 v17, 3, v6
	s_wait_loadcnt_dscnt 0x0
	s_barrier_signal -1
	s_barrier_wait -1
	global_inv scope:SCOPE_SE
	v_sub_nc_u32_e32 v20, v16, v17
	v_bfe_u32 v25, v6, 2, 1
	s_delay_alu instid0(VALU_DEP_2)
	v_add_nc_u32_e32 v17, v15, v20
	v_add_nc_u32_e32 v18, v13, v20
	v_lshl_add_u32 v20, v20, 3, v12
	ds_load_u8 v21, v17
	ds_load_u8 v22, v18
	ds_load_u8 v24, v18 offset:4
	ds_load_u8 v23, v17 offset:4
	s_wait_dscnt 0x3
	v_and_b32_e32 v19, 1, v21
	s_wait_dscnt 0x1
	v_cmp_lt_u16_e64 s2, v22, v24
	s_wait_dscnt 0x0
	v_cmp_ne_u16_e64 s4, v23, v25
	v_cmp_eq_u32_e64 s3, 1, v19
	s_wait_alu 0xf1ff
	s_delay_alu instid0(VALU_DEP_2) | instskip(SKIP_3) | instid1(VALU_DEP_1)
	v_cndmask_b32_e64 v19, 0, 1, s4
	s_mov_b32 s4, exec_lo
	s_and_b32 s2, s2, s3
	s_wait_alu 0xfffe
	v_cndmask_b32_e64 v25, v19, v25, s2
	v_and_b32_e32 v19, 4, v6
	s_delay_alu instid0(VALU_DEP_2) | instskip(NEXT) | instid1(VALU_DEP_2)
	v_and_b32_e32 v25, 1, v25
	v_cmp_ne_u32_e64 s2, 0, v19
	s_delay_alu instid0(VALU_DEP_2)
	v_cmpx_eq_u32_e32 1, v25
	s_cbranch_execz .LBB72_16
; %bb.15:
	ds_load_2addr_b64 v[25:28], v20 offset1:4
	s_wait_dscnt 0x0
	ds_store_2addr_b64 v20, v[27:28], v[25:26] offset1:4
	ds_store_b8 v18, v24
	ds_store_b8 v18, v22 offset:4
	ds_store_b8 v17, v23
	ds_store_b8 v17, v21 offset:4
.LBB72_16:
	s_or_b32 exec_lo, exec_lo, s4
	s_wait_loadcnt_dscnt 0x0
	s_barrier_signal -1
	s_barrier_wait -1
	global_inv scope:SCOPE_SE
	ds_load_u8 v22, v10
	ds_load_u8 v23, v11
	ds_load_u8 v25, v11 offset:2
	ds_load_u8 v24, v10 offset:2
	v_lshrrev_b32_e32 v19, 2, v19
	v_cndmask_b32_e64 v21, 0, 1, s2
	s_wait_dscnt 0x3
	v_and_b32_e32 v26, 1, v22
	s_wait_dscnt 0x1
	v_cmp_lt_u16_e64 s2, v23, v25
	s_wait_dscnt 0x0
	v_cmp_ne_u16_e64 s4, v24, v19
	v_cmp_eq_u32_e64 s3, 1, v26
	s_wait_alu 0xf1ff
	s_delay_alu instid0(VALU_DEP_2) | instskip(SKIP_3) | instid1(VALU_DEP_1)
	v_cndmask_b32_e64 v26, 0, 1, s4
	s_and_b32 s2, s2, s3
	s_mov_b32 s3, exec_lo
	s_wait_alu 0xfffe
	v_cndmask_b32_e64 v26, v26, v21, s2
	s_delay_alu instid0(VALU_DEP_1) | instskip(NEXT) | instid1(VALU_DEP_1)
	v_and_b32_e32 v26, 1, v26
	v_cmpx_eq_u32_e32 1, v26
	s_cbranch_execz .LBB72_18
; %bb.17:
	ds_load_2addr_b64 v[26:29], v14 offset1:2
	s_wait_dscnt 0x0
	ds_store_2addr_b64 v14, v[28:29], v[26:27] offset1:2
	ds_store_b8 v11, v25
	ds_store_b8 v11, v23 offset:2
	ds_store_b8 v10, v24
	ds_store_b8 v10, v22 offset:2
.LBB72_18:
	s_or_b32 exec_lo, exec_lo, s3
	s_wait_loadcnt_dscnt 0x0
	s_barrier_signal -1
	s_barrier_wait -1
	global_inv scope:SCOPE_SE
	ds_load_u16 v25, v2
	ds_load_u16 v23, v3
	s_wait_dscnt 0x1
	v_and_b32_e32 v26, 0xff, v25
	s_wait_dscnt 0x0
	v_lshrrev_b16 v22, 8, v23
	v_lshrrev_b16 v24, 8, v25
	v_and_b32_e32 v27, 1, v23
	s_delay_alu instid0(VALU_DEP_3) | instskip(NEXT) | instid1(VALU_DEP_3)
	v_cmp_ne_u16_e64 s4, v22, v19
	v_cmp_lt_u16_e64 s2, v26, v24
	s_delay_alu instid0(VALU_DEP_3) | instskip(SKIP_1) | instid1(VALU_DEP_3)
	v_cmp_eq_u32_e64 s3, 1, v27
	s_wait_alu 0xf1ff
	v_cndmask_b32_e64 v19, 0, 1, s4
	s_and_b32 s2, s2, s3
	s_wait_alu 0xfffe
	s_delay_alu instid0(VALU_DEP_1) | instskip(NEXT) | instid1(VALU_DEP_1)
	v_cndmask_b32_e64 v19, v19, v21, s2
	v_and_b32_e32 v19, 1, v19
	s_delay_alu instid0(VALU_DEP_1)
	v_cmp_eq_u32_e64 s2, 1, v19
	v_lshl_add_u32 v19, v16, 3, v12
	s_and_saveexec_b32 s3, s2
	s_cbranch_execz .LBB72_20
; %bb.19:
	ds_load_b128 v[26:29], v19
	v_lshlrev_b16 v21, 8, v25
	v_lshlrev_b16 v30, 8, v23
	s_delay_alu instid0(VALU_DEP_2) | instskip(NEXT) | instid1(VALU_DEP_2)
	v_or_b32_e32 v21, v24, v21
	v_or_b32_e32 v22, v22, v30
	s_wait_dscnt 0x0
	v_dual_mov_b32 v23, v28 :: v_dual_mov_b32 v24, v29
	v_dual_mov_b32 v25, v26 :: v_dual_mov_b32 v26, v27
	ds_store_b16 v2, v21
	ds_store_b128 v19, v[23:26]
	ds_store_b16 v3, v22
.LBB72_20:
	s_wait_alu 0xfffe
	s_or_b32 exec_lo, exec_lo, s3
	v_and_b32_e32 v21, 7, v6
	s_wait_loadcnt_dscnt 0x0
	s_barrier_signal -1
	s_barrier_wait -1
	global_inv scope:SCOPE_SE
	v_sub_nc_u32_e32 v23, v16, v21
	v_bfe_u32 v29, v6, 3, 1
	s_delay_alu instid0(VALU_DEP_2)
	v_add_nc_u32_e32 v21, v15, v23
	v_add_nc_u32_e32 v22, v13, v23
	v_lshl_add_u32 v23, v23, 3, v12
	ds_load_u8 v25, v21
	ds_load_u8 v26, v22
	ds_load_u8 v28, v22 offset:8
	ds_load_u8 v27, v21 offset:8
	s_wait_dscnt 0x3
	v_and_b32_e32 v24, 1, v25
	s_wait_dscnt 0x1
	v_cmp_lt_u16_e64 s2, v26, v28
	s_wait_dscnt 0x0
	v_cmp_ne_u16_e64 s4, v27, v29
	v_cmp_eq_u32_e64 s3, 1, v24
	s_wait_alu 0xf1ff
	s_delay_alu instid0(VALU_DEP_2) | instskip(SKIP_3) | instid1(VALU_DEP_1)
	v_cndmask_b32_e64 v24, 0, 1, s4
	s_mov_b32 s4, exec_lo
	s_and_b32 s2, s2, s3
	s_wait_alu 0xfffe
	v_cndmask_b32_e64 v29, v24, v29, s2
	v_and_b32_e32 v24, 8, v6
	s_delay_alu instid0(VALU_DEP_2) | instskip(NEXT) | instid1(VALU_DEP_2)
	v_and_b32_e32 v29, 1, v29
	v_cmp_ne_u32_e64 s2, 0, v24
	s_delay_alu instid0(VALU_DEP_2)
	v_cmpx_eq_u32_e32 1, v29
	s_cbranch_execz .LBB72_22
; %bb.21:
	ds_load_2addr_b64 v[29:32], v23 offset1:8
	s_wait_dscnt 0x0
	ds_store_2addr_b64 v23, v[31:32], v[29:30] offset1:8
	ds_store_b8 v22, v28
	ds_store_b8 v22, v26 offset:8
	ds_store_b8 v21, v27
	ds_store_b8 v21, v25 offset:8
.LBB72_22:
	s_or_b32 exec_lo, exec_lo, s4
	s_wait_loadcnt_dscnt 0x0
	s_barrier_signal -1
	s_barrier_wait -1
	global_inv scope:SCOPE_SE
	ds_load_u8 v26, v17
	ds_load_u8 v27, v18
	ds_load_u8 v29, v18 offset:4
	ds_load_u8 v28, v17 offset:4
	v_lshrrev_b32_e32 v24, 3, v24
	v_cndmask_b32_e64 v25, 0, 1, s2
	s_wait_dscnt 0x3
	v_and_b32_e32 v30, 1, v26
	s_wait_dscnt 0x1
	v_cmp_lt_u16_e64 s2, v27, v29
	s_wait_dscnt 0x0
	v_cmp_ne_u16_e64 s4, v28, v24
	v_cmp_eq_u32_e64 s3, 1, v30
	s_wait_alu 0xf1ff
	s_delay_alu instid0(VALU_DEP_2) | instskip(SKIP_3) | instid1(VALU_DEP_1)
	v_cndmask_b32_e64 v30, 0, 1, s4
	s_and_b32 s2, s2, s3
	s_mov_b32 s3, exec_lo
	s_wait_alu 0xfffe
	v_cndmask_b32_e64 v30, v30, v25, s2
	s_delay_alu instid0(VALU_DEP_1) | instskip(NEXT) | instid1(VALU_DEP_1)
	v_and_b32_e32 v30, 1, v30
	v_cmpx_eq_u32_e32 1, v30
	s_cbranch_execz .LBB72_24
; %bb.23:
	ds_load_2addr_b64 v[30:33], v20 offset1:4
	s_wait_dscnt 0x0
	ds_store_2addr_b64 v20, v[32:33], v[30:31] offset1:4
	ds_store_b8 v18, v29
	ds_store_b8 v18, v27 offset:4
	ds_store_b8 v17, v28
	ds_store_b8 v17, v26 offset:4
.LBB72_24:
	s_or_b32 exec_lo, exec_lo, s3
	s_wait_loadcnt_dscnt 0x0
	s_barrier_signal -1
	s_barrier_wait -1
	global_inv scope:SCOPE_SE
	ds_load_u8 v26, v10
	ds_load_u8 v27, v11
	ds_load_u8 v29, v11 offset:2
	ds_load_u8 v28, v10 offset:2
	s_wait_dscnt 0x3
	v_and_b32_e32 v30, 1, v26
	s_wait_dscnt 0x1
	v_cmp_lt_u16_e64 s2, v27, v29
	s_wait_dscnt 0x0
	v_cmp_ne_u16_e64 s4, v28, v24
	v_cmp_eq_u32_e64 s3, 1, v30
	s_wait_alu 0xf1ff
	s_delay_alu instid0(VALU_DEP_2) | instskip(SKIP_3) | instid1(VALU_DEP_1)
	v_cndmask_b32_e64 v30, 0, 1, s4
	s_and_b32 s2, s2, s3
	s_mov_b32 s3, exec_lo
	s_wait_alu 0xfffe
	v_cndmask_b32_e64 v30, v30, v25, s2
	s_delay_alu instid0(VALU_DEP_1) | instskip(NEXT) | instid1(VALU_DEP_1)
	v_and_b32_e32 v30, 1, v30
	v_cmpx_eq_u32_e32 1, v30
	s_cbranch_execz .LBB72_26
; %bb.25:
	ds_load_2addr_b64 v[30:33], v14 offset1:2
	s_wait_dscnt 0x0
	ds_store_2addr_b64 v14, v[32:33], v[30:31] offset1:2
	ds_store_b8 v11, v29
	ds_store_b8 v11, v27 offset:2
	ds_store_b8 v10, v28
	ds_store_b8 v10, v26 offset:2
.LBB72_26:
	s_or_b32 exec_lo, exec_lo, s3
	s_wait_loadcnt_dscnt 0x0
	s_barrier_signal -1
	s_barrier_wait -1
	global_inv scope:SCOPE_SE
	ds_load_u16 v29, v2
	ds_load_u16 v27, v3
	s_wait_dscnt 0x1
	v_and_b32_e32 v30, 0xff, v29
	s_wait_dscnt 0x0
	v_lshrrev_b16 v26, 8, v27
	v_lshrrev_b16 v28, 8, v29
	v_and_b32_e32 v31, 1, v27
	s_delay_alu instid0(VALU_DEP_3) | instskip(NEXT) | instid1(VALU_DEP_3)
	v_cmp_ne_u16_e64 s4, v26, v24
	v_cmp_lt_u16_e64 s2, v30, v28
	s_delay_alu instid0(VALU_DEP_3) | instskip(SKIP_1) | instid1(VALU_DEP_3)
	v_cmp_eq_u32_e64 s3, 1, v31
	s_wait_alu 0xf1ff
	v_cndmask_b32_e64 v24, 0, 1, s4
	s_and_b32 s2, s2, s3
	s_mov_b32 s3, exec_lo
	s_wait_alu 0xfffe
	s_delay_alu instid0(VALU_DEP_1) | instskip(NEXT) | instid1(VALU_DEP_1)
	v_cndmask_b32_e64 v24, v24, v25, s2
	v_and_b32_e32 v24, 1, v24
	s_delay_alu instid0(VALU_DEP_1)
	v_cmpx_eq_u32_e32 1, v24
	s_cbranch_execz .LBB72_28
; %bb.27:
	ds_load_b128 v[30:33], v19
	v_lshlrev_b16 v24, 8, v29
	v_lshlrev_b16 v25, 8, v27
	s_delay_alu instid0(VALU_DEP_2) | instskip(NEXT) | instid1(VALU_DEP_2)
	v_or_b32_e32 v24, v28, v24
	v_or_b32_e32 v25, v26, v25
	s_wait_dscnt 0x0
	v_dual_mov_b32 v27, v32 :: v_dual_mov_b32 v28, v33
	v_dual_mov_b32 v29, v30 :: v_dual_mov_b32 v30, v31
	ds_store_b16 v2, v24
	ds_store_b128 v19, v[27:30]
	ds_store_b16 v3, v25
.LBB72_28:
	s_or_b32 exec_lo, exec_lo, s3
	v_and_b32_e32 v24, 15, v6
	s_wait_loadcnt_dscnt 0x0
	s_barrier_signal -1
	s_barrier_wait -1
	global_inv scope:SCOPE_SE
	v_sub_nc_u32_e32 v16, v16, v24
	s_delay_alu instid0(VALU_DEP_1)
	v_add_nc_u32_e32 v15, v15, v16
	v_add_nc_u32_e32 v13, v13, v16
	ds_load_u8 v24, v15
	ds_load_u8 v27, v15 offset:16
	ds_load_u8 v25, v13
	ds_load_u8 v26, v13 offset:16
	s_wait_dscnt 0x2
	v_and_b32_e32 v27, 0xff, v27
	v_and_b32_e32 v28, 1, v24
	s_wait_dscnt 0x0
	v_cmp_ge_u16_e64 s3, v25, v26
	s_delay_alu instid0(VALU_DEP_3) | instskip(NEXT) | instid1(VALU_DEP_3)
	v_cmp_ne_u16_e64 s4, 0, v27
	v_cmp_eq_u32_e64 s2, 1, v28
	s_xor_b32 s2, s2, -1
	s_wait_alu 0xfffe
	s_or_b32 s2, s3, s2
	s_wait_alu 0xfffe
	s_and_b32 s3, s2, s4
	s_wait_alu 0xfffe
	s_and_saveexec_b32 s2, s3
	s_cbranch_execz .LBB72_30
; %bb.29:
	v_lshl_add_u32 v12, v16, 3, v12
	v_mov_b32_e32 v16, 1
	ds_load_2addr_b64 v[27:30], v12 offset1:16
	s_wait_dscnt 0x0
	ds_store_2addr_b64 v12, v[29:30], v[27:28] offset1:16
	ds_store_b8 v13, v26
	ds_store_b8 v13, v25 offset:16
	ds_store_b8 v15, v16
	ds_store_b8 v15, v24 offset:16
.LBB72_30:
	s_wait_alu 0xfffe
	s_or_b32 exec_lo, exec_lo, s2
	s_wait_loadcnt_dscnt 0x0
	s_barrier_signal -1
	s_barrier_wait -1
	global_inv scope:SCOPE_SE
	ds_load_u8 v12, v21
	ds_load_u8 v16, v21 offset:8
	ds_load_u8 v13, v22
	ds_load_u8 v15, v22 offset:8
	s_wait_dscnt 0x3
	v_and_b32_e32 v24, 1, v12
	s_wait_dscnt 0x2
	v_and_b32_e32 v16, 0xff, v16
	s_wait_dscnt 0x0
	v_cmp_ge_u16_e64 s3, v13, v15
	v_cmp_eq_u32_e64 s2, 1, v24
	s_delay_alu instid0(VALU_DEP_3)
	v_cmp_ne_u16_e64 s4, 0, v16
	s_xor_b32 s2, s2, -1
	s_wait_alu 0xfffe
	s_or_b32 s2, s3, s2
	s_wait_alu 0xfffe
	s_and_b32 s3, s2, s4
	s_wait_alu 0xfffe
	s_and_saveexec_b32 s2, s3
	s_cbranch_execz .LBB72_32
; %bb.31:
	ds_load_2addr_b64 v[24:27], v23 offset1:8
	v_mov_b32_e32 v16, 1
	s_wait_dscnt 0x0
	ds_store_2addr_b64 v23, v[26:27], v[24:25] offset1:8
	ds_store_b8 v22, v15
	ds_store_b8 v22, v13 offset:8
	ds_store_b8 v21, v16
	ds_store_b8 v21, v12 offset:8
.LBB72_32:
	s_wait_alu 0xfffe
	s_or_b32 exec_lo, exec_lo, s2
	s_wait_loadcnt_dscnt 0x0
	s_barrier_signal -1
	s_barrier_wait -1
	global_inv scope:SCOPE_SE
	ds_load_u8 v12, v17
	ds_load_u8 v16, v17 offset:4
	ds_load_u8 v13, v18
	ds_load_u8 v15, v18 offset:4
	s_wait_dscnt 0x3
	v_and_b32_e32 v21, 1, v12
	s_wait_dscnt 0x2
	v_and_b32_e32 v16, 0xff, v16
	s_wait_dscnt 0x0
	v_cmp_ge_u16_e64 s3, v13, v15
	v_cmp_eq_u32_e64 s2, 1, v21
	s_delay_alu instid0(VALU_DEP_3)
	v_cmp_ne_u16_e64 s4, 0, v16
	s_xor_b32 s2, s2, -1
	s_wait_alu 0xfffe
	s_or_b32 s2, s3, s2
	s_wait_alu 0xfffe
	s_and_b32 s3, s2, s4
	s_wait_alu 0xfffe
	s_and_saveexec_b32 s2, s3
	s_cbranch_execz .LBB72_34
; %bb.33:
	ds_load_2addr_b64 v[21:24], v20 offset1:4
	v_mov_b32_e32 v16, 1
	s_wait_dscnt 0x0
	ds_store_2addr_b64 v20, v[23:24], v[21:22] offset1:4
	ds_store_b8 v18, v15
	ds_store_b8 v18, v13 offset:4
	ds_store_b8 v17, v16
	ds_store_b8 v17, v12 offset:4
.LBB72_34:
	s_wait_alu 0xfffe
	s_or_b32 exec_lo, exec_lo, s2
	s_wait_loadcnt_dscnt 0x0
	s_barrier_signal -1
	s_barrier_wait -1
	global_inv scope:SCOPE_SE
	ds_load_u8 v12, v10
	ds_load_u8 v16, v10 offset:2
	ds_load_u8 v13, v11
	ds_load_u8 v15, v11 offset:2
	s_wait_dscnt 0x3
	v_and_b32_e32 v17, 1, v12
	s_wait_dscnt 0x2
	v_and_b32_e32 v16, 0xff, v16
	s_wait_dscnt 0x0
	v_cmp_ge_u16_e64 s3, v13, v15
	v_cmp_eq_u32_e64 s2, 1, v17
	s_delay_alu instid0(VALU_DEP_3)
	v_cmp_ne_u16_e64 s4, 0, v16
	s_xor_b32 s2, s2, -1
	s_wait_alu 0xfffe
	s_or_b32 s2, s3, s2
	s_wait_alu 0xfffe
	s_and_b32 s3, s2, s4
	s_wait_alu 0xfffe
	s_and_saveexec_b32 s2, s3
	s_cbranch_execz .LBB72_36
; %bb.35:
	ds_load_2addr_b64 v[20:23], v14 offset1:2
	v_mov_b32_e32 v16, 1
	s_wait_dscnt 0x0
	ds_store_2addr_b64 v14, v[22:23], v[20:21] offset1:2
	ds_store_b8 v11, v15
	ds_store_b8 v11, v13 offset:2
	ds_store_b8 v10, v16
	ds_store_b8 v10, v12 offset:2
.LBB72_36:
	s_wait_alu 0xfffe
	s_or_b32 exec_lo, exec_lo, s2
	s_wait_loadcnt_dscnt 0x0
	s_barrier_signal -1
	s_barrier_wait -1
	global_inv scope:SCOPE_SE
	ds_load_u16 v10, v3
	ds_load_u16 v12, v2
	s_wait_dscnt 0x1
	v_and_b32_e32 v13, 1, v10
	s_wait_dscnt 0x0
	v_and_b32_e32 v14, 0xff, v12
	v_lshrrev_b16 v11, 8, v12
	v_lshrrev_b16 v15, 8, v10
	v_cmp_eq_u32_e64 s2, 1, v13
	s_delay_alu instid0(VALU_DEP_3) | instskip(NEXT) | instid1(VALU_DEP_3)
	v_cmp_ge_u16_e64 s3, v14, v11
	v_cmp_ne_u16_e64 s4, 0, v15
	s_xor_b32 s2, s2, -1
	s_wait_alu 0xfffe
	s_or_b32 s2, s3, s2
	s_wait_alu 0xfffe
	s_and_b32 s3, s2, s4
	s_wait_alu 0xfffe
	s_and_saveexec_b32 s2, s3
	s_cbranch_execz .LBB72_38
; %bb.37:
	ds_load_b128 v[13:16], v19
	v_lshlrev_b16 v12, 8, v12
	v_lshlrev_b16 v17, 8, v10
	s_delay_alu instid0(VALU_DEP_2)
	v_or_b32_e32 v18, v11, v12
	s_wait_dscnt 0x0
	v_dual_mov_b32 v10, v15 :: v_dual_mov_b32 v11, v16
	v_dual_mov_b32 v12, v13 :: v_dual_mov_b32 v13, v14
	v_or_b32_e32 v14, 1, v17
	ds_store_b16 v2, v18
	ds_store_b128 v19, v[10:13]
	ds_store_b16 v3, v14
.LBB72_38:
	s_wait_alu 0xfffe
	s_or_b32 exec_lo, exec_lo, s2
	s_wait_loadcnt_dscnt 0x0
	s_barrier_signal -1
	s_barrier_wait -1
	global_inv scope:SCOPE_SE
	s_and_saveexec_b32 s2, s0
	s_cbranch_execz .LBB72_43
; %bb.39:
	s_and_saveexec_b32 s0, vcc_lo
	s_cbranch_execz .LBB72_41
; %bb.40:
	v_mad_co_u64_u32 v[2:3], null, v6, s7, v[1:2]
	ds_load_u8 v12, v9
	ds_load_b64 v[8:9], v8
	v_mov_b32_e32 v3, 0
	v_mad_co_u64_u32 v[10:11], null, v6, s6, v[0:1]
	s_delay_alu instid0(VALU_DEP_2) | instskip(NEXT) | instid1(VALU_DEP_1)
	v_lshlrev_b64_e32 v[2:3], 3, v[2:3]
	v_add_co_u32 v2, vcc_lo, s10, v2
	s_wait_alu 0xfffd
	s_delay_alu instid0(VALU_DEP_2)
	v_add_co_ci_u32_e64 v3, null, s11, v3, vcc_lo
	s_wait_dscnt 0x1
	global_store_b8 v10, v12, s[8:9]
	s_wait_dscnt 0x0
	global_store_b64 v[2:3], v[8:9], off
.LBB72_41:
	s_wait_alu 0xfffe
	s_or_b32 exec_lo, exec_lo, s0
	s_delay_alu instid0(SALU_CYCLE_1)
	s_and_b32 exec_lo, exec_lo, s1
	s_cbranch_execz .LBB72_43
; %bb.42:
	v_mad_co_u64_u32 v[1:2], null, v7, s7, v[1:2]
	ds_load_u8 v8, v4
	ds_load_b64 v[3:4], v5
	v_mov_b32_e32 v2, 0
	s_delay_alu instid0(VALU_DEP_1) | instskip(NEXT) | instid1(VALU_DEP_1)
	v_lshlrev_b64_e32 v[1:2], 3, v[1:2]
	v_mad_co_u64_u32 v[5:6], null, v7, s6, v[0:1]
	v_add_co_u32 v0, vcc_lo, s10, v1
	s_wait_alu 0xfffd
	s_delay_alu instid0(VALU_DEP_3)
	v_add_co_ci_u32_e64 v1, null, s11, v2, vcc_lo
	s_wait_dscnt 0x1
	global_store_b8 v5, v8, s[8:9]
	s_wait_dscnt 0x0
	global_store_b64 v[0:1], v[3:4], off
.LBB72_43:
	s_endpgm
	.section	.rodata,"a",@progbits
	.p2align	6, 0x0
	.amdhsa_kernel _ZN2at6native20bitonicSortKVInPlaceILin2ELin1ELi16ELi16EblNS0_4LTOpIbLb1EEEjEEvNS_4cuda6detail10TensorInfoIT3_T6_EES8_S8_S8_NS6_IT4_S8_EES8_T5_
		.amdhsa_group_segment_fixed_size 5120
		.amdhsa_private_segment_fixed_size 0
		.amdhsa_kernarg_size 712
		.amdhsa_user_sgpr_count 2
		.amdhsa_user_sgpr_dispatch_ptr 0
		.amdhsa_user_sgpr_queue_ptr 0
		.amdhsa_user_sgpr_kernarg_segment_ptr 1
		.amdhsa_user_sgpr_dispatch_id 0
		.amdhsa_user_sgpr_private_segment_size 0
		.amdhsa_wavefront_size32 1
		.amdhsa_uses_dynamic_stack 0
		.amdhsa_enable_private_segment 0
		.amdhsa_system_sgpr_workgroup_id_x 1
		.amdhsa_system_sgpr_workgroup_id_y 1
		.amdhsa_system_sgpr_workgroup_id_z 1
		.amdhsa_system_sgpr_workgroup_info 0
		.amdhsa_system_vgpr_workitem_id 1
		.amdhsa_next_free_vgpr 34
		.amdhsa_next_free_sgpr 16
		.amdhsa_reserve_vcc 1
		.amdhsa_float_round_mode_32 0
		.amdhsa_float_round_mode_16_64 0
		.amdhsa_float_denorm_mode_32 3
		.amdhsa_float_denorm_mode_16_64 3
		.amdhsa_fp16_overflow 0
		.amdhsa_workgroup_processor_mode 1
		.amdhsa_memory_ordered 1
		.amdhsa_forward_progress 1
		.amdhsa_inst_pref_size 37
		.amdhsa_round_robin_scheduling 0
		.amdhsa_exception_fp_ieee_invalid_op 0
		.amdhsa_exception_fp_denorm_src 0
		.amdhsa_exception_fp_ieee_div_zero 0
		.amdhsa_exception_fp_ieee_overflow 0
		.amdhsa_exception_fp_ieee_underflow 0
		.amdhsa_exception_fp_ieee_inexact 0
		.amdhsa_exception_int_div_zero 0
	.end_amdhsa_kernel
	.section	.text._ZN2at6native20bitonicSortKVInPlaceILin2ELin1ELi16ELi16EblNS0_4LTOpIbLb1EEEjEEvNS_4cuda6detail10TensorInfoIT3_T6_EES8_S8_S8_NS6_IT4_S8_EES8_T5_,"axG",@progbits,_ZN2at6native20bitonicSortKVInPlaceILin2ELin1ELi16ELi16EblNS0_4LTOpIbLb1EEEjEEvNS_4cuda6detail10TensorInfoIT3_T6_EES8_S8_S8_NS6_IT4_S8_EES8_T5_,comdat
.Lfunc_end72:
	.size	_ZN2at6native20bitonicSortKVInPlaceILin2ELin1ELi16ELi16EblNS0_4LTOpIbLb1EEEjEEvNS_4cuda6detail10TensorInfoIT3_T6_EES8_S8_S8_NS6_IT4_S8_EES8_T5_, .Lfunc_end72-_ZN2at6native20bitonicSortKVInPlaceILin2ELin1ELi16ELi16EblNS0_4LTOpIbLb1EEEjEEvNS_4cuda6detail10TensorInfoIT3_T6_EES8_S8_S8_NS6_IT4_S8_EES8_T5_
                                        ; -- End function
	.set _ZN2at6native20bitonicSortKVInPlaceILin2ELin1ELi16ELi16EblNS0_4LTOpIbLb1EEEjEEvNS_4cuda6detail10TensorInfoIT3_T6_EES8_S8_S8_NS6_IT4_S8_EES8_T5_.num_vgpr, 34
	.set _ZN2at6native20bitonicSortKVInPlaceILin2ELin1ELi16ELi16EblNS0_4LTOpIbLb1EEEjEEvNS_4cuda6detail10TensorInfoIT3_T6_EES8_S8_S8_NS6_IT4_S8_EES8_T5_.num_agpr, 0
	.set _ZN2at6native20bitonicSortKVInPlaceILin2ELin1ELi16ELi16EblNS0_4LTOpIbLb1EEEjEEvNS_4cuda6detail10TensorInfoIT3_T6_EES8_S8_S8_NS6_IT4_S8_EES8_T5_.numbered_sgpr, 16
	.set _ZN2at6native20bitonicSortKVInPlaceILin2ELin1ELi16ELi16EblNS0_4LTOpIbLb1EEEjEEvNS_4cuda6detail10TensorInfoIT3_T6_EES8_S8_S8_NS6_IT4_S8_EES8_T5_.num_named_barrier, 0
	.set _ZN2at6native20bitonicSortKVInPlaceILin2ELin1ELi16ELi16EblNS0_4LTOpIbLb1EEEjEEvNS_4cuda6detail10TensorInfoIT3_T6_EES8_S8_S8_NS6_IT4_S8_EES8_T5_.private_seg_size, 0
	.set _ZN2at6native20bitonicSortKVInPlaceILin2ELin1ELi16ELi16EblNS0_4LTOpIbLb1EEEjEEvNS_4cuda6detail10TensorInfoIT3_T6_EES8_S8_S8_NS6_IT4_S8_EES8_T5_.uses_vcc, 1
	.set _ZN2at6native20bitonicSortKVInPlaceILin2ELin1ELi16ELi16EblNS0_4LTOpIbLb1EEEjEEvNS_4cuda6detail10TensorInfoIT3_T6_EES8_S8_S8_NS6_IT4_S8_EES8_T5_.uses_flat_scratch, 0
	.set _ZN2at6native20bitonicSortKVInPlaceILin2ELin1ELi16ELi16EblNS0_4LTOpIbLb1EEEjEEvNS_4cuda6detail10TensorInfoIT3_T6_EES8_S8_S8_NS6_IT4_S8_EES8_T5_.has_dyn_sized_stack, 0
	.set _ZN2at6native20bitonicSortKVInPlaceILin2ELin1ELi16ELi16EblNS0_4LTOpIbLb1EEEjEEvNS_4cuda6detail10TensorInfoIT3_T6_EES8_S8_S8_NS6_IT4_S8_EES8_T5_.has_recursion, 0
	.set _ZN2at6native20bitonicSortKVInPlaceILin2ELin1ELi16ELi16EblNS0_4LTOpIbLb1EEEjEEvNS_4cuda6detail10TensorInfoIT3_T6_EES8_S8_S8_NS6_IT4_S8_EES8_T5_.has_indirect_call, 0
	.section	.AMDGPU.csdata,"",@progbits
; Kernel info:
; codeLenInByte = 4656
; TotalNumSgprs: 18
; NumVgprs: 34
; ScratchSize: 0
; MemoryBound: 0
; FloatMode: 240
; IeeeMode: 1
; LDSByteSize: 5120 bytes/workgroup (compile time only)
; SGPRBlocks: 0
; VGPRBlocks: 4
; NumSGPRsForWavesPerEU: 18
; NumVGPRsForWavesPerEU: 34
; Occupancy: 16
; WaveLimiterHint : 1
; COMPUTE_PGM_RSRC2:SCRATCH_EN: 0
; COMPUTE_PGM_RSRC2:USER_SGPR: 2
; COMPUTE_PGM_RSRC2:TRAP_HANDLER: 0
; COMPUTE_PGM_RSRC2:TGID_X_EN: 1
; COMPUTE_PGM_RSRC2:TGID_Y_EN: 1
; COMPUTE_PGM_RSRC2:TGID_Z_EN: 1
; COMPUTE_PGM_RSRC2:TIDIG_COMP_CNT: 1
	.section	.text._ZN2at6native20bitonicSortKVInPlaceILin2ELin1ELi16ELi16EblNS0_4GTOpIbLb1EEEjEEvNS_4cuda6detail10TensorInfoIT3_T6_EES8_S8_S8_NS6_IT4_S8_EES8_T5_,"axG",@progbits,_ZN2at6native20bitonicSortKVInPlaceILin2ELin1ELi16ELi16EblNS0_4GTOpIbLb1EEEjEEvNS_4cuda6detail10TensorInfoIT3_T6_EES8_S8_S8_NS6_IT4_S8_EES8_T5_,comdat
	.protected	_ZN2at6native20bitonicSortKVInPlaceILin2ELin1ELi16ELi16EblNS0_4GTOpIbLb1EEEjEEvNS_4cuda6detail10TensorInfoIT3_T6_EES8_S8_S8_NS6_IT4_S8_EES8_T5_ ; -- Begin function _ZN2at6native20bitonicSortKVInPlaceILin2ELin1ELi16ELi16EblNS0_4GTOpIbLb1EEEjEEvNS_4cuda6detail10TensorInfoIT3_T6_EES8_S8_S8_NS6_IT4_S8_EES8_T5_
	.globl	_ZN2at6native20bitonicSortKVInPlaceILin2ELin1ELi16ELi16EblNS0_4GTOpIbLb1EEEjEEvNS_4cuda6detail10TensorInfoIT3_T6_EES8_S8_S8_NS6_IT4_S8_EES8_T5_
	.p2align	8
	.type	_ZN2at6native20bitonicSortKVInPlaceILin2ELin1ELi16ELi16EblNS0_4GTOpIbLb1EEEjEEvNS_4cuda6detail10TensorInfoIT3_T6_EES8_S8_S8_NS6_IT4_S8_EES8_T5_,@function
_ZN2at6native20bitonicSortKVInPlaceILin2ELin1ELi16ELi16EblNS0_4GTOpIbLb1EEEjEEvNS_4cuda6detail10TensorInfoIT3_T6_EES8_S8_S8_NS6_IT4_S8_EES8_T5_: ; @_ZN2at6native20bitonicSortKVInPlaceILin2ELin1ELi16ELi16EblNS0_4GTOpIbLb1EEEjEEvNS_4cuda6detail10TensorInfoIT3_T6_EES8_S8_S8_NS6_IT4_S8_EES8_T5_
; %bb.0:
	s_clause 0x2
	s_load_b64 s[2:3], s[0:1], 0x1c8
	s_load_u16 s7, s[0:1], 0x1d6
	s_load_b96 s[4:6], s[0:1], 0xd8
	s_lshr_b32 s8, ttmp7, 16
	s_wait_kmcnt 0x0
	s_mul_i32 s3, s3, s8
	s_and_b32 s8, ttmp7, 0xffff
	s_delay_alu instid0(SALU_CYCLE_1) | instskip(NEXT) | instid1(SALU_CYCLE_1)
	s_add_co_i32 s3, s3, s8
	s_mul_i32 s2, s3, s2
	s_delay_alu instid0(SALU_CYCLE_1) | instskip(NEXT) | instid1(SALU_CYCLE_1)
	s_add_co_i32 s2, s2, ttmp9
	s_mul_i32 s2, s2, s7
	s_delay_alu instid0(SALU_CYCLE_1)
	s_cmp_ge_u32 s2, s4
	s_cbranch_scc1 .LBB73_43
; %bb.1:
	s_clause 0x1
	s_load_b32 s7, s[0:1], 0x1b8
	s_load_b64 s[8:9], s[0:1], 0x0
	v_bfe_u32 v8, v0, 10, 10
	s_delay_alu instid0(VALU_DEP_1) | instskip(SKIP_2) | instid1(VALU_DEP_2)
	v_add_nc_u32_e32 v3, s2, v8
	v_mov_b32_e32 v1, 0
	s_add_nc_u64 s[2:3], s[0:1], 0xe8
	v_mov_b32_e32 v4, v3
	s_wait_kmcnt 0x0
	s_cmp_lt_i32 s7, 2
	s_cbranch_scc1 .LBB73_4
; %bb.2:
	s_add_co_i32 s10, s7, -1
	s_mov_b32 s11, 0
	v_dual_mov_b32 v1, 0 :: v_dual_mov_b32 v4, v3
	s_lshl_b64 s[10:11], s[10:11], 2
	s_add_co_i32 s7, s7, 1
	s_wait_alu 0xfffe
	s_add_nc_u64 s[10:11], s[2:3], s[10:11]
	s_delay_alu instid0(SALU_CYCLE_1)
	s_add_nc_u64 s[10:11], s[10:11], 8
.LBB73_3:                               ; =>This Inner Loop Header: Depth=1
	s_clause 0x1
	s_load_b32 s12, s[10:11], 0x0
	s_load_b32 s13, s[10:11], 0x64
	s_add_co_i32 s7, s7, -1
	s_add_nc_u64 s[10:11], s[10:11], -4
	s_wait_kmcnt 0x0
	s_cvt_f32_u32 s14, s12
	s_sub_co_i32 s15, 0, s12
	s_wait_alu 0xfffe
	s_delay_alu instid0(SALU_CYCLE_1) | instskip(NEXT) | instid1(TRANS32_DEP_1)
	v_rcp_iflag_f32_e32 v2, s14
	v_readfirstlane_b32 s14, v2
	v_mov_b32_e32 v2, v4
	s_mul_f32 s14, s14, 0x4f7ffffe
	s_wait_alu 0xfffe
	s_delay_alu instid0(SALU_CYCLE_2) | instskip(SKIP_1) | instid1(SALU_CYCLE_2)
	s_cvt_u32_f32 s14, s14
	s_wait_alu 0xfffe
	s_mul_i32 s15, s15, s14
	s_wait_alu 0xfffe
	s_mul_hi_u32 s15, s14, s15
	s_wait_alu 0xfffe
	s_add_co_i32 s14, s14, s15
	s_cmp_gt_u32 s7, 2
	s_wait_alu 0xfffe
	v_mul_hi_u32 v4, v2, s14
	s_delay_alu instid0(VALU_DEP_1) | instskip(SKIP_1) | instid1(VALU_DEP_2)
	v_mul_lo_u32 v5, v4, s12
	v_add_nc_u32_e32 v6, 1, v4
	v_sub_nc_u32_e32 v5, v2, v5
	s_delay_alu instid0(VALU_DEP_1) | instskip(SKIP_2) | instid1(VALU_DEP_2)
	v_subrev_nc_u32_e32 v7, s12, v5
	v_cmp_le_u32_e32 vcc_lo, s12, v5
	s_wait_alu 0xfffd
	v_dual_cndmask_b32 v4, v4, v6 :: v_dual_cndmask_b32 v5, v5, v7
	s_delay_alu instid0(VALU_DEP_1) | instskip(NEXT) | instid1(VALU_DEP_2)
	v_add_nc_u32_e32 v6, 1, v4
	v_cmp_le_u32_e32 vcc_lo, s12, v5
	s_wait_alu 0xfffd
	s_delay_alu instid0(VALU_DEP_2) | instskip(NEXT) | instid1(VALU_DEP_1)
	v_cndmask_b32_e32 v4, v4, v6, vcc_lo
	v_mul_lo_u32 v5, v4, s12
	s_delay_alu instid0(VALU_DEP_1) | instskip(NEXT) | instid1(VALU_DEP_1)
	v_sub_nc_u32_e32 v2, v2, v5
	v_mad_co_u64_u32 v[1:2], null, s13, v2, v[1:2]
	s_cbranch_scc1 .LBB73_3
.LBB73_4:
	s_load_b32 s13, s[0:1], 0x6c
	s_add_nc_u64 s[10:11], s[0:1], 0x1c8
	s_load_b32 s14, s[2:3], 0x6c
	s_load_b32 s12, s[10:11], 0xc
	s_clause 0x1
	s_load_b32 s7, s[0:1], 0x1c0
	s_load_b64 s[10:11], s[2:3], 0x0
	v_and_b32_e32 v6, 0x3ff, v0
	v_cmp_gt_u32_e64 s0, s4, v3
	v_dual_mov_b32 v10, 0 :: v_dual_mov_b32 v11, 0
	s_wait_kmcnt 0x0
	v_mad_co_u64_u32 v[1:2], null, s14, v4, v[1:2]
	v_mul_lo_u32 v0, s13, v3
	v_mov_b32_e32 v2, 0
	v_mov_b32_e32 v3, 0
	v_cmp_gt_u32_e32 vcc_lo, s5, v6
	v_mov_b32_e32 v4, 0
	v_mov_b32_e32 v5, 0
	s_and_b32 s2, s0, vcc_lo
	s_wait_alu 0xfffe
	s_and_saveexec_b32 s3, s2
	s_cbranch_execz .LBB73_6
; %bb.5:
	v_mad_co_u64_u32 v[4:5], null, v6, s7, v[1:2]
	v_mov_b32_e32 v5, 0
	v_mad_co_u64_u32 v[11:12], null, v6, s6, v[0:1]
	s_delay_alu instid0(VALU_DEP_2) | instskip(NEXT) | instid1(VALU_DEP_1)
	v_lshlrev_b64_e32 v[4:5], 3, v[4:5]
	v_add_co_u32 v4, s1, s10, v4
	s_delay_alu instid0(VALU_DEP_1)
	v_add_co_ci_u32_e64 v5, null, s11, v5, s1
	global_load_u8 v11, v11, s[8:9]
	global_load_b64 v[4:5], v[4:5], off
.LBB73_6:
	s_wait_alu 0xfffe
	s_or_b32 exec_lo, exec_lo, s3
	v_lshlrev_b32_e32 v9, 5, v8
	s_and_b32 s3, 0xffff, s12
	v_lshlrev_b32_e32 v12, 8, v8
	s_wait_alu 0xfffe
	v_add_nc_u32_e32 v7, s3, v6
	v_cndmask_b32_e64 v14, 0, 1, s2
	v_add_nc_u32_e32 v13, 0x1000, v9
	v_add_nc_u32_e32 v15, 0x1200, v9
	v_lshl_add_u32 v8, v6, 3, v12
	v_cmp_gt_u32_e64 s1, s5, v7
	s_delay_alu instid0(VALU_DEP_4) | instskip(NEXT) | instid1(VALU_DEP_4)
	v_add_nc_u32_e32 v9, v13, v6
	v_add_nc_u32_e32 v16, v15, v6
	s_wait_loadcnt 0x1
	ds_store_b8 v9, v11
	s_wait_loadcnt 0x0
	ds_store_b64 v8, v[4:5]
	ds_store_b8 v16, v14
	s_and_b32 s4, s0, s1
	s_wait_alu 0xfffe
	s_and_saveexec_b32 s5, s4
	s_cbranch_execz .LBB73_8
; %bb.7:
	v_mad_co_u64_u32 v[2:3], null, v7, s7, v[1:2]
	v_mov_b32_e32 v3, 0
	v_mad_co_u64_u32 v[4:5], null, v7, s6, v[0:1]
	s_delay_alu instid0(VALU_DEP_2) | instskip(NEXT) | instid1(VALU_DEP_1)
	v_lshlrev_b64_e32 v[2:3], 3, v[2:3]
	v_add_co_u32 v2, s2, s10, v2
	s_wait_alu 0xf1ff
	s_delay_alu instid0(VALU_DEP_2)
	v_add_co_ci_u32_e64 v3, null, s11, v3, s2
	global_load_u8 v10, v4, s[8:9]
	global_load_b64 v[2:3], v[2:3], off
.LBB73_8:
	s_wait_alu 0xfffe
	s_or_b32 exec_lo, exec_lo, s5
	v_add_nc_u32_e32 v4, v13, v7
	v_lshlrev_b32_e32 v16, 1, v6
	v_lshl_add_u32 v5, s3, 3, v8
	v_cndmask_b32_e64 v11, 0, 1, s4
	v_add_nc_u32_e32 v14, v15, v7
	s_wait_loadcnt 0x1
	ds_store_b8 v4, v10
	s_wait_loadcnt 0x0
	ds_store_b64 v5, v[2:3]
	ds_store_b8 v14, v11
	v_add_nc_u32_e32 v2, v13, v16
	v_add_nc_u32_e32 v3, v15, v16
	s_wait_dscnt 0x0
	s_barrier_signal -1
	s_barrier_wait -1
	global_inv scope:SCOPE_SE
	ds_load_u16 v18, v2
	ds_load_u16 v14, v3
	v_and_b32_e32 v10, 1, v6
	s_wait_dscnt 0x1
	v_and_b32_e32 v17, 0xff, v18
	s_wait_dscnt 0x0
	v_lshrrev_b16 v11, 8, v14
	v_lshrrev_b16 v19, 8, v18
	v_and_b32_e32 v20, 1, v14
	s_delay_alu instid0(VALU_DEP_3) | instskip(NEXT) | instid1(VALU_DEP_3)
	v_cmp_ne_u16_e64 s4, v11, v10
	v_cmp_gt_u16_e64 s2, v17, v19
	s_delay_alu instid0(VALU_DEP_3) | instskip(SKIP_1) | instid1(VALU_DEP_3)
	v_cmp_eq_u32_e64 s3, 1, v20
	s_wait_alu 0xf1ff
	v_cndmask_b32_e64 v17, 0, 1, s4
	s_and_b32 s2, s2, s3
	s_wait_alu 0xfffe
	s_delay_alu instid0(VALU_DEP_1) | instskip(NEXT) | instid1(VALU_DEP_1)
	v_cndmask_b32_e64 v17, v17, v6, s2
	v_and_b32_e32 v17, 1, v17
	s_delay_alu instid0(VALU_DEP_1)
	v_cmp_eq_u32_e64 s2, 1, v17
	v_lshl_add_u32 v17, v6, 3, v8
	s_and_saveexec_b32 s3, s2
	s_wait_alu 0xfffe
	s_xor_b32 s2, exec_lo, s3
	s_cbranch_execz .LBB73_10
; %bb.9:
	ds_load_b128 v[20:23], v17
	v_lshlrev_b16 v18, 8, v18
	v_lshlrev_b16 v14, 8, v14
	s_delay_alu instid0(VALU_DEP_2) | instskip(NEXT) | instid1(VALU_DEP_2)
	v_or_b32_e32 v24, v19, v18
	v_or_b32_e32 v11, v11, v14
	s_wait_dscnt 0x0
	v_dual_mov_b32 v18, v22 :: v_dual_mov_b32 v19, v23
	ds_store_b16 v2, v24
	ds_store_b128 v17, v[18:21]
	ds_store_b16 v3, v11
.LBB73_10:
	s_wait_alu 0xfffe
	s_or_b32 exec_lo, exec_lo, s2
	v_sub_nc_u32_e32 v14, v16, v10
	s_wait_loadcnt_dscnt 0x0
	s_barrier_signal -1
	s_barrier_wait -1
	global_inv scope:SCOPE_SE
	v_add_nc_u32_e32 v10, v15, v14
	v_add_nc_u32_e32 v11, v13, v14
	v_bfe_u32 v23, v6, 1, 1
	v_lshl_add_u32 v14, v14, 3, v12
	ds_load_u8 v19, v10
	ds_load_u8 v20, v11
	ds_load_u8 v22, v11 offset:2
	ds_load_u8 v21, v10 offset:2
	s_wait_dscnt 0x3
	v_and_b32_e32 v18, 1, v19
	s_wait_dscnt 0x1
	v_cmp_gt_u16_e64 s2, v20, v22
	s_wait_dscnt 0x0
	v_cmp_ne_u16_e64 s4, v21, v23
	v_cmp_eq_u32_e64 s3, 1, v18
	s_wait_alu 0xf1ff
	s_delay_alu instid0(VALU_DEP_2) | instskip(SKIP_2) | instid1(VALU_DEP_1)
	v_cndmask_b32_e64 v18, 0, 1, s4
	s_and_b32 s2, s2, s3
	s_wait_alu 0xfffe
	v_cndmask_b32_e64 v23, v18, v23, s2
	v_and_b32_e32 v18, 2, v6
	s_delay_alu instid0(VALU_DEP_2) | instskip(NEXT) | instid1(VALU_DEP_2)
	v_and_b32_e32 v23, 1, v23
	v_cmp_ne_u32_e64 s2, 0, v18
	s_delay_alu instid0(VALU_DEP_2)
	v_cmp_eq_u32_e64 s3, 1, v23
	s_and_saveexec_b32 s4, s3
	s_wait_alu 0xfffe
	s_xor_b32 s3, exec_lo, s4
	s_cbranch_execz .LBB73_12
; %bb.11:
	ds_load_2addr_b64 v[23:26], v14 offset1:2
	s_wait_dscnt 0x0
	ds_store_2addr_b64 v14, v[25:26], v[23:24] offset1:2
	ds_store_b8 v11, v22
	ds_store_b8 v11, v20 offset:2
	ds_store_b8 v10, v21
	ds_store_b8 v10, v19 offset:2
.LBB73_12:
	s_wait_alu 0xfffe
	s_or_b32 exec_lo, exec_lo, s3
	s_wait_loadcnt_dscnt 0x0
	s_barrier_signal -1
	s_barrier_wait -1
	global_inv scope:SCOPE_SE
	ds_load_u16 v20, v2
	ds_load_u16 v19, v3
	v_lshrrev_b32_e32 v22, 1, v18
	v_cndmask_b32_e64 v25, 0, 1, s2
	s_wait_dscnt 0x1
	v_and_b32_e32 v23, 0xff, v20
	s_wait_dscnt 0x0
	v_lshrrev_b16 v18, 8, v19
	v_lshrrev_b16 v21, 8, v20
	v_and_b32_e32 v24, 1, v19
	s_delay_alu instid0(VALU_DEP_3) | instskip(NEXT) | instid1(VALU_DEP_3)
	v_cmp_ne_u16_e64 s4, v18, v22
	v_cmp_gt_u16_e64 s2, v23, v21
	s_delay_alu instid0(VALU_DEP_3) | instskip(SKIP_1) | instid1(VALU_DEP_3)
	v_cmp_eq_u32_e64 s3, 1, v24
	s_wait_alu 0xf1ff
	v_cndmask_b32_e64 v22, 0, 1, s4
	s_and_b32 s2, s2, s3
	s_mov_b32 s3, exec_lo
	s_wait_alu 0xfffe
	s_delay_alu instid0(VALU_DEP_1) | instskip(NEXT) | instid1(VALU_DEP_1)
	v_cndmask_b32_e64 v22, v22, v25, s2
	v_and_b32_e32 v22, 1, v22
	s_delay_alu instid0(VALU_DEP_1)
	v_cmpx_eq_u32_e32 1, v22
	s_cbranch_execz .LBB73_14
; %bb.13:
	ds_load_b128 v[22:25], v17
	v_lshlrev_b16 v20, 8, v20
	v_lshlrev_b16 v26, 8, v19
	s_delay_alu instid0(VALU_DEP_2) | instskip(NEXT) | instid1(VALU_DEP_2)
	v_or_b32_e32 v27, v21, v20
	v_or_b32_e32 v18, v18, v26
	s_wait_dscnt 0x0
	v_dual_mov_b32 v19, v24 :: v_dual_mov_b32 v20, v25
	v_dual_mov_b32 v21, v22 :: v_dual_mov_b32 v22, v23
	ds_store_b16 v2, v27
	ds_store_b128 v17, v[19:22]
	ds_store_b16 v3, v18
.LBB73_14:
	s_or_b32 exec_lo, exec_lo, s3
	v_and_b32_e32 v17, 3, v6
	s_wait_loadcnt_dscnt 0x0
	s_barrier_signal -1
	s_barrier_wait -1
	global_inv scope:SCOPE_SE
	v_sub_nc_u32_e32 v20, v16, v17
	v_bfe_u32 v25, v6, 2, 1
	s_delay_alu instid0(VALU_DEP_2)
	v_add_nc_u32_e32 v17, v15, v20
	v_add_nc_u32_e32 v18, v13, v20
	v_lshl_add_u32 v20, v20, 3, v12
	ds_load_u8 v21, v17
	ds_load_u8 v22, v18
	ds_load_u8 v24, v18 offset:4
	ds_load_u8 v23, v17 offset:4
	s_wait_dscnt 0x3
	v_and_b32_e32 v19, 1, v21
	s_wait_dscnt 0x1
	v_cmp_gt_u16_e64 s2, v22, v24
	s_wait_dscnt 0x0
	v_cmp_ne_u16_e64 s4, v23, v25
	v_cmp_eq_u32_e64 s3, 1, v19
	s_wait_alu 0xf1ff
	s_delay_alu instid0(VALU_DEP_2) | instskip(SKIP_3) | instid1(VALU_DEP_1)
	v_cndmask_b32_e64 v19, 0, 1, s4
	s_mov_b32 s4, exec_lo
	s_and_b32 s2, s2, s3
	s_wait_alu 0xfffe
	v_cndmask_b32_e64 v25, v19, v25, s2
	v_and_b32_e32 v19, 4, v6
	s_delay_alu instid0(VALU_DEP_2) | instskip(NEXT) | instid1(VALU_DEP_2)
	v_and_b32_e32 v25, 1, v25
	v_cmp_ne_u32_e64 s2, 0, v19
	s_delay_alu instid0(VALU_DEP_2)
	v_cmpx_eq_u32_e32 1, v25
	s_cbranch_execz .LBB73_16
; %bb.15:
	ds_load_2addr_b64 v[25:28], v20 offset1:4
	s_wait_dscnt 0x0
	ds_store_2addr_b64 v20, v[27:28], v[25:26] offset1:4
	ds_store_b8 v18, v24
	ds_store_b8 v18, v22 offset:4
	ds_store_b8 v17, v23
	ds_store_b8 v17, v21 offset:4
.LBB73_16:
	s_or_b32 exec_lo, exec_lo, s4
	s_wait_loadcnt_dscnt 0x0
	s_barrier_signal -1
	s_barrier_wait -1
	global_inv scope:SCOPE_SE
	ds_load_u8 v22, v10
	ds_load_u8 v23, v11
	ds_load_u8 v25, v11 offset:2
	ds_load_u8 v24, v10 offset:2
	v_lshrrev_b32_e32 v19, 2, v19
	v_cndmask_b32_e64 v21, 0, 1, s2
	s_wait_dscnt 0x3
	v_and_b32_e32 v26, 1, v22
	s_wait_dscnt 0x1
	v_cmp_gt_u16_e64 s2, v23, v25
	s_wait_dscnt 0x0
	v_cmp_ne_u16_e64 s4, v24, v19
	v_cmp_eq_u32_e64 s3, 1, v26
	s_wait_alu 0xf1ff
	s_delay_alu instid0(VALU_DEP_2) | instskip(SKIP_3) | instid1(VALU_DEP_1)
	v_cndmask_b32_e64 v26, 0, 1, s4
	s_and_b32 s2, s2, s3
	s_mov_b32 s3, exec_lo
	s_wait_alu 0xfffe
	v_cndmask_b32_e64 v26, v26, v21, s2
	s_delay_alu instid0(VALU_DEP_1) | instskip(NEXT) | instid1(VALU_DEP_1)
	v_and_b32_e32 v26, 1, v26
	v_cmpx_eq_u32_e32 1, v26
	s_cbranch_execz .LBB73_18
; %bb.17:
	ds_load_2addr_b64 v[26:29], v14 offset1:2
	s_wait_dscnt 0x0
	ds_store_2addr_b64 v14, v[28:29], v[26:27] offset1:2
	ds_store_b8 v11, v25
	ds_store_b8 v11, v23 offset:2
	ds_store_b8 v10, v24
	ds_store_b8 v10, v22 offset:2
.LBB73_18:
	s_or_b32 exec_lo, exec_lo, s3
	s_wait_loadcnt_dscnt 0x0
	s_barrier_signal -1
	s_barrier_wait -1
	global_inv scope:SCOPE_SE
	ds_load_u16 v25, v2
	ds_load_u16 v23, v3
	s_wait_dscnt 0x1
	v_and_b32_e32 v26, 0xff, v25
	s_wait_dscnt 0x0
	v_lshrrev_b16 v22, 8, v23
	v_lshrrev_b16 v24, 8, v25
	v_and_b32_e32 v27, 1, v23
	s_delay_alu instid0(VALU_DEP_3) | instskip(NEXT) | instid1(VALU_DEP_3)
	v_cmp_ne_u16_e64 s4, v22, v19
	v_cmp_gt_u16_e64 s2, v26, v24
	s_delay_alu instid0(VALU_DEP_3) | instskip(SKIP_1) | instid1(VALU_DEP_3)
	v_cmp_eq_u32_e64 s3, 1, v27
	s_wait_alu 0xf1ff
	v_cndmask_b32_e64 v19, 0, 1, s4
	s_and_b32 s2, s2, s3
	s_wait_alu 0xfffe
	s_delay_alu instid0(VALU_DEP_1) | instskip(NEXT) | instid1(VALU_DEP_1)
	v_cndmask_b32_e64 v19, v19, v21, s2
	v_and_b32_e32 v19, 1, v19
	s_delay_alu instid0(VALU_DEP_1)
	v_cmp_eq_u32_e64 s2, 1, v19
	v_lshl_add_u32 v19, v16, 3, v12
	s_and_saveexec_b32 s3, s2
	s_cbranch_execz .LBB73_20
; %bb.19:
	ds_load_b128 v[26:29], v19
	v_lshlrev_b16 v21, 8, v25
	v_lshlrev_b16 v30, 8, v23
	s_delay_alu instid0(VALU_DEP_2) | instskip(NEXT) | instid1(VALU_DEP_2)
	v_or_b32_e32 v21, v24, v21
	v_or_b32_e32 v22, v22, v30
	s_wait_dscnt 0x0
	v_dual_mov_b32 v23, v28 :: v_dual_mov_b32 v24, v29
	v_dual_mov_b32 v25, v26 :: v_dual_mov_b32 v26, v27
	ds_store_b16 v2, v21
	ds_store_b128 v19, v[23:26]
	ds_store_b16 v3, v22
.LBB73_20:
	s_wait_alu 0xfffe
	s_or_b32 exec_lo, exec_lo, s3
	v_and_b32_e32 v21, 7, v6
	s_wait_loadcnt_dscnt 0x0
	s_barrier_signal -1
	s_barrier_wait -1
	global_inv scope:SCOPE_SE
	v_sub_nc_u32_e32 v23, v16, v21
	v_bfe_u32 v29, v6, 3, 1
	s_delay_alu instid0(VALU_DEP_2)
	v_add_nc_u32_e32 v21, v15, v23
	v_add_nc_u32_e32 v22, v13, v23
	v_lshl_add_u32 v23, v23, 3, v12
	ds_load_u8 v25, v21
	ds_load_u8 v26, v22
	ds_load_u8 v28, v22 offset:8
	ds_load_u8 v27, v21 offset:8
	s_wait_dscnt 0x3
	v_and_b32_e32 v24, 1, v25
	s_wait_dscnt 0x1
	v_cmp_gt_u16_e64 s2, v26, v28
	s_wait_dscnt 0x0
	v_cmp_ne_u16_e64 s4, v27, v29
	v_cmp_eq_u32_e64 s3, 1, v24
	s_wait_alu 0xf1ff
	s_delay_alu instid0(VALU_DEP_2) | instskip(SKIP_3) | instid1(VALU_DEP_1)
	v_cndmask_b32_e64 v24, 0, 1, s4
	s_mov_b32 s4, exec_lo
	s_and_b32 s2, s2, s3
	s_wait_alu 0xfffe
	v_cndmask_b32_e64 v29, v24, v29, s2
	v_and_b32_e32 v24, 8, v6
	s_delay_alu instid0(VALU_DEP_2) | instskip(NEXT) | instid1(VALU_DEP_2)
	v_and_b32_e32 v29, 1, v29
	v_cmp_ne_u32_e64 s2, 0, v24
	s_delay_alu instid0(VALU_DEP_2)
	v_cmpx_eq_u32_e32 1, v29
	s_cbranch_execz .LBB73_22
; %bb.21:
	ds_load_2addr_b64 v[29:32], v23 offset1:8
	s_wait_dscnt 0x0
	ds_store_2addr_b64 v23, v[31:32], v[29:30] offset1:8
	ds_store_b8 v22, v28
	ds_store_b8 v22, v26 offset:8
	ds_store_b8 v21, v27
	ds_store_b8 v21, v25 offset:8
.LBB73_22:
	s_or_b32 exec_lo, exec_lo, s4
	s_wait_loadcnt_dscnt 0x0
	s_barrier_signal -1
	s_barrier_wait -1
	global_inv scope:SCOPE_SE
	ds_load_u8 v26, v17
	ds_load_u8 v27, v18
	ds_load_u8 v29, v18 offset:4
	ds_load_u8 v28, v17 offset:4
	v_lshrrev_b32_e32 v24, 3, v24
	v_cndmask_b32_e64 v25, 0, 1, s2
	s_wait_dscnt 0x3
	v_and_b32_e32 v30, 1, v26
	s_wait_dscnt 0x1
	v_cmp_gt_u16_e64 s2, v27, v29
	s_wait_dscnt 0x0
	v_cmp_ne_u16_e64 s4, v28, v24
	v_cmp_eq_u32_e64 s3, 1, v30
	s_wait_alu 0xf1ff
	s_delay_alu instid0(VALU_DEP_2) | instskip(SKIP_3) | instid1(VALU_DEP_1)
	v_cndmask_b32_e64 v30, 0, 1, s4
	s_and_b32 s2, s2, s3
	s_mov_b32 s3, exec_lo
	s_wait_alu 0xfffe
	v_cndmask_b32_e64 v30, v30, v25, s2
	s_delay_alu instid0(VALU_DEP_1) | instskip(NEXT) | instid1(VALU_DEP_1)
	v_and_b32_e32 v30, 1, v30
	v_cmpx_eq_u32_e32 1, v30
	s_cbranch_execz .LBB73_24
; %bb.23:
	ds_load_2addr_b64 v[30:33], v20 offset1:4
	s_wait_dscnt 0x0
	ds_store_2addr_b64 v20, v[32:33], v[30:31] offset1:4
	ds_store_b8 v18, v29
	ds_store_b8 v18, v27 offset:4
	ds_store_b8 v17, v28
	ds_store_b8 v17, v26 offset:4
.LBB73_24:
	s_or_b32 exec_lo, exec_lo, s3
	s_wait_loadcnt_dscnt 0x0
	s_barrier_signal -1
	s_barrier_wait -1
	global_inv scope:SCOPE_SE
	ds_load_u8 v26, v10
	ds_load_u8 v27, v11
	ds_load_u8 v29, v11 offset:2
	ds_load_u8 v28, v10 offset:2
	s_wait_dscnt 0x3
	v_and_b32_e32 v30, 1, v26
	s_wait_dscnt 0x1
	v_cmp_gt_u16_e64 s2, v27, v29
	s_wait_dscnt 0x0
	v_cmp_ne_u16_e64 s4, v28, v24
	v_cmp_eq_u32_e64 s3, 1, v30
	s_wait_alu 0xf1ff
	s_delay_alu instid0(VALU_DEP_2) | instskip(SKIP_3) | instid1(VALU_DEP_1)
	v_cndmask_b32_e64 v30, 0, 1, s4
	s_and_b32 s2, s2, s3
	s_mov_b32 s3, exec_lo
	s_wait_alu 0xfffe
	v_cndmask_b32_e64 v30, v30, v25, s2
	s_delay_alu instid0(VALU_DEP_1) | instskip(NEXT) | instid1(VALU_DEP_1)
	v_and_b32_e32 v30, 1, v30
	v_cmpx_eq_u32_e32 1, v30
	s_cbranch_execz .LBB73_26
; %bb.25:
	ds_load_2addr_b64 v[30:33], v14 offset1:2
	s_wait_dscnt 0x0
	ds_store_2addr_b64 v14, v[32:33], v[30:31] offset1:2
	ds_store_b8 v11, v29
	ds_store_b8 v11, v27 offset:2
	ds_store_b8 v10, v28
	ds_store_b8 v10, v26 offset:2
.LBB73_26:
	s_or_b32 exec_lo, exec_lo, s3
	s_wait_loadcnt_dscnt 0x0
	s_barrier_signal -1
	s_barrier_wait -1
	global_inv scope:SCOPE_SE
	ds_load_u16 v29, v2
	ds_load_u16 v27, v3
	s_wait_dscnt 0x1
	v_and_b32_e32 v30, 0xff, v29
	s_wait_dscnt 0x0
	v_lshrrev_b16 v26, 8, v27
	v_lshrrev_b16 v28, 8, v29
	v_and_b32_e32 v31, 1, v27
	s_delay_alu instid0(VALU_DEP_3) | instskip(NEXT) | instid1(VALU_DEP_3)
	v_cmp_ne_u16_e64 s4, v26, v24
	v_cmp_gt_u16_e64 s2, v30, v28
	s_delay_alu instid0(VALU_DEP_3) | instskip(SKIP_1) | instid1(VALU_DEP_3)
	v_cmp_eq_u32_e64 s3, 1, v31
	s_wait_alu 0xf1ff
	v_cndmask_b32_e64 v24, 0, 1, s4
	s_and_b32 s2, s2, s3
	s_mov_b32 s3, exec_lo
	s_wait_alu 0xfffe
	s_delay_alu instid0(VALU_DEP_1) | instskip(NEXT) | instid1(VALU_DEP_1)
	v_cndmask_b32_e64 v24, v24, v25, s2
	v_and_b32_e32 v24, 1, v24
	s_delay_alu instid0(VALU_DEP_1)
	v_cmpx_eq_u32_e32 1, v24
	s_cbranch_execz .LBB73_28
; %bb.27:
	ds_load_b128 v[30:33], v19
	v_lshlrev_b16 v24, 8, v29
	v_lshlrev_b16 v25, 8, v27
	s_delay_alu instid0(VALU_DEP_2) | instskip(NEXT) | instid1(VALU_DEP_2)
	v_or_b32_e32 v24, v28, v24
	v_or_b32_e32 v25, v26, v25
	s_wait_dscnt 0x0
	v_dual_mov_b32 v27, v32 :: v_dual_mov_b32 v28, v33
	v_dual_mov_b32 v29, v30 :: v_dual_mov_b32 v30, v31
	ds_store_b16 v2, v24
	ds_store_b128 v19, v[27:30]
	ds_store_b16 v3, v25
.LBB73_28:
	s_or_b32 exec_lo, exec_lo, s3
	v_and_b32_e32 v24, 15, v6
	s_wait_loadcnt_dscnt 0x0
	s_barrier_signal -1
	s_barrier_wait -1
	global_inv scope:SCOPE_SE
	v_sub_nc_u32_e32 v16, v16, v24
	s_delay_alu instid0(VALU_DEP_1)
	v_add_nc_u32_e32 v15, v15, v16
	v_add_nc_u32_e32 v13, v13, v16
	ds_load_u8 v24, v15
	ds_load_u8 v27, v15 offset:16
	ds_load_u8 v25, v13
	ds_load_u8 v26, v13 offset:16
	s_wait_dscnt 0x2
	v_and_b32_e32 v27, 0xff, v27
	v_and_b32_e32 v28, 1, v24
	s_wait_dscnt 0x0
	v_cmp_le_u16_e64 s3, v25, v26
	s_delay_alu instid0(VALU_DEP_3) | instskip(NEXT) | instid1(VALU_DEP_3)
	v_cmp_ne_u16_e64 s4, 0, v27
	v_cmp_eq_u32_e64 s2, 1, v28
	s_xor_b32 s2, s2, -1
	s_wait_alu 0xfffe
	s_or_b32 s2, s3, s2
	s_wait_alu 0xfffe
	s_and_b32 s3, s2, s4
	s_wait_alu 0xfffe
	s_and_saveexec_b32 s2, s3
	s_cbranch_execz .LBB73_30
; %bb.29:
	v_lshl_add_u32 v12, v16, 3, v12
	v_mov_b32_e32 v16, 1
	ds_load_2addr_b64 v[27:30], v12 offset1:16
	s_wait_dscnt 0x0
	ds_store_2addr_b64 v12, v[29:30], v[27:28] offset1:16
	ds_store_b8 v13, v26
	ds_store_b8 v13, v25 offset:16
	ds_store_b8 v15, v16
	ds_store_b8 v15, v24 offset:16
.LBB73_30:
	s_wait_alu 0xfffe
	s_or_b32 exec_lo, exec_lo, s2
	s_wait_loadcnt_dscnt 0x0
	s_barrier_signal -1
	s_barrier_wait -1
	global_inv scope:SCOPE_SE
	ds_load_u8 v12, v21
	ds_load_u8 v16, v21 offset:8
	ds_load_u8 v13, v22
	ds_load_u8 v15, v22 offset:8
	s_wait_dscnt 0x3
	v_and_b32_e32 v24, 1, v12
	s_wait_dscnt 0x2
	v_and_b32_e32 v16, 0xff, v16
	s_wait_dscnt 0x0
	v_cmp_le_u16_e64 s3, v13, v15
	v_cmp_eq_u32_e64 s2, 1, v24
	s_delay_alu instid0(VALU_DEP_3)
	v_cmp_ne_u16_e64 s4, 0, v16
	s_xor_b32 s2, s2, -1
	s_wait_alu 0xfffe
	s_or_b32 s2, s3, s2
	s_wait_alu 0xfffe
	s_and_b32 s3, s2, s4
	s_wait_alu 0xfffe
	s_and_saveexec_b32 s2, s3
	s_cbranch_execz .LBB73_32
; %bb.31:
	ds_load_2addr_b64 v[24:27], v23 offset1:8
	v_mov_b32_e32 v16, 1
	s_wait_dscnt 0x0
	ds_store_2addr_b64 v23, v[26:27], v[24:25] offset1:8
	ds_store_b8 v22, v15
	ds_store_b8 v22, v13 offset:8
	ds_store_b8 v21, v16
	ds_store_b8 v21, v12 offset:8
.LBB73_32:
	s_wait_alu 0xfffe
	s_or_b32 exec_lo, exec_lo, s2
	s_wait_loadcnt_dscnt 0x0
	s_barrier_signal -1
	s_barrier_wait -1
	global_inv scope:SCOPE_SE
	ds_load_u8 v12, v17
	ds_load_u8 v16, v17 offset:4
	ds_load_u8 v13, v18
	ds_load_u8 v15, v18 offset:4
	s_wait_dscnt 0x3
	v_and_b32_e32 v21, 1, v12
	s_wait_dscnt 0x2
	v_and_b32_e32 v16, 0xff, v16
	s_wait_dscnt 0x0
	v_cmp_le_u16_e64 s3, v13, v15
	v_cmp_eq_u32_e64 s2, 1, v21
	s_delay_alu instid0(VALU_DEP_3)
	v_cmp_ne_u16_e64 s4, 0, v16
	s_xor_b32 s2, s2, -1
	s_wait_alu 0xfffe
	s_or_b32 s2, s3, s2
	s_wait_alu 0xfffe
	s_and_b32 s3, s2, s4
	s_wait_alu 0xfffe
	s_and_saveexec_b32 s2, s3
	s_cbranch_execz .LBB73_34
; %bb.33:
	ds_load_2addr_b64 v[21:24], v20 offset1:4
	v_mov_b32_e32 v16, 1
	s_wait_dscnt 0x0
	ds_store_2addr_b64 v20, v[23:24], v[21:22] offset1:4
	ds_store_b8 v18, v15
	ds_store_b8 v18, v13 offset:4
	ds_store_b8 v17, v16
	ds_store_b8 v17, v12 offset:4
.LBB73_34:
	;; [unrolled: 37-line block ×3, first 2 shown]
	s_wait_alu 0xfffe
	s_or_b32 exec_lo, exec_lo, s2
	s_wait_loadcnt_dscnt 0x0
	s_barrier_signal -1
	s_barrier_wait -1
	global_inv scope:SCOPE_SE
	ds_load_u16 v10, v3
	ds_load_u16 v12, v2
	s_wait_dscnt 0x1
	v_and_b32_e32 v13, 1, v10
	s_wait_dscnt 0x0
	v_and_b32_e32 v14, 0xff, v12
	v_lshrrev_b16 v11, 8, v12
	v_lshrrev_b16 v15, 8, v10
	v_cmp_eq_u32_e64 s2, 1, v13
	s_delay_alu instid0(VALU_DEP_3) | instskip(NEXT) | instid1(VALU_DEP_3)
	v_cmp_le_u16_e64 s3, v14, v11
	v_cmp_ne_u16_e64 s4, 0, v15
	s_xor_b32 s2, s2, -1
	s_wait_alu 0xfffe
	s_or_b32 s2, s3, s2
	s_wait_alu 0xfffe
	s_and_b32 s3, s2, s4
	s_wait_alu 0xfffe
	s_and_saveexec_b32 s2, s3
	s_cbranch_execz .LBB73_38
; %bb.37:
	ds_load_b128 v[13:16], v19
	v_lshlrev_b16 v12, 8, v12
	v_lshlrev_b16 v17, 8, v10
	s_delay_alu instid0(VALU_DEP_2)
	v_or_b32_e32 v18, v11, v12
	s_wait_dscnt 0x0
	v_dual_mov_b32 v10, v15 :: v_dual_mov_b32 v11, v16
	v_dual_mov_b32 v12, v13 :: v_dual_mov_b32 v13, v14
	v_or_b32_e32 v14, 1, v17
	ds_store_b16 v2, v18
	ds_store_b128 v19, v[10:13]
	ds_store_b16 v3, v14
.LBB73_38:
	s_wait_alu 0xfffe
	s_or_b32 exec_lo, exec_lo, s2
	s_wait_loadcnt_dscnt 0x0
	s_barrier_signal -1
	s_barrier_wait -1
	global_inv scope:SCOPE_SE
	s_and_saveexec_b32 s2, s0
	s_cbranch_execz .LBB73_43
; %bb.39:
	s_and_saveexec_b32 s0, vcc_lo
	s_cbranch_execz .LBB73_41
; %bb.40:
	v_mad_co_u64_u32 v[2:3], null, v6, s7, v[1:2]
	ds_load_u8 v12, v9
	ds_load_b64 v[8:9], v8
	v_mov_b32_e32 v3, 0
	v_mad_co_u64_u32 v[10:11], null, v6, s6, v[0:1]
	s_delay_alu instid0(VALU_DEP_2) | instskip(NEXT) | instid1(VALU_DEP_1)
	v_lshlrev_b64_e32 v[2:3], 3, v[2:3]
	v_add_co_u32 v2, vcc_lo, s10, v2
	s_wait_alu 0xfffd
	s_delay_alu instid0(VALU_DEP_2)
	v_add_co_ci_u32_e64 v3, null, s11, v3, vcc_lo
	s_wait_dscnt 0x1
	global_store_b8 v10, v12, s[8:9]
	s_wait_dscnt 0x0
	global_store_b64 v[2:3], v[8:9], off
.LBB73_41:
	s_wait_alu 0xfffe
	s_or_b32 exec_lo, exec_lo, s0
	s_delay_alu instid0(SALU_CYCLE_1)
	s_and_b32 exec_lo, exec_lo, s1
	s_cbranch_execz .LBB73_43
; %bb.42:
	v_mad_co_u64_u32 v[1:2], null, v7, s7, v[1:2]
	ds_load_u8 v8, v4
	ds_load_b64 v[3:4], v5
	v_mov_b32_e32 v2, 0
	s_delay_alu instid0(VALU_DEP_1) | instskip(NEXT) | instid1(VALU_DEP_1)
	v_lshlrev_b64_e32 v[1:2], 3, v[1:2]
	v_mad_co_u64_u32 v[5:6], null, v7, s6, v[0:1]
	v_add_co_u32 v0, vcc_lo, s10, v1
	s_wait_alu 0xfffd
	s_delay_alu instid0(VALU_DEP_3)
	v_add_co_ci_u32_e64 v1, null, s11, v2, vcc_lo
	s_wait_dscnt 0x1
	global_store_b8 v5, v8, s[8:9]
	s_wait_dscnt 0x0
	global_store_b64 v[0:1], v[3:4], off
.LBB73_43:
	s_endpgm
	.section	.rodata,"a",@progbits
	.p2align	6, 0x0
	.amdhsa_kernel _ZN2at6native20bitonicSortKVInPlaceILin2ELin1ELi16ELi16EblNS0_4GTOpIbLb1EEEjEEvNS_4cuda6detail10TensorInfoIT3_T6_EES8_S8_S8_NS6_IT4_S8_EES8_T5_
		.amdhsa_group_segment_fixed_size 5120
		.amdhsa_private_segment_fixed_size 0
		.amdhsa_kernarg_size 712
		.amdhsa_user_sgpr_count 2
		.amdhsa_user_sgpr_dispatch_ptr 0
		.amdhsa_user_sgpr_queue_ptr 0
		.amdhsa_user_sgpr_kernarg_segment_ptr 1
		.amdhsa_user_sgpr_dispatch_id 0
		.amdhsa_user_sgpr_private_segment_size 0
		.amdhsa_wavefront_size32 1
		.amdhsa_uses_dynamic_stack 0
		.amdhsa_enable_private_segment 0
		.amdhsa_system_sgpr_workgroup_id_x 1
		.amdhsa_system_sgpr_workgroup_id_y 1
		.amdhsa_system_sgpr_workgroup_id_z 1
		.amdhsa_system_sgpr_workgroup_info 0
		.amdhsa_system_vgpr_workitem_id 1
		.amdhsa_next_free_vgpr 34
		.amdhsa_next_free_sgpr 16
		.amdhsa_reserve_vcc 1
		.amdhsa_float_round_mode_32 0
		.amdhsa_float_round_mode_16_64 0
		.amdhsa_float_denorm_mode_32 3
		.amdhsa_float_denorm_mode_16_64 3
		.amdhsa_fp16_overflow 0
		.amdhsa_workgroup_processor_mode 1
		.amdhsa_memory_ordered 1
		.amdhsa_forward_progress 1
		.amdhsa_inst_pref_size 37
		.amdhsa_round_robin_scheduling 0
		.amdhsa_exception_fp_ieee_invalid_op 0
		.amdhsa_exception_fp_denorm_src 0
		.amdhsa_exception_fp_ieee_div_zero 0
		.amdhsa_exception_fp_ieee_overflow 0
		.amdhsa_exception_fp_ieee_underflow 0
		.amdhsa_exception_fp_ieee_inexact 0
		.amdhsa_exception_int_div_zero 0
	.end_amdhsa_kernel
	.section	.text._ZN2at6native20bitonicSortKVInPlaceILin2ELin1ELi16ELi16EblNS0_4GTOpIbLb1EEEjEEvNS_4cuda6detail10TensorInfoIT3_T6_EES8_S8_S8_NS6_IT4_S8_EES8_T5_,"axG",@progbits,_ZN2at6native20bitonicSortKVInPlaceILin2ELin1ELi16ELi16EblNS0_4GTOpIbLb1EEEjEEvNS_4cuda6detail10TensorInfoIT3_T6_EES8_S8_S8_NS6_IT4_S8_EES8_T5_,comdat
.Lfunc_end73:
	.size	_ZN2at6native20bitonicSortKVInPlaceILin2ELin1ELi16ELi16EblNS0_4GTOpIbLb1EEEjEEvNS_4cuda6detail10TensorInfoIT3_T6_EES8_S8_S8_NS6_IT4_S8_EES8_T5_, .Lfunc_end73-_ZN2at6native20bitonicSortKVInPlaceILin2ELin1ELi16ELi16EblNS0_4GTOpIbLb1EEEjEEvNS_4cuda6detail10TensorInfoIT3_T6_EES8_S8_S8_NS6_IT4_S8_EES8_T5_
                                        ; -- End function
	.set _ZN2at6native20bitonicSortKVInPlaceILin2ELin1ELi16ELi16EblNS0_4GTOpIbLb1EEEjEEvNS_4cuda6detail10TensorInfoIT3_T6_EES8_S8_S8_NS6_IT4_S8_EES8_T5_.num_vgpr, 34
	.set _ZN2at6native20bitonicSortKVInPlaceILin2ELin1ELi16ELi16EblNS0_4GTOpIbLb1EEEjEEvNS_4cuda6detail10TensorInfoIT3_T6_EES8_S8_S8_NS6_IT4_S8_EES8_T5_.num_agpr, 0
	.set _ZN2at6native20bitonicSortKVInPlaceILin2ELin1ELi16ELi16EblNS0_4GTOpIbLb1EEEjEEvNS_4cuda6detail10TensorInfoIT3_T6_EES8_S8_S8_NS6_IT4_S8_EES8_T5_.numbered_sgpr, 16
	.set _ZN2at6native20bitonicSortKVInPlaceILin2ELin1ELi16ELi16EblNS0_4GTOpIbLb1EEEjEEvNS_4cuda6detail10TensorInfoIT3_T6_EES8_S8_S8_NS6_IT4_S8_EES8_T5_.num_named_barrier, 0
	.set _ZN2at6native20bitonicSortKVInPlaceILin2ELin1ELi16ELi16EblNS0_4GTOpIbLb1EEEjEEvNS_4cuda6detail10TensorInfoIT3_T6_EES8_S8_S8_NS6_IT4_S8_EES8_T5_.private_seg_size, 0
	.set _ZN2at6native20bitonicSortKVInPlaceILin2ELin1ELi16ELi16EblNS0_4GTOpIbLb1EEEjEEvNS_4cuda6detail10TensorInfoIT3_T6_EES8_S8_S8_NS6_IT4_S8_EES8_T5_.uses_vcc, 1
	.set _ZN2at6native20bitonicSortKVInPlaceILin2ELin1ELi16ELi16EblNS0_4GTOpIbLb1EEEjEEvNS_4cuda6detail10TensorInfoIT3_T6_EES8_S8_S8_NS6_IT4_S8_EES8_T5_.uses_flat_scratch, 0
	.set _ZN2at6native20bitonicSortKVInPlaceILin2ELin1ELi16ELi16EblNS0_4GTOpIbLb1EEEjEEvNS_4cuda6detail10TensorInfoIT3_T6_EES8_S8_S8_NS6_IT4_S8_EES8_T5_.has_dyn_sized_stack, 0
	.set _ZN2at6native20bitonicSortKVInPlaceILin2ELin1ELi16ELi16EblNS0_4GTOpIbLb1EEEjEEvNS_4cuda6detail10TensorInfoIT3_T6_EES8_S8_S8_NS6_IT4_S8_EES8_T5_.has_recursion, 0
	.set _ZN2at6native20bitonicSortKVInPlaceILin2ELin1ELi16ELi16EblNS0_4GTOpIbLb1EEEjEEvNS_4cuda6detail10TensorInfoIT3_T6_EES8_S8_S8_NS6_IT4_S8_EES8_T5_.has_indirect_call, 0
	.section	.AMDGPU.csdata,"",@progbits
; Kernel info:
; codeLenInByte = 4656
; TotalNumSgprs: 18
; NumVgprs: 34
; ScratchSize: 0
; MemoryBound: 0
; FloatMode: 240
; IeeeMode: 1
; LDSByteSize: 5120 bytes/workgroup (compile time only)
; SGPRBlocks: 0
; VGPRBlocks: 4
; NumSGPRsForWavesPerEU: 18
; NumVGPRsForWavesPerEU: 34
; Occupancy: 16
; WaveLimiterHint : 1
; COMPUTE_PGM_RSRC2:SCRATCH_EN: 0
; COMPUTE_PGM_RSRC2:USER_SGPR: 2
; COMPUTE_PGM_RSRC2:TRAP_HANDLER: 0
; COMPUTE_PGM_RSRC2:TGID_X_EN: 1
; COMPUTE_PGM_RSRC2:TGID_Y_EN: 1
; COMPUTE_PGM_RSRC2:TGID_Z_EN: 1
; COMPUTE_PGM_RSRC2:TIDIG_COMP_CNT: 1
	.section	.text._ZN2at6native20bitonicSortKVInPlaceILi2ELin1ELi16ELi16EblNS0_4LTOpIbLb1EEEjEEvNS_4cuda6detail10TensorInfoIT3_T6_EES8_S8_S8_NS6_IT4_S8_EES8_T5_,"axG",@progbits,_ZN2at6native20bitonicSortKVInPlaceILi2ELin1ELi16ELi16EblNS0_4LTOpIbLb1EEEjEEvNS_4cuda6detail10TensorInfoIT3_T6_EES8_S8_S8_NS6_IT4_S8_EES8_T5_,comdat
	.protected	_ZN2at6native20bitonicSortKVInPlaceILi2ELin1ELi16ELi16EblNS0_4LTOpIbLb1EEEjEEvNS_4cuda6detail10TensorInfoIT3_T6_EES8_S8_S8_NS6_IT4_S8_EES8_T5_ ; -- Begin function _ZN2at6native20bitonicSortKVInPlaceILi2ELin1ELi16ELi16EblNS0_4LTOpIbLb1EEEjEEvNS_4cuda6detail10TensorInfoIT3_T6_EES8_S8_S8_NS6_IT4_S8_EES8_T5_
	.globl	_ZN2at6native20bitonicSortKVInPlaceILi2ELin1ELi16ELi16EblNS0_4LTOpIbLb1EEEjEEvNS_4cuda6detail10TensorInfoIT3_T6_EES8_S8_S8_NS6_IT4_S8_EES8_T5_
	.p2align	8
	.type	_ZN2at6native20bitonicSortKVInPlaceILi2ELin1ELi16ELi16EblNS0_4LTOpIbLb1EEEjEEvNS_4cuda6detail10TensorInfoIT3_T6_EES8_S8_S8_NS6_IT4_S8_EES8_T5_,@function
_ZN2at6native20bitonicSortKVInPlaceILi2ELin1ELi16ELi16EblNS0_4LTOpIbLb1EEEjEEvNS_4cuda6detail10TensorInfoIT3_T6_EES8_S8_S8_NS6_IT4_S8_EES8_T5_: ; @_ZN2at6native20bitonicSortKVInPlaceILi2ELin1ELi16ELi16EblNS0_4LTOpIbLb1EEEjEEvNS_4cuda6detail10TensorInfoIT3_T6_EES8_S8_S8_NS6_IT4_S8_EES8_T5_
; %bb.0:
	s_clause 0x2
	s_load_b64 s[2:3], s[0:1], 0x1c8
	s_load_u16 s7, s[0:1], 0x1d6
	s_load_b96 s[4:6], s[0:1], 0xd8
	s_lshr_b32 s8, ttmp7, 16
	s_wait_kmcnt 0x0
	s_mul_i32 s3, s3, s8
	s_and_b32 s8, ttmp7, 0xffff
	s_delay_alu instid0(SALU_CYCLE_1) | instskip(NEXT) | instid1(SALU_CYCLE_1)
	s_add_co_i32 s3, s3, s8
	s_mul_i32 s2, s3, s2
	s_delay_alu instid0(SALU_CYCLE_1) | instskip(NEXT) | instid1(SALU_CYCLE_1)
	s_add_co_i32 s10, s2, ttmp9
	s_mul_i32 s10, s10, s7
	s_delay_alu instid0(SALU_CYCLE_1)
	s_cmp_ge_u32 s10, s4
	s_cbranch_scc1 .LBB74_44
; %bb.1:
	s_clause 0x2
	s_load_b32 s7, s[0:1], 0xc
	s_load_b64 s[2:3], s[0:1], 0x6c
	s_load_b32 s14, s[0:1], 0x1b8
	v_bfe_u32 v8, v0, 10, 10
	s_mov_b32 s13, 0
	s_delay_alu instid0(VALU_DEP_1) | instskip(SKIP_3) | instid1(SALU_CYCLE_2)
	v_add_nc_u32_e32 v4, s10, v8
	s_wait_kmcnt 0x0
	s_cvt_f32_u32 s8, s7
	s_sub_co_i32 s12, 0, s7
	v_rcp_iflag_f32_e32 v1, s8
	s_delay_alu instid0(TRANS32_DEP_1) | instskip(SKIP_3) | instid1(SALU_CYCLE_2)
	v_readfirstlane_b32 s8, v1
	v_mov_b32_e32 v1, 0
	s_mul_f32 s11, s8, 0x4f7ffffe
	s_load_b64 s[8:9], s[0:1], 0x0
	s_cvt_u32_f32 s11, s11
	s_wait_alu 0xfffe
	s_delay_alu instid0(SALU_CYCLE_2) | instskip(NEXT) | instid1(SALU_CYCLE_1)
	s_mul_i32 s12, s12, s11
	s_mul_hi_u32 s10, s11, s12
	s_wait_alu 0xfffe
	s_add_co_i32 s11, s11, s10
	s_cmp_lt_i32 s14, 2
	s_wait_alu 0xfffe
	v_mad_co_u64_u32 v[2:3], null, v4, s11, 0
	s_add_nc_u64 s[10:11], s[0:1], 0xe8
	s_cbranch_scc1 .LBB74_4
; %bb.2:
	s_add_co_i32 s12, s14, -1
	v_mov_b32_e32 v1, 0
	s_lshl_b64 s[12:13], s[12:13], 2
	v_mov_b32_e32 v5, v4
	s_wait_alu 0xfffe
	s_add_nc_u64 s[12:13], s[10:11], s[12:13]
	s_add_co_i32 s14, s14, 1
	s_add_nc_u64 s[12:13], s[12:13], 8
.LBB74_3:                               ; =>This Inner Loop Header: Depth=1
	s_clause 0x1
	s_load_b32 s15, s[12:13], 0x0
	s_load_b32 s16, s[12:13], 0x64
	s_add_co_i32 s14, s14, -1
	s_add_nc_u64 s[12:13], s[12:13], -4
	s_wait_kmcnt 0x0
	s_cvt_f32_u32 s17, s15
	s_sub_co_i32 s18, 0, s15
	s_wait_alu 0xfffe
	s_delay_alu instid0(SALU_CYCLE_1) | instskip(NEXT) | instid1(TRANS32_DEP_1)
	v_rcp_iflag_f32_e32 v2, s17
	v_readfirstlane_b32 s17, v2
	v_mov_b32_e32 v2, v5
	s_mul_f32 s17, s17, 0x4f7ffffe
	s_wait_alu 0xfffe
	s_delay_alu instid0(SALU_CYCLE_2) | instskip(SKIP_1) | instid1(SALU_CYCLE_2)
	s_cvt_u32_f32 s17, s17
	s_wait_alu 0xfffe
	s_mul_i32 s18, s18, s17
	s_delay_alu instid0(SALU_CYCLE_1) | instskip(NEXT) | instid1(SALU_CYCLE_1)
	s_mul_hi_u32 s18, s17, s18
	s_add_co_i32 s17, s17, s18
	s_cmp_gt_u32 s14, 2
	s_wait_alu 0xfffe
	v_mul_hi_u32 v5, v2, s17
	s_delay_alu instid0(VALU_DEP_1) | instskip(SKIP_1) | instid1(VALU_DEP_2)
	v_mul_lo_u32 v6, v5, s15
	v_add_nc_u32_e32 v7, 1, v5
	v_sub_nc_u32_e32 v6, v2, v6
	s_delay_alu instid0(VALU_DEP_1) | instskip(SKIP_2) | instid1(VALU_DEP_2)
	v_subrev_nc_u32_e32 v9, s15, v6
	v_cmp_le_u32_e32 vcc_lo, s15, v6
	s_wait_alu 0xfffd
	v_dual_cndmask_b32 v5, v5, v7 :: v_dual_cndmask_b32 v6, v6, v9
	s_delay_alu instid0(VALU_DEP_1) | instskip(NEXT) | instid1(VALU_DEP_2)
	v_add_nc_u32_e32 v7, 1, v5
	v_cmp_le_u32_e32 vcc_lo, s15, v6
	s_wait_alu 0xfffd
	s_delay_alu instid0(VALU_DEP_2) | instskip(NEXT) | instid1(VALU_DEP_1)
	v_cndmask_b32_e32 v5, v5, v7, vcc_lo
	v_mul_lo_u32 v6, v5, s15
	s_delay_alu instid0(VALU_DEP_1) | instskip(NEXT) | instid1(VALU_DEP_1)
	v_sub_nc_u32_e32 v2, v2, v6
	v_mad_co_u64_u32 v[1:2], null, s16, v2, v[1:2]
	s_cbranch_scc1 .LBB74_3
	s_branch .LBB74_5
.LBB74_4:
	v_mov_b32_e32 v5, v4
.LBB74_5:
	v_mul_lo_u32 v2, v3, s7
	v_add_nc_u32_e32 v6, 1, v3
	s_load_b32 s14, s[10:11], 0x6c
	s_add_nc_u64 s[12:13], s[0:1], 0x1c8
	v_mov_b32_e32 v10, 0
	s_load_b32 s12, s[12:13], 0xc
	v_mov_b32_e32 v11, 0
	s_delay_alu instid0(VALU_DEP_4) | instskip(NEXT) | instid1(VALU_DEP_1)
	v_sub_nc_u32_e32 v2, v4, v2
	v_subrev_nc_u32_e32 v7, s7, v2
	v_cmp_le_u32_e32 vcc_lo, s7, v2
	s_wait_alu 0xfffd
	s_delay_alu instid0(VALU_DEP_2) | instskip(SKIP_1) | instid1(VALU_DEP_2)
	v_dual_cndmask_b32 v3, v3, v6 :: v_dual_cndmask_b32 v2, v2, v7
	v_and_b32_e32 v7, 0x3ff, v0
	v_add_nc_u32_e32 v6, 1, v3
	s_delay_alu instid0(VALU_DEP_3) | instskip(SKIP_1) | instid1(VALU_DEP_2)
	v_cmp_le_u32_e32 vcc_lo, s7, v2
	s_wait_alu 0xfffd
	v_cndmask_b32_e32 v6, v3, v6, vcc_lo
	v_cmp_gt_u32_e32 vcc_lo, s5, v7
	s_delay_alu instid0(VALU_DEP_2) | instskip(SKIP_4) | instid1(VALU_DEP_2)
	v_mul_lo_u32 v2, v6, s7
	s_clause 0x1
	s_load_b32 s7, s[0:1], 0x1c0
	s_load_b64 s[10:11], s[10:11], 0x0
	v_cmp_gt_u32_e64 s0, s4, v4
	v_sub_nc_u32_e32 v2, v4, v2
	s_delay_alu instid0(VALU_DEP_1) | instskip(SKIP_4) | instid1(VALU_DEP_4)
	v_mul_lo_u32 v0, v2, s3
	s_wait_kmcnt 0x0
	v_mad_co_u64_u32 v[2:3], null, s14, v5, v[1:2]
	v_mov_b32_e32 v3, 0
	v_mov_b32_e32 v4, 0
	v_mad_co_u64_u32 v[0:1], null, v6, s2, v[0:1]
	v_mov_b32_e32 v5, 0
	v_mov_b32_e32 v6, 0
	s_and_b32 s2, s0, vcc_lo
	s_wait_alu 0xfffe
	s_and_saveexec_b32 s3, s2
	s_cbranch_execz .LBB74_7
; %bb.6:
	v_mad_co_u64_u32 v[5:6], null, v7, s7, v[2:3]
	v_mov_b32_e32 v6, 0
	v_mad_co_u64_u32 v[11:12], null, v7, s6, v[0:1]
	s_delay_alu instid0(VALU_DEP_2) | instskip(NEXT) | instid1(VALU_DEP_1)
	v_lshlrev_b64_e32 v[5:6], 3, v[5:6]
	v_add_co_u32 v5, s1, s10, v5
	s_delay_alu instid0(VALU_DEP_1)
	v_add_co_ci_u32_e64 v6, null, s11, v6, s1
	global_load_u8 v11, v11, s[8:9]
	global_load_b64 v[5:6], v[5:6], off
.LBB74_7:
	s_wait_alu 0xfffe
	s_or_b32 exec_lo, exec_lo, s3
	v_lshlrev_b32_e32 v9, 5, v8
	s_and_b32 s3, 0xffff, s12
	v_lshlrev_b32_e32 v12, 8, v8
	s_wait_alu 0xfffe
	v_add_nc_u32_e32 v1, s3, v7
	v_cndmask_b32_e64 v14, 0, 1, s2
	v_add_nc_u32_e32 v13, 0x1000, v9
	v_add_nc_u32_e32 v15, 0x1200, v9
	v_lshl_add_u32 v8, v7, 3, v12
	v_cmp_gt_u32_e64 s1, s5, v1
	s_delay_alu instid0(VALU_DEP_4) | instskip(NEXT) | instid1(VALU_DEP_4)
	v_add_nc_u32_e32 v9, v13, v7
	v_add_nc_u32_e32 v16, v15, v7
	s_wait_loadcnt 0x1
	ds_store_b8 v9, v11
	s_wait_loadcnt 0x0
	ds_store_b64 v8, v[5:6]
	ds_store_b8 v16, v14
	s_and_b32 s4, s0, s1
	s_wait_alu 0xfffe
	s_and_saveexec_b32 s5, s4
	s_cbranch_execz .LBB74_9
; %bb.8:
	v_mad_co_u64_u32 v[3:4], null, v1, s7, v[2:3]
	v_mov_b32_e32 v4, 0
	v_mad_co_u64_u32 v[5:6], null, v1, s6, v[0:1]
	s_delay_alu instid0(VALU_DEP_2) | instskip(NEXT) | instid1(VALU_DEP_1)
	v_lshlrev_b64_e32 v[3:4], 3, v[3:4]
	v_add_co_u32 v3, s2, s10, v3
	s_wait_alu 0xf1ff
	s_delay_alu instid0(VALU_DEP_2)
	v_add_co_ci_u32_e64 v4, null, s11, v4, s2
	global_load_u8 v10, v5, s[8:9]
	global_load_b64 v[3:4], v[3:4], off
.LBB74_9:
	s_wait_alu 0xfffe
	s_or_b32 exec_lo, exec_lo, s5
	v_add_nc_u32_e32 v5, v13, v1
	v_lshlrev_b32_e32 v16, 1, v7
	v_lshl_add_u32 v6, s3, 3, v8
	v_cndmask_b32_e64 v11, 0, 1, s4
	v_add_nc_u32_e32 v14, v15, v1
	s_wait_loadcnt 0x1
	ds_store_b8 v5, v10
	s_wait_loadcnt 0x0
	ds_store_b64 v6, v[3:4]
	ds_store_b8 v14, v11
	v_add_nc_u32_e32 v3, v13, v16
	v_add_nc_u32_e32 v4, v15, v16
	s_wait_dscnt 0x0
	s_barrier_signal -1
	s_barrier_wait -1
	global_inv scope:SCOPE_SE
	ds_load_u16 v18, v3
	ds_load_u16 v14, v4
	v_and_b32_e32 v10, 1, v7
	s_wait_dscnt 0x1
	v_and_b32_e32 v17, 0xff, v18
	s_wait_dscnt 0x0
	v_lshrrev_b16 v11, 8, v14
	v_lshrrev_b16 v19, 8, v18
	v_and_b32_e32 v20, 1, v14
	s_delay_alu instid0(VALU_DEP_3) | instskip(NEXT) | instid1(VALU_DEP_3)
	v_cmp_ne_u16_e64 s4, v11, v10
	v_cmp_lt_u16_e64 s2, v17, v19
	s_delay_alu instid0(VALU_DEP_3) | instskip(SKIP_1) | instid1(VALU_DEP_3)
	v_cmp_eq_u32_e64 s3, 1, v20
	s_wait_alu 0xf1ff
	v_cndmask_b32_e64 v17, 0, 1, s4
	s_and_b32 s2, s2, s3
	s_wait_alu 0xfffe
	s_delay_alu instid0(VALU_DEP_1) | instskip(NEXT) | instid1(VALU_DEP_1)
	v_cndmask_b32_e64 v17, v17, v7, s2
	v_and_b32_e32 v17, 1, v17
	s_delay_alu instid0(VALU_DEP_1)
	v_cmp_eq_u32_e64 s2, 1, v17
	v_lshl_add_u32 v17, v7, 3, v8
	s_and_saveexec_b32 s3, s2
	s_wait_alu 0xfffe
	s_xor_b32 s2, exec_lo, s3
	s_cbranch_execz .LBB74_11
; %bb.10:
	ds_load_b128 v[20:23], v17
	v_lshlrev_b16 v18, 8, v18
	v_lshlrev_b16 v14, 8, v14
	s_delay_alu instid0(VALU_DEP_2) | instskip(NEXT) | instid1(VALU_DEP_2)
	v_or_b32_e32 v24, v19, v18
	v_or_b32_e32 v11, v11, v14
	s_wait_dscnt 0x0
	v_dual_mov_b32 v18, v22 :: v_dual_mov_b32 v19, v23
	ds_store_b16 v3, v24
	ds_store_b128 v17, v[18:21]
	ds_store_b16 v4, v11
.LBB74_11:
	s_wait_alu 0xfffe
	s_or_b32 exec_lo, exec_lo, s2
	v_sub_nc_u32_e32 v14, v16, v10
	s_wait_loadcnt_dscnt 0x0
	s_barrier_signal -1
	s_barrier_wait -1
	global_inv scope:SCOPE_SE
	v_add_nc_u32_e32 v10, v15, v14
	v_add_nc_u32_e32 v11, v13, v14
	v_bfe_u32 v23, v7, 1, 1
	v_lshl_add_u32 v14, v14, 3, v12
	ds_load_u8 v19, v10
	ds_load_u8 v20, v11
	ds_load_u8 v22, v11 offset:2
	ds_load_u8 v21, v10 offset:2
	s_wait_dscnt 0x3
	v_and_b32_e32 v18, 1, v19
	s_wait_dscnt 0x1
	v_cmp_lt_u16_e64 s2, v20, v22
	s_wait_dscnt 0x0
	v_cmp_ne_u16_e64 s4, v21, v23
	v_cmp_eq_u32_e64 s3, 1, v18
	s_wait_alu 0xf1ff
	s_delay_alu instid0(VALU_DEP_2) | instskip(SKIP_2) | instid1(VALU_DEP_1)
	v_cndmask_b32_e64 v18, 0, 1, s4
	s_and_b32 s2, s2, s3
	s_wait_alu 0xfffe
	v_cndmask_b32_e64 v23, v18, v23, s2
	v_and_b32_e32 v18, 2, v7
	s_delay_alu instid0(VALU_DEP_2) | instskip(NEXT) | instid1(VALU_DEP_2)
	v_and_b32_e32 v23, 1, v23
	v_cmp_ne_u32_e64 s2, 0, v18
	s_delay_alu instid0(VALU_DEP_2)
	v_cmp_eq_u32_e64 s3, 1, v23
	s_and_saveexec_b32 s4, s3
	s_wait_alu 0xfffe
	s_xor_b32 s3, exec_lo, s4
	s_cbranch_execz .LBB74_13
; %bb.12:
	ds_load_2addr_b64 v[23:26], v14 offset1:2
	s_wait_dscnt 0x0
	ds_store_2addr_b64 v14, v[25:26], v[23:24] offset1:2
	ds_store_b8 v11, v22
	ds_store_b8 v11, v20 offset:2
	ds_store_b8 v10, v21
	ds_store_b8 v10, v19 offset:2
.LBB74_13:
	s_wait_alu 0xfffe
	s_or_b32 exec_lo, exec_lo, s3
	s_wait_loadcnt_dscnt 0x0
	s_barrier_signal -1
	s_barrier_wait -1
	global_inv scope:SCOPE_SE
	ds_load_u16 v20, v3
	ds_load_u16 v19, v4
	v_lshrrev_b32_e32 v22, 1, v18
	v_cndmask_b32_e64 v25, 0, 1, s2
	s_wait_dscnt 0x1
	v_and_b32_e32 v23, 0xff, v20
	s_wait_dscnt 0x0
	v_lshrrev_b16 v18, 8, v19
	v_lshrrev_b16 v21, 8, v20
	v_and_b32_e32 v24, 1, v19
	s_delay_alu instid0(VALU_DEP_3) | instskip(NEXT) | instid1(VALU_DEP_3)
	v_cmp_ne_u16_e64 s4, v18, v22
	v_cmp_lt_u16_e64 s2, v23, v21
	s_delay_alu instid0(VALU_DEP_3) | instskip(SKIP_1) | instid1(VALU_DEP_3)
	v_cmp_eq_u32_e64 s3, 1, v24
	s_wait_alu 0xf1ff
	v_cndmask_b32_e64 v22, 0, 1, s4
	s_and_b32 s2, s2, s3
	s_mov_b32 s3, exec_lo
	s_wait_alu 0xfffe
	s_delay_alu instid0(VALU_DEP_1) | instskip(NEXT) | instid1(VALU_DEP_1)
	v_cndmask_b32_e64 v22, v22, v25, s2
	v_and_b32_e32 v22, 1, v22
	s_delay_alu instid0(VALU_DEP_1)
	v_cmpx_eq_u32_e32 1, v22
	s_cbranch_execz .LBB74_15
; %bb.14:
	ds_load_b128 v[22:25], v17
	v_lshlrev_b16 v20, 8, v20
	v_lshlrev_b16 v26, 8, v19
	s_delay_alu instid0(VALU_DEP_2) | instskip(NEXT) | instid1(VALU_DEP_2)
	v_or_b32_e32 v27, v21, v20
	v_or_b32_e32 v18, v18, v26
	s_wait_dscnt 0x0
	v_dual_mov_b32 v19, v24 :: v_dual_mov_b32 v20, v25
	v_dual_mov_b32 v21, v22 :: v_dual_mov_b32 v22, v23
	ds_store_b16 v3, v27
	ds_store_b128 v17, v[19:22]
	ds_store_b16 v4, v18
.LBB74_15:
	s_or_b32 exec_lo, exec_lo, s3
	v_and_b32_e32 v17, 3, v7
	s_wait_loadcnt_dscnt 0x0
	s_barrier_signal -1
	s_barrier_wait -1
	global_inv scope:SCOPE_SE
	v_sub_nc_u32_e32 v20, v16, v17
	v_bfe_u32 v25, v7, 2, 1
	s_delay_alu instid0(VALU_DEP_2)
	v_add_nc_u32_e32 v17, v15, v20
	v_add_nc_u32_e32 v18, v13, v20
	v_lshl_add_u32 v20, v20, 3, v12
	ds_load_u8 v21, v17
	ds_load_u8 v22, v18
	ds_load_u8 v24, v18 offset:4
	ds_load_u8 v23, v17 offset:4
	s_wait_dscnt 0x3
	v_and_b32_e32 v19, 1, v21
	s_wait_dscnt 0x1
	v_cmp_lt_u16_e64 s2, v22, v24
	s_wait_dscnt 0x0
	v_cmp_ne_u16_e64 s4, v23, v25
	v_cmp_eq_u32_e64 s3, 1, v19
	s_wait_alu 0xf1ff
	s_delay_alu instid0(VALU_DEP_2) | instskip(SKIP_3) | instid1(VALU_DEP_1)
	v_cndmask_b32_e64 v19, 0, 1, s4
	s_mov_b32 s4, exec_lo
	s_and_b32 s2, s2, s3
	s_wait_alu 0xfffe
	v_cndmask_b32_e64 v25, v19, v25, s2
	v_and_b32_e32 v19, 4, v7
	s_delay_alu instid0(VALU_DEP_2) | instskip(NEXT) | instid1(VALU_DEP_2)
	v_and_b32_e32 v25, 1, v25
	v_cmp_ne_u32_e64 s2, 0, v19
	s_delay_alu instid0(VALU_DEP_2)
	v_cmpx_eq_u32_e32 1, v25
	s_cbranch_execz .LBB74_17
; %bb.16:
	ds_load_2addr_b64 v[25:28], v20 offset1:4
	s_wait_dscnt 0x0
	ds_store_2addr_b64 v20, v[27:28], v[25:26] offset1:4
	ds_store_b8 v18, v24
	ds_store_b8 v18, v22 offset:4
	ds_store_b8 v17, v23
	ds_store_b8 v17, v21 offset:4
.LBB74_17:
	s_or_b32 exec_lo, exec_lo, s4
	s_wait_loadcnt_dscnt 0x0
	s_barrier_signal -1
	s_barrier_wait -1
	global_inv scope:SCOPE_SE
	ds_load_u8 v22, v10
	ds_load_u8 v23, v11
	ds_load_u8 v25, v11 offset:2
	ds_load_u8 v24, v10 offset:2
	v_lshrrev_b32_e32 v19, 2, v19
	v_cndmask_b32_e64 v21, 0, 1, s2
	s_wait_dscnt 0x3
	v_and_b32_e32 v26, 1, v22
	s_wait_dscnt 0x1
	v_cmp_lt_u16_e64 s2, v23, v25
	s_wait_dscnt 0x0
	v_cmp_ne_u16_e64 s4, v24, v19
	v_cmp_eq_u32_e64 s3, 1, v26
	s_wait_alu 0xf1ff
	s_delay_alu instid0(VALU_DEP_2) | instskip(SKIP_3) | instid1(VALU_DEP_1)
	v_cndmask_b32_e64 v26, 0, 1, s4
	s_and_b32 s2, s2, s3
	s_mov_b32 s3, exec_lo
	s_wait_alu 0xfffe
	v_cndmask_b32_e64 v26, v26, v21, s2
	s_delay_alu instid0(VALU_DEP_1) | instskip(NEXT) | instid1(VALU_DEP_1)
	v_and_b32_e32 v26, 1, v26
	v_cmpx_eq_u32_e32 1, v26
	s_cbranch_execz .LBB74_19
; %bb.18:
	ds_load_2addr_b64 v[26:29], v14 offset1:2
	s_wait_dscnt 0x0
	ds_store_2addr_b64 v14, v[28:29], v[26:27] offset1:2
	ds_store_b8 v11, v25
	ds_store_b8 v11, v23 offset:2
	ds_store_b8 v10, v24
	ds_store_b8 v10, v22 offset:2
.LBB74_19:
	s_or_b32 exec_lo, exec_lo, s3
	s_wait_loadcnt_dscnt 0x0
	s_barrier_signal -1
	s_barrier_wait -1
	global_inv scope:SCOPE_SE
	ds_load_u16 v25, v3
	ds_load_u16 v23, v4
	s_wait_dscnt 0x1
	v_and_b32_e32 v26, 0xff, v25
	s_wait_dscnt 0x0
	v_lshrrev_b16 v22, 8, v23
	v_lshrrev_b16 v24, 8, v25
	v_and_b32_e32 v27, 1, v23
	s_delay_alu instid0(VALU_DEP_3) | instskip(NEXT) | instid1(VALU_DEP_3)
	v_cmp_ne_u16_e64 s4, v22, v19
	v_cmp_lt_u16_e64 s2, v26, v24
	s_delay_alu instid0(VALU_DEP_3) | instskip(SKIP_1) | instid1(VALU_DEP_3)
	v_cmp_eq_u32_e64 s3, 1, v27
	s_wait_alu 0xf1ff
	v_cndmask_b32_e64 v19, 0, 1, s4
	s_and_b32 s2, s2, s3
	s_wait_alu 0xfffe
	s_delay_alu instid0(VALU_DEP_1) | instskip(NEXT) | instid1(VALU_DEP_1)
	v_cndmask_b32_e64 v19, v19, v21, s2
	v_and_b32_e32 v19, 1, v19
	s_delay_alu instid0(VALU_DEP_1)
	v_cmp_eq_u32_e64 s2, 1, v19
	v_lshl_add_u32 v19, v16, 3, v12
	s_and_saveexec_b32 s3, s2
	s_cbranch_execz .LBB74_21
; %bb.20:
	ds_load_b128 v[26:29], v19
	v_lshlrev_b16 v21, 8, v25
	v_lshlrev_b16 v30, 8, v23
	s_delay_alu instid0(VALU_DEP_2) | instskip(NEXT) | instid1(VALU_DEP_2)
	v_or_b32_e32 v21, v24, v21
	v_or_b32_e32 v22, v22, v30
	s_wait_dscnt 0x0
	v_dual_mov_b32 v23, v28 :: v_dual_mov_b32 v24, v29
	v_dual_mov_b32 v25, v26 :: v_dual_mov_b32 v26, v27
	ds_store_b16 v3, v21
	ds_store_b128 v19, v[23:26]
	ds_store_b16 v4, v22
.LBB74_21:
	s_wait_alu 0xfffe
	s_or_b32 exec_lo, exec_lo, s3
	v_and_b32_e32 v21, 7, v7
	s_wait_loadcnt_dscnt 0x0
	s_barrier_signal -1
	s_barrier_wait -1
	global_inv scope:SCOPE_SE
	v_sub_nc_u32_e32 v23, v16, v21
	v_bfe_u32 v29, v7, 3, 1
	s_delay_alu instid0(VALU_DEP_2)
	v_add_nc_u32_e32 v21, v15, v23
	v_add_nc_u32_e32 v22, v13, v23
	v_lshl_add_u32 v23, v23, 3, v12
	ds_load_u8 v25, v21
	ds_load_u8 v26, v22
	ds_load_u8 v28, v22 offset:8
	ds_load_u8 v27, v21 offset:8
	s_wait_dscnt 0x3
	v_and_b32_e32 v24, 1, v25
	s_wait_dscnt 0x1
	v_cmp_lt_u16_e64 s2, v26, v28
	s_wait_dscnt 0x0
	v_cmp_ne_u16_e64 s4, v27, v29
	v_cmp_eq_u32_e64 s3, 1, v24
	s_wait_alu 0xf1ff
	s_delay_alu instid0(VALU_DEP_2) | instskip(SKIP_3) | instid1(VALU_DEP_1)
	v_cndmask_b32_e64 v24, 0, 1, s4
	s_mov_b32 s4, exec_lo
	s_and_b32 s2, s2, s3
	s_wait_alu 0xfffe
	v_cndmask_b32_e64 v29, v24, v29, s2
	v_and_b32_e32 v24, 8, v7
	s_delay_alu instid0(VALU_DEP_2) | instskip(NEXT) | instid1(VALU_DEP_2)
	v_and_b32_e32 v29, 1, v29
	v_cmp_ne_u32_e64 s2, 0, v24
	s_delay_alu instid0(VALU_DEP_2)
	v_cmpx_eq_u32_e32 1, v29
	s_cbranch_execz .LBB74_23
; %bb.22:
	ds_load_2addr_b64 v[29:32], v23 offset1:8
	s_wait_dscnt 0x0
	ds_store_2addr_b64 v23, v[31:32], v[29:30] offset1:8
	ds_store_b8 v22, v28
	ds_store_b8 v22, v26 offset:8
	ds_store_b8 v21, v27
	ds_store_b8 v21, v25 offset:8
.LBB74_23:
	s_or_b32 exec_lo, exec_lo, s4
	s_wait_loadcnt_dscnt 0x0
	s_barrier_signal -1
	s_barrier_wait -1
	global_inv scope:SCOPE_SE
	ds_load_u8 v26, v17
	ds_load_u8 v27, v18
	ds_load_u8 v29, v18 offset:4
	ds_load_u8 v28, v17 offset:4
	v_lshrrev_b32_e32 v24, 3, v24
	v_cndmask_b32_e64 v25, 0, 1, s2
	s_wait_dscnt 0x3
	v_and_b32_e32 v30, 1, v26
	s_wait_dscnt 0x1
	v_cmp_lt_u16_e64 s2, v27, v29
	s_wait_dscnt 0x0
	v_cmp_ne_u16_e64 s4, v28, v24
	v_cmp_eq_u32_e64 s3, 1, v30
	s_wait_alu 0xf1ff
	s_delay_alu instid0(VALU_DEP_2) | instskip(SKIP_3) | instid1(VALU_DEP_1)
	v_cndmask_b32_e64 v30, 0, 1, s4
	s_and_b32 s2, s2, s3
	s_mov_b32 s3, exec_lo
	s_wait_alu 0xfffe
	v_cndmask_b32_e64 v30, v30, v25, s2
	s_delay_alu instid0(VALU_DEP_1) | instskip(NEXT) | instid1(VALU_DEP_1)
	v_and_b32_e32 v30, 1, v30
	v_cmpx_eq_u32_e32 1, v30
	s_cbranch_execz .LBB74_25
; %bb.24:
	ds_load_2addr_b64 v[30:33], v20 offset1:4
	s_wait_dscnt 0x0
	ds_store_2addr_b64 v20, v[32:33], v[30:31] offset1:4
	ds_store_b8 v18, v29
	ds_store_b8 v18, v27 offset:4
	ds_store_b8 v17, v28
	ds_store_b8 v17, v26 offset:4
.LBB74_25:
	s_or_b32 exec_lo, exec_lo, s3
	s_wait_loadcnt_dscnt 0x0
	s_barrier_signal -1
	s_barrier_wait -1
	global_inv scope:SCOPE_SE
	ds_load_u8 v26, v10
	ds_load_u8 v27, v11
	ds_load_u8 v29, v11 offset:2
	ds_load_u8 v28, v10 offset:2
	s_wait_dscnt 0x3
	v_and_b32_e32 v30, 1, v26
	s_wait_dscnt 0x1
	v_cmp_lt_u16_e64 s2, v27, v29
	s_wait_dscnt 0x0
	v_cmp_ne_u16_e64 s4, v28, v24
	v_cmp_eq_u32_e64 s3, 1, v30
	s_wait_alu 0xf1ff
	s_delay_alu instid0(VALU_DEP_2) | instskip(SKIP_3) | instid1(VALU_DEP_1)
	v_cndmask_b32_e64 v30, 0, 1, s4
	s_and_b32 s2, s2, s3
	s_mov_b32 s3, exec_lo
	s_wait_alu 0xfffe
	v_cndmask_b32_e64 v30, v30, v25, s2
	s_delay_alu instid0(VALU_DEP_1) | instskip(NEXT) | instid1(VALU_DEP_1)
	v_and_b32_e32 v30, 1, v30
	v_cmpx_eq_u32_e32 1, v30
	s_cbranch_execz .LBB74_27
; %bb.26:
	ds_load_2addr_b64 v[30:33], v14 offset1:2
	s_wait_dscnt 0x0
	ds_store_2addr_b64 v14, v[32:33], v[30:31] offset1:2
	ds_store_b8 v11, v29
	ds_store_b8 v11, v27 offset:2
	ds_store_b8 v10, v28
	ds_store_b8 v10, v26 offset:2
.LBB74_27:
	s_or_b32 exec_lo, exec_lo, s3
	s_wait_loadcnt_dscnt 0x0
	s_barrier_signal -1
	s_barrier_wait -1
	global_inv scope:SCOPE_SE
	ds_load_u16 v29, v3
	ds_load_u16 v27, v4
	s_wait_dscnt 0x1
	v_and_b32_e32 v30, 0xff, v29
	s_wait_dscnt 0x0
	v_lshrrev_b16 v26, 8, v27
	v_lshrrev_b16 v28, 8, v29
	v_and_b32_e32 v31, 1, v27
	s_delay_alu instid0(VALU_DEP_3) | instskip(NEXT) | instid1(VALU_DEP_3)
	v_cmp_ne_u16_e64 s4, v26, v24
	v_cmp_lt_u16_e64 s2, v30, v28
	s_delay_alu instid0(VALU_DEP_3) | instskip(SKIP_1) | instid1(VALU_DEP_3)
	v_cmp_eq_u32_e64 s3, 1, v31
	s_wait_alu 0xf1ff
	v_cndmask_b32_e64 v24, 0, 1, s4
	s_and_b32 s2, s2, s3
	s_mov_b32 s3, exec_lo
	s_wait_alu 0xfffe
	s_delay_alu instid0(VALU_DEP_1) | instskip(NEXT) | instid1(VALU_DEP_1)
	v_cndmask_b32_e64 v24, v24, v25, s2
	v_and_b32_e32 v24, 1, v24
	s_delay_alu instid0(VALU_DEP_1)
	v_cmpx_eq_u32_e32 1, v24
	s_cbranch_execz .LBB74_29
; %bb.28:
	ds_load_b128 v[30:33], v19
	v_lshlrev_b16 v24, 8, v29
	v_lshlrev_b16 v25, 8, v27
	s_delay_alu instid0(VALU_DEP_2) | instskip(NEXT) | instid1(VALU_DEP_2)
	v_or_b32_e32 v24, v28, v24
	v_or_b32_e32 v25, v26, v25
	s_wait_dscnt 0x0
	v_dual_mov_b32 v27, v32 :: v_dual_mov_b32 v28, v33
	v_dual_mov_b32 v29, v30 :: v_dual_mov_b32 v30, v31
	ds_store_b16 v3, v24
	ds_store_b128 v19, v[27:30]
	ds_store_b16 v4, v25
.LBB74_29:
	s_or_b32 exec_lo, exec_lo, s3
	v_and_b32_e32 v24, 15, v7
	s_wait_loadcnt_dscnt 0x0
	s_barrier_signal -1
	s_barrier_wait -1
	global_inv scope:SCOPE_SE
	v_sub_nc_u32_e32 v16, v16, v24
	s_delay_alu instid0(VALU_DEP_1)
	v_add_nc_u32_e32 v15, v15, v16
	v_add_nc_u32_e32 v13, v13, v16
	ds_load_u8 v24, v15
	ds_load_u8 v27, v15 offset:16
	ds_load_u8 v25, v13
	ds_load_u8 v26, v13 offset:16
	s_wait_dscnt 0x2
	v_and_b32_e32 v27, 0xff, v27
	v_and_b32_e32 v28, 1, v24
	s_wait_dscnt 0x0
	v_cmp_ge_u16_e64 s3, v25, v26
	s_delay_alu instid0(VALU_DEP_3) | instskip(NEXT) | instid1(VALU_DEP_3)
	v_cmp_ne_u16_e64 s4, 0, v27
	v_cmp_eq_u32_e64 s2, 1, v28
	s_xor_b32 s2, s2, -1
	s_wait_alu 0xfffe
	s_or_b32 s2, s3, s2
	s_wait_alu 0xfffe
	s_and_b32 s3, s2, s4
	s_wait_alu 0xfffe
	s_and_saveexec_b32 s2, s3
	s_cbranch_execz .LBB74_31
; %bb.30:
	v_lshl_add_u32 v12, v16, 3, v12
	v_mov_b32_e32 v16, 1
	ds_load_2addr_b64 v[27:30], v12 offset1:16
	s_wait_dscnt 0x0
	ds_store_2addr_b64 v12, v[29:30], v[27:28] offset1:16
	ds_store_b8 v13, v26
	ds_store_b8 v13, v25 offset:16
	ds_store_b8 v15, v16
	ds_store_b8 v15, v24 offset:16
.LBB74_31:
	s_wait_alu 0xfffe
	s_or_b32 exec_lo, exec_lo, s2
	s_wait_loadcnt_dscnt 0x0
	s_barrier_signal -1
	s_barrier_wait -1
	global_inv scope:SCOPE_SE
	ds_load_u8 v12, v21
	ds_load_u8 v16, v21 offset:8
	ds_load_u8 v13, v22
	ds_load_u8 v15, v22 offset:8
	s_wait_dscnt 0x3
	v_and_b32_e32 v24, 1, v12
	s_wait_dscnt 0x2
	v_and_b32_e32 v16, 0xff, v16
	s_wait_dscnt 0x0
	v_cmp_ge_u16_e64 s3, v13, v15
	v_cmp_eq_u32_e64 s2, 1, v24
	s_delay_alu instid0(VALU_DEP_3)
	v_cmp_ne_u16_e64 s4, 0, v16
	s_xor_b32 s2, s2, -1
	s_wait_alu 0xfffe
	s_or_b32 s2, s3, s2
	s_wait_alu 0xfffe
	s_and_b32 s3, s2, s4
	s_wait_alu 0xfffe
	s_and_saveexec_b32 s2, s3
	s_cbranch_execz .LBB74_33
; %bb.32:
	ds_load_2addr_b64 v[24:27], v23 offset1:8
	v_mov_b32_e32 v16, 1
	s_wait_dscnt 0x0
	ds_store_2addr_b64 v23, v[26:27], v[24:25] offset1:8
	ds_store_b8 v22, v15
	ds_store_b8 v22, v13 offset:8
	ds_store_b8 v21, v16
	ds_store_b8 v21, v12 offset:8
.LBB74_33:
	s_wait_alu 0xfffe
	s_or_b32 exec_lo, exec_lo, s2
	s_wait_loadcnt_dscnt 0x0
	s_barrier_signal -1
	s_barrier_wait -1
	global_inv scope:SCOPE_SE
	ds_load_u8 v12, v17
	ds_load_u8 v16, v17 offset:4
	ds_load_u8 v13, v18
	ds_load_u8 v15, v18 offset:4
	s_wait_dscnt 0x3
	v_and_b32_e32 v21, 1, v12
	s_wait_dscnt 0x2
	v_and_b32_e32 v16, 0xff, v16
	s_wait_dscnt 0x0
	v_cmp_ge_u16_e64 s3, v13, v15
	v_cmp_eq_u32_e64 s2, 1, v21
	s_delay_alu instid0(VALU_DEP_3)
	v_cmp_ne_u16_e64 s4, 0, v16
	s_xor_b32 s2, s2, -1
	s_wait_alu 0xfffe
	s_or_b32 s2, s3, s2
	s_wait_alu 0xfffe
	s_and_b32 s3, s2, s4
	s_wait_alu 0xfffe
	s_and_saveexec_b32 s2, s3
	s_cbranch_execz .LBB74_35
; %bb.34:
	ds_load_2addr_b64 v[21:24], v20 offset1:4
	v_mov_b32_e32 v16, 1
	s_wait_dscnt 0x0
	ds_store_2addr_b64 v20, v[23:24], v[21:22] offset1:4
	ds_store_b8 v18, v15
	ds_store_b8 v18, v13 offset:4
	ds_store_b8 v17, v16
	ds_store_b8 v17, v12 offset:4
.LBB74_35:
	;; [unrolled: 37-line block ×3, first 2 shown]
	s_wait_alu 0xfffe
	s_or_b32 exec_lo, exec_lo, s2
	s_wait_loadcnt_dscnt 0x0
	s_barrier_signal -1
	s_barrier_wait -1
	global_inv scope:SCOPE_SE
	ds_load_u16 v10, v4
	ds_load_u16 v12, v3
	s_wait_dscnt 0x1
	v_and_b32_e32 v13, 1, v10
	s_wait_dscnt 0x0
	v_and_b32_e32 v14, 0xff, v12
	v_lshrrev_b16 v11, 8, v12
	v_lshrrev_b16 v15, 8, v10
	v_cmp_eq_u32_e64 s2, 1, v13
	s_delay_alu instid0(VALU_DEP_3) | instskip(NEXT) | instid1(VALU_DEP_3)
	v_cmp_ge_u16_e64 s3, v14, v11
	v_cmp_ne_u16_e64 s4, 0, v15
	s_xor_b32 s2, s2, -1
	s_wait_alu 0xfffe
	s_or_b32 s2, s3, s2
	s_wait_alu 0xfffe
	s_and_b32 s3, s2, s4
	s_wait_alu 0xfffe
	s_and_saveexec_b32 s2, s3
	s_cbranch_execz .LBB74_39
; %bb.38:
	ds_load_b128 v[13:16], v19
	v_lshlrev_b16 v12, 8, v12
	v_lshlrev_b16 v17, 8, v10
	s_delay_alu instid0(VALU_DEP_2)
	v_or_b32_e32 v18, v11, v12
	s_wait_dscnt 0x0
	v_dual_mov_b32 v10, v15 :: v_dual_mov_b32 v11, v16
	v_dual_mov_b32 v12, v13 :: v_dual_mov_b32 v13, v14
	v_or_b32_e32 v14, 1, v17
	ds_store_b16 v3, v18
	ds_store_b128 v19, v[10:13]
	ds_store_b16 v4, v14
.LBB74_39:
	s_wait_alu 0xfffe
	s_or_b32 exec_lo, exec_lo, s2
	s_wait_loadcnt_dscnt 0x0
	s_barrier_signal -1
	s_barrier_wait -1
	global_inv scope:SCOPE_SE
	s_and_saveexec_b32 s2, s0
	s_cbranch_execz .LBB74_44
; %bb.40:
	s_and_saveexec_b32 s0, vcc_lo
	s_cbranch_execz .LBB74_42
; %bb.41:
	v_mad_co_u64_u32 v[3:4], null, v7, s7, v[2:3]
	ds_load_u8 v12, v9
	ds_load_b64 v[8:9], v8
	v_mov_b32_e32 v4, 0
	v_mad_co_u64_u32 v[10:11], null, v7, s6, v[0:1]
	s_delay_alu instid0(VALU_DEP_2) | instskip(NEXT) | instid1(VALU_DEP_1)
	v_lshlrev_b64_e32 v[3:4], 3, v[3:4]
	v_add_co_u32 v3, vcc_lo, s10, v3
	s_wait_alu 0xfffd
	s_delay_alu instid0(VALU_DEP_2)
	v_add_co_ci_u32_e64 v4, null, s11, v4, vcc_lo
	s_wait_dscnt 0x1
	global_store_b8 v10, v12, s[8:9]
	s_wait_dscnt 0x0
	global_store_b64 v[3:4], v[8:9], off
.LBB74_42:
	s_wait_alu 0xfffe
	s_or_b32 exec_lo, exec_lo, s0
	s_delay_alu instid0(SALU_CYCLE_1)
	s_and_b32 exec_lo, exec_lo, s1
	s_cbranch_execz .LBB74_44
; %bb.43:
	v_mad_co_u64_u32 v[2:3], null, v1, s7, v[2:3]
	ds_load_u8 v7, v5
	ds_load_b64 v[4:5], v6
	v_mov_b32_e32 v3, 0
	v_mad_co_u64_u32 v[0:1], null, v1, s6, v[0:1]
	s_delay_alu instid0(VALU_DEP_2) | instskip(NEXT) | instid1(VALU_DEP_1)
	v_lshlrev_b64_e32 v[2:3], 3, v[2:3]
	v_add_co_u32 v1, vcc_lo, s10, v2
	s_wait_alu 0xfffd
	s_delay_alu instid0(VALU_DEP_2)
	v_add_co_ci_u32_e64 v2, null, s11, v3, vcc_lo
	s_wait_dscnt 0x1
	global_store_b8 v0, v7, s[8:9]
	s_wait_dscnt 0x0
	global_store_b64 v[1:2], v[4:5], off
.LBB74_44:
	s_endpgm
	.section	.rodata,"a",@progbits
	.p2align	6, 0x0
	.amdhsa_kernel _ZN2at6native20bitonicSortKVInPlaceILi2ELin1ELi16ELi16EblNS0_4LTOpIbLb1EEEjEEvNS_4cuda6detail10TensorInfoIT3_T6_EES8_S8_S8_NS6_IT4_S8_EES8_T5_
		.amdhsa_group_segment_fixed_size 5120
		.amdhsa_private_segment_fixed_size 0
		.amdhsa_kernarg_size 712
		.amdhsa_user_sgpr_count 2
		.amdhsa_user_sgpr_dispatch_ptr 0
		.amdhsa_user_sgpr_queue_ptr 0
		.amdhsa_user_sgpr_kernarg_segment_ptr 1
		.amdhsa_user_sgpr_dispatch_id 0
		.amdhsa_user_sgpr_private_segment_size 0
		.amdhsa_wavefront_size32 1
		.amdhsa_uses_dynamic_stack 0
		.amdhsa_enable_private_segment 0
		.amdhsa_system_sgpr_workgroup_id_x 1
		.amdhsa_system_sgpr_workgroup_id_y 1
		.amdhsa_system_sgpr_workgroup_id_z 1
		.amdhsa_system_sgpr_workgroup_info 0
		.amdhsa_system_vgpr_workitem_id 1
		.amdhsa_next_free_vgpr 34
		.amdhsa_next_free_sgpr 19
		.amdhsa_reserve_vcc 1
		.amdhsa_float_round_mode_32 0
		.amdhsa_float_round_mode_16_64 0
		.amdhsa_float_denorm_mode_32 3
		.amdhsa_float_denorm_mode_16_64 3
		.amdhsa_fp16_overflow 0
		.amdhsa_workgroup_processor_mode 1
		.amdhsa_memory_ordered 1
		.amdhsa_forward_progress 1
		.amdhsa_inst_pref_size 38
		.amdhsa_round_robin_scheduling 0
		.amdhsa_exception_fp_ieee_invalid_op 0
		.amdhsa_exception_fp_denorm_src 0
		.amdhsa_exception_fp_ieee_div_zero 0
		.amdhsa_exception_fp_ieee_overflow 0
		.amdhsa_exception_fp_ieee_underflow 0
		.amdhsa_exception_fp_ieee_inexact 0
		.amdhsa_exception_int_div_zero 0
	.end_amdhsa_kernel
	.section	.text._ZN2at6native20bitonicSortKVInPlaceILi2ELin1ELi16ELi16EblNS0_4LTOpIbLb1EEEjEEvNS_4cuda6detail10TensorInfoIT3_T6_EES8_S8_S8_NS6_IT4_S8_EES8_T5_,"axG",@progbits,_ZN2at6native20bitonicSortKVInPlaceILi2ELin1ELi16ELi16EblNS0_4LTOpIbLb1EEEjEEvNS_4cuda6detail10TensorInfoIT3_T6_EES8_S8_S8_NS6_IT4_S8_EES8_T5_,comdat
.Lfunc_end74:
	.size	_ZN2at6native20bitonicSortKVInPlaceILi2ELin1ELi16ELi16EblNS0_4LTOpIbLb1EEEjEEvNS_4cuda6detail10TensorInfoIT3_T6_EES8_S8_S8_NS6_IT4_S8_EES8_T5_, .Lfunc_end74-_ZN2at6native20bitonicSortKVInPlaceILi2ELin1ELi16ELi16EblNS0_4LTOpIbLb1EEEjEEvNS_4cuda6detail10TensorInfoIT3_T6_EES8_S8_S8_NS6_IT4_S8_EES8_T5_
                                        ; -- End function
	.set _ZN2at6native20bitonicSortKVInPlaceILi2ELin1ELi16ELi16EblNS0_4LTOpIbLb1EEEjEEvNS_4cuda6detail10TensorInfoIT3_T6_EES8_S8_S8_NS6_IT4_S8_EES8_T5_.num_vgpr, 34
	.set _ZN2at6native20bitonicSortKVInPlaceILi2ELin1ELi16ELi16EblNS0_4LTOpIbLb1EEEjEEvNS_4cuda6detail10TensorInfoIT3_T6_EES8_S8_S8_NS6_IT4_S8_EES8_T5_.num_agpr, 0
	.set _ZN2at6native20bitonicSortKVInPlaceILi2ELin1ELi16ELi16EblNS0_4LTOpIbLb1EEEjEEvNS_4cuda6detail10TensorInfoIT3_T6_EES8_S8_S8_NS6_IT4_S8_EES8_T5_.numbered_sgpr, 19
	.set _ZN2at6native20bitonicSortKVInPlaceILi2ELin1ELi16ELi16EblNS0_4LTOpIbLb1EEEjEEvNS_4cuda6detail10TensorInfoIT3_T6_EES8_S8_S8_NS6_IT4_S8_EES8_T5_.num_named_barrier, 0
	.set _ZN2at6native20bitonicSortKVInPlaceILi2ELin1ELi16ELi16EblNS0_4LTOpIbLb1EEEjEEvNS_4cuda6detail10TensorInfoIT3_T6_EES8_S8_S8_NS6_IT4_S8_EES8_T5_.private_seg_size, 0
	.set _ZN2at6native20bitonicSortKVInPlaceILi2ELin1ELi16ELi16EblNS0_4LTOpIbLb1EEEjEEvNS_4cuda6detail10TensorInfoIT3_T6_EES8_S8_S8_NS6_IT4_S8_EES8_T5_.uses_vcc, 1
	.set _ZN2at6native20bitonicSortKVInPlaceILi2ELin1ELi16ELi16EblNS0_4LTOpIbLb1EEEjEEvNS_4cuda6detail10TensorInfoIT3_T6_EES8_S8_S8_NS6_IT4_S8_EES8_T5_.uses_flat_scratch, 0
	.set _ZN2at6native20bitonicSortKVInPlaceILi2ELin1ELi16ELi16EblNS0_4LTOpIbLb1EEEjEEvNS_4cuda6detail10TensorInfoIT3_T6_EES8_S8_S8_NS6_IT4_S8_EES8_T5_.has_dyn_sized_stack, 0
	.set _ZN2at6native20bitonicSortKVInPlaceILi2ELin1ELi16ELi16EblNS0_4LTOpIbLb1EEEjEEvNS_4cuda6detail10TensorInfoIT3_T6_EES8_S8_S8_NS6_IT4_S8_EES8_T5_.has_recursion, 0
	.set _ZN2at6native20bitonicSortKVInPlaceILi2ELin1ELi16ELi16EblNS0_4LTOpIbLb1EEEjEEvNS_4cuda6detail10TensorInfoIT3_T6_EES8_S8_S8_NS6_IT4_S8_EES8_T5_.has_indirect_call, 0
	.section	.AMDGPU.csdata,"",@progbits
; Kernel info:
; codeLenInByte = 4820
; TotalNumSgprs: 21
; NumVgprs: 34
; ScratchSize: 0
; MemoryBound: 0
; FloatMode: 240
; IeeeMode: 1
; LDSByteSize: 5120 bytes/workgroup (compile time only)
; SGPRBlocks: 0
; VGPRBlocks: 4
; NumSGPRsForWavesPerEU: 21
; NumVGPRsForWavesPerEU: 34
; Occupancy: 16
; WaveLimiterHint : 1
; COMPUTE_PGM_RSRC2:SCRATCH_EN: 0
; COMPUTE_PGM_RSRC2:USER_SGPR: 2
; COMPUTE_PGM_RSRC2:TRAP_HANDLER: 0
; COMPUTE_PGM_RSRC2:TGID_X_EN: 1
; COMPUTE_PGM_RSRC2:TGID_Y_EN: 1
; COMPUTE_PGM_RSRC2:TGID_Z_EN: 1
; COMPUTE_PGM_RSRC2:TIDIG_COMP_CNT: 1
	.section	.text._ZN2at6native20bitonicSortKVInPlaceILi2ELin1ELi16ELi16EblNS0_4GTOpIbLb1EEEjEEvNS_4cuda6detail10TensorInfoIT3_T6_EES8_S8_S8_NS6_IT4_S8_EES8_T5_,"axG",@progbits,_ZN2at6native20bitonicSortKVInPlaceILi2ELin1ELi16ELi16EblNS0_4GTOpIbLb1EEEjEEvNS_4cuda6detail10TensorInfoIT3_T6_EES8_S8_S8_NS6_IT4_S8_EES8_T5_,comdat
	.protected	_ZN2at6native20bitonicSortKVInPlaceILi2ELin1ELi16ELi16EblNS0_4GTOpIbLb1EEEjEEvNS_4cuda6detail10TensorInfoIT3_T6_EES8_S8_S8_NS6_IT4_S8_EES8_T5_ ; -- Begin function _ZN2at6native20bitonicSortKVInPlaceILi2ELin1ELi16ELi16EblNS0_4GTOpIbLb1EEEjEEvNS_4cuda6detail10TensorInfoIT3_T6_EES8_S8_S8_NS6_IT4_S8_EES8_T5_
	.globl	_ZN2at6native20bitonicSortKVInPlaceILi2ELin1ELi16ELi16EblNS0_4GTOpIbLb1EEEjEEvNS_4cuda6detail10TensorInfoIT3_T6_EES8_S8_S8_NS6_IT4_S8_EES8_T5_
	.p2align	8
	.type	_ZN2at6native20bitonicSortKVInPlaceILi2ELin1ELi16ELi16EblNS0_4GTOpIbLb1EEEjEEvNS_4cuda6detail10TensorInfoIT3_T6_EES8_S8_S8_NS6_IT4_S8_EES8_T5_,@function
_ZN2at6native20bitonicSortKVInPlaceILi2ELin1ELi16ELi16EblNS0_4GTOpIbLb1EEEjEEvNS_4cuda6detail10TensorInfoIT3_T6_EES8_S8_S8_NS6_IT4_S8_EES8_T5_: ; @_ZN2at6native20bitonicSortKVInPlaceILi2ELin1ELi16ELi16EblNS0_4GTOpIbLb1EEEjEEvNS_4cuda6detail10TensorInfoIT3_T6_EES8_S8_S8_NS6_IT4_S8_EES8_T5_
; %bb.0:
	s_clause 0x2
	s_load_b64 s[2:3], s[0:1], 0x1c8
	s_load_u16 s7, s[0:1], 0x1d6
	s_load_b96 s[4:6], s[0:1], 0xd8
	s_lshr_b32 s8, ttmp7, 16
	s_wait_kmcnt 0x0
	s_mul_i32 s3, s3, s8
	s_and_b32 s8, ttmp7, 0xffff
	s_delay_alu instid0(SALU_CYCLE_1) | instskip(NEXT) | instid1(SALU_CYCLE_1)
	s_add_co_i32 s3, s3, s8
	s_mul_i32 s2, s3, s2
	s_delay_alu instid0(SALU_CYCLE_1) | instskip(NEXT) | instid1(SALU_CYCLE_1)
	s_add_co_i32 s10, s2, ttmp9
	s_mul_i32 s10, s10, s7
	s_delay_alu instid0(SALU_CYCLE_1)
	s_cmp_ge_u32 s10, s4
	s_cbranch_scc1 .LBB75_44
; %bb.1:
	s_clause 0x2
	s_load_b32 s7, s[0:1], 0xc
	s_load_b64 s[2:3], s[0:1], 0x6c
	s_load_b32 s14, s[0:1], 0x1b8
	v_bfe_u32 v8, v0, 10, 10
	s_mov_b32 s13, 0
	s_delay_alu instid0(VALU_DEP_1) | instskip(SKIP_3) | instid1(SALU_CYCLE_2)
	v_add_nc_u32_e32 v4, s10, v8
	s_wait_kmcnt 0x0
	s_cvt_f32_u32 s8, s7
	s_sub_co_i32 s12, 0, s7
	v_rcp_iflag_f32_e32 v1, s8
	s_delay_alu instid0(TRANS32_DEP_1) | instskip(SKIP_3) | instid1(SALU_CYCLE_2)
	v_readfirstlane_b32 s8, v1
	v_mov_b32_e32 v1, 0
	s_mul_f32 s11, s8, 0x4f7ffffe
	s_load_b64 s[8:9], s[0:1], 0x0
	s_cvt_u32_f32 s11, s11
	s_wait_alu 0xfffe
	s_delay_alu instid0(SALU_CYCLE_2) | instskip(NEXT) | instid1(SALU_CYCLE_1)
	s_mul_i32 s12, s12, s11
	s_mul_hi_u32 s10, s11, s12
	s_wait_alu 0xfffe
	s_add_co_i32 s11, s11, s10
	s_cmp_lt_i32 s14, 2
	s_wait_alu 0xfffe
	v_mad_co_u64_u32 v[2:3], null, v4, s11, 0
	s_add_nc_u64 s[10:11], s[0:1], 0xe8
	s_cbranch_scc1 .LBB75_4
; %bb.2:
	s_add_co_i32 s12, s14, -1
	v_mov_b32_e32 v1, 0
	s_lshl_b64 s[12:13], s[12:13], 2
	v_mov_b32_e32 v5, v4
	s_wait_alu 0xfffe
	s_add_nc_u64 s[12:13], s[10:11], s[12:13]
	s_add_co_i32 s14, s14, 1
	s_add_nc_u64 s[12:13], s[12:13], 8
.LBB75_3:                               ; =>This Inner Loop Header: Depth=1
	s_clause 0x1
	s_load_b32 s15, s[12:13], 0x0
	s_load_b32 s16, s[12:13], 0x64
	s_add_co_i32 s14, s14, -1
	s_add_nc_u64 s[12:13], s[12:13], -4
	s_wait_kmcnt 0x0
	s_cvt_f32_u32 s17, s15
	s_sub_co_i32 s18, 0, s15
	s_wait_alu 0xfffe
	s_delay_alu instid0(SALU_CYCLE_1) | instskip(NEXT) | instid1(TRANS32_DEP_1)
	v_rcp_iflag_f32_e32 v2, s17
	v_readfirstlane_b32 s17, v2
	v_mov_b32_e32 v2, v5
	s_mul_f32 s17, s17, 0x4f7ffffe
	s_wait_alu 0xfffe
	s_delay_alu instid0(SALU_CYCLE_2) | instskip(SKIP_1) | instid1(SALU_CYCLE_2)
	s_cvt_u32_f32 s17, s17
	s_wait_alu 0xfffe
	s_mul_i32 s18, s18, s17
	s_delay_alu instid0(SALU_CYCLE_1) | instskip(NEXT) | instid1(SALU_CYCLE_1)
	s_mul_hi_u32 s18, s17, s18
	s_add_co_i32 s17, s17, s18
	s_cmp_gt_u32 s14, 2
	s_wait_alu 0xfffe
	v_mul_hi_u32 v5, v2, s17
	s_delay_alu instid0(VALU_DEP_1) | instskip(SKIP_1) | instid1(VALU_DEP_2)
	v_mul_lo_u32 v6, v5, s15
	v_add_nc_u32_e32 v7, 1, v5
	v_sub_nc_u32_e32 v6, v2, v6
	s_delay_alu instid0(VALU_DEP_1) | instskip(SKIP_2) | instid1(VALU_DEP_2)
	v_subrev_nc_u32_e32 v9, s15, v6
	v_cmp_le_u32_e32 vcc_lo, s15, v6
	s_wait_alu 0xfffd
	v_dual_cndmask_b32 v5, v5, v7 :: v_dual_cndmask_b32 v6, v6, v9
	s_delay_alu instid0(VALU_DEP_1) | instskip(NEXT) | instid1(VALU_DEP_2)
	v_add_nc_u32_e32 v7, 1, v5
	v_cmp_le_u32_e32 vcc_lo, s15, v6
	s_wait_alu 0xfffd
	s_delay_alu instid0(VALU_DEP_2) | instskip(NEXT) | instid1(VALU_DEP_1)
	v_cndmask_b32_e32 v5, v5, v7, vcc_lo
	v_mul_lo_u32 v6, v5, s15
	s_delay_alu instid0(VALU_DEP_1) | instskip(NEXT) | instid1(VALU_DEP_1)
	v_sub_nc_u32_e32 v2, v2, v6
	v_mad_co_u64_u32 v[1:2], null, s16, v2, v[1:2]
	s_cbranch_scc1 .LBB75_3
	s_branch .LBB75_5
.LBB75_4:
	v_mov_b32_e32 v5, v4
.LBB75_5:
	v_mul_lo_u32 v2, v3, s7
	v_add_nc_u32_e32 v6, 1, v3
	s_load_b32 s14, s[10:11], 0x6c
	s_add_nc_u64 s[12:13], s[0:1], 0x1c8
	v_mov_b32_e32 v10, 0
	s_load_b32 s12, s[12:13], 0xc
	v_mov_b32_e32 v11, 0
	s_delay_alu instid0(VALU_DEP_4) | instskip(NEXT) | instid1(VALU_DEP_1)
	v_sub_nc_u32_e32 v2, v4, v2
	v_subrev_nc_u32_e32 v7, s7, v2
	v_cmp_le_u32_e32 vcc_lo, s7, v2
	s_wait_alu 0xfffd
	s_delay_alu instid0(VALU_DEP_2) | instskip(SKIP_1) | instid1(VALU_DEP_2)
	v_dual_cndmask_b32 v3, v3, v6 :: v_dual_cndmask_b32 v2, v2, v7
	v_and_b32_e32 v7, 0x3ff, v0
	v_add_nc_u32_e32 v6, 1, v3
	s_delay_alu instid0(VALU_DEP_3) | instskip(SKIP_1) | instid1(VALU_DEP_2)
	v_cmp_le_u32_e32 vcc_lo, s7, v2
	s_wait_alu 0xfffd
	v_cndmask_b32_e32 v6, v3, v6, vcc_lo
	v_cmp_gt_u32_e32 vcc_lo, s5, v7
	s_delay_alu instid0(VALU_DEP_2) | instskip(SKIP_4) | instid1(VALU_DEP_2)
	v_mul_lo_u32 v2, v6, s7
	s_clause 0x1
	s_load_b32 s7, s[0:1], 0x1c0
	s_load_b64 s[10:11], s[10:11], 0x0
	v_cmp_gt_u32_e64 s0, s4, v4
	v_sub_nc_u32_e32 v2, v4, v2
	s_delay_alu instid0(VALU_DEP_1) | instskip(SKIP_4) | instid1(VALU_DEP_4)
	v_mul_lo_u32 v0, v2, s3
	s_wait_kmcnt 0x0
	v_mad_co_u64_u32 v[2:3], null, s14, v5, v[1:2]
	v_mov_b32_e32 v3, 0
	v_mov_b32_e32 v4, 0
	v_mad_co_u64_u32 v[0:1], null, v6, s2, v[0:1]
	v_mov_b32_e32 v5, 0
	v_mov_b32_e32 v6, 0
	s_and_b32 s2, s0, vcc_lo
	s_wait_alu 0xfffe
	s_and_saveexec_b32 s3, s2
	s_cbranch_execz .LBB75_7
; %bb.6:
	v_mad_co_u64_u32 v[5:6], null, v7, s7, v[2:3]
	v_mov_b32_e32 v6, 0
	v_mad_co_u64_u32 v[11:12], null, v7, s6, v[0:1]
	s_delay_alu instid0(VALU_DEP_2) | instskip(NEXT) | instid1(VALU_DEP_1)
	v_lshlrev_b64_e32 v[5:6], 3, v[5:6]
	v_add_co_u32 v5, s1, s10, v5
	s_delay_alu instid0(VALU_DEP_1)
	v_add_co_ci_u32_e64 v6, null, s11, v6, s1
	global_load_u8 v11, v11, s[8:9]
	global_load_b64 v[5:6], v[5:6], off
.LBB75_7:
	s_wait_alu 0xfffe
	s_or_b32 exec_lo, exec_lo, s3
	v_lshlrev_b32_e32 v9, 5, v8
	s_and_b32 s3, 0xffff, s12
	v_lshlrev_b32_e32 v12, 8, v8
	s_wait_alu 0xfffe
	v_add_nc_u32_e32 v1, s3, v7
	v_cndmask_b32_e64 v14, 0, 1, s2
	v_add_nc_u32_e32 v13, 0x1000, v9
	v_add_nc_u32_e32 v15, 0x1200, v9
	v_lshl_add_u32 v8, v7, 3, v12
	v_cmp_gt_u32_e64 s1, s5, v1
	s_delay_alu instid0(VALU_DEP_4) | instskip(NEXT) | instid1(VALU_DEP_4)
	v_add_nc_u32_e32 v9, v13, v7
	v_add_nc_u32_e32 v16, v15, v7
	s_wait_loadcnt 0x1
	ds_store_b8 v9, v11
	s_wait_loadcnt 0x0
	ds_store_b64 v8, v[5:6]
	ds_store_b8 v16, v14
	s_and_b32 s4, s0, s1
	s_wait_alu 0xfffe
	s_and_saveexec_b32 s5, s4
	s_cbranch_execz .LBB75_9
; %bb.8:
	v_mad_co_u64_u32 v[3:4], null, v1, s7, v[2:3]
	v_mov_b32_e32 v4, 0
	v_mad_co_u64_u32 v[5:6], null, v1, s6, v[0:1]
	s_delay_alu instid0(VALU_DEP_2) | instskip(NEXT) | instid1(VALU_DEP_1)
	v_lshlrev_b64_e32 v[3:4], 3, v[3:4]
	v_add_co_u32 v3, s2, s10, v3
	s_wait_alu 0xf1ff
	s_delay_alu instid0(VALU_DEP_2)
	v_add_co_ci_u32_e64 v4, null, s11, v4, s2
	global_load_u8 v10, v5, s[8:9]
	global_load_b64 v[3:4], v[3:4], off
.LBB75_9:
	s_wait_alu 0xfffe
	s_or_b32 exec_lo, exec_lo, s5
	v_add_nc_u32_e32 v5, v13, v1
	v_lshlrev_b32_e32 v16, 1, v7
	v_lshl_add_u32 v6, s3, 3, v8
	v_cndmask_b32_e64 v11, 0, 1, s4
	v_add_nc_u32_e32 v14, v15, v1
	s_wait_loadcnt 0x1
	ds_store_b8 v5, v10
	s_wait_loadcnt 0x0
	ds_store_b64 v6, v[3:4]
	ds_store_b8 v14, v11
	v_add_nc_u32_e32 v3, v13, v16
	v_add_nc_u32_e32 v4, v15, v16
	s_wait_dscnt 0x0
	s_barrier_signal -1
	s_barrier_wait -1
	global_inv scope:SCOPE_SE
	ds_load_u16 v18, v3
	ds_load_u16 v14, v4
	v_and_b32_e32 v10, 1, v7
	s_wait_dscnt 0x1
	v_and_b32_e32 v17, 0xff, v18
	s_wait_dscnt 0x0
	v_lshrrev_b16 v11, 8, v14
	v_lshrrev_b16 v19, 8, v18
	v_and_b32_e32 v20, 1, v14
	s_delay_alu instid0(VALU_DEP_3) | instskip(NEXT) | instid1(VALU_DEP_3)
	v_cmp_ne_u16_e64 s4, v11, v10
	v_cmp_gt_u16_e64 s2, v17, v19
	s_delay_alu instid0(VALU_DEP_3) | instskip(SKIP_1) | instid1(VALU_DEP_3)
	v_cmp_eq_u32_e64 s3, 1, v20
	s_wait_alu 0xf1ff
	v_cndmask_b32_e64 v17, 0, 1, s4
	s_and_b32 s2, s2, s3
	s_wait_alu 0xfffe
	s_delay_alu instid0(VALU_DEP_1) | instskip(NEXT) | instid1(VALU_DEP_1)
	v_cndmask_b32_e64 v17, v17, v7, s2
	v_and_b32_e32 v17, 1, v17
	s_delay_alu instid0(VALU_DEP_1)
	v_cmp_eq_u32_e64 s2, 1, v17
	v_lshl_add_u32 v17, v7, 3, v8
	s_and_saveexec_b32 s3, s2
	s_wait_alu 0xfffe
	s_xor_b32 s2, exec_lo, s3
	s_cbranch_execz .LBB75_11
; %bb.10:
	ds_load_b128 v[20:23], v17
	v_lshlrev_b16 v18, 8, v18
	v_lshlrev_b16 v14, 8, v14
	s_delay_alu instid0(VALU_DEP_2) | instskip(NEXT) | instid1(VALU_DEP_2)
	v_or_b32_e32 v24, v19, v18
	v_or_b32_e32 v11, v11, v14
	s_wait_dscnt 0x0
	v_dual_mov_b32 v18, v22 :: v_dual_mov_b32 v19, v23
	ds_store_b16 v3, v24
	ds_store_b128 v17, v[18:21]
	ds_store_b16 v4, v11
.LBB75_11:
	s_wait_alu 0xfffe
	s_or_b32 exec_lo, exec_lo, s2
	v_sub_nc_u32_e32 v14, v16, v10
	s_wait_loadcnt_dscnt 0x0
	s_barrier_signal -1
	s_barrier_wait -1
	global_inv scope:SCOPE_SE
	v_add_nc_u32_e32 v10, v15, v14
	v_add_nc_u32_e32 v11, v13, v14
	v_bfe_u32 v23, v7, 1, 1
	v_lshl_add_u32 v14, v14, 3, v12
	ds_load_u8 v19, v10
	ds_load_u8 v20, v11
	ds_load_u8 v22, v11 offset:2
	ds_load_u8 v21, v10 offset:2
	s_wait_dscnt 0x3
	v_and_b32_e32 v18, 1, v19
	s_wait_dscnt 0x1
	v_cmp_gt_u16_e64 s2, v20, v22
	s_wait_dscnt 0x0
	v_cmp_ne_u16_e64 s4, v21, v23
	v_cmp_eq_u32_e64 s3, 1, v18
	s_wait_alu 0xf1ff
	s_delay_alu instid0(VALU_DEP_2) | instskip(SKIP_2) | instid1(VALU_DEP_1)
	v_cndmask_b32_e64 v18, 0, 1, s4
	s_and_b32 s2, s2, s3
	s_wait_alu 0xfffe
	v_cndmask_b32_e64 v23, v18, v23, s2
	v_and_b32_e32 v18, 2, v7
	s_delay_alu instid0(VALU_DEP_2) | instskip(NEXT) | instid1(VALU_DEP_2)
	v_and_b32_e32 v23, 1, v23
	v_cmp_ne_u32_e64 s2, 0, v18
	s_delay_alu instid0(VALU_DEP_2)
	v_cmp_eq_u32_e64 s3, 1, v23
	s_and_saveexec_b32 s4, s3
	s_wait_alu 0xfffe
	s_xor_b32 s3, exec_lo, s4
	s_cbranch_execz .LBB75_13
; %bb.12:
	ds_load_2addr_b64 v[23:26], v14 offset1:2
	s_wait_dscnt 0x0
	ds_store_2addr_b64 v14, v[25:26], v[23:24] offset1:2
	ds_store_b8 v11, v22
	ds_store_b8 v11, v20 offset:2
	ds_store_b8 v10, v21
	ds_store_b8 v10, v19 offset:2
.LBB75_13:
	s_wait_alu 0xfffe
	s_or_b32 exec_lo, exec_lo, s3
	s_wait_loadcnt_dscnt 0x0
	s_barrier_signal -1
	s_barrier_wait -1
	global_inv scope:SCOPE_SE
	ds_load_u16 v20, v3
	ds_load_u16 v19, v4
	v_lshrrev_b32_e32 v22, 1, v18
	v_cndmask_b32_e64 v25, 0, 1, s2
	s_wait_dscnt 0x1
	v_and_b32_e32 v23, 0xff, v20
	s_wait_dscnt 0x0
	v_lshrrev_b16 v18, 8, v19
	v_lshrrev_b16 v21, 8, v20
	v_and_b32_e32 v24, 1, v19
	s_delay_alu instid0(VALU_DEP_3) | instskip(NEXT) | instid1(VALU_DEP_3)
	v_cmp_ne_u16_e64 s4, v18, v22
	v_cmp_gt_u16_e64 s2, v23, v21
	s_delay_alu instid0(VALU_DEP_3) | instskip(SKIP_1) | instid1(VALU_DEP_3)
	v_cmp_eq_u32_e64 s3, 1, v24
	s_wait_alu 0xf1ff
	v_cndmask_b32_e64 v22, 0, 1, s4
	s_and_b32 s2, s2, s3
	s_mov_b32 s3, exec_lo
	s_wait_alu 0xfffe
	s_delay_alu instid0(VALU_DEP_1) | instskip(NEXT) | instid1(VALU_DEP_1)
	v_cndmask_b32_e64 v22, v22, v25, s2
	v_and_b32_e32 v22, 1, v22
	s_delay_alu instid0(VALU_DEP_1)
	v_cmpx_eq_u32_e32 1, v22
	s_cbranch_execz .LBB75_15
; %bb.14:
	ds_load_b128 v[22:25], v17
	v_lshlrev_b16 v20, 8, v20
	v_lshlrev_b16 v26, 8, v19
	s_delay_alu instid0(VALU_DEP_2) | instskip(NEXT) | instid1(VALU_DEP_2)
	v_or_b32_e32 v27, v21, v20
	v_or_b32_e32 v18, v18, v26
	s_wait_dscnt 0x0
	v_dual_mov_b32 v19, v24 :: v_dual_mov_b32 v20, v25
	v_dual_mov_b32 v21, v22 :: v_dual_mov_b32 v22, v23
	ds_store_b16 v3, v27
	ds_store_b128 v17, v[19:22]
	ds_store_b16 v4, v18
.LBB75_15:
	s_or_b32 exec_lo, exec_lo, s3
	v_and_b32_e32 v17, 3, v7
	s_wait_loadcnt_dscnt 0x0
	s_barrier_signal -1
	s_barrier_wait -1
	global_inv scope:SCOPE_SE
	v_sub_nc_u32_e32 v20, v16, v17
	v_bfe_u32 v25, v7, 2, 1
	s_delay_alu instid0(VALU_DEP_2)
	v_add_nc_u32_e32 v17, v15, v20
	v_add_nc_u32_e32 v18, v13, v20
	v_lshl_add_u32 v20, v20, 3, v12
	ds_load_u8 v21, v17
	ds_load_u8 v22, v18
	ds_load_u8 v24, v18 offset:4
	ds_load_u8 v23, v17 offset:4
	s_wait_dscnt 0x3
	v_and_b32_e32 v19, 1, v21
	s_wait_dscnt 0x1
	v_cmp_gt_u16_e64 s2, v22, v24
	s_wait_dscnt 0x0
	v_cmp_ne_u16_e64 s4, v23, v25
	v_cmp_eq_u32_e64 s3, 1, v19
	s_wait_alu 0xf1ff
	s_delay_alu instid0(VALU_DEP_2) | instskip(SKIP_3) | instid1(VALU_DEP_1)
	v_cndmask_b32_e64 v19, 0, 1, s4
	s_mov_b32 s4, exec_lo
	s_and_b32 s2, s2, s3
	s_wait_alu 0xfffe
	v_cndmask_b32_e64 v25, v19, v25, s2
	v_and_b32_e32 v19, 4, v7
	s_delay_alu instid0(VALU_DEP_2) | instskip(NEXT) | instid1(VALU_DEP_2)
	v_and_b32_e32 v25, 1, v25
	v_cmp_ne_u32_e64 s2, 0, v19
	s_delay_alu instid0(VALU_DEP_2)
	v_cmpx_eq_u32_e32 1, v25
	s_cbranch_execz .LBB75_17
; %bb.16:
	ds_load_2addr_b64 v[25:28], v20 offset1:4
	s_wait_dscnt 0x0
	ds_store_2addr_b64 v20, v[27:28], v[25:26] offset1:4
	ds_store_b8 v18, v24
	ds_store_b8 v18, v22 offset:4
	ds_store_b8 v17, v23
	ds_store_b8 v17, v21 offset:4
.LBB75_17:
	s_or_b32 exec_lo, exec_lo, s4
	s_wait_loadcnt_dscnt 0x0
	s_barrier_signal -1
	s_barrier_wait -1
	global_inv scope:SCOPE_SE
	ds_load_u8 v22, v10
	ds_load_u8 v23, v11
	ds_load_u8 v25, v11 offset:2
	ds_load_u8 v24, v10 offset:2
	v_lshrrev_b32_e32 v19, 2, v19
	v_cndmask_b32_e64 v21, 0, 1, s2
	s_wait_dscnt 0x3
	v_and_b32_e32 v26, 1, v22
	s_wait_dscnt 0x1
	v_cmp_gt_u16_e64 s2, v23, v25
	s_wait_dscnt 0x0
	v_cmp_ne_u16_e64 s4, v24, v19
	v_cmp_eq_u32_e64 s3, 1, v26
	s_wait_alu 0xf1ff
	s_delay_alu instid0(VALU_DEP_2) | instskip(SKIP_3) | instid1(VALU_DEP_1)
	v_cndmask_b32_e64 v26, 0, 1, s4
	s_and_b32 s2, s2, s3
	s_mov_b32 s3, exec_lo
	s_wait_alu 0xfffe
	v_cndmask_b32_e64 v26, v26, v21, s2
	s_delay_alu instid0(VALU_DEP_1) | instskip(NEXT) | instid1(VALU_DEP_1)
	v_and_b32_e32 v26, 1, v26
	v_cmpx_eq_u32_e32 1, v26
	s_cbranch_execz .LBB75_19
; %bb.18:
	ds_load_2addr_b64 v[26:29], v14 offset1:2
	s_wait_dscnt 0x0
	ds_store_2addr_b64 v14, v[28:29], v[26:27] offset1:2
	ds_store_b8 v11, v25
	ds_store_b8 v11, v23 offset:2
	ds_store_b8 v10, v24
	ds_store_b8 v10, v22 offset:2
.LBB75_19:
	s_or_b32 exec_lo, exec_lo, s3
	s_wait_loadcnt_dscnt 0x0
	s_barrier_signal -1
	s_barrier_wait -1
	global_inv scope:SCOPE_SE
	ds_load_u16 v25, v3
	ds_load_u16 v23, v4
	s_wait_dscnt 0x1
	v_and_b32_e32 v26, 0xff, v25
	s_wait_dscnt 0x0
	v_lshrrev_b16 v22, 8, v23
	v_lshrrev_b16 v24, 8, v25
	v_and_b32_e32 v27, 1, v23
	s_delay_alu instid0(VALU_DEP_3) | instskip(NEXT) | instid1(VALU_DEP_3)
	v_cmp_ne_u16_e64 s4, v22, v19
	v_cmp_gt_u16_e64 s2, v26, v24
	s_delay_alu instid0(VALU_DEP_3) | instskip(SKIP_1) | instid1(VALU_DEP_3)
	v_cmp_eq_u32_e64 s3, 1, v27
	s_wait_alu 0xf1ff
	v_cndmask_b32_e64 v19, 0, 1, s4
	s_and_b32 s2, s2, s3
	s_wait_alu 0xfffe
	s_delay_alu instid0(VALU_DEP_1) | instskip(NEXT) | instid1(VALU_DEP_1)
	v_cndmask_b32_e64 v19, v19, v21, s2
	v_and_b32_e32 v19, 1, v19
	s_delay_alu instid0(VALU_DEP_1)
	v_cmp_eq_u32_e64 s2, 1, v19
	v_lshl_add_u32 v19, v16, 3, v12
	s_and_saveexec_b32 s3, s2
	s_cbranch_execz .LBB75_21
; %bb.20:
	ds_load_b128 v[26:29], v19
	v_lshlrev_b16 v21, 8, v25
	v_lshlrev_b16 v30, 8, v23
	s_delay_alu instid0(VALU_DEP_2) | instskip(NEXT) | instid1(VALU_DEP_2)
	v_or_b32_e32 v21, v24, v21
	v_or_b32_e32 v22, v22, v30
	s_wait_dscnt 0x0
	v_dual_mov_b32 v23, v28 :: v_dual_mov_b32 v24, v29
	v_dual_mov_b32 v25, v26 :: v_dual_mov_b32 v26, v27
	ds_store_b16 v3, v21
	ds_store_b128 v19, v[23:26]
	ds_store_b16 v4, v22
.LBB75_21:
	s_wait_alu 0xfffe
	s_or_b32 exec_lo, exec_lo, s3
	v_and_b32_e32 v21, 7, v7
	s_wait_loadcnt_dscnt 0x0
	s_barrier_signal -1
	s_barrier_wait -1
	global_inv scope:SCOPE_SE
	v_sub_nc_u32_e32 v23, v16, v21
	v_bfe_u32 v29, v7, 3, 1
	s_delay_alu instid0(VALU_DEP_2)
	v_add_nc_u32_e32 v21, v15, v23
	v_add_nc_u32_e32 v22, v13, v23
	v_lshl_add_u32 v23, v23, 3, v12
	ds_load_u8 v25, v21
	ds_load_u8 v26, v22
	ds_load_u8 v28, v22 offset:8
	ds_load_u8 v27, v21 offset:8
	s_wait_dscnt 0x3
	v_and_b32_e32 v24, 1, v25
	s_wait_dscnt 0x1
	v_cmp_gt_u16_e64 s2, v26, v28
	s_wait_dscnt 0x0
	v_cmp_ne_u16_e64 s4, v27, v29
	v_cmp_eq_u32_e64 s3, 1, v24
	s_wait_alu 0xf1ff
	s_delay_alu instid0(VALU_DEP_2) | instskip(SKIP_3) | instid1(VALU_DEP_1)
	v_cndmask_b32_e64 v24, 0, 1, s4
	s_mov_b32 s4, exec_lo
	s_and_b32 s2, s2, s3
	s_wait_alu 0xfffe
	v_cndmask_b32_e64 v29, v24, v29, s2
	v_and_b32_e32 v24, 8, v7
	s_delay_alu instid0(VALU_DEP_2) | instskip(NEXT) | instid1(VALU_DEP_2)
	v_and_b32_e32 v29, 1, v29
	v_cmp_ne_u32_e64 s2, 0, v24
	s_delay_alu instid0(VALU_DEP_2)
	v_cmpx_eq_u32_e32 1, v29
	s_cbranch_execz .LBB75_23
; %bb.22:
	ds_load_2addr_b64 v[29:32], v23 offset1:8
	s_wait_dscnt 0x0
	ds_store_2addr_b64 v23, v[31:32], v[29:30] offset1:8
	ds_store_b8 v22, v28
	ds_store_b8 v22, v26 offset:8
	ds_store_b8 v21, v27
	ds_store_b8 v21, v25 offset:8
.LBB75_23:
	s_or_b32 exec_lo, exec_lo, s4
	s_wait_loadcnt_dscnt 0x0
	s_barrier_signal -1
	s_barrier_wait -1
	global_inv scope:SCOPE_SE
	ds_load_u8 v26, v17
	ds_load_u8 v27, v18
	ds_load_u8 v29, v18 offset:4
	ds_load_u8 v28, v17 offset:4
	v_lshrrev_b32_e32 v24, 3, v24
	v_cndmask_b32_e64 v25, 0, 1, s2
	s_wait_dscnt 0x3
	v_and_b32_e32 v30, 1, v26
	s_wait_dscnt 0x1
	v_cmp_gt_u16_e64 s2, v27, v29
	s_wait_dscnt 0x0
	v_cmp_ne_u16_e64 s4, v28, v24
	v_cmp_eq_u32_e64 s3, 1, v30
	s_wait_alu 0xf1ff
	s_delay_alu instid0(VALU_DEP_2) | instskip(SKIP_3) | instid1(VALU_DEP_1)
	v_cndmask_b32_e64 v30, 0, 1, s4
	s_and_b32 s2, s2, s3
	s_mov_b32 s3, exec_lo
	s_wait_alu 0xfffe
	v_cndmask_b32_e64 v30, v30, v25, s2
	s_delay_alu instid0(VALU_DEP_1) | instskip(NEXT) | instid1(VALU_DEP_1)
	v_and_b32_e32 v30, 1, v30
	v_cmpx_eq_u32_e32 1, v30
	s_cbranch_execz .LBB75_25
; %bb.24:
	ds_load_2addr_b64 v[30:33], v20 offset1:4
	s_wait_dscnt 0x0
	ds_store_2addr_b64 v20, v[32:33], v[30:31] offset1:4
	ds_store_b8 v18, v29
	ds_store_b8 v18, v27 offset:4
	ds_store_b8 v17, v28
	ds_store_b8 v17, v26 offset:4
.LBB75_25:
	s_or_b32 exec_lo, exec_lo, s3
	s_wait_loadcnt_dscnt 0x0
	s_barrier_signal -1
	s_barrier_wait -1
	global_inv scope:SCOPE_SE
	ds_load_u8 v26, v10
	ds_load_u8 v27, v11
	ds_load_u8 v29, v11 offset:2
	ds_load_u8 v28, v10 offset:2
	s_wait_dscnt 0x3
	v_and_b32_e32 v30, 1, v26
	s_wait_dscnt 0x1
	v_cmp_gt_u16_e64 s2, v27, v29
	s_wait_dscnt 0x0
	v_cmp_ne_u16_e64 s4, v28, v24
	v_cmp_eq_u32_e64 s3, 1, v30
	s_wait_alu 0xf1ff
	s_delay_alu instid0(VALU_DEP_2) | instskip(SKIP_3) | instid1(VALU_DEP_1)
	v_cndmask_b32_e64 v30, 0, 1, s4
	s_and_b32 s2, s2, s3
	s_mov_b32 s3, exec_lo
	s_wait_alu 0xfffe
	v_cndmask_b32_e64 v30, v30, v25, s2
	s_delay_alu instid0(VALU_DEP_1) | instskip(NEXT) | instid1(VALU_DEP_1)
	v_and_b32_e32 v30, 1, v30
	v_cmpx_eq_u32_e32 1, v30
	s_cbranch_execz .LBB75_27
; %bb.26:
	ds_load_2addr_b64 v[30:33], v14 offset1:2
	s_wait_dscnt 0x0
	ds_store_2addr_b64 v14, v[32:33], v[30:31] offset1:2
	ds_store_b8 v11, v29
	ds_store_b8 v11, v27 offset:2
	ds_store_b8 v10, v28
	ds_store_b8 v10, v26 offset:2
.LBB75_27:
	s_or_b32 exec_lo, exec_lo, s3
	s_wait_loadcnt_dscnt 0x0
	s_barrier_signal -1
	s_barrier_wait -1
	global_inv scope:SCOPE_SE
	ds_load_u16 v29, v3
	ds_load_u16 v27, v4
	s_wait_dscnt 0x1
	v_and_b32_e32 v30, 0xff, v29
	s_wait_dscnt 0x0
	v_lshrrev_b16 v26, 8, v27
	v_lshrrev_b16 v28, 8, v29
	v_and_b32_e32 v31, 1, v27
	s_delay_alu instid0(VALU_DEP_3) | instskip(NEXT) | instid1(VALU_DEP_3)
	v_cmp_ne_u16_e64 s4, v26, v24
	v_cmp_gt_u16_e64 s2, v30, v28
	s_delay_alu instid0(VALU_DEP_3) | instskip(SKIP_1) | instid1(VALU_DEP_3)
	v_cmp_eq_u32_e64 s3, 1, v31
	s_wait_alu 0xf1ff
	v_cndmask_b32_e64 v24, 0, 1, s4
	s_and_b32 s2, s2, s3
	s_mov_b32 s3, exec_lo
	s_wait_alu 0xfffe
	s_delay_alu instid0(VALU_DEP_1) | instskip(NEXT) | instid1(VALU_DEP_1)
	v_cndmask_b32_e64 v24, v24, v25, s2
	v_and_b32_e32 v24, 1, v24
	s_delay_alu instid0(VALU_DEP_1)
	v_cmpx_eq_u32_e32 1, v24
	s_cbranch_execz .LBB75_29
; %bb.28:
	ds_load_b128 v[30:33], v19
	v_lshlrev_b16 v24, 8, v29
	v_lshlrev_b16 v25, 8, v27
	s_delay_alu instid0(VALU_DEP_2) | instskip(NEXT) | instid1(VALU_DEP_2)
	v_or_b32_e32 v24, v28, v24
	v_or_b32_e32 v25, v26, v25
	s_wait_dscnt 0x0
	v_dual_mov_b32 v27, v32 :: v_dual_mov_b32 v28, v33
	v_dual_mov_b32 v29, v30 :: v_dual_mov_b32 v30, v31
	ds_store_b16 v3, v24
	ds_store_b128 v19, v[27:30]
	ds_store_b16 v4, v25
.LBB75_29:
	s_or_b32 exec_lo, exec_lo, s3
	v_and_b32_e32 v24, 15, v7
	s_wait_loadcnt_dscnt 0x0
	s_barrier_signal -1
	s_barrier_wait -1
	global_inv scope:SCOPE_SE
	v_sub_nc_u32_e32 v16, v16, v24
	s_delay_alu instid0(VALU_DEP_1)
	v_add_nc_u32_e32 v15, v15, v16
	v_add_nc_u32_e32 v13, v13, v16
	ds_load_u8 v24, v15
	ds_load_u8 v27, v15 offset:16
	ds_load_u8 v25, v13
	ds_load_u8 v26, v13 offset:16
	s_wait_dscnt 0x2
	v_and_b32_e32 v27, 0xff, v27
	v_and_b32_e32 v28, 1, v24
	s_wait_dscnt 0x0
	v_cmp_le_u16_e64 s3, v25, v26
	s_delay_alu instid0(VALU_DEP_3) | instskip(NEXT) | instid1(VALU_DEP_3)
	v_cmp_ne_u16_e64 s4, 0, v27
	v_cmp_eq_u32_e64 s2, 1, v28
	s_xor_b32 s2, s2, -1
	s_wait_alu 0xfffe
	s_or_b32 s2, s3, s2
	s_wait_alu 0xfffe
	s_and_b32 s3, s2, s4
	s_wait_alu 0xfffe
	s_and_saveexec_b32 s2, s3
	s_cbranch_execz .LBB75_31
; %bb.30:
	v_lshl_add_u32 v12, v16, 3, v12
	v_mov_b32_e32 v16, 1
	ds_load_2addr_b64 v[27:30], v12 offset1:16
	s_wait_dscnt 0x0
	ds_store_2addr_b64 v12, v[29:30], v[27:28] offset1:16
	ds_store_b8 v13, v26
	ds_store_b8 v13, v25 offset:16
	ds_store_b8 v15, v16
	ds_store_b8 v15, v24 offset:16
.LBB75_31:
	s_wait_alu 0xfffe
	s_or_b32 exec_lo, exec_lo, s2
	s_wait_loadcnt_dscnt 0x0
	s_barrier_signal -1
	s_barrier_wait -1
	global_inv scope:SCOPE_SE
	ds_load_u8 v12, v21
	ds_load_u8 v16, v21 offset:8
	ds_load_u8 v13, v22
	ds_load_u8 v15, v22 offset:8
	s_wait_dscnt 0x3
	v_and_b32_e32 v24, 1, v12
	s_wait_dscnt 0x2
	v_and_b32_e32 v16, 0xff, v16
	s_wait_dscnt 0x0
	v_cmp_le_u16_e64 s3, v13, v15
	v_cmp_eq_u32_e64 s2, 1, v24
	s_delay_alu instid0(VALU_DEP_3)
	v_cmp_ne_u16_e64 s4, 0, v16
	s_xor_b32 s2, s2, -1
	s_wait_alu 0xfffe
	s_or_b32 s2, s3, s2
	s_wait_alu 0xfffe
	s_and_b32 s3, s2, s4
	s_wait_alu 0xfffe
	s_and_saveexec_b32 s2, s3
	s_cbranch_execz .LBB75_33
; %bb.32:
	ds_load_2addr_b64 v[24:27], v23 offset1:8
	v_mov_b32_e32 v16, 1
	s_wait_dscnt 0x0
	ds_store_2addr_b64 v23, v[26:27], v[24:25] offset1:8
	ds_store_b8 v22, v15
	ds_store_b8 v22, v13 offset:8
	ds_store_b8 v21, v16
	ds_store_b8 v21, v12 offset:8
.LBB75_33:
	s_wait_alu 0xfffe
	s_or_b32 exec_lo, exec_lo, s2
	s_wait_loadcnt_dscnt 0x0
	s_barrier_signal -1
	s_barrier_wait -1
	global_inv scope:SCOPE_SE
	ds_load_u8 v12, v17
	ds_load_u8 v16, v17 offset:4
	ds_load_u8 v13, v18
	ds_load_u8 v15, v18 offset:4
	s_wait_dscnt 0x3
	v_and_b32_e32 v21, 1, v12
	s_wait_dscnt 0x2
	v_and_b32_e32 v16, 0xff, v16
	s_wait_dscnt 0x0
	v_cmp_le_u16_e64 s3, v13, v15
	v_cmp_eq_u32_e64 s2, 1, v21
	s_delay_alu instid0(VALU_DEP_3)
	v_cmp_ne_u16_e64 s4, 0, v16
	s_xor_b32 s2, s2, -1
	s_wait_alu 0xfffe
	s_or_b32 s2, s3, s2
	s_wait_alu 0xfffe
	s_and_b32 s3, s2, s4
	s_wait_alu 0xfffe
	s_and_saveexec_b32 s2, s3
	s_cbranch_execz .LBB75_35
; %bb.34:
	ds_load_2addr_b64 v[21:24], v20 offset1:4
	v_mov_b32_e32 v16, 1
	s_wait_dscnt 0x0
	ds_store_2addr_b64 v20, v[23:24], v[21:22] offset1:4
	ds_store_b8 v18, v15
	ds_store_b8 v18, v13 offset:4
	ds_store_b8 v17, v16
	ds_store_b8 v17, v12 offset:4
.LBB75_35:
	;; [unrolled: 37-line block ×3, first 2 shown]
	s_wait_alu 0xfffe
	s_or_b32 exec_lo, exec_lo, s2
	s_wait_loadcnt_dscnt 0x0
	s_barrier_signal -1
	s_barrier_wait -1
	global_inv scope:SCOPE_SE
	ds_load_u16 v10, v4
	ds_load_u16 v12, v3
	s_wait_dscnt 0x1
	v_and_b32_e32 v13, 1, v10
	s_wait_dscnt 0x0
	v_and_b32_e32 v14, 0xff, v12
	v_lshrrev_b16 v11, 8, v12
	v_lshrrev_b16 v15, 8, v10
	v_cmp_eq_u32_e64 s2, 1, v13
	s_delay_alu instid0(VALU_DEP_3) | instskip(NEXT) | instid1(VALU_DEP_3)
	v_cmp_le_u16_e64 s3, v14, v11
	v_cmp_ne_u16_e64 s4, 0, v15
	s_xor_b32 s2, s2, -1
	s_wait_alu 0xfffe
	s_or_b32 s2, s3, s2
	s_wait_alu 0xfffe
	s_and_b32 s3, s2, s4
	s_wait_alu 0xfffe
	s_and_saveexec_b32 s2, s3
	s_cbranch_execz .LBB75_39
; %bb.38:
	ds_load_b128 v[13:16], v19
	v_lshlrev_b16 v12, 8, v12
	v_lshlrev_b16 v17, 8, v10
	s_delay_alu instid0(VALU_DEP_2)
	v_or_b32_e32 v18, v11, v12
	s_wait_dscnt 0x0
	v_dual_mov_b32 v10, v15 :: v_dual_mov_b32 v11, v16
	v_dual_mov_b32 v12, v13 :: v_dual_mov_b32 v13, v14
	v_or_b32_e32 v14, 1, v17
	ds_store_b16 v3, v18
	ds_store_b128 v19, v[10:13]
	ds_store_b16 v4, v14
.LBB75_39:
	s_wait_alu 0xfffe
	s_or_b32 exec_lo, exec_lo, s2
	s_wait_loadcnt_dscnt 0x0
	s_barrier_signal -1
	s_barrier_wait -1
	global_inv scope:SCOPE_SE
	s_and_saveexec_b32 s2, s0
	s_cbranch_execz .LBB75_44
; %bb.40:
	s_and_saveexec_b32 s0, vcc_lo
	s_cbranch_execz .LBB75_42
; %bb.41:
	v_mad_co_u64_u32 v[3:4], null, v7, s7, v[2:3]
	ds_load_u8 v12, v9
	ds_load_b64 v[8:9], v8
	v_mov_b32_e32 v4, 0
	v_mad_co_u64_u32 v[10:11], null, v7, s6, v[0:1]
	s_delay_alu instid0(VALU_DEP_2) | instskip(NEXT) | instid1(VALU_DEP_1)
	v_lshlrev_b64_e32 v[3:4], 3, v[3:4]
	v_add_co_u32 v3, vcc_lo, s10, v3
	s_wait_alu 0xfffd
	s_delay_alu instid0(VALU_DEP_2)
	v_add_co_ci_u32_e64 v4, null, s11, v4, vcc_lo
	s_wait_dscnt 0x1
	global_store_b8 v10, v12, s[8:9]
	s_wait_dscnt 0x0
	global_store_b64 v[3:4], v[8:9], off
.LBB75_42:
	s_wait_alu 0xfffe
	s_or_b32 exec_lo, exec_lo, s0
	s_delay_alu instid0(SALU_CYCLE_1)
	s_and_b32 exec_lo, exec_lo, s1
	s_cbranch_execz .LBB75_44
; %bb.43:
	v_mad_co_u64_u32 v[2:3], null, v1, s7, v[2:3]
	ds_load_u8 v7, v5
	ds_load_b64 v[4:5], v6
	v_mov_b32_e32 v3, 0
	v_mad_co_u64_u32 v[0:1], null, v1, s6, v[0:1]
	s_delay_alu instid0(VALU_DEP_2) | instskip(NEXT) | instid1(VALU_DEP_1)
	v_lshlrev_b64_e32 v[2:3], 3, v[2:3]
	v_add_co_u32 v1, vcc_lo, s10, v2
	s_wait_alu 0xfffd
	s_delay_alu instid0(VALU_DEP_2)
	v_add_co_ci_u32_e64 v2, null, s11, v3, vcc_lo
	s_wait_dscnt 0x1
	global_store_b8 v0, v7, s[8:9]
	s_wait_dscnt 0x0
	global_store_b64 v[1:2], v[4:5], off
.LBB75_44:
	s_endpgm
	.section	.rodata,"a",@progbits
	.p2align	6, 0x0
	.amdhsa_kernel _ZN2at6native20bitonicSortKVInPlaceILi2ELin1ELi16ELi16EblNS0_4GTOpIbLb1EEEjEEvNS_4cuda6detail10TensorInfoIT3_T6_EES8_S8_S8_NS6_IT4_S8_EES8_T5_
		.amdhsa_group_segment_fixed_size 5120
		.amdhsa_private_segment_fixed_size 0
		.amdhsa_kernarg_size 712
		.amdhsa_user_sgpr_count 2
		.amdhsa_user_sgpr_dispatch_ptr 0
		.amdhsa_user_sgpr_queue_ptr 0
		.amdhsa_user_sgpr_kernarg_segment_ptr 1
		.amdhsa_user_sgpr_dispatch_id 0
		.amdhsa_user_sgpr_private_segment_size 0
		.amdhsa_wavefront_size32 1
		.amdhsa_uses_dynamic_stack 0
		.amdhsa_enable_private_segment 0
		.amdhsa_system_sgpr_workgroup_id_x 1
		.amdhsa_system_sgpr_workgroup_id_y 1
		.amdhsa_system_sgpr_workgroup_id_z 1
		.amdhsa_system_sgpr_workgroup_info 0
		.amdhsa_system_vgpr_workitem_id 1
		.amdhsa_next_free_vgpr 34
		.amdhsa_next_free_sgpr 19
		.amdhsa_reserve_vcc 1
		.amdhsa_float_round_mode_32 0
		.amdhsa_float_round_mode_16_64 0
		.amdhsa_float_denorm_mode_32 3
		.amdhsa_float_denorm_mode_16_64 3
		.amdhsa_fp16_overflow 0
		.amdhsa_workgroup_processor_mode 1
		.amdhsa_memory_ordered 1
		.amdhsa_forward_progress 1
		.amdhsa_inst_pref_size 38
		.amdhsa_round_robin_scheduling 0
		.amdhsa_exception_fp_ieee_invalid_op 0
		.amdhsa_exception_fp_denorm_src 0
		.amdhsa_exception_fp_ieee_div_zero 0
		.amdhsa_exception_fp_ieee_overflow 0
		.amdhsa_exception_fp_ieee_underflow 0
		.amdhsa_exception_fp_ieee_inexact 0
		.amdhsa_exception_int_div_zero 0
	.end_amdhsa_kernel
	.section	.text._ZN2at6native20bitonicSortKVInPlaceILi2ELin1ELi16ELi16EblNS0_4GTOpIbLb1EEEjEEvNS_4cuda6detail10TensorInfoIT3_T6_EES8_S8_S8_NS6_IT4_S8_EES8_T5_,"axG",@progbits,_ZN2at6native20bitonicSortKVInPlaceILi2ELin1ELi16ELi16EblNS0_4GTOpIbLb1EEEjEEvNS_4cuda6detail10TensorInfoIT3_T6_EES8_S8_S8_NS6_IT4_S8_EES8_T5_,comdat
.Lfunc_end75:
	.size	_ZN2at6native20bitonicSortKVInPlaceILi2ELin1ELi16ELi16EblNS0_4GTOpIbLb1EEEjEEvNS_4cuda6detail10TensorInfoIT3_T6_EES8_S8_S8_NS6_IT4_S8_EES8_T5_, .Lfunc_end75-_ZN2at6native20bitonicSortKVInPlaceILi2ELin1ELi16ELi16EblNS0_4GTOpIbLb1EEEjEEvNS_4cuda6detail10TensorInfoIT3_T6_EES8_S8_S8_NS6_IT4_S8_EES8_T5_
                                        ; -- End function
	.set _ZN2at6native20bitonicSortKVInPlaceILi2ELin1ELi16ELi16EblNS0_4GTOpIbLb1EEEjEEvNS_4cuda6detail10TensorInfoIT3_T6_EES8_S8_S8_NS6_IT4_S8_EES8_T5_.num_vgpr, 34
	.set _ZN2at6native20bitonicSortKVInPlaceILi2ELin1ELi16ELi16EblNS0_4GTOpIbLb1EEEjEEvNS_4cuda6detail10TensorInfoIT3_T6_EES8_S8_S8_NS6_IT4_S8_EES8_T5_.num_agpr, 0
	.set _ZN2at6native20bitonicSortKVInPlaceILi2ELin1ELi16ELi16EblNS0_4GTOpIbLb1EEEjEEvNS_4cuda6detail10TensorInfoIT3_T6_EES8_S8_S8_NS6_IT4_S8_EES8_T5_.numbered_sgpr, 19
	.set _ZN2at6native20bitonicSortKVInPlaceILi2ELin1ELi16ELi16EblNS0_4GTOpIbLb1EEEjEEvNS_4cuda6detail10TensorInfoIT3_T6_EES8_S8_S8_NS6_IT4_S8_EES8_T5_.num_named_barrier, 0
	.set _ZN2at6native20bitonicSortKVInPlaceILi2ELin1ELi16ELi16EblNS0_4GTOpIbLb1EEEjEEvNS_4cuda6detail10TensorInfoIT3_T6_EES8_S8_S8_NS6_IT4_S8_EES8_T5_.private_seg_size, 0
	.set _ZN2at6native20bitonicSortKVInPlaceILi2ELin1ELi16ELi16EblNS0_4GTOpIbLb1EEEjEEvNS_4cuda6detail10TensorInfoIT3_T6_EES8_S8_S8_NS6_IT4_S8_EES8_T5_.uses_vcc, 1
	.set _ZN2at6native20bitonicSortKVInPlaceILi2ELin1ELi16ELi16EblNS0_4GTOpIbLb1EEEjEEvNS_4cuda6detail10TensorInfoIT3_T6_EES8_S8_S8_NS6_IT4_S8_EES8_T5_.uses_flat_scratch, 0
	.set _ZN2at6native20bitonicSortKVInPlaceILi2ELin1ELi16ELi16EblNS0_4GTOpIbLb1EEEjEEvNS_4cuda6detail10TensorInfoIT3_T6_EES8_S8_S8_NS6_IT4_S8_EES8_T5_.has_dyn_sized_stack, 0
	.set _ZN2at6native20bitonicSortKVInPlaceILi2ELin1ELi16ELi16EblNS0_4GTOpIbLb1EEEjEEvNS_4cuda6detail10TensorInfoIT3_T6_EES8_S8_S8_NS6_IT4_S8_EES8_T5_.has_recursion, 0
	.set _ZN2at6native20bitonicSortKVInPlaceILi2ELin1ELi16ELi16EblNS0_4GTOpIbLb1EEEjEEvNS_4cuda6detail10TensorInfoIT3_T6_EES8_S8_S8_NS6_IT4_S8_EES8_T5_.has_indirect_call, 0
	.section	.AMDGPU.csdata,"",@progbits
; Kernel info:
; codeLenInByte = 4820
; TotalNumSgprs: 21
; NumVgprs: 34
; ScratchSize: 0
; MemoryBound: 0
; FloatMode: 240
; IeeeMode: 1
; LDSByteSize: 5120 bytes/workgroup (compile time only)
; SGPRBlocks: 0
; VGPRBlocks: 4
; NumSGPRsForWavesPerEU: 21
; NumVGPRsForWavesPerEU: 34
; Occupancy: 16
; WaveLimiterHint : 1
; COMPUTE_PGM_RSRC2:SCRATCH_EN: 0
; COMPUTE_PGM_RSRC2:USER_SGPR: 2
; COMPUTE_PGM_RSRC2:TRAP_HANDLER: 0
; COMPUTE_PGM_RSRC2:TGID_X_EN: 1
; COMPUTE_PGM_RSRC2:TGID_Y_EN: 1
; COMPUTE_PGM_RSRC2:TGID_Z_EN: 1
; COMPUTE_PGM_RSRC2:TIDIG_COMP_CNT: 1
	.section	.text._ZN2at6native20bitonicSortKVInPlaceILin1ELin1ELi16ELi16EblNS0_4LTOpIbLb1EEEjEEvNS_4cuda6detail10TensorInfoIT3_T6_EES8_S8_S8_NS6_IT4_S8_EES8_T5_,"axG",@progbits,_ZN2at6native20bitonicSortKVInPlaceILin1ELin1ELi16ELi16EblNS0_4LTOpIbLb1EEEjEEvNS_4cuda6detail10TensorInfoIT3_T6_EES8_S8_S8_NS6_IT4_S8_EES8_T5_,comdat
	.protected	_ZN2at6native20bitonicSortKVInPlaceILin1ELin1ELi16ELi16EblNS0_4LTOpIbLb1EEEjEEvNS_4cuda6detail10TensorInfoIT3_T6_EES8_S8_S8_NS6_IT4_S8_EES8_T5_ ; -- Begin function _ZN2at6native20bitonicSortKVInPlaceILin1ELin1ELi16ELi16EblNS0_4LTOpIbLb1EEEjEEvNS_4cuda6detail10TensorInfoIT3_T6_EES8_S8_S8_NS6_IT4_S8_EES8_T5_
	.globl	_ZN2at6native20bitonicSortKVInPlaceILin1ELin1ELi16ELi16EblNS0_4LTOpIbLb1EEEjEEvNS_4cuda6detail10TensorInfoIT3_T6_EES8_S8_S8_NS6_IT4_S8_EES8_T5_
	.p2align	8
	.type	_ZN2at6native20bitonicSortKVInPlaceILin1ELin1ELi16ELi16EblNS0_4LTOpIbLb1EEEjEEvNS_4cuda6detail10TensorInfoIT3_T6_EES8_S8_S8_NS6_IT4_S8_EES8_T5_,@function
_ZN2at6native20bitonicSortKVInPlaceILin1ELin1ELi16ELi16EblNS0_4LTOpIbLb1EEEjEEvNS_4cuda6detail10TensorInfoIT3_T6_EES8_S8_S8_NS6_IT4_S8_EES8_T5_: ; @_ZN2at6native20bitonicSortKVInPlaceILin1ELin1ELi16ELi16EblNS0_4LTOpIbLb1EEEjEEvNS_4cuda6detail10TensorInfoIT3_T6_EES8_S8_S8_NS6_IT4_S8_EES8_T5_
; %bb.0:
	s_clause 0x2
	s_load_b64 s[2:3], s[0:1], 0x1c8
	s_load_u16 s7, s[0:1], 0x1d6
	s_load_b96 s[4:6], s[0:1], 0xd8
	s_lshr_b32 s8, ttmp7, 16
	s_wait_kmcnt 0x0
	s_mul_i32 s3, s3, s8
	s_and_b32 s8, ttmp7, 0xffff
	s_delay_alu instid0(SALU_CYCLE_1) | instskip(NEXT) | instid1(SALU_CYCLE_1)
	s_add_co_i32 s3, s3, s8
	s_mul_i32 s2, s3, s2
	s_delay_alu instid0(SALU_CYCLE_1) | instskip(NEXT) | instid1(SALU_CYCLE_1)
	s_add_co_i32 s3, s2, ttmp9
	s_mul_i32 s3, s3, s7
	s_delay_alu instid0(SALU_CYCLE_1)
	s_cmp_ge_u32 s3, s4
	s_cbranch_scc1 .LBB76_46
; %bb.1:
	s_load_b32 s2, s[0:1], 0xd0
	v_bfe_u32 v8, v0, 10, 10
	s_delay_alu instid0(VALU_DEP_1) | instskip(NEXT) | instid1(VALU_DEP_1)
	v_dual_mov_b32 v1, 0 :: v_dual_add_nc_u32 v4, s3, v8
	v_mov_b32_e32 v5, v4
	s_wait_kmcnt 0x0
	s_cmp_lt_i32 s2, 2
	s_cbranch_scc1 .LBB76_4
; %bb.2:
	s_add_co_i32 s8, s2, -1
	s_mov_b32 s9, 0
	v_mov_b32_e32 v1, 0
	s_lshl_b64 s[8:9], s[8:9], 2
	v_mov_b32_e32 v5, v4
	s_add_nc_u64 s[8:9], s[0:1], s[8:9]
	s_add_co_i32 s7, s2, 1
	s_add_nc_u64 s[2:3], s[8:9], 8
.LBB76_3:                               ; =>This Inner Loop Header: Depth=1
	s_clause 0x1
	s_load_b32 s8, s[2:3], 0x0
	s_load_b32 s9, s[2:3], 0x64
	s_add_co_i32 s7, s7, -1
	s_add_nc_u64 s[2:3], s[2:3], -4
	s_wait_kmcnt 0x0
	s_cvt_f32_u32 s10, s8
	s_sub_co_i32 s11, 0, s8
	s_wait_alu 0xfffe
	s_delay_alu instid0(SALU_CYCLE_1) | instskip(NEXT) | instid1(TRANS32_DEP_1)
	v_rcp_iflag_f32_e32 v2, s10
	v_readfirstlane_b32 s10, v2
	v_mov_b32_e32 v2, v5
	s_mul_f32 s10, s10, 0x4f7ffffe
	s_wait_alu 0xfffe
	s_delay_alu instid0(SALU_CYCLE_2) | instskip(SKIP_1) | instid1(SALU_CYCLE_2)
	s_cvt_u32_f32 s10, s10
	s_wait_alu 0xfffe
	s_mul_i32 s11, s11, s10
	s_wait_alu 0xfffe
	s_mul_hi_u32 s11, s10, s11
	s_wait_alu 0xfffe
	s_add_co_i32 s10, s10, s11
	s_cmp_gt_u32 s7, 2
	s_wait_alu 0xfffe
	v_mul_hi_u32 v3, v2, s10
	s_delay_alu instid0(VALU_DEP_1) | instskip(SKIP_1) | instid1(VALU_DEP_2)
	v_mul_lo_u32 v5, v3, s8
	v_add_nc_u32_e32 v6, 1, v3
	v_sub_nc_u32_e32 v5, v2, v5
	s_delay_alu instid0(VALU_DEP_1) | instskip(SKIP_3) | instid1(VALU_DEP_3)
	v_subrev_nc_u32_e32 v7, s8, v5
	v_cmp_le_u32_e32 vcc_lo, s8, v5
	s_wait_alu 0xfffd
	v_cndmask_b32_e32 v3, v3, v6, vcc_lo
	v_cndmask_b32_e32 v5, v5, v7, vcc_lo
	s_delay_alu instid0(VALU_DEP_2) | instskip(NEXT) | instid1(VALU_DEP_2)
	v_add_nc_u32_e32 v6, 1, v3
	v_cmp_le_u32_e32 vcc_lo, s8, v5
	s_wait_alu 0xfffd
	s_delay_alu instid0(VALU_DEP_2) | instskip(NEXT) | instid1(VALU_DEP_1)
	v_cndmask_b32_e32 v5, v3, v6, vcc_lo
	v_mul_lo_u32 v3, v5, s8
	s_delay_alu instid0(VALU_DEP_1) | instskip(NEXT) | instid1(VALU_DEP_1)
	v_sub_nc_u32_e32 v2, v2, v3
	v_mad_co_u64_u32 v[1:2], null, s9, v2, v[1:2]
	s_cbranch_scc1 .LBB76_3
.LBB76_4:
	s_load_b32 s7, s[0:1], 0x1b8
	v_dual_mov_b32 v2, 0 :: v_dual_mov_b32 v7, v4
	s_add_nc_u64 s[2:3], s[0:1], 0x1c8
	s_wait_kmcnt 0x0
	s_cmp_lt_i32 s7, 2
	s_cbranch_scc1 .LBB76_7
; %bb.5:
	s_add_co_i32 s8, s7, -1
	s_mov_b32 s9, 0
	v_dual_mov_b32 v2, 0 :: v_dual_mov_b32 v7, v4
	s_wait_alu 0xfffe
	s_lshl_b64 s[8:9], s[8:9], 2
	s_add_co_i32 s7, s7, 1
	s_wait_alu 0xfffe
	s_add_nc_u64 s[8:9], s[0:1], s[8:9]
	s_wait_alu 0xfffe
	s_add_nc_u64 s[8:9], s[8:9], 0xf0
.LBB76_6:                               ; =>This Inner Loop Header: Depth=1
	s_clause 0x1
	s_load_b32 s10, s[8:9], 0x0
	s_load_b32 s11, s[8:9], 0x64
	s_add_co_i32 s7, s7, -1
	s_add_nc_u64 s[8:9], s[8:9], -4
	s_wait_kmcnt 0x0
	s_cvt_f32_u32 s12, s10
	s_sub_co_i32 s13, 0, s10
	s_wait_alu 0xfffe
	s_delay_alu instid0(SALU_CYCLE_1) | instskip(NEXT) | instid1(TRANS32_DEP_1)
	v_rcp_iflag_f32_e32 v3, s12
	v_readfirstlane_b32 s12, v3
	v_mov_b32_e32 v3, v7
	s_mul_f32 s12, s12, 0x4f7ffffe
	s_wait_alu 0xfffe
	s_delay_alu instid0(SALU_CYCLE_2) | instskip(SKIP_1) | instid1(SALU_CYCLE_2)
	s_cvt_u32_f32 s12, s12
	s_wait_alu 0xfffe
	s_mul_i32 s13, s13, s12
	s_wait_alu 0xfffe
	s_mul_hi_u32 s13, s12, s13
	s_wait_alu 0xfffe
	s_add_co_i32 s12, s12, s13
	s_cmp_gt_u32 s7, 2
	s_wait_alu 0xfffe
	v_mul_hi_u32 v6, v3, s12
	s_delay_alu instid0(VALU_DEP_1) | instskip(SKIP_1) | instid1(VALU_DEP_2)
	v_mul_lo_u32 v7, v6, s10
	v_add_nc_u32_e32 v9, 1, v6
	v_sub_nc_u32_e32 v7, v3, v7
	s_delay_alu instid0(VALU_DEP_1) | instskip(SKIP_2) | instid1(VALU_DEP_2)
	v_subrev_nc_u32_e32 v10, s10, v7
	v_cmp_le_u32_e32 vcc_lo, s10, v7
	s_wait_alu 0xfffd
	v_dual_cndmask_b32 v6, v6, v9 :: v_dual_cndmask_b32 v7, v7, v10
	s_delay_alu instid0(VALU_DEP_1) | instskip(NEXT) | instid1(VALU_DEP_2)
	v_add_nc_u32_e32 v9, 1, v6
	v_cmp_le_u32_e32 vcc_lo, s10, v7
	s_wait_alu 0xfffd
	s_delay_alu instid0(VALU_DEP_2) | instskip(NEXT) | instid1(VALU_DEP_1)
	v_cndmask_b32_e32 v7, v6, v9, vcc_lo
	v_mul_lo_u32 v6, v7, s10
	s_delay_alu instid0(VALU_DEP_1) | instskip(NEXT) | instid1(VALU_DEP_1)
	v_sub_nc_u32_e32 v3, v3, v6
	v_mad_co_u64_u32 v[2:3], null, s11, v3, v[2:3]
	s_cbranch_scc1 .LBB76_6
.LBB76_7:
	s_clause 0x1
	s_load_b32 s12, s[0:1], 0x6c
	s_load_b32 s13, s[0:1], 0x154
	;; [unrolled: 1-line block ×3, first 2 shown]
	s_clause 0x2
	s_load_b32 s7, s[0:1], 0x1c0
	s_load_b64 s[8:9], s[0:1], 0x0
	s_load_b64 s[10:11], s[0:1], 0xe8
	v_and_b32_e32 v6, 0x3ff, v0
	v_cmp_gt_u32_e64 s0, s4, v4
	v_dual_mov_b32 v10, 0 :: v_dual_mov_b32 v11, 0
	s_wait_kmcnt 0x0
	v_mad_co_u64_u32 v[0:1], null, s12, v5, v[1:2]
	v_mad_co_u64_u32 v[1:2], null, s13, v7, v[2:3]
	v_mov_b32_e32 v2, 0
	v_mov_b32_e32 v3, 0
	v_cmp_gt_u32_e32 vcc_lo, s5, v6
	v_mov_b32_e32 v4, 0
	v_mov_b32_e32 v5, 0
	s_and_b32 s4, s0, vcc_lo
	s_wait_alu 0xfffe
	s_and_saveexec_b32 s3, s4
	s_cbranch_execz .LBB76_9
; %bb.8:
	v_mad_co_u64_u32 v[4:5], null, v6, s7, v[1:2]
	v_mov_b32_e32 v5, 0
	v_mad_co_u64_u32 v[11:12], null, v6, s6, v[0:1]
	s_delay_alu instid0(VALU_DEP_2) | instskip(NEXT) | instid1(VALU_DEP_1)
	v_lshlrev_b64_e32 v[4:5], 3, v[4:5]
	v_add_co_u32 v4, s1, s10, v4
	s_delay_alu instid0(VALU_DEP_1)
	v_add_co_ci_u32_e64 v5, null, s11, v5, s1
	global_load_u8 v11, v11, s[8:9]
	global_load_b64 v[4:5], v[4:5], off
.LBB76_9:
	s_wait_alu 0xfffe
	s_or_b32 exec_lo, exec_lo, s3
	v_lshlrev_b32_e32 v9, 5, v8
	s_and_b32 s3, 0xffff, s2
	v_lshlrev_b32_e32 v12, 8, v8
	s_wait_alu 0xfffe
	v_add_nc_u32_e32 v7, s3, v6
	v_cndmask_b32_e64 v14, 0, 1, s4
	v_add_nc_u32_e32 v13, 0x1000, v9
	v_add_nc_u32_e32 v15, 0x1200, v9
	v_lshl_add_u32 v8, v6, 3, v12
	v_cmp_gt_u32_e64 s1, s5, v7
	s_delay_alu instid0(VALU_DEP_4) | instskip(NEXT) | instid1(VALU_DEP_4)
	v_add_nc_u32_e32 v9, v13, v6
	v_add_nc_u32_e32 v16, v15, v6
	s_wait_loadcnt 0x1
	ds_store_b8 v9, v11
	s_wait_loadcnt 0x0
	ds_store_b64 v8, v[4:5]
	ds_store_b8 v16, v14
	s_and_b32 s4, s0, s1
	s_wait_alu 0xfffe
	s_and_saveexec_b32 s5, s4
	s_cbranch_execz .LBB76_11
; %bb.10:
	v_mad_co_u64_u32 v[2:3], null, v7, s7, v[1:2]
	v_mov_b32_e32 v3, 0
	v_mad_co_u64_u32 v[4:5], null, v7, s6, v[0:1]
	s_delay_alu instid0(VALU_DEP_2) | instskip(NEXT) | instid1(VALU_DEP_1)
	v_lshlrev_b64_e32 v[2:3], 3, v[2:3]
	v_add_co_u32 v2, s2, s10, v2
	s_wait_alu 0xf1ff
	s_delay_alu instid0(VALU_DEP_2)
	v_add_co_ci_u32_e64 v3, null, s11, v3, s2
	global_load_u8 v10, v4, s[8:9]
	global_load_b64 v[2:3], v[2:3], off
.LBB76_11:
	s_wait_alu 0xfffe
	s_or_b32 exec_lo, exec_lo, s5
	v_add_nc_u32_e32 v4, v13, v7
	v_lshlrev_b32_e32 v16, 1, v6
	v_lshl_add_u32 v5, s3, 3, v8
	v_cndmask_b32_e64 v11, 0, 1, s4
	v_add_nc_u32_e32 v14, v15, v7
	s_wait_loadcnt 0x1
	ds_store_b8 v4, v10
	s_wait_loadcnt 0x0
	ds_store_b64 v5, v[2:3]
	ds_store_b8 v14, v11
	v_add_nc_u32_e32 v2, v13, v16
	v_add_nc_u32_e32 v3, v15, v16
	s_wait_dscnt 0x0
	s_barrier_signal -1
	s_barrier_wait -1
	global_inv scope:SCOPE_SE
	ds_load_u16 v18, v2
	ds_load_u16 v14, v3
	v_and_b32_e32 v10, 1, v6
	s_wait_dscnt 0x1
	v_and_b32_e32 v17, 0xff, v18
	s_wait_dscnt 0x0
	v_lshrrev_b16 v11, 8, v14
	v_lshrrev_b16 v19, 8, v18
	v_and_b32_e32 v20, 1, v14
	s_delay_alu instid0(VALU_DEP_3) | instskip(NEXT) | instid1(VALU_DEP_3)
	v_cmp_ne_u16_e64 s4, v11, v10
	v_cmp_lt_u16_e64 s2, v17, v19
	s_delay_alu instid0(VALU_DEP_3) | instskip(SKIP_1) | instid1(VALU_DEP_3)
	v_cmp_eq_u32_e64 s3, 1, v20
	s_wait_alu 0xf1ff
	v_cndmask_b32_e64 v17, 0, 1, s4
	s_and_b32 s2, s2, s3
	s_wait_alu 0xfffe
	s_delay_alu instid0(VALU_DEP_1) | instskip(NEXT) | instid1(VALU_DEP_1)
	v_cndmask_b32_e64 v17, v17, v6, s2
	v_and_b32_e32 v17, 1, v17
	s_delay_alu instid0(VALU_DEP_1)
	v_cmp_eq_u32_e64 s2, 1, v17
	v_lshl_add_u32 v17, v6, 3, v8
	s_and_saveexec_b32 s3, s2
	s_wait_alu 0xfffe
	s_xor_b32 s2, exec_lo, s3
	s_cbranch_execz .LBB76_13
; %bb.12:
	ds_load_b128 v[20:23], v17
	v_lshlrev_b16 v18, 8, v18
	v_lshlrev_b16 v14, 8, v14
	s_delay_alu instid0(VALU_DEP_2) | instskip(NEXT) | instid1(VALU_DEP_2)
	v_or_b32_e32 v24, v19, v18
	v_or_b32_e32 v11, v11, v14
	s_wait_dscnt 0x0
	v_dual_mov_b32 v18, v22 :: v_dual_mov_b32 v19, v23
	ds_store_b16 v2, v24
	ds_store_b128 v17, v[18:21]
	ds_store_b16 v3, v11
.LBB76_13:
	s_wait_alu 0xfffe
	s_or_b32 exec_lo, exec_lo, s2
	v_sub_nc_u32_e32 v14, v16, v10
	s_wait_loadcnt_dscnt 0x0
	s_barrier_signal -1
	s_barrier_wait -1
	global_inv scope:SCOPE_SE
	v_add_nc_u32_e32 v10, v15, v14
	v_add_nc_u32_e32 v11, v13, v14
	v_bfe_u32 v23, v6, 1, 1
	v_lshl_add_u32 v14, v14, 3, v12
	ds_load_u8 v19, v10
	ds_load_u8 v20, v11
	ds_load_u8 v22, v11 offset:2
	ds_load_u8 v21, v10 offset:2
	s_wait_dscnt 0x3
	v_and_b32_e32 v18, 1, v19
	s_wait_dscnt 0x1
	v_cmp_lt_u16_e64 s2, v20, v22
	s_wait_dscnt 0x0
	v_cmp_ne_u16_e64 s4, v21, v23
	v_cmp_eq_u32_e64 s3, 1, v18
	s_wait_alu 0xf1ff
	s_delay_alu instid0(VALU_DEP_2) | instskip(SKIP_2) | instid1(VALU_DEP_1)
	v_cndmask_b32_e64 v18, 0, 1, s4
	s_and_b32 s2, s2, s3
	s_wait_alu 0xfffe
	v_cndmask_b32_e64 v23, v18, v23, s2
	v_and_b32_e32 v18, 2, v6
	s_delay_alu instid0(VALU_DEP_2) | instskip(NEXT) | instid1(VALU_DEP_2)
	v_and_b32_e32 v23, 1, v23
	v_cmp_ne_u32_e64 s2, 0, v18
	s_delay_alu instid0(VALU_DEP_2)
	v_cmp_eq_u32_e64 s3, 1, v23
	s_and_saveexec_b32 s4, s3
	s_wait_alu 0xfffe
	s_xor_b32 s3, exec_lo, s4
	s_cbranch_execz .LBB76_15
; %bb.14:
	ds_load_2addr_b64 v[23:26], v14 offset1:2
	s_wait_dscnt 0x0
	ds_store_2addr_b64 v14, v[25:26], v[23:24] offset1:2
	ds_store_b8 v11, v22
	ds_store_b8 v11, v20 offset:2
	ds_store_b8 v10, v21
	ds_store_b8 v10, v19 offset:2
.LBB76_15:
	s_wait_alu 0xfffe
	s_or_b32 exec_lo, exec_lo, s3
	s_wait_loadcnt_dscnt 0x0
	s_barrier_signal -1
	s_barrier_wait -1
	global_inv scope:SCOPE_SE
	ds_load_u16 v20, v2
	ds_load_u16 v19, v3
	v_lshrrev_b32_e32 v22, 1, v18
	v_cndmask_b32_e64 v25, 0, 1, s2
	s_wait_dscnt 0x1
	v_and_b32_e32 v23, 0xff, v20
	s_wait_dscnt 0x0
	v_lshrrev_b16 v18, 8, v19
	v_lshrrev_b16 v21, 8, v20
	v_and_b32_e32 v24, 1, v19
	s_delay_alu instid0(VALU_DEP_3) | instskip(NEXT) | instid1(VALU_DEP_3)
	v_cmp_ne_u16_e64 s4, v18, v22
	v_cmp_lt_u16_e64 s2, v23, v21
	s_delay_alu instid0(VALU_DEP_3) | instskip(SKIP_1) | instid1(VALU_DEP_3)
	v_cmp_eq_u32_e64 s3, 1, v24
	s_wait_alu 0xf1ff
	v_cndmask_b32_e64 v22, 0, 1, s4
	s_and_b32 s2, s2, s3
	s_mov_b32 s3, exec_lo
	s_wait_alu 0xfffe
	s_delay_alu instid0(VALU_DEP_1) | instskip(NEXT) | instid1(VALU_DEP_1)
	v_cndmask_b32_e64 v22, v22, v25, s2
	v_and_b32_e32 v22, 1, v22
	s_delay_alu instid0(VALU_DEP_1)
	v_cmpx_eq_u32_e32 1, v22
	s_cbranch_execz .LBB76_17
; %bb.16:
	ds_load_b128 v[22:25], v17
	v_lshlrev_b16 v20, 8, v20
	v_lshlrev_b16 v26, 8, v19
	s_delay_alu instid0(VALU_DEP_2) | instskip(NEXT) | instid1(VALU_DEP_2)
	v_or_b32_e32 v27, v21, v20
	v_or_b32_e32 v18, v18, v26
	s_wait_dscnt 0x0
	v_dual_mov_b32 v19, v24 :: v_dual_mov_b32 v20, v25
	v_dual_mov_b32 v21, v22 :: v_dual_mov_b32 v22, v23
	ds_store_b16 v2, v27
	ds_store_b128 v17, v[19:22]
	ds_store_b16 v3, v18
.LBB76_17:
	s_or_b32 exec_lo, exec_lo, s3
	v_and_b32_e32 v17, 3, v6
	s_wait_loadcnt_dscnt 0x0
	s_barrier_signal -1
	s_barrier_wait -1
	global_inv scope:SCOPE_SE
	v_sub_nc_u32_e32 v20, v16, v17
	v_bfe_u32 v25, v6, 2, 1
	s_delay_alu instid0(VALU_DEP_2)
	v_add_nc_u32_e32 v17, v15, v20
	v_add_nc_u32_e32 v18, v13, v20
	v_lshl_add_u32 v20, v20, 3, v12
	ds_load_u8 v21, v17
	ds_load_u8 v22, v18
	ds_load_u8 v24, v18 offset:4
	ds_load_u8 v23, v17 offset:4
	s_wait_dscnt 0x3
	v_and_b32_e32 v19, 1, v21
	s_wait_dscnt 0x1
	v_cmp_lt_u16_e64 s2, v22, v24
	s_wait_dscnt 0x0
	v_cmp_ne_u16_e64 s4, v23, v25
	v_cmp_eq_u32_e64 s3, 1, v19
	s_wait_alu 0xf1ff
	s_delay_alu instid0(VALU_DEP_2) | instskip(SKIP_3) | instid1(VALU_DEP_1)
	v_cndmask_b32_e64 v19, 0, 1, s4
	s_mov_b32 s4, exec_lo
	s_and_b32 s2, s2, s3
	s_wait_alu 0xfffe
	v_cndmask_b32_e64 v25, v19, v25, s2
	v_and_b32_e32 v19, 4, v6
	s_delay_alu instid0(VALU_DEP_2) | instskip(NEXT) | instid1(VALU_DEP_2)
	v_and_b32_e32 v25, 1, v25
	v_cmp_ne_u32_e64 s2, 0, v19
	s_delay_alu instid0(VALU_DEP_2)
	v_cmpx_eq_u32_e32 1, v25
	s_cbranch_execz .LBB76_19
; %bb.18:
	ds_load_2addr_b64 v[25:28], v20 offset1:4
	s_wait_dscnt 0x0
	ds_store_2addr_b64 v20, v[27:28], v[25:26] offset1:4
	ds_store_b8 v18, v24
	ds_store_b8 v18, v22 offset:4
	ds_store_b8 v17, v23
	ds_store_b8 v17, v21 offset:4
.LBB76_19:
	s_or_b32 exec_lo, exec_lo, s4
	s_wait_loadcnt_dscnt 0x0
	s_barrier_signal -1
	s_barrier_wait -1
	global_inv scope:SCOPE_SE
	ds_load_u8 v22, v10
	ds_load_u8 v23, v11
	ds_load_u8 v25, v11 offset:2
	ds_load_u8 v24, v10 offset:2
	v_lshrrev_b32_e32 v19, 2, v19
	v_cndmask_b32_e64 v21, 0, 1, s2
	s_wait_dscnt 0x3
	v_and_b32_e32 v26, 1, v22
	s_wait_dscnt 0x1
	v_cmp_lt_u16_e64 s2, v23, v25
	s_wait_dscnt 0x0
	v_cmp_ne_u16_e64 s4, v24, v19
	v_cmp_eq_u32_e64 s3, 1, v26
	s_wait_alu 0xf1ff
	s_delay_alu instid0(VALU_DEP_2) | instskip(SKIP_3) | instid1(VALU_DEP_1)
	v_cndmask_b32_e64 v26, 0, 1, s4
	s_and_b32 s2, s2, s3
	s_mov_b32 s3, exec_lo
	s_wait_alu 0xfffe
	v_cndmask_b32_e64 v26, v26, v21, s2
	s_delay_alu instid0(VALU_DEP_1) | instskip(NEXT) | instid1(VALU_DEP_1)
	v_and_b32_e32 v26, 1, v26
	v_cmpx_eq_u32_e32 1, v26
	s_cbranch_execz .LBB76_21
; %bb.20:
	ds_load_2addr_b64 v[26:29], v14 offset1:2
	s_wait_dscnt 0x0
	ds_store_2addr_b64 v14, v[28:29], v[26:27] offset1:2
	ds_store_b8 v11, v25
	ds_store_b8 v11, v23 offset:2
	ds_store_b8 v10, v24
	ds_store_b8 v10, v22 offset:2
.LBB76_21:
	s_or_b32 exec_lo, exec_lo, s3
	s_wait_loadcnt_dscnt 0x0
	s_barrier_signal -1
	s_barrier_wait -1
	global_inv scope:SCOPE_SE
	ds_load_u16 v25, v2
	ds_load_u16 v23, v3
	s_wait_dscnt 0x1
	v_and_b32_e32 v26, 0xff, v25
	s_wait_dscnt 0x0
	v_lshrrev_b16 v22, 8, v23
	v_lshrrev_b16 v24, 8, v25
	v_and_b32_e32 v27, 1, v23
	s_delay_alu instid0(VALU_DEP_3) | instskip(NEXT) | instid1(VALU_DEP_3)
	v_cmp_ne_u16_e64 s4, v22, v19
	v_cmp_lt_u16_e64 s2, v26, v24
	s_delay_alu instid0(VALU_DEP_3) | instskip(SKIP_1) | instid1(VALU_DEP_3)
	v_cmp_eq_u32_e64 s3, 1, v27
	s_wait_alu 0xf1ff
	v_cndmask_b32_e64 v19, 0, 1, s4
	s_and_b32 s2, s2, s3
	s_wait_alu 0xfffe
	s_delay_alu instid0(VALU_DEP_1) | instskip(NEXT) | instid1(VALU_DEP_1)
	v_cndmask_b32_e64 v19, v19, v21, s2
	v_and_b32_e32 v19, 1, v19
	s_delay_alu instid0(VALU_DEP_1)
	v_cmp_eq_u32_e64 s2, 1, v19
	v_lshl_add_u32 v19, v16, 3, v12
	s_and_saveexec_b32 s3, s2
	s_cbranch_execz .LBB76_23
; %bb.22:
	ds_load_b128 v[26:29], v19
	v_lshlrev_b16 v21, 8, v25
	v_lshlrev_b16 v30, 8, v23
	s_delay_alu instid0(VALU_DEP_2) | instskip(NEXT) | instid1(VALU_DEP_2)
	v_or_b32_e32 v21, v24, v21
	v_or_b32_e32 v22, v22, v30
	s_wait_dscnt 0x0
	v_dual_mov_b32 v23, v28 :: v_dual_mov_b32 v24, v29
	v_dual_mov_b32 v25, v26 :: v_dual_mov_b32 v26, v27
	ds_store_b16 v2, v21
	ds_store_b128 v19, v[23:26]
	ds_store_b16 v3, v22
.LBB76_23:
	s_wait_alu 0xfffe
	s_or_b32 exec_lo, exec_lo, s3
	v_and_b32_e32 v21, 7, v6
	s_wait_loadcnt_dscnt 0x0
	s_barrier_signal -1
	s_barrier_wait -1
	global_inv scope:SCOPE_SE
	v_sub_nc_u32_e32 v23, v16, v21
	v_bfe_u32 v29, v6, 3, 1
	s_delay_alu instid0(VALU_DEP_2)
	v_add_nc_u32_e32 v21, v15, v23
	v_add_nc_u32_e32 v22, v13, v23
	v_lshl_add_u32 v23, v23, 3, v12
	ds_load_u8 v25, v21
	ds_load_u8 v26, v22
	ds_load_u8 v28, v22 offset:8
	ds_load_u8 v27, v21 offset:8
	s_wait_dscnt 0x3
	v_and_b32_e32 v24, 1, v25
	s_wait_dscnt 0x1
	v_cmp_lt_u16_e64 s2, v26, v28
	s_wait_dscnt 0x0
	v_cmp_ne_u16_e64 s4, v27, v29
	v_cmp_eq_u32_e64 s3, 1, v24
	s_wait_alu 0xf1ff
	s_delay_alu instid0(VALU_DEP_2) | instskip(SKIP_3) | instid1(VALU_DEP_1)
	v_cndmask_b32_e64 v24, 0, 1, s4
	s_mov_b32 s4, exec_lo
	s_and_b32 s2, s2, s3
	s_wait_alu 0xfffe
	v_cndmask_b32_e64 v29, v24, v29, s2
	v_and_b32_e32 v24, 8, v6
	s_delay_alu instid0(VALU_DEP_2) | instskip(NEXT) | instid1(VALU_DEP_2)
	v_and_b32_e32 v29, 1, v29
	v_cmp_ne_u32_e64 s2, 0, v24
	s_delay_alu instid0(VALU_DEP_2)
	v_cmpx_eq_u32_e32 1, v29
	s_cbranch_execz .LBB76_25
; %bb.24:
	ds_load_2addr_b64 v[29:32], v23 offset1:8
	s_wait_dscnt 0x0
	ds_store_2addr_b64 v23, v[31:32], v[29:30] offset1:8
	ds_store_b8 v22, v28
	ds_store_b8 v22, v26 offset:8
	ds_store_b8 v21, v27
	ds_store_b8 v21, v25 offset:8
.LBB76_25:
	s_or_b32 exec_lo, exec_lo, s4
	s_wait_loadcnt_dscnt 0x0
	s_barrier_signal -1
	s_barrier_wait -1
	global_inv scope:SCOPE_SE
	ds_load_u8 v26, v17
	ds_load_u8 v27, v18
	ds_load_u8 v29, v18 offset:4
	ds_load_u8 v28, v17 offset:4
	v_lshrrev_b32_e32 v24, 3, v24
	v_cndmask_b32_e64 v25, 0, 1, s2
	s_wait_dscnt 0x3
	v_and_b32_e32 v30, 1, v26
	s_wait_dscnt 0x1
	v_cmp_lt_u16_e64 s2, v27, v29
	s_wait_dscnt 0x0
	v_cmp_ne_u16_e64 s4, v28, v24
	v_cmp_eq_u32_e64 s3, 1, v30
	s_wait_alu 0xf1ff
	s_delay_alu instid0(VALU_DEP_2) | instskip(SKIP_3) | instid1(VALU_DEP_1)
	v_cndmask_b32_e64 v30, 0, 1, s4
	s_and_b32 s2, s2, s3
	s_mov_b32 s3, exec_lo
	s_wait_alu 0xfffe
	v_cndmask_b32_e64 v30, v30, v25, s2
	s_delay_alu instid0(VALU_DEP_1) | instskip(NEXT) | instid1(VALU_DEP_1)
	v_and_b32_e32 v30, 1, v30
	v_cmpx_eq_u32_e32 1, v30
	s_cbranch_execz .LBB76_27
; %bb.26:
	ds_load_2addr_b64 v[30:33], v20 offset1:4
	s_wait_dscnt 0x0
	ds_store_2addr_b64 v20, v[32:33], v[30:31] offset1:4
	ds_store_b8 v18, v29
	ds_store_b8 v18, v27 offset:4
	ds_store_b8 v17, v28
	ds_store_b8 v17, v26 offset:4
.LBB76_27:
	s_or_b32 exec_lo, exec_lo, s3
	s_wait_loadcnt_dscnt 0x0
	s_barrier_signal -1
	s_barrier_wait -1
	global_inv scope:SCOPE_SE
	ds_load_u8 v26, v10
	ds_load_u8 v27, v11
	ds_load_u8 v29, v11 offset:2
	ds_load_u8 v28, v10 offset:2
	s_wait_dscnt 0x3
	v_and_b32_e32 v30, 1, v26
	s_wait_dscnt 0x1
	v_cmp_lt_u16_e64 s2, v27, v29
	s_wait_dscnt 0x0
	v_cmp_ne_u16_e64 s4, v28, v24
	v_cmp_eq_u32_e64 s3, 1, v30
	s_wait_alu 0xf1ff
	s_delay_alu instid0(VALU_DEP_2) | instskip(SKIP_3) | instid1(VALU_DEP_1)
	v_cndmask_b32_e64 v30, 0, 1, s4
	s_and_b32 s2, s2, s3
	s_mov_b32 s3, exec_lo
	s_wait_alu 0xfffe
	v_cndmask_b32_e64 v30, v30, v25, s2
	s_delay_alu instid0(VALU_DEP_1) | instskip(NEXT) | instid1(VALU_DEP_1)
	v_and_b32_e32 v30, 1, v30
	v_cmpx_eq_u32_e32 1, v30
	s_cbranch_execz .LBB76_29
; %bb.28:
	ds_load_2addr_b64 v[30:33], v14 offset1:2
	s_wait_dscnt 0x0
	ds_store_2addr_b64 v14, v[32:33], v[30:31] offset1:2
	ds_store_b8 v11, v29
	ds_store_b8 v11, v27 offset:2
	ds_store_b8 v10, v28
	ds_store_b8 v10, v26 offset:2
.LBB76_29:
	s_or_b32 exec_lo, exec_lo, s3
	s_wait_loadcnt_dscnt 0x0
	s_barrier_signal -1
	s_barrier_wait -1
	global_inv scope:SCOPE_SE
	ds_load_u16 v29, v2
	ds_load_u16 v27, v3
	s_wait_dscnt 0x1
	v_and_b32_e32 v30, 0xff, v29
	s_wait_dscnt 0x0
	v_lshrrev_b16 v26, 8, v27
	v_lshrrev_b16 v28, 8, v29
	v_and_b32_e32 v31, 1, v27
	s_delay_alu instid0(VALU_DEP_3) | instskip(NEXT) | instid1(VALU_DEP_3)
	v_cmp_ne_u16_e64 s4, v26, v24
	v_cmp_lt_u16_e64 s2, v30, v28
	s_delay_alu instid0(VALU_DEP_3) | instskip(SKIP_1) | instid1(VALU_DEP_3)
	v_cmp_eq_u32_e64 s3, 1, v31
	s_wait_alu 0xf1ff
	v_cndmask_b32_e64 v24, 0, 1, s4
	s_and_b32 s2, s2, s3
	s_mov_b32 s3, exec_lo
	s_wait_alu 0xfffe
	s_delay_alu instid0(VALU_DEP_1) | instskip(NEXT) | instid1(VALU_DEP_1)
	v_cndmask_b32_e64 v24, v24, v25, s2
	v_and_b32_e32 v24, 1, v24
	s_delay_alu instid0(VALU_DEP_1)
	v_cmpx_eq_u32_e32 1, v24
	s_cbranch_execz .LBB76_31
; %bb.30:
	ds_load_b128 v[30:33], v19
	v_lshlrev_b16 v24, 8, v29
	v_lshlrev_b16 v25, 8, v27
	s_delay_alu instid0(VALU_DEP_2) | instskip(NEXT) | instid1(VALU_DEP_2)
	v_or_b32_e32 v24, v28, v24
	v_or_b32_e32 v25, v26, v25
	s_wait_dscnt 0x0
	v_dual_mov_b32 v27, v32 :: v_dual_mov_b32 v28, v33
	v_dual_mov_b32 v29, v30 :: v_dual_mov_b32 v30, v31
	ds_store_b16 v2, v24
	ds_store_b128 v19, v[27:30]
	ds_store_b16 v3, v25
.LBB76_31:
	s_or_b32 exec_lo, exec_lo, s3
	v_and_b32_e32 v24, 15, v6
	s_wait_loadcnt_dscnt 0x0
	s_barrier_signal -1
	s_barrier_wait -1
	global_inv scope:SCOPE_SE
	v_sub_nc_u32_e32 v16, v16, v24
	s_delay_alu instid0(VALU_DEP_1)
	v_add_nc_u32_e32 v15, v15, v16
	v_add_nc_u32_e32 v13, v13, v16
	ds_load_u8 v24, v15
	ds_load_u8 v27, v15 offset:16
	ds_load_u8 v25, v13
	ds_load_u8 v26, v13 offset:16
	s_wait_dscnt 0x2
	v_and_b32_e32 v27, 0xff, v27
	v_and_b32_e32 v28, 1, v24
	s_wait_dscnt 0x0
	v_cmp_ge_u16_e64 s3, v25, v26
	s_delay_alu instid0(VALU_DEP_3) | instskip(NEXT) | instid1(VALU_DEP_3)
	v_cmp_ne_u16_e64 s4, 0, v27
	v_cmp_eq_u32_e64 s2, 1, v28
	s_xor_b32 s2, s2, -1
	s_wait_alu 0xfffe
	s_or_b32 s2, s3, s2
	s_wait_alu 0xfffe
	s_and_b32 s3, s2, s4
	s_wait_alu 0xfffe
	s_and_saveexec_b32 s2, s3
	s_cbranch_execz .LBB76_33
; %bb.32:
	v_lshl_add_u32 v12, v16, 3, v12
	v_mov_b32_e32 v16, 1
	ds_load_2addr_b64 v[27:30], v12 offset1:16
	s_wait_dscnt 0x0
	ds_store_2addr_b64 v12, v[29:30], v[27:28] offset1:16
	ds_store_b8 v13, v26
	ds_store_b8 v13, v25 offset:16
	ds_store_b8 v15, v16
	ds_store_b8 v15, v24 offset:16
.LBB76_33:
	s_wait_alu 0xfffe
	s_or_b32 exec_lo, exec_lo, s2
	s_wait_loadcnt_dscnt 0x0
	s_barrier_signal -1
	s_barrier_wait -1
	global_inv scope:SCOPE_SE
	ds_load_u8 v12, v21
	ds_load_u8 v16, v21 offset:8
	ds_load_u8 v13, v22
	ds_load_u8 v15, v22 offset:8
	s_wait_dscnt 0x3
	v_and_b32_e32 v24, 1, v12
	s_wait_dscnt 0x2
	v_and_b32_e32 v16, 0xff, v16
	s_wait_dscnt 0x0
	v_cmp_ge_u16_e64 s3, v13, v15
	v_cmp_eq_u32_e64 s2, 1, v24
	s_delay_alu instid0(VALU_DEP_3)
	v_cmp_ne_u16_e64 s4, 0, v16
	s_xor_b32 s2, s2, -1
	s_wait_alu 0xfffe
	s_or_b32 s2, s3, s2
	s_wait_alu 0xfffe
	s_and_b32 s3, s2, s4
	s_wait_alu 0xfffe
	s_and_saveexec_b32 s2, s3
	s_cbranch_execz .LBB76_35
; %bb.34:
	ds_load_2addr_b64 v[24:27], v23 offset1:8
	v_mov_b32_e32 v16, 1
	s_wait_dscnt 0x0
	ds_store_2addr_b64 v23, v[26:27], v[24:25] offset1:8
	ds_store_b8 v22, v15
	ds_store_b8 v22, v13 offset:8
	ds_store_b8 v21, v16
	ds_store_b8 v21, v12 offset:8
.LBB76_35:
	s_wait_alu 0xfffe
	s_or_b32 exec_lo, exec_lo, s2
	s_wait_loadcnt_dscnt 0x0
	s_barrier_signal -1
	s_barrier_wait -1
	global_inv scope:SCOPE_SE
	ds_load_u8 v12, v17
	ds_load_u8 v16, v17 offset:4
	ds_load_u8 v13, v18
	ds_load_u8 v15, v18 offset:4
	s_wait_dscnt 0x3
	v_and_b32_e32 v21, 1, v12
	s_wait_dscnt 0x2
	v_and_b32_e32 v16, 0xff, v16
	s_wait_dscnt 0x0
	v_cmp_ge_u16_e64 s3, v13, v15
	v_cmp_eq_u32_e64 s2, 1, v21
	s_delay_alu instid0(VALU_DEP_3)
	v_cmp_ne_u16_e64 s4, 0, v16
	s_xor_b32 s2, s2, -1
	s_wait_alu 0xfffe
	s_or_b32 s2, s3, s2
	s_wait_alu 0xfffe
	s_and_b32 s3, s2, s4
	s_wait_alu 0xfffe
	s_and_saveexec_b32 s2, s3
	s_cbranch_execz .LBB76_37
; %bb.36:
	ds_load_2addr_b64 v[21:24], v20 offset1:4
	v_mov_b32_e32 v16, 1
	s_wait_dscnt 0x0
	ds_store_2addr_b64 v20, v[23:24], v[21:22] offset1:4
	ds_store_b8 v18, v15
	ds_store_b8 v18, v13 offset:4
	ds_store_b8 v17, v16
	ds_store_b8 v17, v12 offset:4
.LBB76_37:
	;; [unrolled: 37-line block ×3, first 2 shown]
	s_wait_alu 0xfffe
	s_or_b32 exec_lo, exec_lo, s2
	s_wait_loadcnt_dscnt 0x0
	s_barrier_signal -1
	s_barrier_wait -1
	global_inv scope:SCOPE_SE
	ds_load_u16 v10, v3
	ds_load_u16 v12, v2
	s_wait_dscnt 0x1
	v_and_b32_e32 v13, 1, v10
	s_wait_dscnt 0x0
	v_and_b32_e32 v14, 0xff, v12
	v_lshrrev_b16 v11, 8, v12
	v_lshrrev_b16 v15, 8, v10
	v_cmp_eq_u32_e64 s2, 1, v13
	s_delay_alu instid0(VALU_DEP_3) | instskip(NEXT) | instid1(VALU_DEP_3)
	v_cmp_ge_u16_e64 s3, v14, v11
	v_cmp_ne_u16_e64 s4, 0, v15
	s_xor_b32 s2, s2, -1
	s_wait_alu 0xfffe
	s_or_b32 s2, s3, s2
	s_wait_alu 0xfffe
	s_and_b32 s3, s2, s4
	s_wait_alu 0xfffe
	s_and_saveexec_b32 s2, s3
	s_cbranch_execz .LBB76_41
; %bb.40:
	ds_load_b128 v[13:16], v19
	v_lshlrev_b16 v12, 8, v12
	v_lshlrev_b16 v17, 8, v10
	s_delay_alu instid0(VALU_DEP_2)
	v_or_b32_e32 v18, v11, v12
	s_wait_dscnt 0x0
	v_dual_mov_b32 v10, v15 :: v_dual_mov_b32 v11, v16
	v_dual_mov_b32 v12, v13 :: v_dual_mov_b32 v13, v14
	v_or_b32_e32 v14, 1, v17
	ds_store_b16 v2, v18
	ds_store_b128 v19, v[10:13]
	ds_store_b16 v3, v14
.LBB76_41:
	s_wait_alu 0xfffe
	s_or_b32 exec_lo, exec_lo, s2
	s_wait_loadcnt_dscnt 0x0
	s_barrier_signal -1
	s_barrier_wait -1
	global_inv scope:SCOPE_SE
	s_and_saveexec_b32 s2, s0
	s_cbranch_execz .LBB76_46
; %bb.42:
	s_and_saveexec_b32 s0, vcc_lo
	s_cbranch_execz .LBB76_44
; %bb.43:
	v_mad_co_u64_u32 v[2:3], null, v6, s7, v[1:2]
	ds_load_u8 v12, v9
	ds_load_b64 v[8:9], v8
	v_mov_b32_e32 v3, 0
	v_mad_co_u64_u32 v[10:11], null, v6, s6, v[0:1]
	s_delay_alu instid0(VALU_DEP_2) | instskip(NEXT) | instid1(VALU_DEP_1)
	v_lshlrev_b64_e32 v[2:3], 3, v[2:3]
	v_add_co_u32 v2, vcc_lo, s10, v2
	s_wait_alu 0xfffd
	s_delay_alu instid0(VALU_DEP_2)
	v_add_co_ci_u32_e64 v3, null, s11, v3, vcc_lo
	s_wait_dscnt 0x1
	global_store_b8 v10, v12, s[8:9]
	s_wait_dscnt 0x0
	global_store_b64 v[2:3], v[8:9], off
.LBB76_44:
	s_wait_alu 0xfffe
	s_or_b32 exec_lo, exec_lo, s0
	s_delay_alu instid0(SALU_CYCLE_1)
	s_and_b32 exec_lo, exec_lo, s1
	s_cbranch_execz .LBB76_46
; %bb.45:
	v_mad_co_u64_u32 v[1:2], null, v7, s7, v[1:2]
	ds_load_u8 v8, v4
	ds_load_b64 v[3:4], v5
	v_mov_b32_e32 v2, 0
	s_delay_alu instid0(VALU_DEP_1) | instskip(NEXT) | instid1(VALU_DEP_1)
	v_lshlrev_b64_e32 v[1:2], 3, v[1:2]
	v_mad_co_u64_u32 v[5:6], null, v7, s6, v[0:1]
	v_add_co_u32 v0, vcc_lo, s10, v1
	s_wait_alu 0xfffd
	s_delay_alu instid0(VALU_DEP_3)
	v_add_co_ci_u32_e64 v1, null, s11, v2, vcc_lo
	s_wait_dscnt 0x1
	global_store_b8 v5, v8, s[8:9]
	s_wait_dscnt 0x0
	global_store_b64 v[0:1], v[3:4], off
.LBB76_46:
	s_endpgm
	.section	.rodata,"a",@progbits
	.p2align	6, 0x0
	.amdhsa_kernel _ZN2at6native20bitonicSortKVInPlaceILin1ELin1ELi16ELi16EblNS0_4LTOpIbLb1EEEjEEvNS_4cuda6detail10TensorInfoIT3_T6_EES8_S8_S8_NS6_IT4_S8_EES8_T5_
		.amdhsa_group_segment_fixed_size 5120
		.amdhsa_private_segment_fixed_size 0
		.amdhsa_kernarg_size 712
		.amdhsa_user_sgpr_count 2
		.amdhsa_user_sgpr_dispatch_ptr 0
		.amdhsa_user_sgpr_queue_ptr 0
		.amdhsa_user_sgpr_kernarg_segment_ptr 1
		.amdhsa_user_sgpr_dispatch_id 0
		.amdhsa_user_sgpr_private_segment_size 0
		.amdhsa_wavefront_size32 1
		.amdhsa_uses_dynamic_stack 0
		.amdhsa_enable_private_segment 0
		.amdhsa_system_sgpr_workgroup_id_x 1
		.amdhsa_system_sgpr_workgroup_id_y 1
		.amdhsa_system_sgpr_workgroup_id_z 1
		.amdhsa_system_sgpr_workgroup_info 0
		.amdhsa_system_vgpr_workitem_id 1
		.amdhsa_next_free_vgpr 34
		.amdhsa_next_free_sgpr 14
		.amdhsa_reserve_vcc 1
		.amdhsa_float_round_mode_32 0
		.amdhsa_float_round_mode_16_64 0
		.amdhsa_float_denorm_mode_32 3
		.amdhsa_float_denorm_mode_16_64 3
		.amdhsa_fp16_overflow 0
		.amdhsa_workgroup_processor_mode 1
		.amdhsa_memory_ordered 1
		.amdhsa_forward_progress 1
		.amdhsa_inst_pref_size 39
		.amdhsa_round_robin_scheduling 0
		.amdhsa_exception_fp_ieee_invalid_op 0
		.amdhsa_exception_fp_denorm_src 0
		.amdhsa_exception_fp_ieee_div_zero 0
		.amdhsa_exception_fp_ieee_overflow 0
		.amdhsa_exception_fp_ieee_underflow 0
		.amdhsa_exception_fp_ieee_inexact 0
		.amdhsa_exception_int_div_zero 0
	.end_amdhsa_kernel
	.section	.text._ZN2at6native20bitonicSortKVInPlaceILin1ELin1ELi16ELi16EblNS0_4LTOpIbLb1EEEjEEvNS_4cuda6detail10TensorInfoIT3_T6_EES8_S8_S8_NS6_IT4_S8_EES8_T5_,"axG",@progbits,_ZN2at6native20bitonicSortKVInPlaceILin1ELin1ELi16ELi16EblNS0_4LTOpIbLb1EEEjEEvNS_4cuda6detail10TensorInfoIT3_T6_EES8_S8_S8_NS6_IT4_S8_EES8_T5_,comdat
.Lfunc_end76:
	.size	_ZN2at6native20bitonicSortKVInPlaceILin1ELin1ELi16ELi16EblNS0_4LTOpIbLb1EEEjEEvNS_4cuda6detail10TensorInfoIT3_T6_EES8_S8_S8_NS6_IT4_S8_EES8_T5_, .Lfunc_end76-_ZN2at6native20bitonicSortKVInPlaceILin1ELin1ELi16ELi16EblNS0_4LTOpIbLb1EEEjEEvNS_4cuda6detail10TensorInfoIT3_T6_EES8_S8_S8_NS6_IT4_S8_EES8_T5_
                                        ; -- End function
	.set _ZN2at6native20bitonicSortKVInPlaceILin1ELin1ELi16ELi16EblNS0_4LTOpIbLb1EEEjEEvNS_4cuda6detail10TensorInfoIT3_T6_EES8_S8_S8_NS6_IT4_S8_EES8_T5_.num_vgpr, 34
	.set _ZN2at6native20bitonicSortKVInPlaceILin1ELin1ELi16ELi16EblNS0_4LTOpIbLb1EEEjEEvNS_4cuda6detail10TensorInfoIT3_T6_EES8_S8_S8_NS6_IT4_S8_EES8_T5_.num_agpr, 0
	.set _ZN2at6native20bitonicSortKVInPlaceILin1ELin1ELi16ELi16EblNS0_4LTOpIbLb1EEEjEEvNS_4cuda6detail10TensorInfoIT3_T6_EES8_S8_S8_NS6_IT4_S8_EES8_T5_.numbered_sgpr, 14
	.set _ZN2at6native20bitonicSortKVInPlaceILin1ELin1ELi16ELi16EblNS0_4LTOpIbLb1EEEjEEvNS_4cuda6detail10TensorInfoIT3_T6_EES8_S8_S8_NS6_IT4_S8_EES8_T5_.num_named_barrier, 0
	.set _ZN2at6native20bitonicSortKVInPlaceILin1ELin1ELi16ELi16EblNS0_4LTOpIbLb1EEEjEEvNS_4cuda6detail10TensorInfoIT3_T6_EES8_S8_S8_NS6_IT4_S8_EES8_T5_.private_seg_size, 0
	.set _ZN2at6native20bitonicSortKVInPlaceILin1ELin1ELi16ELi16EblNS0_4LTOpIbLb1EEEjEEvNS_4cuda6detail10TensorInfoIT3_T6_EES8_S8_S8_NS6_IT4_S8_EES8_T5_.uses_vcc, 1
	.set _ZN2at6native20bitonicSortKVInPlaceILin1ELin1ELi16ELi16EblNS0_4LTOpIbLb1EEEjEEvNS_4cuda6detail10TensorInfoIT3_T6_EES8_S8_S8_NS6_IT4_S8_EES8_T5_.uses_flat_scratch, 0
	.set _ZN2at6native20bitonicSortKVInPlaceILin1ELin1ELi16ELi16EblNS0_4LTOpIbLb1EEEjEEvNS_4cuda6detail10TensorInfoIT3_T6_EES8_S8_S8_NS6_IT4_S8_EES8_T5_.has_dyn_sized_stack, 0
	.set _ZN2at6native20bitonicSortKVInPlaceILin1ELin1ELi16ELi16EblNS0_4LTOpIbLb1EEEjEEvNS_4cuda6detail10TensorInfoIT3_T6_EES8_S8_S8_NS6_IT4_S8_EES8_T5_.has_recursion, 0
	.set _ZN2at6native20bitonicSortKVInPlaceILin1ELin1ELi16ELi16EblNS0_4LTOpIbLb1EEEjEEvNS_4cuda6detail10TensorInfoIT3_T6_EES8_S8_S8_NS6_IT4_S8_EES8_T5_.has_indirect_call, 0
	.section	.AMDGPU.csdata,"",@progbits
; Kernel info:
; codeLenInByte = 4932
; TotalNumSgprs: 16
; NumVgprs: 34
; ScratchSize: 0
; MemoryBound: 0
; FloatMode: 240
; IeeeMode: 1
; LDSByteSize: 5120 bytes/workgroup (compile time only)
; SGPRBlocks: 0
; VGPRBlocks: 4
; NumSGPRsForWavesPerEU: 16
; NumVGPRsForWavesPerEU: 34
; Occupancy: 16
; WaveLimiterHint : 1
; COMPUTE_PGM_RSRC2:SCRATCH_EN: 0
; COMPUTE_PGM_RSRC2:USER_SGPR: 2
; COMPUTE_PGM_RSRC2:TRAP_HANDLER: 0
; COMPUTE_PGM_RSRC2:TGID_X_EN: 1
; COMPUTE_PGM_RSRC2:TGID_Y_EN: 1
; COMPUTE_PGM_RSRC2:TGID_Z_EN: 1
; COMPUTE_PGM_RSRC2:TIDIG_COMP_CNT: 1
	.section	.text._ZN2at6native20bitonicSortKVInPlaceILin1ELin1ELi16ELi16EblNS0_4GTOpIbLb1EEEjEEvNS_4cuda6detail10TensorInfoIT3_T6_EES8_S8_S8_NS6_IT4_S8_EES8_T5_,"axG",@progbits,_ZN2at6native20bitonicSortKVInPlaceILin1ELin1ELi16ELi16EblNS0_4GTOpIbLb1EEEjEEvNS_4cuda6detail10TensorInfoIT3_T6_EES8_S8_S8_NS6_IT4_S8_EES8_T5_,comdat
	.protected	_ZN2at6native20bitonicSortKVInPlaceILin1ELin1ELi16ELi16EblNS0_4GTOpIbLb1EEEjEEvNS_4cuda6detail10TensorInfoIT3_T6_EES8_S8_S8_NS6_IT4_S8_EES8_T5_ ; -- Begin function _ZN2at6native20bitonicSortKVInPlaceILin1ELin1ELi16ELi16EblNS0_4GTOpIbLb1EEEjEEvNS_4cuda6detail10TensorInfoIT3_T6_EES8_S8_S8_NS6_IT4_S8_EES8_T5_
	.globl	_ZN2at6native20bitonicSortKVInPlaceILin1ELin1ELi16ELi16EblNS0_4GTOpIbLb1EEEjEEvNS_4cuda6detail10TensorInfoIT3_T6_EES8_S8_S8_NS6_IT4_S8_EES8_T5_
	.p2align	8
	.type	_ZN2at6native20bitonicSortKVInPlaceILin1ELin1ELi16ELi16EblNS0_4GTOpIbLb1EEEjEEvNS_4cuda6detail10TensorInfoIT3_T6_EES8_S8_S8_NS6_IT4_S8_EES8_T5_,@function
_ZN2at6native20bitonicSortKVInPlaceILin1ELin1ELi16ELi16EblNS0_4GTOpIbLb1EEEjEEvNS_4cuda6detail10TensorInfoIT3_T6_EES8_S8_S8_NS6_IT4_S8_EES8_T5_: ; @_ZN2at6native20bitonicSortKVInPlaceILin1ELin1ELi16ELi16EblNS0_4GTOpIbLb1EEEjEEvNS_4cuda6detail10TensorInfoIT3_T6_EES8_S8_S8_NS6_IT4_S8_EES8_T5_
; %bb.0:
	s_clause 0x2
	s_load_b64 s[2:3], s[0:1], 0x1c8
	s_load_u16 s7, s[0:1], 0x1d6
	s_load_b96 s[4:6], s[0:1], 0xd8
	s_lshr_b32 s8, ttmp7, 16
	s_wait_kmcnt 0x0
	s_mul_i32 s3, s3, s8
	s_and_b32 s8, ttmp7, 0xffff
	s_delay_alu instid0(SALU_CYCLE_1) | instskip(NEXT) | instid1(SALU_CYCLE_1)
	s_add_co_i32 s3, s3, s8
	s_mul_i32 s2, s3, s2
	s_delay_alu instid0(SALU_CYCLE_1) | instskip(NEXT) | instid1(SALU_CYCLE_1)
	s_add_co_i32 s3, s2, ttmp9
	s_mul_i32 s3, s3, s7
	s_delay_alu instid0(SALU_CYCLE_1)
	s_cmp_ge_u32 s3, s4
	s_cbranch_scc1 .LBB77_46
; %bb.1:
	s_load_b32 s2, s[0:1], 0xd0
	v_bfe_u32 v8, v0, 10, 10
	s_delay_alu instid0(VALU_DEP_1) | instskip(NEXT) | instid1(VALU_DEP_1)
	v_dual_mov_b32 v1, 0 :: v_dual_add_nc_u32 v4, s3, v8
	v_mov_b32_e32 v5, v4
	s_wait_kmcnt 0x0
	s_cmp_lt_i32 s2, 2
	s_cbranch_scc1 .LBB77_4
; %bb.2:
	s_add_co_i32 s8, s2, -1
	s_mov_b32 s9, 0
	v_mov_b32_e32 v1, 0
	s_lshl_b64 s[8:9], s[8:9], 2
	v_mov_b32_e32 v5, v4
	s_add_nc_u64 s[8:9], s[0:1], s[8:9]
	s_add_co_i32 s7, s2, 1
	s_add_nc_u64 s[2:3], s[8:9], 8
.LBB77_3:                               ; =>This Inner Loop Header: Depth=1
	s_clause 0x1
	s_load_b32 s8, s[2:3], 0x0
	s_load_b32 s9, s[2:3], 0x64
	s_add_co_i32 s7, s7, -1
	s_add_nc_u64 s[2:3], s[2:3], -4
	s_wait_kmcnt 0x0
	s_cvt_f32_u32 s10, s8
	s_sub_co_i32 s11, 0, s8
	s_wait_alu 0xfffe
	s_delay_alu instid0(SALU_CYCLE_1) | instskip(NEXT) | instid1(TRANS32_DEP_1)
	v_rcp_iflag_f32_e32 v2, s10
	v_readfirstlane_b32 s10, v2
	v_mov_b32_e32 v2, v5
	s_mul_f32 s10, s10, 0x4f7ffffe
	s_wait_alu 0xfffe
	s_delay_alu instid0(SALU_CYCLE_2) | instskip(SKIP_1) | instid1(SALU_CYCLE_2)
	s_cvt_u32_f32 s10, s10
	s_wait_alu 0xfffe
	s_mul_i32 s11, s11, s10
	s_wait_alu 0xfffe
	s_mul_hi_u32 s11, s10, s11
	s_wait_alu 0xfffe
	s_add_co_i32 s10, s10, s11
	s_cmp_gt_u32 s7, 2
	s_wait_alu 0xfffe
	v_mul_hi_u32 v3, v2, s10
	s_delay_alu instid0(VALU_DEP_1) | instskip(SKIP_1) | instid1(VALU_DEP_2)
	v_mul_lo_u32 v5, v3, s8
	v_add_nc_u32_e32 v6, 1, v3
	v_sub_nc_u32_e32 v5, v2, v5
	s_delay_alu instid0(VALU_DEP_1) | instskip(SKIP_3) | instid1(VALU_DEP_3)
	v_subrev_nc_u32_e32 v7, s8, v5
	v_cmp_le_u32_e32 vcc_lo, s8, v5
	s_wait_alu 0xfffd
	v_cndmask_b32_e32 v3, v3, v6, vcc_lo
	v_cndmask_b32_e32 v5, v5, v7, vcc_lo
	s_delay_alu instid0(VALU_DEP_2) | instskip(NEXT) | instid1(VALU_DEP_2)
	v_add_nc_u32_e32 v6, 1, v3
	v_cmp_le_u32_e32 vcc_lo, s8, v5
	s_wait_alu 0xfffd
	s_delay_alu instid0(VALU_DEP_2) | instskip(NEXT) | instid1(VALU_DEP_1)
	v_cndmask_b32_e32 v5, v3, v6, vcc_lo
	v_mul_lo_u32 v3, v5, s8
	s_delay_alu instid0(VALU_DEP_1) | instskip(NEXT) | instid1(VALU_DEP_1)
	v_sub_nc_u32_e32 v2, v2, v3
	v_mad_co_u64_u32 v[1:2], null, s9, v2, v[1:2]
	s_cbranch_scc1 .LBB77_3
.LBB77_4:
	s_load_b32 s7, s[0:1], 0x1b8
	v_dual_mov_b32 v2, 0 :: v_dual_mov_b32 v7, v4
	s_add_nc_u64 s[2:3], s[0:1], 0x1c8
	s_wait_kmcnt 0x0
	s_cmp_lt_i32 s7, 2
	s_cbranch_scc1 .LBB77_7
; %bb.5:
	s_add_co_i32 s8, s7, -1
	s_mov_b32 s9, 0
	v_dual_mov_b32 v2, 0 :: v_dual_mov_b32 v7, v4
	s_wait_alu 0xfffe
	s_lshl_b64 s[8:9], s[8:9], 2
	s_add_co_i32 s7, s7, 1
	s_wait_alu 0xfffe
	s_add_nc_u64 s[8:9], s[0:1], s[8:9]
	s_wait_alu 0xfffe
	s_add_nc_u64 s[8:9], s[8:9], 0xf0
.LBB77_6:                               ; =>This Inner Loop Header: Depth=1
	s_clause 0x1
	s_load_b32 s10, s[8:9], 0x0
	s_load_b32 s11, s[8:9], 0x64
	s_add_co_i32 s7, s7, -1
	s_add_nc_u64 s[8:9], s[8:9], -4
	s_wait_kmcnt 0x0
	s_cvt_f32_u32 s12, s10
	s_sub_co_i32 s13, 0, s10
	s_wait_alu 0xfffe
	s_delay_alu instid0(SALU_CYCLE_1) | instskip(NEXT) | instid1(TRANS32_DEP_1)
	v_rcp_iflag_f32_e32 v3, s12
	v_readfirstlane_b32 s12, v3
	v_mov_b32_e32 v3, v7
	s_mul_f32 s12, s12, 0x4f7ffffe
	s_wait_alu 0xfffe
	s_delay_alu instid0(SALU_CYCLE_2) | instskip(SKIP_1) | instid1(SALU_CYCLE_2)
	s_cvt_u32_f32 s12, s12
	s_wait_alu 0xfffe
	s_mul_i32 s13, s13, s12
	s_wait_alu 0xfffe
	s_mul_hi_u32 s13, s12, s13
	s_wait_alu 0xfffe
	s_add_co_i32 s12, s12, s13
	s_cmp_gt_u32 s7, 2
	s_wait_alu 0xfffe
	v_mul_hi_u32 v6, v3, s12
	s_delay_alu instid0(VALU_DEP_1) | instskip(SKIP_1) | instid1(VALU_DEP_2)
	v_mul_lo_u32 v7, v6, s10
	v_add_nc_u32_e32 v9, 1, v6
	v_sub_nc_u32_e32 v7, v3, v7
	s_delay_alu instid0(VALU_DEP_1) | instskip(SKIP_2) | instid1(VALU_DEP_2)
	v_subrev_nc_u32_e32 v10, s10, v7
	v_cmp_le_u32_e32 vcc_lo, s10, v7
	s_wait_alu 0xfffd
	v_dual_cndmask_b32 v6, v6, v9 :: v_dual_cndmask_b32 v7, v7, v10
	s_delay_alu instid0(VALU_DEP_1) | instskip(NEXT) | instid1(VALU_DEP_2)
	v_add_nc_u32_e32 v9, 1, v6
	v_cmp_le_u32_e32 vcc_lo, s10, v7
	s_wait_alu 0xfffd
	s_delay_alu instid0(VALU_DEP_2) | instskip(NEXT) | instid1(VALU_DEP_1)
	v_cndmask_b32_e32 v7, v6, v9, vcc_lo
	v_mul_lo_u32 v6, v7, s10
	s_delay_alu instid0(VALU_DEP_1) | instskip(NEXT) | instid1(VALU_DEP_1)
	v_sub_nc_u32_e32 v3, v3, v6
	v_mad_co_u64_u32 v[2:3], null, s11, v3, v[2:3]
	s_cbranch_scc1 .LBB77_6
.LBB77_7:
	s_clause 0x1
	s_load_b32 s12, s[0:1], 0x6c
	s_load_b32 s13, s[0:1], 0x154
	;; [unrolled: 1-line block ×3, first 2 shown]
	s_clause 0x2
	s_load_b32 s7, s[0:1], 0x1c0
	s_load_b64 s[8:9], s[0:1], 0x0
	s_load_b64 s[10:11], s[0:1], 0xe8
	v_and_b32_e32 v6, 0x3ff, v0
	v_cmp_gt_u32_e64 s0, s4, v4
	v_dual_mov_b32 v10, 0 :: v_dual_mov_b32 v11, 0
	s_wait_kmcnt 0x0
	v_mad_co_u64_u32 v[0:1], null, s12, v5, v[1:2]
	v_mad_co_u64_u32 v[1:2], null, s13, v7, v[2:3]
	v_mov_b32_e32 v2, 0
	v_mov_b32_e32 v3, 0
	v_cmp_gt_u32_e32 vcc_lo, s5, v6
	v_mov_b32_e32 v4, 0
	v_mov_b32_e32 v5, 0
	s_and_b32 s4, s0, vcc_lo
	s_wait_alu 0xfffe
	s_and_saveexec_b32 s3, s4
	s_cbranch_execz .LBB77_9
; %bb.8:
	v_mad_co_u64_u32 v[4:5], null, v6, s7, v[1:2]
	v_mov_b32_e32 v5, 0
	v_mad_co_u64_u32 v[11:12], null, v6, s6, v[0:1]
	s_delay_alu instid0(VALU_DEP_2) | instskip(NEXT) | instid1(VALU_DEP_1)
	v_lshlrev_b64_e32 v[4:5], 3, v[4:5]
	v_add_co_u32 v4, s1, s10, v4
	s_delay_alu instid0(VALU_DEP_1)
	v_add_co_ci_u32_e64 v5, null, s11, v5, s1
	global_load_u8 v11, v11, s[8:9]
	global_load_b64 v[4:5], v[4:5], off
.LBB77_9:
	s_wait_alu 0xfffe
	s_or_b32 exec_lo, exec_lo, s3
	v_lshlrev_b32_e32 v9, 5, v8
	s_and_b32 s3, 0xffff, s2
	v_lshlrev_b32_e32 v12, 8, v8
	s_wait_alu 0xfffe
	v_add_nc_u32_e32 v7, s3, v6
	v_cndmask_b32_e64 v14, 0, 1, s4
	v_add_nc_u32_e32 v13, 0x1000, v9
	v_add_nc_u32_e32 v15, 0x1200, v9
	v_lshl_add_u32 v8, v6, 3, v12
	v_cmp_gt_u32_e64 s1, s5, v7
	s_delay_alu instid0(VALU_DEP_4) | instskip(NEXT) | instid1(VALU_DEP_4)
	v_add_nc_u32_e32 v9, v13, v6
	v_add_nc_u32_e32 v16, v15, v6
	s_wait_loadcnt 0x1
	ds_store_b8 v9, v11
	s_wait_loadcnt 0x0
	ds_store_b64 v8, v[4:5]
	ds_store_b8 v16, v14
	s_and_b32 s4, s0, s1
	s_wait_alu 0xfffe
	s_and_saveexec_b32 s5, s4
	s_cbranch_execz .LBB77_11
; %bb.10:
	v_mad_co_u64_u32 v[2:3], null, v7, s7, v[1:2]
	v_mov_b32_e32 v3, 0
	v_mad_co_u64_u32 v[4:5], null, v7, s6, v[0:1]
	s_delay_alu instid0(VALU_DEP_2) | instskip(NEXT) | instid1(VALU_DEP_1)
	v_lshlrev_b64_e32 v[2:3], 3, v[2:3]
	v_add_co_u32 v2, s2, s10, v2
	s_wait_alu 0xf1ff
	s_delay_alu instid0(VALU_DEP_2)
	v_add_co_ci_u32_e64 v3, null, s11, v3, s2
	global_load_u8 v10, v4, s[8:9]
	global_load_b64 v[2:3], v[2:3], off
.LBB77_11:
	s_wait_alu 0xfffe
	s_or_b32 exec_lo, exec_lo, s5
	v_add_nc_u32_e32 v4, v13, v7
	v_lshlrev_b32_e32 v16, 1, v6
	v_lshl_add_u32 v5, s3, 3, v8
	v_cndmask_b32_e64 v11, 0, 1, s4
	v_add_nc_u32_e32 v14, v15, v7
	s_wait_loadcnt 0x1
	ds_store_b8 v4, v10
	s_wait_loadcnt 0x0
	ds_store_b64 v5, v[2:3]
	ds_store_b8 v14, v11
	v_add_nc_u32_e32 v2, v13, v16
	v_add_nc_u32_e32 v3, v15, v16
	s_wait_dscnt 0x0
	s_barrier_signal -1
	s_barrier_wait -1
	global_inv scope:SCOPE_SE
	ds_load_u16 v18, v2
	ds_load_u16 v14, v3
	v_and_b32_e32 v10, 1, v6
	s_wait_dscnt 0x1
	v_and_b32_e32 v17, 0xff, v18
	s_wait_dscnt 0x0
	v_lshrrev_b16 v11, 8, v14
	v_lshrrev_b16 v19, 8, v18
	v_and_b32_e32 v20, 1, v14
	s_delay_alu instid0(VALU_DEP_3) | instskip(NEXT) | instid1(VALU_DEP_3)
	v_cmp_ne_u16_e64 s4, v11, v10
	v_cmp_gt_u16_e64 s2, v17, v19
	s_delay_alu instid0(VALU_DEP_3) | instskip(SKIP_1) | instid1(VALU_DEP_3)
	v_cmp_eq_u32_e64 s3, 1, v20
	s_wait_alu 0xf1ff
	v_cndmask_b32_e64 v17, 0, 1, s4
	s_and_b32 s2, s2, s3
	s_wait_alu 0xfffe
	s_delay_alu instid0(VALU_DEP_1) | instskip(NEXT) | instid1(VALU_DEP_1)
	v_cndmask_b32_e64 v17, v17, v6, s2
	v_and_b32_e32 v17, 1, v17
	s_delay_alu instid0(VALU_DEP_1)
	v_cmp_eq_u32_e64 s2, 1, v17
	v_lshl_add_u32 v17, v6, 3, v8
	s_and_saveexec_b32 s3, s2
	s_wait_alu 0xfffe
	s_xor_b32 s2, exec_lo, s3
	s_cbranch_execz .LBB77_13
; %bb.12:
	ds_load_b128 v[20:23], v17
	v_lshlrev_b16 v18, 8, v18
	v_lshlrev_b16 v14, 8, v14
	s_delay_alu instid0(VALU_DEP_2) | instskip(NEXT) | instid1(VALU_DEP_2)
	v_or_b32_e32 v24, v19, v18
	v_or_b32_e32 v11, v11, v14
	s_wait_dscnt 0x0
	v_dual_mov_b32 v18, v22 :: v_dual_mov_b32 v19, v23
	ds_store_b16 v2, v24
	ds_store_b128 v17, v[18:21]
	ds_store_b16 v3, v11
.LBB77_13:
	s_wait_alu 0xfffe
	s_or_b32 exec_lo, exec_lo, s2
	v_sub_nc_u32_e32 v14, v16, v10
	s_wait_loadcnt_dscnt 0x0
	s_barrier_signal -1
	s_barrier_wait -1
	global_inv scope:SCOPE_SE
	v_add_nc_u32_e32 v10, v15, v14
	v_add_nc_u32_e32 v11, v13, v14
	v_bfe_u32 v23, v6, 1, 1
	v_lshl_add_u32 v14, v14, 3, v12
	ds_load_u8 v19, v10
	ds_load_u8 v20, v11
	ds_load_u8 v22, v11 offset:2
	ds_load_u8 v21, v10 offset:2
	s_wait_dscnt 0x3
	v_and_b32_e32 v18, 1, v19
	s_wait_dscnt 0x1
	v_cmp_gt_u16_e64 s2, v20, v22
	s_wait_dscnt 0x0
	v_cmp_ne_u16_e64 s4, v21, v23
	v_cmp_eq_u32_e64 s3, 1, v18
	s_wait_alu 0xf1ff
	s_delay_alu instid0(VALU_DEP_2) | instskip(SKIP_2) | instid1(VALU_DEP_1)
	v_cndmask_b32_e64 v18, 0, 1, s4
	s_and_b32 s2, s2, s3
	s_wait_alu 0xfffe
	v_cndmask_b32_e64 v23, v18, v23, s2
	v_and_b32_e32 v18, 2, v6
	s_delay_alu instid0(VALU_DEP_2) | instskip(NEXT) | instid1(VALU_DEP_2)
	v_and_b32_e32 v23, 1, v23
	v_cmp_ne_u32_e64 s2, 0, v18
	s_delay_alu instid0(VALU_DEP_2)
	v_cmp_eq_u32_e64 s3, 1, v23
	s_and_saveexec_b32 s4, s3
	s_wait_alu 0xfffe
	s_xor_b32 s3, exec_lo, s4
	s_cbranch_execz .LBB77_15
; %bb.14:
	ds_load_2addr_b64 v[23:26], v14 offset1:2
	s_wait_dscnt 0x0
	ds_store_2addr_b64 v14, v[25:26], v[23:24] offset1:2
	ds_store_b8 v11, v22
	ds_store_b8 v11, v20 offset:2
	ds_store_b8 v10, v21
	ds_store_b8 v10, v19 offset:2
.LBB77_15:
	s_wait_alu 0xfffe
	s_or_b32 exec_lo, exec_lo, s3
	s_wait_loadcnt_dscnt 0x0
	s_barrier_signal -1
	s_barrier_wait -1
	global_inv scope:SCOPE_SE
	ds_load_u16 v20, v2
	ds_load_u16 v19, v3
	v_lshrrev_b32_e32 v22, 1, v18
	v_cndmask_b32_e64 v25, 0, 1, s2
	s_wait_dscnt 0x1
	v_and_b32_e32 v23, 0xff, v20
	s_wait_dscnt 0x0
	v_lshrrev_b16 v18, 8, v19
	v_lshrrev_b16 v21, 8, v20
	v_and_b32_e32 v24, 1, v19
	s_delay_alu instid0(VALU_DEP_3) | instskip(NEXT) | instid1(VALU_DEP_3)
	v_cmp_ne_u16_e64 s4, v18, v22
	v_cmp_gt_u16_e64 s2, v23, v21
	s_delay_alu instid0(VALU_DEP_3) | instskip(SKIP_1) | instid1(VALU_DEP_3)
	v_cmp_eq_u32_e64 s3, 1, v24
	s_wait_alu 0xf1ff
	v_cndmask_b32_e64 v22, 0, 1, s4
	s_and_b32 s2, s2, s3
	s_mov_b32 s3, exec_lo
	s_wait_alu 0xfffe
	s_delay_alu instid0(VALU_DEP_1) | instskip(NEXT) | instid1(VALU_DEP_1)
	v_cndmask_b32_e64 v22, v22, v25, s2
	v_and_b32_e32 v22, 1, v22
	s_delay_alu instid0(VALU_DEP_1)
	v_cmpx_eq_u32_e32 1, v22
	s_cbranch_execz .LBB77_17
; %bb.16:
	ds_load_b128 v[22:25], v17
	v_lshlrev_b16 v20, 8, v20
	v_lshlrev_b16 v26, 8, v19
	s_delay_alu instid0(VALU_DEP_2) | instskip(NEXT) | instid1(VALU_DEP_2)
	v_or_b32_e32 v27, v21, v20
	v_or_b32_e32 v18, v18, v26
	s_wait_dscnt 0x0
	v_dual_mov_b32 v19, v24 :: v_dual_mov_b32 v20, v25
	v_dual_mov_b32 v21, v22 :: v_dual_mov_b32 v22, v23
	ds_store_b16 v2, v27
	ds_store_b128 v17, v[19:22]
	ds_store_b16 v3, v18
.LBB77_17:
	s_or_b32 exec_lo, exec_lo, s3
	v_and_b32_e32 v17, 3, v6
	s_wait_loadcnt_dscnt 0x0
	s_barrier_signal -1
	s_barrier_wait -1
	global_inv scope:SCOPE_SE
	v_sub_nc_u32_e32 v20, v16, v17
	v_bfe_u32 v25, v6, 2, 1
	s_delay_alu instid0(VALU_DEP_2)
	v_add_nc_u32_e32 v17, v15, v20
	v_add_nc_u32_e32 v18, v13, v20
	v_lshl_add_u32 v20, v20, 3, v12
	ds_load_u8 v21, v17
	ds_load_u8 v22, v18
	ds_load_u8 v24, v18 offset:4
	ds_load_u8 v23, v17 offset:4
	s_wait_dscnt 0x3
	v_and_b32_e32 v19, 1, v21
	s_wait_dscnt 0x1
	v_cmp_gt_u16_e64 s2, v22, v24
	s_wait_dscnt 0x0
	v_cmp_ne_u16_e64 s4, v23, v25
	v_cmp_eq_u32_e64 s3, 1, v19
	s_wait_alu 0xf1ff
	s_delay_alu instid0(VALU_DEP_2) | instskip(SKIP_3) | instid1(VALU_DEP_1)
	v_cndmask_b32_e64 v19, 0, 1, s4
	s_mov_b32 s4, exec_lo
	s_and_b32 s2, s2, s3
	s_wait_alu 0xfffe
	v_cndmask_b32_e64 v25, v19, v25, s2
	v_and_b32_e32 v19, 4, v6
	s_delay_alu instid0(VALU_DEP_2) | instskip(NEXT) | instid1(VALU_DEP_2)
	v_and_b32_e32 v25, 1, v25
	v_cmp_ne_u32_e64 s2, 0, v19
	s_delay_alu instid0(VALU_DEP_2)
	v_cmpx_eq_u32_e32 1, v25
	s_cbranch_execz .LBB77_19
; %bb.18:
	ds_load_2addr_b64 v[25:28], v20 offset1:4
	s_wait_dscnt 0x0
	ds_store_2addr_b64 v20, v[27:28], v[25:26] offset1:4
	ds_store_b8 v18, v24
	ds_store_b8 v18, v22 offset:4
	ds_store_b8 v17, v23
	ds_store_b8 v17, v21 offset:4
.LBB77_19:
	s_or_b32 exec_lo, exec_lo, s4
	s_wait_loadcnt_dscnt 0x0
	s_barrier_signal -1
	s_barrier_wait -1
	global_inv scope:SCOPE_SE
	ds_load_u8 v22, v10
	ds_load_u8 v23, v11
	ds_load_u8 v25, v11 offset:2
	ds_load_u8 v24, v10 offset:2
	v_lshrrev_b32_e32 v19, 2, v19
	v_cndmask_b32_e64 v21, 0, 1, s2
	s_wait_dscnt 0x3
	v_and_b32_e32 v26, 1, v22
	s_wait_dscnt 0x1
	v_cmp_gt_u16_e64 s2, v23, v25
	s_wait_dscnt 0x0
	v_cmp_ne_u16_e64 s4, v24, v19
	v_cmp_eq_u32_e64 s3, 1, v26
	s_wait_alu 0xf1ff
	s_delay_alu instid0(VALU_DEP_2) | instskip(SKIP_3) | instid1(VALU_DEP_1)
	v_cndmask_b32_e64 v26, 0, 1, s4
	s_and_b32 s2, s2, s3
	s_mov_b32 s3, exec_lo
	s_wait_alu 0xfffe
	v_cndmask_b32_e64 v26, v26, v21, s2
	s_delay_alu instid0(VALU_DEP_1) | instskip(NEXT) | instid1(VALU_DEP_1)
	v_and_b32_e32 v26, 1, v26
	v_cmpx_eq_u32_e32 1, v26
	s_cbranch_execz .LBB77_21
; %bb.20:
	ds_load_2addr_b64 v[26:29], v14 offset1:2
	s_wait_dscnt 0x0
	ds_store_2addr_b64 v14, v[28:29], v[26:27] offset1:2
	ds_store_b8 v11, v25
	ds_store_b8 v11, v23 offset:2
	ds_store_b8 v10, v24
	ds_store_b8 v10, v22 offset:2
.LBB77_21:
	s_or_b32 exec_lo, exec_lo, s3
	s_wait_loadcnt_dscnt 0x0
	s_barrier_signal -1
	s_barrier_wait -1
	global_inv scope:SCOPE_SE
	ds_load_u16 v25, v2
	ds_load_u16 v23, v3
	s_wait_dscnt 0x1
	v_and_b32_e32 v26, 0xff, v25
	s_wait_dscnt 0x0
	v_lshrrev_b16 v22, 8, v23
	v_lshrrev_b16 v24, 8, v25
	v_and_b32_e32 v27, 1, v23
	s_delay_alu instid0(VALU_DEP_3) | instskip(NEXT) | instid1(VALU_DEP_3)
	v_cmp_ne_u16_e64 s4, v22, v19
	v_cmp_gt_u16_e64 s2, v26, v24
	s_delay_alu instid0(VALU_DEP_3) | instskip(SKIP_1) | instid1(VALU_DEP_3)
	v_cmp_eq_u32_e64 s3, 1, v27
	s_wait_alu 0xf1ff
	v_cndmask_b32_e64 v19, 0, 1, s4
	s_and_b32 s2, s2, s3
	s_wait_alu 0xfffe
	s_delay_alu instid0(VALU_DEP_1) | instskip(NEXT) | instid1(VALU_DEP_1)
	v_cndmask_b32_e64 v19, v19, v21, s2
	v_and_b32_e32 v19, 1, v19
	s_delay_alu instid0(VALU_DEP_1)
	v_cmp_eq_u32_e64 s2, 1, v19
	v_lshl_add_u32 v19, v16, 3, v12
	s_and_saveexec_b32 s3, s2
	s_cbranch_execz .LBB77_23
; %bb.22:
	ds_load_b128 v[26:29], v19
	v_lshlrev_b16 v21, 8, v25
	v_lshlrev_b16 v30, 8, v23
	s_delay_alu instid0(VALU_DEP_2) | instskip(NEXT) | instid1(VALU_DEP_2)
	v_or_b32_e32 v21, v24, v21
	v_or_b32_e32 v22, v22, v30
	s_wait_dscnt 0x0
	v_dual_mov_b32 v23, v28 :: v_dual_mov_b32 v24, v29
	v_dual_mov_b32 v25, v26 :: v_dual_mov_b32 v26, v27
	ds_store_b16 v2, v21
	ds_store_b128 v19, v[23:26]
	ds_store_b16 v3, v22
.LBB77_23:
	s_wait_alu 0xfffe
	s_or_b32 exec_lo, exec_lo, s3
	v_and_b32_e32 v21, 7, v6
	s_wait_loadcnt_dscnt 0x0
	s_barrier_signal -1
	s_barrier_wait -1
	global_inv scope:SCOPE_SE
	v_sub_nc_u32_e32 v23, v16, v21
	v_bfe_u32 v29, v6, 3, 1
	s_delay_alu instid0(VALU_DEP_2)
	v_add_nc_u32_e32 v21, v15, v23
	v_add_nc_u32_e32 v22, v13, v23
	v_lshl_add_u32 v23, v23, 3, v12
	ds_load_u8 v25, v21
	ds_load_u8 v26, v22
	ds_load_u8 v28, v22 offset:8
	ds_load_u8 v27, v21 offset:8
	s_wait_dscnt 0x3
	v_and_b32_e32 v24, 1, v25
	s_wait_dscnt 0x1
	v_cmp_gt_u16_e64 s2, v26, v28
	s_wait_dscnt 0x0
	v_cmp_ne_u16_e64 s4, v27, v29
	v_cmp_eq_u32_e64 s3, 1, v24
	s_wait_alu 0xf1ff
	s_delay_alu instid0(VALU_DEP_2) | instskip(SKIP_3) | instid1(VALU_DEP_1)
	v_cndmask_b32_e64 v24, 0, 1, s4
	s_mov_b32 s4, exec_lo
	s_and_b32 s2, s2, s3
	s_wait_alu 0xfffe
	v_cndmask_b32_e64 v29, v24, v29, s2
	v_and_b32_e32 v24, 8, v6
	s_delay_alu instid0(VALU_DEP_2) | instskip(NEXT) | instid1(VALU_DEP_2)
	v_and_b32_e32 v29, 1, v29
	v_cmp_ne_u32_e64 s2, 0, v24
	s_delay_alu instid0(VALU_DEP_2)
	v_cmpx_eq_u32_e32 1, v29
	s_cbranch_execz .LBB77_25
; %bb.24:
	ds_load_2addr_b64 v[29:32], v23 offset1:8
	s_wait_dscnt 0x0
	ds_store_2addr_b64 v23, v[31:32], v[29:30] offset1:8
	ds_store_b8 v22, v28
	ds_store_b8 v22, v26 offset:8
	ds_store_b8 v21, v27
	ds_store_b8 v21, v25 offset:8
.LBB77_25:
	s_or_b32 exec_lo, exec_lo, s4
	s_wait_loadcnt_dscnt 0x0
	s_barrier_signal -1
	s_barrier_wait -1
	global_inv scope:SCOPE_SE
	ds_load_u8 v26, v17
	ds_load_u8 v27, v18
	ds_load_u8 v29, v18 offset:4
	ds_load_u8 v28, v17 offset:4
	v_lshrrev_b32_e32 v24, 3, v24
	v_cndmask_b32_e64 v25, 0, 1, s2
	s_wait_dscnt 0x3
	v_and_b32_e32 v30, 1, v26
	s_wait_dscnt 0x1
	v_cmp_gt_u16_e64 s2, v27, v29
	s_wait_dscnt 0x0
	v_cmp_ne_u16_e64 s4, v28, v24
	v_cmp_eq_u32_e64 s3, 1, v30
	s_wait_alu 0xf1ff
	s_delay_alu instid0(VALU_DEP_2) | instskip(SKIP_3) | instid1(VALU_DEP_1)
	v_cndmask_b32_e64 v30, 0, 1, s4
	s_and_b32 s2, s2, s3
	s_mov_b32 s3, exec_lo
	s_wait_alu 0xfffe
	v_cndmask_b32_e64 v30, v30, v25, s2
	s_delay_alu instid0(VALU_DEP_1) | instskip(NEXT) | instid1(VALU_DEP_1)
	v_and_b32_e32 v30, 1, v30
	v_cmpx_eq_u32_e32 1, v30
	s_cbranch_execz .LBB77_27
; %bb.26:
	ds_load_2addr_b64 v[30:33], v20 offset1:4
	s_wait_dscnt 0x0
	ds_store_2addr_b64 v20, v[32:33], v[30:31] offset1:4
	ds_store_b8 v18, v29
	ds_store_b8 v18, v27 offset:4
	ds_store_b8 v17, v28
	ds_store_b8 v17, v26 offset:4
.LBB77_27:
	s_or_b32 exec_lo, exec_lo, s3
	s_wait_loadcnt_dscnt 0x0
	s_barrier_signal -1
	s_barrier_wait -1
	global_inv scope:SCOPE_SE
	ds_load_u8 v26, v10
	ds_load_u8 v27, v11
	ds_load_u8 v29, v11 offset:2
	ds_load_u8 v28, v10 offset:2
	s_wait_dscnt 0x3
	v_and_b32_e32 v30, 1, v26
	s_wait_dscnt 0x1
	v_cmp_gt_u16_e64 s2, v27, v29
	s_wait_dscnt 0x0
	v_cmp_ne_u16_e64 s4, v28, v24
	v_cmp_eq_u32_e64 s3, 1, v30
	s_wait_alu 0xf1ff
	s_delay_alu instid0(VALU_DEP_2) | instskip(SKIP_3) | instid1(VALU_DEP_1)
	v_cndmask_b32_e64 v30, 0, 1, s4
	s_and_b32 s2, s2, s3
	s_mov_b32 s3, exec_lo
	s_wait_alu 0xfffe
	v_cndmask_b32_e64 v30, v30, v25, s2
	s_delay_alu instid0(VALU_DEP_1) | instskip(NEXT) | instid1(VALU_DEP_1)
	v_and_b32_e32 v30, 1, v30
	v_cmpx_eq_u32_e32 1, v30
	s_cbranch_execz .LBB77_29
; %bb.28:
	ds_load_2addr_b64 v[30:33], v14 offset1:2
	s_wait_dscnt 0x0
	ds_store_2addr_b64 v14, v[32:33], v[30:31] offset1:2
	ds_store_b8 v11, v29
	ds_store_b8 v11, v27 offset:2
	ds_store_b8 v10, v28
	ds_store_b8 v10, v26 offset:2
.LBB77_29:
	s_or_b32 exec_lo, exec_lo, s3
	s_wait_loadcnt_dscnt 0x0
	s_barrier_signal -1
	s_barrier_wait -1
	global_inv scope:SCOPE_SE
	ds_load_u16 v29, v2
	ds_load_u16 v27, v3
	s_wait_dscnt 0x1
	v_and_b32_e32 v30, 0xff, v29
	s_wait_dscnt 0x0
	v_lshrrev_b16 v26, 8, v27
	v_lshrrev_b16 v28, 8, v29
	v_and_b32_e32 v31, 1, v27
	s_delay_alu instid0(VALU_DEP_3) | instskip(NEXT) | instid1(VALU_DEP_3)
	v_cmp_ne_u16_e64 s4, v26, v24
	v_cmp_gt_u16_e64 s2, v30, v28
	s_delay_alu instid0(VALU_DEP_3) | instskip(SKIP_1) | instid1(VALU_DEP_3)
	v_cmp_eq_u32_e64 s3, 1, v31
	s_wait_alu 0xf1ff
	v_cndmask_b32_e64 v24, 0, 1, s4
	s_and_b32 s2, s2, s3
	s_mov_b32 s3, exec_lo
	s_wait_alu 0xfffe
	s_delay_alu instid0(VALU_DEP_1) | instskip(NEXT) | instid1(VALU_DEP_1)
	v_cndmask_b32_e64 v24, v24, v25, s2
	v_and_b32_e32 v24, 1, v24
	s_delay_alu instid0(VALU_DEP_1)
	v_cmpx_eq_u32_e32 1, v24
	s_cbranch_execz .LBB77_31
; %bb.30:
	ds_load_b128 v[30:33], v19
	v_lshlrev_b16 v24, 8, v29
	v_lshlrev_b16 v25, 8, v27
	s_delay_alu instid0(VALU_DEP_2) | instskip(NEXT) | instid1(VALU_DEP_2)
	v_or_b32_e32 v24, v28, v24
	v_or_b32_e32 v25, v26, v25
	s_wait_dscnt 0x0
	v_dual_mov_b32 v27, v32 :: v_dual_mov_b32 v28, v33
	v_dual_mov_b32 v29, v30 :: v_dual_mov_b32 v30, v31
	ds_store_b16 v2, v24
	ds_store_b128 v19, v[27:30]
	ds_store_b16 v3, v25
.LBB77_31:
	s_or_b32 exec_lo, exec_lo, s3
	v_and_b32_e32 v24, 15, v6
	s_wait_loadcnt_dscnt 0x0
	s_barrier_signal -1
	s_barrier_wait -1
	global_inv scope:SCOPE_SE
	v_sub_nc_u32_e32 v16, v16, v24
	s_delay_alu instid0(VALU_DEP_1)
	v_add_nc_u32_e32 v15, v15, v16
	v_add_nc_u32_e32 v13, v13, v16
	ds_load_u8 v24, v15
	ds_load_u8 v27, v15 offset:16
	ds_load_u8 v25, v13
	ds_load_u8 v26, v13 offset:16
	s_wait_dscnt 0x2
	v_and_b32_e32 v27, 0xff, v27
	v_and_b32_e32 v28, 1, v24
	s_wait_dscnt 0x0
	v_cmp_le_u16_e64 s3, v25, v26
	s_delay_alu instid0(VALU_DEP_3) | instskip(NEXT) | instid1(VALU_DEP_3)
	v_cmp_ne_u16_e64 s4, 0, v27
	v_cmp_eq_u32_e64 s2, 1, v28
	s_xor_b32 s2, s2, -1
	s_wait_alu 0xfffe
	s_or_b32 s2, s3, s2
	s_wait_alu 0xfffe
	s_and_b32 s3, s2, s4
	s_wait_alu 0xfffe
	s_and_saveexec_b32 s2, s3
	s_cbranch_execz .LBB77_33
; %bb.32:
	v_lshl_add_u32 v12, v16, 3, v12
	v_mov_b32_e32 v16, 1
	ds_load_2addr_b64 v[27:30], v12 offset1:16
	s_wait_dscnt 0x0
	ds_store_2addr_b64 v12, v[29:30], v[27:28] offset1:16
	ds_store_b8 v13, v26
	ds_store_b8 v13, v25 offset:16
	ds_store_b8 v15, v16
	ds_store_b8 v15, v24 offset:16
.LBB77_33:
	s_wait_alu 0xfffe
	s_or_b32 exec_lo, exec_lo, s2
	s_wait_loadcnt_dscnt 0x0
	s_barrier_signal -1
	s_barrier_wait -1
	global_inv scope:SCOPE_SE
	ds_load_u8 v12, v21
	ds_load_u8 v16, v21 offset:8
	ds_load_u8 v13, v22
	ds_load_u8 v15, v22 offset:8
	s_wait_dscnt 0x3
	v_and_b32_e32 v24, 1, v12
	s_wait_dscnt 0x2
	v_and_b32_e32 v16, 0xff, v16
	s_wait_dscnt 0x0
	v_cmp_le_u16_e64 s3, v13, v15
	v_cmp_eq_u32_e64 s2, 1, v24
	s_delay_alu instid0(VALU_DEP_3)
	v_cmp_ne_u16_e64 s4, 0, v16
	s_xor_b32 s2, s2, -1
	s_wait_alu 0xfffe
	s_or_b32 s2, s3, s2
	s_wait_alu 0xfffe
	s_and_b32 s3, s2, s4
	s_wait_alu 0xfffe
	s_and_saveexec_b32 s2, s3
	s_cbranch_execz .LBB77_35
; %bb.34:
	ds_load_2addr_b64 v[24:27], v23 offset1:8
	v_mov_b32_e32 v16, 1
	s_wait_dscnt 0x0
	ds_store_2addr_b64 v23, v[26:27], v[24:25] offset1:8
	ds_store_b8 v22, v15
	ds_store_b8 v22, v13 offset:8
	ds_store_b8 v21, v16
	ds_store_b8 v21, v12 offset:8
.LBB77_35:
	s_wait_alu 0xfffe
	s_or_b32 exec_lo, exec_lo, s2
	s_wait_loadcnt_dscnt 0x0
	s_barrier_signal -1
	s_barrier_wait -1
	global_inv scope:SCOPE_SE
	ds_load_u8 v12, v17
	ds_load_u8 v16, v17 offset:4
	ds_load_u8 v13, v18
	ds_load_u8 v15, v18 offset:4
	s_wait_dscnt 0x3
	v_and_b32_e32 v21, 1, v12
	s_wait_dscnt 0x2
	v_and_b32_e32 v16, 0xff, v16
	s_wait_dscnt 0x0
	v_cmp_le_u16_e64 s3, v13, v15
	v_cmp_eq_u32_e64 s2, 1, v21
	s_delay_alu instid0(VALU_DEP_3)
	v_cmp_ne_u16_e64 s4, 0, v16
	s_xor_b32 s2, s2, -1
	s_wait_alu 0xfffe
	s_or_b32 s2, s3, s2
	s_wait_alu 0xfffe
	s_and_b32 s3, s2, s4
	s_wait_alu 0xfffe
	s_and_saveexec_b32 s2, s3
	s_cbranch_execz .LBB77_37
; %bb.36:
	ds_load_2addr_b64 v[21:24], v20 offset1:4
	v_mov_b32_e32 v16, 1
	s_wait_dscnt 0x0
	ds_store_2addr_b64 v20, v[23:24], v[21:22] offset1:4
	ds_store_b8 v18, v15
	ds_store_b8 v18, v13 offset:4
	ds_store_b8 v17, v16
	ds_store_b8 v17, v12 offset:4
.LBB77_37:
	;; [unrolled: 37-line block ×3, first 2 shown]
	s_wait_alu 0xfffe
	s_or_b32 exec_lo, exec_lo, s2
	s_wait_loadcnt_dscnt 0x0
	s_barrier_signal -1
	s_barrier_wait -1
	global_inv scope:SCOPE_SE
	ds_load_u16 v10, v3
	ds_load_u16 v12, v2
	s_wait_dscnt 0x1
	v_and_b32_e32 v13, 1, v10
	s_wait_dscnt 0x0
	v_and_b32_e32 v14, 0xff, v12
	v_lshrrev_b16 v11, 8, v12
	v_lshrrev_b16 v15, 8, v10
	v_cmp_eq_u32_e64 s2, 1, v13
	s_delay_alu instid0(VALU_DEP_3) | instskip(NEXT) | instid1(VALU_DEP_3)
	v_cmp_le_u16_e64 s3, v14, v11
	v_cmp_ne_u16_e64 s4, 0, v15
	s_xor_b32 s2, s2, -1
	s_wait_alu 0xfffe
	s_or_b32 s2, s3, s2
	s_wait_alu 0xfffe
	s_and_b32 s3, s2, s4
	s_wait_alu 0xfffe
	s_and_saveexec_b32 s2, s3
	s_cbranch_execz .LBB77_41
; %bb.40:
	ds_load_b128 v[13:16], v19
	v_lshlrev_b16 v12, 8, v12
	v_lshlrev_b16 v17, 8, v10
	s_delay_alu instid0(VALU_DEP_2)
	v_or_b32_e32 v18, v11, v12
	s_wait_dscnt 0x0
	v_dual_mov_b32 v10, v15 :: v_dual_mov_b32 v11, v16
	v_dual_mov_b32 v12, v13 :: v_dual_mov_b32 v13, v14
	v_or_b32_e32 v14, 1, v17
	ds_store_b16 v2, v18
	ds_store_b128 v19, v[10:13]
	ds_store_b16 v3, v14
.LBB77_41:
	s_wait_alu 0xfffe
	s_or_b32 exec_lo, exec_lo, s2
	s_wait_loadcnt_dscnt 0x0
	s_barrier_signal -1
	s_barrier_wait -1
	global_inv scope:SCOPE_SE
	s_and_saveexec_b32 s2, s0
	s_cbranch_execz .LBB77_46
; %bb.42:
	s_and_saveexec_b32 s0, vcc_lo
	s_cbranch_execz .LBB77_44
; %bb.43:
	v_mad_co_u64_u32 v[2:3], null, v6, s7, v[1:2]
	ds_load_u8 v12, v9
	ds_load_b64 v[8:9], v8
	v_mov_b32_e32 v3, 0
	v_mad_co_u64_u32 v[10:11], null, v6, s6, v[0:1]
	s_delay_alu instid0(VALU_DEP_2) | instskip(NEXT) | instid1(VALU_DEP_1)
	v_lshlrev_b64_e32 v[2:3], 3, v[2:3]
	v_add_co_u32 v2, vcc_lo, s10, v2
	s_wait_alu 0xfffd
	s_delay_alu instid0(VALU_DEP_2)
	v_add_co_ci_u32_e64 v3, null, s11, v3, vcc_lo
	s_wait_dscnt 0x1
	global_store_b8 v10, v12, s[8:9]
	s_wait_dscnt 0x0
	global_store_b64 v[2:3], v[8:9], off
.LBB77_44:
	s_wait_alu 0xfffe
	s_or_b32 exec_lo, exec_lo, s0
	s_delay_alu instid0(SALU_CYCLE_1)
	s_and_b32 exec_lo, exec_lo, s1
	s_cbranch_execz .LBB77_46
; %bb.45:
	v_mad_co_u64_u32 v[1:2], null, v7, s7, v[1:2]
	ds_load_u8 v8, v4
	ds_load_b64 v[3:4], v5
	v_mov_b32_e32 v2, 0
	s_delay_alu instid0(VALU_DEP_1) | instskip(NEXT) | instid1(VALU_DEP_1)
	v_lshlrev_b64_e32 v[1:2], 3, v[1:2]
	v_mad_co_u64_u32 v[5:6], null, v7, s6, v[0:1]
	v_add_co_u32 v0, vcc_lo, s10, v1
	s_wait_alu 0xfffd
	s_delay_alu instid0(VALU_DEP_3)
	v_add_co_ci_u32_e64 v1, null, s11, v2, vcc_lo
	s_wait_dscnt 0x1
	global_store_b8 v5, v8, s[8:9]
	s_wait_dscnt 0x0
	global_store_b64 v[0:1], v[3:4], off
.LBB77_46:
	s_endpgm
	.section	.rodata,"a",@progbits
	.p2align	6, 0x0
	.amdhsa_kernel _ZN2at6native20bitonicSortKVInPlaceILin1ELin1ELi16ELi16EblNS0_4GTOpIbLb1EEEjEEvNS_4cuda6detail10TensorInfoIT3_T6_EES8_S8_S8_NS6_IT4_S8_EES8_T5_
		.amdhsa_group_segment_fixed_size 5120
		.amdhsa_private_segment_fixed_size 0
		.amdhsa_kernarg_size 712
		.amdhsa_user_sgpr_count 2
		.amdhsa_user_sgpr_dispatch_ptr 0
		.amdhsa_user_sgpr_queue_ptr 0
		.amdhsa_user_sgpr_kernarg_segment_ptr 1
		.amdhsa_user_sgpr_dispatch_id 0
		.amdhsa_user_sgpr_private_segment_size 0
		.amdhsa_wavefront_size32 1
		.amdhsa_uses_dynamic_stack 0
		.amdhsa_enable_private_segment 0
		.amdhsa_system_sgpr_workgroup_id_x 1
		.amdhsa_system_sgpr_workgroup_id_y 1
		.amdhsa_system_sgpr_workgroup_id_z 1
		.amdhsa_system_sgpr_workgroup_info 0
		.amdhsa_system_vgpr_workitem_id 1
		.amdhsa_next_free_vgpr 34
		.amdhsa_next_free_sgpr 14
		.amdhsa_reserve_vcc 1
		.amdhsa_float_round_mode_32 0
		.amdhsa_float_round_mode_16_64 0
		.amdhsa_float_denorm_mode_32 3
		.amdhsa_float_denorm_mode_16_64 3
		.amdhsa_fp16_overflow 0
		.amdhsa_workgroup_processor_mode 1
		.amdhsa_memory_ordered 1
		.amdhsa_forward_progress 1
		.amdhsa_inst_pref_size 39
		.amdhsa_round_robin_scheduling 0
		.amdhsa_exception_fp_ieee_invalid_op 0
		.amdhsa_exception_fp_denorm_src 0
		.amdhsa_exception_fp_ieee_div_zero 0
		.amdhsa_exception_fp_ieee_overflow 0
		.amdhsa_exception_fp_ieee_underflow 0
		.amdhsa_exception_fp_ieee_inexact 0
		.amdhsa_exception_int_div_zero 0
	.end_amdhsa_kernel
	.section	.text._ZN2at6native20bitonicSortKVInPlaceILin1ELin1ELi16ELi16EblNS0_4GTOpIbLb1EEEjEEvNS_4cuda6detail10TensorInfoIT3_T6_EES8_S8_S8_NS6_IT4_S8_EES8_T5_,"axG",@progbits,_ZN2at6native20bitonicSortKVInPlaceILin1ELin1ELi16ELi16EblNS0_4GTOpIbLb1EEEjEEvNS_4cuda6detail10TensorInfoIT3_T6_EES8_S8_S8_NS6_IT4_S8_EES8_T5_,comdat
.Lfunc_end77:
	.size	_ZN2at6native20bitonicSortKVInPlaceILin1ELin1ELi16ELi16EblNS0_4GTOpIbLb1EEEjEEvNS_4cuda6detail10TensorInfoIT3_T6_EES8_S8_S8_NS6_IT4_S8_EES8_T5_, .Lfunc_end77-_ZN2at6native20bitonicSortKVInPlaceILin1ELin1ELi16ELi16EblNS0_4GTOpIbLb1EEEjEEvNS_4cuda6detail10TensorInfoIT3_T6_EES8_S8_S8_NS6_IT4_S8_EES8_T5_
                                        ; -- End function
	.set _ZN2at6native20bitonicSortKVInPlaceILin1ELin1ELi16ELi16EblNS0_4GTOpIbLb1EEEjEEvNS_4cuda6detail10TensorInfoIT3_T6_EES8_S8_S8_NS6_IT4_S8_EES8_T5_.num_vgpr, 34
	.set _ZN2at6native20bitonicSortKVInPlaceILin1ELin1ELi16ELi16EblNS0_4GTOpIbLb1EEEjEEvNS_4cuda6detail10TensorInfoIT3_T6_EES8_S8_S8_NS6_IT4_S8_EES8_T5_.num_agpr, 0
	.set _ZN2at6native20bitonicSortKVInPlaceILin1ELin1ELi16ELi16EblNS0_4GTOpIbLb1EEEjEEvNS_4cuda6detail10TensorInfoIT3_T6_EES8_S8_S8_NS6_IT4_S8_EES8_T5_.numbered_sgpr, 14
	.set _ZN2at6native20bitonicSortKVInPlaceILin1ELin1ELi16ELi16EblNS0_4GTOpIbLb1EEEjEEvNS_4cuda6detail10TensorInfoIT3_T6_EES8_S8_S8_NS6_IT4_S8_EES8_T5_.num_named_barrier, 0
	.set _ZN2at6native20bitonicSortKVInPlaceILin1ELin1ELi16ELi16EblNS0_4GTOpIbLb1EEEjEEvNS_4cuda6detail10TensorInfoIT3_T6_EES8_S8_S8_NS6_IT4_S8_EES8_T5_.private_seg_size, 0
	.set _ZN2at6native20bitonicSortKVInPlaceILin1ELin1ELi16ELi16EblNS0_4GTOpIbLb1EEEjEEvNS_4cuda6detail10TensorInfoIT3_T6_EES8_S8_S8_NS6_IT4_S8_EES8_T5_.uses_vcc, 1
	.set _ZN2at6native20bitonicSortKVInPlaceILin1ELin1ELi16ELi16EblNS0_4GTOpIbLb1EEEjEEvNS_4cuda6detail10TensorInfoIT3_T6_EES8_S8_S8_NS6_IT4_S8_EES8_T5_.uses_flat_scratch, 0
	.set _ZN2at6native20bitonicSortKVInPlaceILin1ELin1ELi16ELi16EblNS0_4GTOpIbLb1EEEjEEvNS_4cuda6detail10TensorInfoIT3_T6_EES8_S8_S8_NS6_IT4_S8_EES8_T5_.has_dyn_sized_stack, 0
	.set _ZN2at6native20bitonicSortKVInPlaceILin1ELin1ELi16ELi16EblNS0_4GTOpIbLb1EEEjEEvNS_4cuda6detail10TensorInfoIT3_T6_EES8_S8_S8_NS6_IT4_S8_EES8_T5_.has_recursion, 0
	.set _ZN2at6native20bitonicSortKVInPlaceILin1ELin1ELi16ELi16EblNS0_4GTOpIbLb1EEEjEEvNS_4cuda6detail10TensorInfoIT3_T6_EES8_S8_S8_NS6_IT4_S8_EES8_T5_.has_indirect_call, 0
	.section	.AMDGPU.csdata,"",@progbits
; Kernel info:
; codeLenInByte = 4932
; TotalNumSgprs: 16
; NumVgprs: 34
; ScratchSize: 0
; MemoryBound: 0
; FloatMode: 240
; IeeeMode: 1
; LDSByteSize: 5120 bytes/workgroup (compile time only)
; SGPRBlocks: 0
; VGPRBlocks: 4
; NumSGPRsForWavesPerEU: 16
; NumVGPRsForWavesPerEU: 34
; Occupancy: 16
; WaveLimiterHint : 1
; COMPUTE_PGM_RSRC2:SCRATCH_EN: 0
; COMPUTE_PGM_RSRC2:USER_SGPR: 2
; COMPUTE_PGM_RSRC2:TRAP_HANDLER: 0
; COMPUTE_PGM_RSRC2:TGID_X_EN: 1
; COMPUTE_PGM_RSRC2:TGID_Y_EN: 1
; COMPUTE_PGM_RSRC2:TGID_Z_EN: 1
; COMPUTE_PGM_RSRC2:TIDIG_COMP_CNT: 1
	.section	.text._ZN2at6native20bitonicSortKVInPlaceILin1ELin1ELi16ELi16EblNS0_4LTOpIbLb1EEEmEEvNS_4cuda6detail10TensorInfoIT3_T6_EES8_S8_S8_NS6_IT4_S8_EES8_T5_,"axG",@progbits,_ZN2at6native20bitonicSortKVInPlaceILin1ELin1ELi16ELi16EblNS0_4LTOpIbLb1EEEmEEvNS_4cuda6detail10TensorInfoIT3_T6_EES8_S8_S8_NS6_IT4_S8_EES8_T5_,comdat
	.protected	_ZN2at6native20bitonicSortKVInPlaceILin1ELin1ELi16ELi16EblNS0_4LTOpIbLb1EEEmEEvNS_4cuda6detail10TensorInfoIT3_T6_EES8_S8_S8_NS6_IT4_S8_EES8_T5_ ; -- Begin function _ZN2at6native20bitonicSortKVInPlaceILin1ELin1ELi16ELi16EblNS0_4LTOpIbLb1EEEmEEvNS_4cuda6detail10TensorInfoIT3_T6_EES8_S8_S8_NS6_IT4_S8_EES8_T5_
	.globl	_ZN2at6native20bitonicSortKVInPlaceILin1ELin1ELi16ELi16EblNS0_4LTOpIbLb1EEEmEEvNS_4cuda6detail10TensorInfoIT3_T6_EES8_S8_S8_NS6_IT4_S8_EES8_T5_
	.p2align	8
	.type	_ZN2at6native20bitonicSortKVInPlaceILin1ELin1ELi16ELi16EblNS0_4LTOpIbLb1EEEmEEvNS_4cuda6detail10TensorInfoIT3_T6_EES8_S8_S8_NS6_IT4_S8_EES8_T5_,@function
_ZN2at6native20bitonicSortKVInPlaceILin1ELin1ELi16ELi16EblNS0_4LTOpIbLb1EEEmEEvNS_4cuda6detail10TensorInfoIT3_T6_EES8_S8_S8_NS6_IT4_S8_EES8_T5_: ; @_ZN2at6native20bitonicSortKVInPlaceILin1ELin1ELi16ELi16EblNS0_4LTOpIbLb1EEEmEEvNS_4cuda6detail10TensorInfoIT3_T6_EES8_S8_S8_NS6_IT4_S8_EES8_T5_
; %bb.0:
	v_mov_b32_e32 v1, 0
	s_lshr_b32 s8, ttmp7, 16
	s_and_b32 s9, ttmp7, 0xffff
	global_load_u16 v1, v1, s[0:1] offset:886
	s_clause 0x1
	s_load_b64 s[2:3], s[0:1], 0x368
	s_load_b128 s[4:7], s[0:1], 0x1a0
	s_wait_kmcnt 0x0
	s_mul_i32 s3, s3, s8
	s_delay_alu instid0(SALU_CYCLE_1) | instskip(NEXT) | instid1(SALU_CYCLE_1)
	s_add_co_i32 s3, s3, s9
	s_mul_i32 s2, s3, s2
	s_delay_alu instid0(SALU_CYCLE_1) | instskip(SKIP_2) | instid1(VALU_DEP_1)
	s_add_co_i32 s2, s2, ttmp9
	s_wait_loadcnt 0x0
	v_and_b32_e32 v1, 0xffff, v1
	v_mul_hi_u32 v2, v1, s2
	v_mul_lo_u32 v1, v1, s2
	s_delay_alu instid0(VALU_DEP_1)
	v_cmp_le_u64_e32 vcc_lo, s[4:5], v[1:2]
	s_cbranch_vccnz .LBB78_56
; %bb.1:
	s_clause 0x1
	s_load_b32 s10, s[0:1], 0x198
	s_load_b64 s[8:9], s[0:1], 0x1b0
	v_bfe_u32 v16, v0, 10, 10
	s_delay_alu instid0(VALU_DEP_1) | instskip(NEXT) | instid1(VALU_DEP_1)
	v_add_co_u32 v4, vcc_lo, v1, v16
	v_add_co_ci_u32_e64 v5, null, 0, v2, vcc_lo
	v_mov_b32_e32 v2, 0
	v_mov_b32_e32 v3, 0
	s_delay_alu instid0(VALU_DEP_3)
	v_dual_mov_b32 v7, v5 :: v_dual_mov_b32 v6, v4
	s_wait_kmcnt 0x0
	s_cmp_lt_i32 s10, 2
	s_cbranch_scc1 .LBB78_9
; %bb.2:
	s_add_co_i32 s2, s10, -1
	s_mov_b32 s3, 0
	v_dual_mov_b32 v2, 0 :: v_dual_mov_b32 v11, v5
	s_wait_alu 0xfffe
	s_lshl_b64 s[12:13], s[2:3], 3
	v_dual_mov_b32 v3, 0 :: v_dual_mov_b32 v8, 0
	v_mov_b32_e32 v10, v4
	s_add_nc_u64 s[12:13], s[0:1], s[12:13]
	s_add_co_i32 s14, s10, 1
	s_add_nc_u64 s[10:11], s[12:13], 8
.LBB78_3:                               ; =>This Inner Loop Header: Depth=1
	s_load_b64 s[12:13], s[10:11], 0x0
                                        ; implicit-def: $vgpr6_vgpr7
	s_mov_b32 s2, exec_lo
	s_wait_kmcnt 0x0
	v_or_b32_e32 v9, s13, v11
	s_delay_alu instid0(VALU_DEP_1)
	v_cmpx_ne_u64_e32 0, v[8:9]
	s_wait_alu 0xfffe
	s_xor_b32 s15, exec_lo, s2
	s_cbranch_execz .LBB78_5
; %bb.4:                                ;   in Loop: Header=BB78_3 Depth=1
	s_cvt_f32_u32 s2, s12
	s_cvt_f32_u32 s16, s13
	s_sub_nc_u64 s[18:19], 0, s[12:13]
	s_wait_alu 0xfffe
	s_delay_alu instid0(SALU_CYCLE_1) | instskip(SKIP_1) | instid1(SALU_CYCLE_2)
	s_fmamk_f32 s2, s16, 0x4f800000, s2
	s_wait_alu 0xfffe
	v_s_rcp_f32 s2, s2
	s_delay_alu instid0(TRANS32_DEP_1) | instskip(SKIP_1) | instid1(SALU_CYCLE_2)
	s_mul_f32 s2, s2, 0x5f7ffffc
	s_wait_alu 0xfffe
	s_mul_f32 s16, s2, 0x2f800000
	s_wait_alu 0xfffe
	s_delay_alu instid0(SALU_CYCLE_2) | instskip(SKIP_1) | instid1(SALU_CYCLE_2)
	s_trunc_f32 s16, s16
	s_wait_alu 0xfffe
	s_fmamk_f32 s2, s16, 0xcf800000, s2
	s_cvt_u32_f32 s17, s16
	s_wait_alu 0xfffe
	s_delay_alu instid0(SALU_CYCLE_1) | instskip(SKIP_1) | instid1(SALU_CYCLE_2)
	s_cvt_u32_f32 s16, s2
	s_wait_alu 0xfffe
	s_mul_u64 s[20:21], s[18:19], s[16:17]
	s_delay_alu instid0(SALU_CYCLE_1)
	s_mul_hi_u32 s23, s16, s21
	s_mul_i32 s22, s16, s21
	s_mul_hi_u32 s2, s16, s20
	s_mul_i32 s25, s17, s20
	s_wait_alu 0xfffe
	s_add_nc_u64 s[22:23], s[2:3], s[22:23]
	s_mul_hi_u32 s24, s17, s20
	s_mul_hi_u32 s26, s17, s21
	s_add_co_u32 s2, s22, s25
	s_add_co_ci_u32 s2, s23, s24
	s_mul_i32 s20, s17, s21
	s_add_co_ci_u32 s21, s26, 0
	s_wait_alu 0xfffe
	s_add_nc_u64 s[20:21], s[2:3], s[20:21]
	s_delay_alu instid0(SALU_CYCLE_1)
	s_add_co_u32 s16, s16, s20
	s_cselect_b32 s2, -1, 0
	s_wait_alu 0xfffe
	s_cmp_lg_u32 s2, 0
	s_add_co_ci_u32 s17, s17, s21
	s_wait_alu 0xfffe
	s_mul_u64 s[18:19], s[18:19], s[16:17]
	s_delay_alu instid0(SALU_CYCLE_1)
	s_mul_hi_u32 s21, s16, s19
	s_mul_i32 s20, s16, s19
	s_mul_hi_u32 s2, s16, s18
	s_mul_i32 s23, s17, s18
	s_wait_alu 0xfffe
	s_add_nc_u64 s[20:21], s[2:3], s[20:21]
	s_mul_hi_u32 s22, s17, s18
	s_mul_hi_u32 s24, s17, s19
	s_add_co_u32 s2, s20, s23
	s_add_co_ci_u32 s2, s21, s22
	s_mul_i32 s18, s17, s19
	s_add_co_ci_u32 s19, s24, 0
	s_wait_alu 0xfffe
	s_add_nc_u64 s[18:19], s[2:3], s[18:19]
	s_delay_alu instid0(SALU_CYCLE_1)
	s_add_co_u32 s2, s16, s18
	s_cselect_b32 s16, -1, 0
	s_wait_alu 0xfffe
	v_mul_hi_u32 v1, v10, s2
	s_cmp_lg_u32 s16, 0
	v_mad_co_u64_u32 v[12:13], null, v11, s2, 0
	s_add_co_ci_u32 s16, s17, s19
	s_wait_alu 0xfffe
	v_mad_co_u64_u32 v[6:7], null, v10, s16, 0
	v_mad_co_u64_u32 v[14:15], null, v11, s16, 0
	s_delay_alu instid0(VALU_DEP_2) | instskip(SKIP_1) | instid1(VALU_DEP_3)
	v_add_co_u32 v1, vcc_lo, v1, v6
	s_wait_alu 0xfffd
	v_add_co_ci_u32_e64 v6, null, 0, v7, vcc_lo
	s_delay_alu instid0(VALU_DEP_2) | instskip(SKIP_1) | instid1(VALU_DEP_2)
	v_add_co_u32 v1, vcc_lo, v1, v12
	s_wait_alu 0xfffd
	v_add_co_ci_u32_e32 v1, vcc_lo, v6, v13, vcc_lo
	s_wait_alu 0xfffd
	v_add_co_ci_u32_e32 v6, vcc_lo, 0, v15, vcc_lo
	s_delay_alu instid0(VALU_DEP_2) | instskip(SKIP_1) | instid1(VALU_DEP_2)
	v_add_co_u32 v1, vcc_lo, v1, v14
	s_wait_alu 0xfffd
	v_add_co_ci_u32_e64 v9, null, 0, v6, vcc_lo
	s_delay_alu instid0(VALU_DEP_2) | instskip(SKIP_1) | instid1(VALU_DEP_3)
	v_mul_lo_u32 v12, s13, v1
	v_mad_co_u64_u32 v[6:7], null, s12, v1, 0
	v_mul_lo_u32 v13, s12, v9
	s_delay_alu instid0(VALU_DEP_2) | instskip(NEXT) | instid1(VALU_DEP_2)
	v_sub_co_u32 v6, vcc_lo, v10, v6
	v_add3_u32 v7, v7, v13, v12
	v_add_co_u32 v13, s2, v1, 2
	s_wait_alu 0xf1ff
	v_add_co_ci_u32_e64 v14, null, 0, v9, s2
	s_delay_alu instid0(VALU_DEP_3) | instskip(SKIP_3) | instid1(VALU_DEP_3)
	v_sub_nc_u32_e32 v12, v11, v7
	v_sub_co_u32 v15, s2, v6, s12
	s_wait_alu 0xfffd
	v_sub_co_ci_u32_e64 v7, null, v11, v7, vcc_lo
	v_subrev_co_ci_u32_e64 v12, null, s13, v12, vcc_lo
	s_delay_alu instid0(VALU_DEP_3) | instskip(SKIP_1) | instid1(VALU_DEP_2)
	v_cmp_le_u32_e32 vcc_lo, s12, v15
	s_wait_alu 0xf1ff
	v_subrev_co_ci_u32_e64 v12, null, 0, v12, s2
	s_wait_alu 0xfffd
	v_cndmask_b32_e64 v15, 0, -1, vcc_lo
	v_cmp_eq_u32_e64 s2, s13, v7
	s_delay_alu instid0(VALU_DEP_3)
	v_cmp_le_u32_e32 vcc_lo, s13, v12
	s_wait_alu 0xfffd
	v_cndmask_b32_e64 v17, 0, -1, vcc_lo
	v_cmp_le_u32_e32 vcc_lo, s12, v6
	s_wait_alu 0xfffd
	v_cndmask_b32_e64 v6, 0, -1, vcc_lo
	;; [unrolled: 3-line block ×3, first 2 shown]
	v_cmp_eq_u32_e32 vcc_lo, s13, v12
	s_wait_alu 0xf1ff
	s_delay_alu instid0(VALU_DEP_2)
	v_cndmask_b32_e64 v6, v18, v6, s2
	s_wait_alu 0xfffd
	v_cndmask_b32_e32 v12, v17, v15, vcc_lo
	v_add_co_u32 v15, vcc_lo, v1, 1
	s_wait_alu 0xfffd
	v_add_co_ci_u32_e64 v17, null, 0, v9, vcc_lo
	s_delay_alu instid0(VALU_DEP_3) | instskip(SKIP_1) | instid1(VALU_DEP_2)
	v_cmp_ne_u32_e32 vcc_lo, 0, v12
	s_wait_alu 0xfffd
	v_dual_cndmask_b32 v7, v17, v14 :: v_dual_cndmask_b32 v12, v15, v13
	v_cmp_ne_u32_e32 vcc_lo, 0, v6
	s_wait_alu 0xfffd
	s_delay_alu instid0(VALU_DEP_2) | instskip(NEXT) | instid1(VALU_DEP_3)
	v_cndmask_b32_e32 v7, v9, v7, vcc_lo
	v_cndmask_b32_e32 v6, v1, v12, vcc_lo
.LBB78_5:                               ;   in Loop: Header=BB78_3 Depth=1
	s_wait_alu 0xfffe
	s_and_not1_saveexec_b32 s2, s15
	s_cbranch_execz .LBB78_7
; %bb.6:                                ;   in Loop: Header=BB78_3 Depth=1
	v_cvt_f32_u32_e32 v1, s12
	s_sub_co_i32 s15, 0, s12
	s_delay_alu instid0(VALU_DEP_1) | instskip(NEXT) | instid1(TRANS32_DEP_1)
	v_rcp_iflag_f32_e32 v1, v1
	v_mul_f32_e32 v1, 0x4f7ffffe, v1
	s_delay_alu instid0(VALU_DEP_1) | instskip(SKIP_1) | instid1(VALU_DEP_1)
	v_cvt_u32_f32_e32 v1, v1
	s_wait_alu 0xfffe
	v_mul_lo_u32 v6, s15, v1
	s_delay_alu instid0(VALU_DEP_1) | instskip(NEXT) | instid1(VALU_DEP_1)
	v_mul_hi_u32 v6, v1, v6
	v_add_nc_u32_e32 v1, v1, v6
	s_delay_alu instid0(VALU_DEP_1) | instskip(NEXT) | instid1(VALU_DEP_1)
	v_mul_hi_u32 v1, v10, v1
	v_mul_lo_u32 v6, v1, s12
	v_add_nc_u32_e32 v7, 1, v1
	s_delay_alu instid0(VALU_DEP_2) | instskip(NEXT) | instid1(VALU_DEP_1)
	v_sub_nc_u32_e32 v6, v10, v6
	v_subrev_nc_u32_e32 v9, s12, v6
	v_cmp_le_u32_e32 vcc_lo, s12, v6
	s_wait_alu 0xfffd
	s_delay_alu instid0(VALU_DEP_2) | instskip(NEXT) | instid1(VALU_DEP_1)
	v_dual_cndmask_b32 v6, v6, v9 :: v_dual_cndmask_b32 v1, v1, v7
	v_cmp_le_u32_e32 vcc_lo, s12, v6
	s_delay_alu instid0(VALU_DEP_2) | instskip(SKIP_1) | instid1(VALU_DEP_1)
	v_add_nc_u32_e32 v7, 1, v1
	s_wait_alu 0xfffd
	v_dual_cndmask_b32 v6, v1, v7 :: v_dual_mov_b32 v7, v8
.LBB78_7:                               ;   in Loop: Header=BB78_3 Depth=1
	s_wait_alu 0xfffe
	s_or_b32 exec_lo, exec_lo, s2
	s_load_b64 s[16:17], s[10:11], 0xc8
	s_delay_alu instid0(VALU_DEP_1)
	v_mul_lo_u32 v1, v7, s12
	v_mul_lo_u32 v9, v6, s13
	v_mad_co_u64_u32 v[12:13], null, v6, s12, 0
	s_add_co_i32 s14, s14, -1
	s_add_nc_u64 s[10:11], s[10:11], -8
	s_wait_alu 0xfffe
	s_cmp_gt_u32 s14, 2
	v_add3_u32 v1, v13, v9, v1
	v_sub_co_u32 v9, vcc_lo, v10, v12
	s_wait_alu 0xfffd
	s_delay_alu instid0(VALU_DEP_2) | instskip(SKIP_1) | instid1(VALU_DEP_2)
	v_sub_co_ci_u32_e64 v1, null, v11, v1, vcc_lo
	s_wait_kmcnt 0x0
	v_mul_lo_u32 v10, s17, v9
	s_delay_alu instid0(VALU_DEP_2) | instskip(SKIP_1) | instid1(VALU_DEP_1)
	v_mul_lo_u32 v1, s16, v1
	v_mad_co_u64_u32 v[2:3], null, s16, v9, v[2:3]
	v_add3_u32 v3, v10, v3, v1
	s_cbranch_scc0 .LBB78_9
; %bb.8:                                ;   in Loop: Header=BB78_3 Depth=1
	v_dual_mov_b32 v11, v7 :: v_dual_mov_b32 v10, v6
	s_branch .LBB78_3
.LBB78_9:
	s_clause 0x1
	s_load_b32 s10, s[0:1], 0x350
	s_load_b64 s[12:13], s[0:1], 0xd0
	v_dual_mov_b32 v8, 0 :: v_dual_mov_b32 v15, v5
	v_dual_mov_b32 v9, 0 :: v_dual_mov_b32 v14, v4
	s_add_nc_u64 s[14:15], s[0:1], 0x368
	s_wait_kmcnt 0x0
	s_cmp_lt_i32 s10, 2
	s_cbranch_scc1 .LBB78_17
; %bb.10:
	s_add_co_i32 s2, s10, -1
	s_mov_b32 s3, 0
	v_dual_mov_b32 v8, 0 :: v_dual_mov_b32 v13, v5
	s_wait_alu 0xfffe
	s_lshl_b64 s[16:17], s[2:3], 3
	v_dual_mov_b32 v9, 0 :: v_dual_mov_b32 v10, 0
	v_mov_b32_e32 v12, v4
	s_wait_alu 0xfffe
	s_add_nc_u64 s[16:17], s[0:1], s[16:17]
	s_add_co_i32 s18, s10, 1
	s_wait_alu 0xfffe
	s_add_nc_u64 s[10:11], s[16:17], 0x1c0
.LBB78_11:                              ; =>This Inner Loop Header: Depth=1
	s_load_b64 s[16:17], s[10:11], 0x0
                                        ; implicit-def: $vgpr14_vgpr15
	s_mov_b32 s2, exec_lo
	s_wait_kmcnt 0x0
	v_or_b32_e32 v11, s17, v13
	s_delay_alu instid0(VALU_DEP_1)
	v_cmpx_ne_u64_e32 0, v[10:11]
	s_wait_alu 0xfffe
	s_xor_b32 s19, exec_lo, s2
	s_cbranch_execz .LBB78_13
; %bb.12:                               ;   in Loop: Header=BB78_11 Depth=1
	s_cvt_f32_u32 s2, s16
	s_cvt_f32_u32 s20, s17
	s_sub_nc_u64 s[22:23], 0, s[16:17]
	s_wait_alu 0xfffe
	s_delay_alu instid0(SALU_CYCLE_1) | instskip(SKIP_1) | instid1(SALU_CYCLE_2)
	s_fmamk_f32 s2, s20, 0x4f800000, s2
	s_wait_alu 0xfffe
	v_s_rcp_f32 s2, s2
	s_delay_alu instid0(TRANS32_DEP_1) | instskip(SKIP_1) | instid1(SALU_CYCLE_2)
	s_mul_f32 s2, s2, 0x5f7ffffc
	s_wait_alu 0xfffe
	s_mul_f32 s20, s2, 0x2f800000
	s_wait_alu 0xfffe
	s_delay_alu instid0(SALU_CYCLE_2) | instskip(SKIP_1) | instid1(SALU_CYCLE_2)
	s_trunc_f32 s20, s20
	s_wait_alu 0xfffe
	s_fmamk_f32 s2, s20, 0xcf800000, s2
	s_cvt_u32_f32 s21, s20
	s_wait_alu 0xfffe
	s_delay_alu instid0(SALU_CYCLE_1) | instskip(SKIP_1) | instid1(SALU_CYCLE_2)
	s_cvt_u32_f32 s20, s2
	s_wait_alu 0xfffe
	s_mul_u64 s[24:25], s[22:23], s[20:21]
	s_delay_alu instid0(SALU_CYCLE_1)
	s_mul_hi_u32 s27, s20, s25
	s_mul_i32 s26, s20, s25
	s_mul_hi_u32 s2, s20, s24
	s_mul_i32 s29, s21, s24
	s_wait_alu 0xfffe
	s_add_nc_u64 s[26:27], s[2:3], s[26:27]
	s_mul_hi_u32 s28, s21, s24
	s_mul_hi_u32 s30, s21, s25
	s_add_co_u32 s2, s26, s29
	s_add_co_ci_u32 s2, s27, s28
	s_mul_i32 s24, s21, s25
	s_add_co_ci_u32 s25, s30, 0
	s_wait_alu 0xfffe
	s_add_nc_u64 s[24:25], s[2:3], s[24:25]
	s_delay_alu instid0(SALU_CYCLE_1)
	s_add_co_u32 s20, s20, s24
	s_cselect_b32 s2, -1, 0
	s_wait_alu 0xfffe
	s_cmp_lg_u32 s2, 0
	s_add_co_ci_u32 s21, s21, s25
	s_wait_alu 0xfffe
	s_mul_u64 s[22:23], s[22:23], s[20:21]
	s_delay_alu instid0(SALU_CYCLE_1)
	s_mul_hi_u32 s25, s20, s23
	s_mul_i32 s24, s20, s23
	s_mul_hi_u32 s2, s20, s22
	s_mul_i32 s27, s21, s22
	s_wait_alu 0xfffe
	s_add_nc_u64 s[24:25], s[2:3], s[24:25]
	s_mul_hi_u32 s26, s21, s22
	s_mul_hi_u32 s28, s21, s23
	s_add_co_u32 s2, s24, s27
	s_add_co_ci_u32 s2, s25, s26
	s_mul_i32 s22, s21, s23
	s_add_co_ci_u32 s23, s28, 0
	s_wait_alu 0xfffe
	s_add_nc_u64 s[22:23], s[2:3], s[22:23]
	s_delay_alu instid0(SALU_CYCLE_1)
	s_add_co_u32 s2, s20, s22
	s_cselect_b32 s20, -1, 0
	s_wait_alu 0xfffe
	v_mul_hi_u32 v1, v12, s2
	s_cmp_lg_u32 s20, 0
	v_mad_co_u64_u32 v[17:18], null, v13, s2, 0
	s_add_co_ci_u32 s20, s21, s23
	s_wait_alu 0xfffe
	v_mad_co_u64_u32 v[14:15], null, v12, s20, 0
	v_mad_co_u64_u32 v[19:20], null, v13, s20, 0
	s_delay_alu instid0(VALU_DEP_2) | instskip(SKIP_1) | instid1(VALU_DEP_3)
	v_add_co_u32 v1, vcc_lo, v1, v14
	s_wait_alu 0xfffd
	v_add_co_ci_u32_e64 v11, null, 0, v15, vcc_lo
	s_delay_alu instid0(VALU_DEP_2) | instskip(SKIP_1) | instid1(VALU_DEP_2)
	v_add_co_u32 v1, vcc_lo, v1, v17
	s_wait_alu 0xfffd
	v_add_co_ci_u32_e32 v1, vcc_lo, v11, v18, vcc_lo
	s_wait_alu 0xfffd
	v_add_co_ci_u32_e32 v11, vcc_lo, 0, v20, vcc_lo
	s_delay_alu instid0(VALU_DEP_2) | instskip(SKIP_1) | instid1(VALU_DEP_2)
	v_add_co_u32 v1, vcc_lo, v1, v19
	s_wait_alu 0xfffd
	v_add_co_ci_u32_e64 v11, null, 0, v11, vcc_lo
	s_delay_alu instid0(VALU_DEP_2) | instskip(SKIP_1) | instid1(VALU_DEP_3)
	v_mul_lo_u32 v17, s17, v1
	v_mad_co_u64_u32 v[14:15], null, s16, v1, 0
	v_mul_lo_u32 v18, s16, v11
	s_delay_alu instid0(VALU_DEP_2) | instskip(NEXT) | instid1(VALU_DEP_2)
	v_sub_co_u32 v14, vcc_lo, v12, v14
	v_add3_u32 v15, v15, v18, v17
	v_add_co_u32 v18, s2, v1, 2
	s_wait_alu 0xf1ff
	v_add_co_ci_u32_e64 v19, null, 0, v11, s2
	s_delay_alu instid0(VALU_DEP_3) | instskip(SKIP_3) | instid1(VALU_DEP_3)
	v_sub_nc_u32_e32 v17, v13, v15
	v_sub_co_u32 v20, s2, v14, s16
	s_wait_alu 0xfffd
	v_sub_co_ci_u32_e64 v15, null, v13, v15, vcc_lo
	v_subrev_co_ci_u32_e64 v17, null, s17, v17, vcc_lo
	s_delay_alu instid0(VALU_DEP_3) | instskip(SKIP_1) | instid1(VALU_DEP_2)
	v_cmp_le_u32_e32 vcc_lo, s16, v20
	s_wait_alu 0xf1ff
	v_subrev_co_ci_u32_e64 v17, null, 0, v17, s2
	s_wait_alu 0xfffd
	v_cndmask_b32_e64 v20, 0, -1, vcc_lo
	v_cmp_eq_u32_e64 s2, s17, v15
	s_delay_alu instid0(VALU_DEP_3)
	v_cmp_le_u32_e32 vcc_lo, s17, v17
	s_wait_alu 0xfffd
	v_cndmask_b32_e64 v21, 0, -1, vcc_lo
	v_cmp_le_u32_e32 vcc_lo, s16, v14
	s_wait_alu 0xfffd
	v_cndmask_b32_e64 v14, 0, -1, vcc_lo
	;; [unrolled: 3-line block ×3, first 2 shown]
	v_cmp_eq_u32_e32 vcc_lo, s17, v17
	s_wait_alu 0xf1ff
	s_delay_alu instid0(VALU_DEP_2)
	v_cndmask_b32_e64 v14, v22, v14, s2
	s_wait_alu 0xfffd
	v_cndmask_b32_e32 v17, v21, v20, vcc_lo
	v_add_co_u32 v20, vcc_lo, v1, 1
	s_wait_alu 0xfffd
	v_add_co_ci_u32_e64 v21, null, 0, v11, vcc_lo
	s_delay_alu instid0(VALU_DEP_3) | instskip(SKIP_1) | instid1(VALU_DEP_2)
	v_cmp_ne_u32_e32 vcc_lo, 0, v17
	s_wait_alu 0xfffd
	v_cndmask_b32_e32 v15, v21, v19, vcc_lo
	v_cndmask_b32_e32 v17, v20, v18, vcc_lo
	v_cmp_ne_u32_e32 vcc_lo, 0, v14
	s_wait_alu 0xfffd
	s_delay_alu instid0(VALU_DEP_2)
	v_dual_cndmask_b32 v15, v11, v15 :: v_dual_cndmask_b32 v14, v1, v17
.LBB78_13:                              ;   in Loop: Header=BB78_11 Depth=1
	s_wait_alu 0xfffe
	s_and_not1_saveexec_b32 s2, s19
	s_cbranch_execz .LBB78_15
; %bb.14:                               ;   in Loop: Header=BB78_11 Depth=1
	v_cvt_f32_u32_e32 v1, s16
	s_sub_co_i32 s19, 0, s16
	s_delay_alu instid0(VALU_DEP_1) | instskip(NEXT) | instid1(TRANS32_DEP_1)
	v_rcp_iflag_f32_e32 v1, v1
	v_mul_f32_e32 v1, 0x4f7ffffe, v1
	s_delay_alu instid0(VALU_DEP_1) | instskip(SKIP_1) | instid1(VALU_DEP_1)
	v_cvt_u32_f32_e32 v1, v1
	s_wait_alu 0xfffe
	v_mul_lo_u32 v11, s19, v1
	s_delay_alu instid0(VALU_DEP_1) | instskip(NEXT) | instid1(VALU_DEP_1)
	v_mul_hi_u32 v11, v1, v11
	v_add_nc_u32_e32 v1, v1, v11
	s_delay_alu instid0(VALU_DEP_1) | instskip(NEXT) | instid1(VALU_DEP_1)
	v_mul_hi_u32 v1, v12, v1
	v_mul_lo_u32 v11, v1, s16
	s_delay_alu instid0(VALU_DEP_1) | instskip(NEXT) | instid1(VALU_DEP_1)
	v_sub_nc_u32_e32 v11, v12, v11
	v_subrev_nc_u32_e32 v15, s16, v11
	v_cmp_le_u32_e32 vcc_lo, s16, v11
	s_wait_alu 0xfffd
	s_delay_alu instid0(VALU_DEP_2) | instskip(NEXT) | instid1(VALU_DEP_1)
	v_dual_cndmask_b32 v11, v11, v15 :: v_dual_add_nc_u32 v14, 1, v1
	v_cndmask_b32_e32 v1, v1, v14, vcc_lo
	v_mov_b32_e32 v15, v10
	s_delay_alu instid0(VALU_DEP_3) | instskip(NEXT) | instid1(VALU_DEP_3)
	v_cmp_le_u32_e32 vcc_lo, s16, v11
	v_add_nc_u32_e32 v14, 1, v1
	s_wait_alu 0xfffd
	s_delay_alu instid0(VALU_DEP_1)
	v_cndmask_b32_e32 v14, v1, v14, vcc_lo
.LBB78_15:                              ;   in Loop: Header=BB78_11 Depth=1
	s_wait_alu 0xfffe
	s_or_b32 exec_lo, exec_lo, s2
	s_load_b64 s[20:21], s[10:11], 0xc8
	v_mul_lo_u32 v1, v15, s16
	v_mul_lo_u32 v11, v14, s17
	v_mad_co_u64_u32 v[17:18], null, v14, s16, 0
	s_add_co_i32 s18, s18, -1
	s_add_nc_u64 s[10:11], s[10:11], -8
	s_wait_alu 0xfffe
	s_cmp_gt_u32 s18, 2
	v_add3_u32 v1, v18, v11, v1
	v_sub_co_u32 v11, vcc_lo, v12, v17
	s_wait_alu 0xfffd
	s_delay_alu instid0(VALU_DEP_2) | instskip(SKIP_1) | instid1(VALU_DEP_2)
	v_sub_co_ci_u32_e64 v1, null, v13, v1, vcc_lo
	s_wait_kmcnt 0x0
	v_mul_lo_u32 v12, s21, v11
	s_delay_alu instid0(VALU_DEP_2) | instskip(SKIP_1) | instid1(VALU_DEP_1)
	v_mul_lo_u32 v1, s20, v1
	v_mad_co_u64_u32 v[8:9], null, s20, v11, v[8:9]
	v_add3_u32 v9, v12, v9, v1
	s_cbranch_scc0 .LBB78_17
; %bb.16:                               ;   in Loop: Header=BB78_11 Depth=1
	v_dual_mov_b32 v12, v14 :: v_dual_mov_b32 v13, v15
	s_branch .LBB78_11
.LBB78_17:
	s_clause 0x2
	s_load_b64 s[2:3], s[0:1], 0x288
	s_load_b64 s[16:17], s[0:1], 0x0
	;; [unrolled: 1-line block ×3, first 2 shown]
	v_mov_b32_e32 v1, 0
	s_load_b64 s[10:11], s[0:1], 0x358
	v_mul_lo_u32 v17, s12, v7
	v_mul_lo_u32 v18, s13, v6
	v_cmp_gt_u64_e32 vcc_lo, s[4:5], v[4:5]
	v_dual_mov_b32 v5, v1 :: v_dual_and_b32 v4, 0x3ff, v0
	s_wait_kmcnt 0x0
	v_mul_lo_u32 v12, s3, v14
	v_mul_lo_u32 v13, s2, v15
	v_mad_co_u64_u32 v[10:11], null, s2, v14, 0
	s_load_b32 s2, s[14:15], 0xc
	v_lshlrev_b64_e32 v[14:15], 3, v[8:9]
	v_mov_b32_e32 v8, 0
	v_mov_b32_e32 v9, 0
	v_add3_u32 v11, v11, v13, v12
	v_mad_co_u64_u32 v[12:13], null, s12, v6, s[16:17]
	v_mov_b32_e32 v6, 0
	v_cmp_gt_u64_e64 s0, s[6:7], v[4:5]
	s_delay_alu instid0(VALU_DEP_4) | instskip(SKIP_3) | instid1(VALU_DEP_3)
	v_lshlrev_b64_e32 v[10:11], 3, v[10:11]
	v_mov_b32_e32 v7, 0
	v_add3_u32 v0, v18, v13, v17
	s_and_b32 s4, vcc_lo, s0
	v_add_co_u32 v5, s1, s18, v10
	s_delay_alu instid0(VALU_DEP_1)
	v_add_co_ci_u32_e64 v10, null, s19, v11, s1
	v_add_co_u32 v2, s1, v12, v2
	s_wait_alu 0xf1ff
	v_add_co_ci_u32_e64 v3, null, v0, v3, s1
	v_add_co_u32 v5, s1, v5, v14
	s_wait_alu 0xf1ff
	v_add_co_ci_u32_e64 v10, null, v10, v15, s1
	v_mov_b32_e32 v14, 0
	s_wait_alu 0xfffe
	s_and_saveexec_b32 s3, s4
	s_cbranch_execz .LBB78_19
; %bb.18:
	v_mad_co_u64_u32 v[8:9], null, s10, v4, 0
	v_mad_co_u64_u32 v[11:12], null, s8, v4, v[2:3]
	s_delay_alu instid0(VALU_DEP_2) | instskip(NEXT) | instid1(VALU_DEP_1)
	v_mov_b32_e32 v0, v9
	v_mad_co_u64_u32 v[13:14], null, s11, v4, v[0:1]
	s_delay_alu instid0(VALU_DEP_1) | instskip(NEXT) | instid1(VALU_DEP_1)
	v_dual_mov_b32 v0, v12 :: v_dual_mov_b32 v9, v13
	v_mad_co_u64_u32 v[12:13], null, s9, v4, v[0:1]
	s_delay_alu instid0(VALU_DEP_2) | instskip(NEXT) | instid1(VALU_DEP_1)
	v_lshlrev_b64_e32 v[8:9], 3, v[8:9]
	v_add_co_u32 v8, s1, v5, v8
	s_wait_alu 0xf1ff
	s_delay_alu instid0(VALU_DEP_2)
	v_add_co_ci_u32_e64 v9, null, v10, v9, s1
	global_load_u8 v14, v[11:12], off
	global_load_b64 v[8:9], v[8:9], off
.LBB78_19:
	s_wait_alu 0xfffe
	s_or_b32 exec_lo, exec_lo, s3
	v_lshlrev_b32_e32 v11, 5, v16
	s_wait_kmcnt 0x0
	s_and_b32 s3, 0xffff, s2
	v_lshlrev_b32_e32 v13, 8, v16
	s_wait_alu 0xfffe
	v_add_nc_u32_e32 v0, s3, v4
	v_cndmask_b32_e64 v16, 0, 1, s4
	v_add_nc_u32_e32 v15, 0x1000, v11
	v_add_nc_u32_e32 v17, 0x1200, v11
	v_lshl_add_u32 v11, v4, 3, v13
	v_cmp_gt_u64_e64 s1, s[6:7], v[0:1]
	s_delay_alu instid0(VALU_DEP_4) | instskip(NEXT) | instid1(VALU_DEP_4)
	v_add_nc_u32_e32 v12, v15, v4
	v_add_nc_u32_e32 v18, v17, v4
	s_wait_loadcnt 0x1
	ds_store_b8 v12, v14
	s_wait_loadcnt 0x0
	ds_store_b64 v11, v[8:9]
	ds_store_b8 v18, v16
	s_and_b32 s4, vcc_lo, s1
	s_wait_alu 0xfffe
	s_and_saveexec_b32 s5, s4
	s_cbranch_execz .LBB78_21
; %bb.20:
	v_mad_co_u64_u32 v[6:7], null, s10, v0, 0
	v_mad_co_u64_u32 v[8:9], null, s8, v0, v[2:3]
	s_delay_alu instid0(VALU_DEP_2) | instskip(NEXT) | instid1(VALU_DEP_1)
	v_mov_b32_e32 v1, v7
	v_mad_co_u64_u32 v[18:19], null, s11, v0, v[1:2]
	s_delay_alu instid0(VALU_DEP_3) | instskip(NEXT) | instid1(VALU_DEP_2)
	v_mov_b32_e32 v1, v9
	v_mov_b32_e32 v7, v18
	s_delay_alu instid0(VALU_DEP_2) | instskip(NEXT) | instid1(VALU_DEP_2)
	v_mad_co_u64_u32 v[18:19], null, s9, v0, v[1:2]
	v_lshlrev_b64_e32 v[6:7], 3, v[6:7]
	s_delay_alu instid0(VALU_DEP_2) | instskip(NEXT) | instid1(VALU_DEP_2)
	v_mov_b32_e32 v9, v18
	v_add_co_u32 v6, s2, v5, v6
	s_wait_alu 0xf1ff
	s_delay_alu instid0(VALU_DEP_3)
	v_add_co_ci_u32_e64 v7, null, v10, v7, s2
	global_load_u8 v1, v[8:9], off
	global_load_b64 v[6:7], v[6:7], off
.LBB78_21:
	s_wait_alu 0xfffe
	s_or_b32 exec_lo, exec_lo, s5
	v_add_nc_u32_e32 v8, v15, v0
	v_lshlrev_b32_e32 v18, 1, v4
	v_lshl_add_u32 v9, s3, 3, v11
	v_cndmask_b32_e64 v14, 0, 1, s4
	v_add_nc_u32_e32 v16, v17, v0
	s_wait_loadcnt 0x1
	ds_store_b8 v8, v1
	s_wait_loadcnt 0x0
	ds_store_b64 v9, v[6:7]
	ds_store_b8 v16, v14
	v_add_nc_u32_e32 v1, v15, v18
	v_add_nc_u32_e32 v6, v17, v18
	s_wait_dscnt 0x0
	s_barrier_signal -1
	s_barrier_wait -1
	global_inv scope:SCOPE_SE
	ds_load_u16 v20, v1
	ds_load_u16 v16, v6
	v_and_b32_e32 v7, 1, v4
	s_wait_dscnt 0x1
	v_and_b32_e32 v19, 0xff, v20
	s_wait_dscnt 0x0
	v_lshrrev_b16 v14, 8, v16
	v_lshrrev_b16 v21, 8, v20
	v_and_b32_e32 v22, 1, v16
	s_delay_alu instid0(VALU_DEP_3) | instskip(NEXT) | instid1(VALU_DEP_3)
	v_cmp_ne_u16_e64 s4, v14, v7
	v_cmp_lt_u16_e64 s2, v19, v21
	s_delay_alu instid0(VALU_DEP_3) | instskip(SKIP_1) | instid1(VALU_DEP_3)
	v_cmp_eq_u32_e64 s3, 1, v22
	s_wait_alu 0xf1ff
	v_cndmask_b32_e64 v19, 0, 1, s4
	s_and_b32 s2, s2, s3
	s_wait_alu 0xfffe
	s_delay_alu instid0(VALU_DEP_1) | instskip(NEXT) | instid1(VALU_DEP_1)
	v_cndmask_b32_e64 v19, v19, v4, s2
	v_and_b32_e32 v19, 1, v19
	s_delay_alu instid0(VALU_DEP_1)
	v_cmp_eq_u32_e64 s2, 1, v19
	v_lshl_add_u32 v19, v4, 3, v11
	s_and_saveexec_b32 s3, s2
	s_wait_alu 0xfffe
	s_xor_b32 s2, exec_lo, s3
	s_cbranch_execz .LBB78_23
; %bb.22:
	ds_load_b128 v[22:25], v19
	v_lshlrev_b16 v20, 8, v20
	v_lshlrev_b16 v16, 8, v16
	s_delay_alu instid0(VALU_DEP_2) | instskip(NEXT) | instid1(VALU_DEP_2)
	v_or_b32_e32 v26, v21, v20
	v_or_b32_e32 v14, v14, v16
	s_wait_dscnt 0x0
	v_dual_mov_b32 v20, v24 :: v_dual_mov_b32 v21, v25
	ds_store_b16 v1, v26
	ds_store_b128 v19, v[20:23]
	ds_store_b16 v6, v14
.LBB78_23:
	s_wait_alu 0xfffe
	s_or_b32 exec_lo, exec_lo, s2
	v_sub_nc_u32_e32 v16, v18, v7
	s_wait_loadcnt_dscnt 0x0
	s_barrier_signal -1
	s_barrier_wait -1
	global_inv scope:SCOPE_SE
	v_add_nc_u32_e32 v7, v17, v16
	v_add_nc_u32_e32 v14, v15, v16
	v_bfe_u32 v25, v4, 1, 1
	v_lshl_add_u32 v16, v16, 3, v13
	ds_load_u8 v21, v7
	ds_load_u8 v22, v14
	ds_load_u8 v24, v14 offset:2
	ds_load_u8 v23, v7 offset:2
	s_wait_dscnt 0x3
	v_and_b32_e32 v20, 1, v21
	s_wait_dscnt 0x1
	v_cmp_lt_u16_e64 s2, v22, v24
	s_wait_dscnt 0x0
	v_cmp_ne_u16_e64 s4, v23, v25
	v_cmp_eq_u32_e64 s3, 1, v20
	s_wait_alu 0xf1ff
	s_delay_alu instid0(VALU_DEP_2) | instskip(SKIP_2) | instid1(VALU_DEP_1)
	v_cndmask_b32_e64 v20, 0, 1, s4
	s_and_b32 s2, s2, s3
	s_wait_alu 0xfffe
	v_cndmask_b32_e64 v25, v20, v25, s2
	v_and_b32_e32 v20, 2, v4
	s_delay_alu instid0(VALU_DEP_2) | instskip(NEXT) | instid1(VALU_DEP_2)
	v_and_b32_e32 v25, 1, v25
	v_cmp_ne_u32_e64 s2, 0, v20
	s_delay_alu instid0(VALU_DEP_2)
	v_cmp_eq_u32_e64 s3, 1, v25
	s_and_saveexec_b32 s4, s3
	s_wait_alu 0xfffe
	s_xor_b32 s3, exec_lo, s4
	s_cbranch_execz .LBB78_25
; %bb.24:
	ds_load_2addr_b64 v[25:28], v16 offset1:2
	s_wait_dscnt 0x0
	ds_store_2addr_b64 v16, v[27:28], v[25:26] offset1:2
	ds_store_b8 v14, v24
	ds_store_b8 v14, v22 offset:2
	ds_store_b8 v7, v23
	ds_store_b8 v7, v21 offset:2
.LBB78_25:
	s_wait_alu 0xfffe
	s_or_b32 exec_lo, exec_lo, s3
	s_wait_loadcnt_dscnt 0x0
	s_barrier_signal -1
	s_barrier_wait -1
	global_inv scope:SCOPE_SE
	ds_load_u16 v22, v1
	ds_load_u16 v21, v6
	v_lshrrev_b32_e32 v24, 1, v20
	v_cndmask_b32_e64 v27, 0, 1, s2
	s_wait_dscnt 0x1
	v_and_b32_e32 v25, 0xff, v22
	s_wait_dscnt 0x0
	v_lshrrev_b16 v20, 8, v21
	v_lshrrev_b16 v23, 8, v22
	v_and_b32_e32 v26, 1, v21
	s_delay_alu instid0(VALU_DEP_3) | instskip(NEXT) | instid1(VALU_DEP_3)
	v_cmp_ne_u16_e64 s4, v20, v24
	v_cmp_lt_u16_e64 s2, v25, v23
	s_delay_alu instid0(VALU_DEP_3) | instskip(SKIP_1) | instid1(VALU_DEP_3)
	v_cmp_eq_u32_e64 s3, 1, v26
	s_wait_alu 0xf1ff
	v_cndmask_b32_e64 v24, 0, 1, s4
	s_and_b32 s2, s2, s3
	s_mov_b32 s3, exec_lo
	s_wait_alu 0xfffe
	s_delay_alu instid0(VALU_DEP_1) | instskip(NEXT) | instid1(VALU_DEP_1)
	v_cndmask_b32_e64 v24, v24, v27, s2
	v_and_b32_e32 v24, 1, v24
	s_delay_alu instid0(VALU_DEP_1)
	v_cmpx_eq_u32_e32 1, v24
	s_cbranch_execz .LBB78_27
; %bb.26:
	ds_load_b128 v[24:27], v19
	v_lshlrev_b16 v22, 8, v22
	v_lshlrev_b16 v28, 8, v21
	s_delay_alu instid0(VALU_DEP_2) | instskip(NEXT) | instid1(VALU_DEP_2)
	v_or_b32_e32 v29, v23, v22
	v_or_b32_e32 v20, v20, v28
	s_wait_dscnt 0x0
	v_dual_mov_b32 v21, v26 :: v_dual_mov_b32 v22, v27
	v_dual_mov_b32 v23, v24 :: v_dual_mov_b32 v24, v25
	ds_store_b16 v1, v29
	ds_store_b128 v19, v[21:24]
	ds_store_b16 v6, v20
.LBB78_27:
	s_or_b32 exec_lo, exec_lo, s3
	v_and_b32_e32 v19, 3, v4
	s_wait_loadcnt_dscnt 0x0
	s_barrier_signal -1
	s_barrier_wait -1
	global_inv scope:SCOPE_SE
	v_sub_nc_u32_e32 v22, v18, v19
	v_bfe_u32 v27, v4, 2, 1
	s_delay_alu instid0(VALU_DEP_2)
	v_add_nc_u32_e32 v19, v17, v22
	v_add_nc_u32_e32 v20, v15, v22
	v_lshl_add_u32 v22, v22, 3, v13
	ds_load_u8 v23, v19
	ds_load_u8 v24, v20
	ds_load_u8 v26, v20 offset:4
	ds_load_u8 v25, v19 offset:4
	s_wait_dscnt 0x3
	v_and_b32_e32 v21, 1, v23
	s_wait_dscnt 0x1
	v_cmp_lt_u16_e64 s2, v24, v26
	s_wait_dscnt 0x0
	v_cmp_ne_u16_e64 s4, v25, v27
	v_cmp_eq_u32_e64 s3, 1, v21
	s_wait_alu 0xf1ff
	s_delay_alu instid0(VALU_DEP_2) | instskip(SKIP_3) | instid1(VALU_DEP_1)
	v_cndmask_b32_e64 v21, 0, 1, s4
	s_mov_b32 s4, exec_lo
	s_and_b32 s2, s2, s3
	s_wait_alu 0xfffe
	v_cndmask_b32_e64 v27, v21, v27, s2
	v_and_b32_e32 v21, 4, v4
	s_delay_alu instid0(VALU_DEP_2) | instskip(NEXT) | instid1(VALU_DEP_2)
	v_and_b32_e32 v27, 1, v27
	v_cmp_ne_u32_e64 s2, 0, v21
	s_delay_alu instid0(VALU_DEP_2)
	v_cmpx_eq_u32_e32 1, v27
	s_cbranch_execz .LBB78_29
; %bb.28:
	ds_load_2addr_b64 v[27:30], v22 offset1:4
	s_wait_dscnt 0x0
	ds_store_2addr_b64 v22, v[29:30], v[27:28] offset1:4
	ds_store_b8 v20, v26
	ds_store_b8 v20, v24 offset:4
	ds_store_b8 v19, v25
	ds_store_b8 v19, v23 offset:4
.LBB78_29:
	s_or_b32 exec_lo, exec_lo, s4
	s_wait_loadcnt_dscnt 0x0
	s_barrier_signal -1
	s_barrier_wait -1
	global_inv scope:SCOPE_SE
	ds_load_u8 v24, v7
	ds_load_u8 v25, v14
	ds_load_u8 v27, v14 offset:2
	ds_load_u8 v26, v7 offset:2
	v_lshrrev_b32_e32 v21, 2, v21
	v_cndmask_b32_e64 v23, 0, 1, s2
	s_wait_dscnt 0x3
	v_and_b32_e32 v28, 1, v24
	s_wait_dscnt 0x1
	v_cmp_lt_u16_e64 s2, v25, v27
	s_wait_dscnt 0x0
	v_cmp_ne_u16_e64 s4, v26, v21
	v_cmp_eq_u32_e64 s3, 1, v28
	s_wait_alu 0xf1ff
	s_delay_alu instid0(VALU_DEP_2) | instskip(SKIP_3) | instid1(VALU_DEP_1)
	v_cndmask_b32_e64 v28, 0, 1, s4
	s_and_b32 s2, s2, s3
	s_mov_b32 s3, exec_lo
	s_wait_alu 0xfffe
	v_cndmask_b32_e64 v28, v28, v23, s2
	s_delay_alu instid0(VALU_DEP_1) | instskip(NEXT) | instid1(VALU_DEP_1)
	v_and_b32_e32 v28, 1, v28
	v_cmpx_eq_u32_e32 1, v28
	s_cbranch_execz .LBB78_31
; %bb.30:
	ds_load_2addr_b64 v[28:31], v16 offset1:2
	s_wait_dscnt 0x0
	ds_store_2addr_b64 v16, v[30:31], v[28:29] offset1:2
	ds_store_b8 v14, v27
	ds_store_b8 v14, v25 offset:2
	ds_store_b8 v7, v26
	ds_store_b8 v7, v24 offset:2
.LBB78_31:
	s_or_b32 exec_lo, exec_lo, s3
	s_wait_loadcnt_dscnt 0x0
	s_barrier_signal -1
	s_barrier_wait -1
	global_inv scope:SCOPE_SE
	ds_load_u16 v27, v1
	ds_load_u16 v25, v6
	s_wait_dscnt 0x1
	v_and_b32_e32 v28, 0xff, v27
	s_wait_dscnt 0x0
	v_lshrrev_b16 v24, 8, v25
	v_lshrrev_b16 v26, 8, v27
	v_and_b32_e32 v29, 1, v25
	s_delay_alu instid0(VALU_DEP_3) | instskip(NEXT) | instid1(VALU_DEP_3)
	v_cmp_ne_u16_e64 s4, v24, v21
	v_cmp_lt_u16_e64 s2, v28, v26
	s_delay_alu instid0(VALU_DEP_3) | instskip(SKIP_1) | instid1(VALU_DEP_3)
	v_cmp_eq_u32_e64 s3, 1, v29
	s_wait_alu 0xf1ff
	v_cndmask_b32_e64 v21, 0, 1, s4
	s_and_b32 s2, s2, s3
	s_wait_alu 0xfffe
	s_delay_alu instid0(VALU_DEP_1) | instskip(NEXT) | instid1(VALU_DEP_1)
	v_cndmask_b32_e64 v21, v21, v23, s2
	v_and_b32_e32 v21, 1, v21
	s_delay_alu instid0(VALU_DEP_1)
	v_cmp_eq_u32_e64 s2, 1, v21
	v_lshl_add_u32 v21, v18, 3, v13
	s_and_saveexec_b32 s3, s2
	s_cbranch_execz .LBB78_33
; %bb.32:
	ds_load_b128 v[28:31], v21
	v_lshlrev_b16 v23, 8, v27
	v_lshlrev_b16 v32, 8, v25
	s_delay_alu instid0(VALU_DEP_2) | instskip(NEXT) | instid1(VALU_DEP_2)
	v_or_b32_e32 v23, v26, v23
	v_or_b32_e32 v24, v24, v32
	s_wait_dscnt 0x0
	v_dual_mov_b32 v25, v30 :: v_dual_mov_b32 v26, v31
	v_dual_mov_b32 v27, v28 :: v_dual_mov_b32 v28, v29
	ds_store_b16 v1, v23
	ds_store_b128 v21, v[25:28]
	ds_store_b16 v6, v24
.LBB78_33:
	s_wait_alu 0xfffe
	s_or_b32 exec_lo, exec_lo, s3
	v_and_b32_e32 v23, 7, v4
	s_wait_loadcnt_dscnt 0x0
	s_barrier_signal -1
	s_barrier_wait -1
	global_inv scope:SCOPE_SE
	v_sub_nc_u32_e32 v25, v18, v23
	v_bfe_u32 v31, v4, 3, 1
	s_delay_alu instid0(VALU_DEP_2)
	v_add_nc_u32_e32 v23, v17, v25
	v_add_nc_u32_e32 v24, v15, v25
	v_lshl_add_u32 v25, v25, 3, v13
	ds_load_u8 v27, v23
	ds_load_u8 v28, v24
	ds_load_u8 v30, v24 offset:8
	ds_load_u8 v29, v23 offset:8
	s_wait_dscnt 0x3
	v_and_b32_e32 v26, 1, v27
	s_wait_dscnt 0x1
	v_cmp_lt_u16_e64 s2, v28, v30
	s_wait_dscnt 0x0
	v_cmp_ne_u16_e64 s4, v29, v31
	v_cmp_eq_u32_e64 s3, 1, v26
	s_wait_alu 0xf1ff
	s_delay_alu instid0(VALU_DEP_2) | instskip(SKIP_3) | instid1(VALU_DEP_1)
	v_cndmask_b32_e64 v26, 0, 1, s4
	s_mov_b32 s4, exec_lo
	s_and_b32 s2, s2, s3
	s_wait_alu 0xfffe
	v_cndmask_b32_e64 v31, v26, v31, s2
	v_and_b32_e32 v26, 8, v4
	s_delay_alu instid0(VALU_DEP_2) | instskip(NEXT) | instid1(VALU_DEP_2)
	v_and_b32_e32 v31, 1, v31
	v_cmp_ne_u32_e64 s2, 0, v26
	s_delay_alu instid0(VALU_DEP_2)
	v_cmpx_eq_u32_e32 1, v31
	s_cbranch_execz .LBB78_35
; %bb.34:
	ds_load_2addr_b64 v[31:34], v25 offset1:8
	s_wait_dscnt 0x0
	ds_store_2addr_b64 v25, v[33:34], v[31:32] offset1:8
	ds_store_b8 v24, v30
	ds_store_b8 v24, v28 offset:8
	ds_store_b8 v23, v29
	ds_store_b8 v23, v27 offset:8
.LBB78_35:
	s_or_b32 exec_lo, exec_lo, s4
	s_wait_loadcnt_dscnt 0x0
	s_barrier_signal -1
	s_barrier_wait -1
	global_inv scope:SCOPE_SE
	ds_load_u8 v28, v19
	ds_load_u8 v29, v20
	ds_load_u8 v31, v20 offset:4
	ds_load_u8 v30, v19 offset:4
	v_lshrrev_b32_e32 v26, 3, v26
	v_cndmask_b32_e64 v27, 0, 1, s2
	s_wait_dscnt 0x3
	v_and_b32_e32 v32, 1, v28
	s_wait_dscnt 0x1
	v_cmp_lt_u16_e64 s2, v29, v31
	s_wait_dscnt 0x0
	v_cmp_ne_u16_e64 s4, v30, v26
	v_cmp_eq_u32_e64 s3, 1, v32
	s_wait_alu 0xf1ff
	s_delay_alu instid0(VALU_DEP_2) | instskip(SKIP_3) | instid1(VALU_DEP_1)
	v_cndmask_b32_e64 v32, 0, 1, s4
	s_and_b32 s2, s2, s3
	s_mov_b32 s3, exec_lo
	s_wait_alu 0xfffe
	v_cndmask_b32_e64 v32, v32, v27, s2
	s_delay_alu instid0(VALU_DEP_1) | instskip(NEXT) | instid1(VALU_DEP_1)
	v_and_b32_e32 v32, 1, v32
	v_cmpx_eq_u32_e32 1, v32
	s_cbranch_execz .LBB78_37
; %bb.36:
	ds_load_2addr_b64 v[32:35], v22 offset1:4
	s_wait_dscnt 0x0
	ds_store_2addr_b64 v22, v[34:35], v[32:33] offset1:4
	ds_store_b8 v20, v31
	ds_store_b8 v20, v29 offset:4
	ds_store_b8 v19, v30
	ds_store_b8 v19, v28 offset:4
.LBB78_37:
	s_or_b32 exec_lo, exec_lo, s3
	s_wait_loadcnt_dscnt 0x0
	s_barrier_signal -1
	s_barrier_wait -1
	global_inv scope:SCOPE_SE
	ds_load_u8 v28, v7
	ds_load_u8 v29, v14
	ds_load_u8 v31, v14 offset:2
	ds_load_u8 v30, v7 offset:2
	s_wait_dscnt 0x3
	v_and_b32_e32 v32, 1, v28
	s_wait_dscnt 0x1
	v_cmp_lt_u16_e64 s2, v29, v31
	s_wait_dscnt 0x0
	v_cmp_ne_u16_e64 s4, v30, v26
	v_cmp_eq_u32_e64 s3, 1, v32
	s_wait_alu 0xf1ff
	s_delay_alu instid0(VALU_DEP_2) | instskip(SKIP_3) | instid1(VALU_DEP_1)
	v_cndmask_b32_e64 v32, 0, 1, s4
	s_and_b32 s2, s2, s3
	s_mov_b32 s3, exec_lo
	s_wait_alu 0xfffe
	v_cndmask_b32_e64 v32, v32, v27, s2
	s_delay_alu instid0(VALU_DEP_1) | instskip(NEXT) | instid1(VALU_DEP_1)
	v_and_b32_e32 v32, 1, v32
	v_cmpx_eq_u32_e32 1, v32
	s_cbranch_execz .LBB78_39
; %bb.38:
	ds_load_2addr_b64 v[32:35], v16 offset1:2
	s_wait_dscnt 0x0
	ds_store_2addr_b64 v16, v[34:35], v[32:33] offset1:2
	ds_store_b8 v14, v31
	ds_store_b8 v14, v29 offset:2
	ds_store_b8 v7, v30
	ds_store_b8 v7, v28 offset:2
.LBB78_39:
	s_or_b32 exec_lo, exec_lo, s3
	s_wait_loadcnt_dscnt 0x0
	s_barrier_signal -1
	s_barrier_wait -1
	global_inv scope:SCOPE_SE
	ds_load_u16 v31, v1
	ds_load_u16 v29, v6
	s_wait_dscnt 0x1
	v_and_b32_e32 v32, 0xff, v31
	s_wait_dscnt 0x0
	v_lshrrev_b16 v28, 8, v29
	v_lshrrev_b16 v30, 8, v31
	v_and_b32_e32 v33, 1, v29
	s_delay_alu instid0(VALU_DEP_3) | instskip(NEXT) | instid1(VALU_DEP_3)
	v_cmp_ne_u16_e64 s4, v28, v26
	v_cmp_lt_u16_e64 s2, v32, v30
	s_delay_alu instid0(VALU_DEP_3) | instskip(SKIP_1) | instid1(VALU_DEP_3)
	v_cmp_eq_u32_e64 s3, 1, v33
	s_wait_alu 0xf1ff
	v_cndmask_b32_e64 v26, 0, 1, s4
	s_and_b32 s2, s2, s3
	s_mov_b32 s3, exec_lo
	s_wait_alu 0xfffe
	s_delay_alu instid0(VALU_DEP_1) | instskip(NEXT) | instid1(VALU_DEP_1)
	v_cndmask_b32_e64 v26, v26, v27, s2
	v_and_b32_e32 v26, 1, v26
	s_delay_alu instid0(VALU_DEP_1)
	v_cmpx_eq_u32_e32 1, v26
	s_cbranch_execz .LBB78_41
; %bb.40:
	ds_load_b128 v[32:35], v21
	v_lshlrev_b16 v26, 8, v31
	v_lshlrev_b16 v27, 8, v29
	s_delay_alu instid0(VALU_DEP_2) | instskip(NEXT) | instid1(VALU_DEP_2)
	v_or_b32_e32 v26, v30, v26
	v_or_b32_e32 v27, v28, v27
	s_wait_dscnt 0x0
	v_dual_mov_b32 v29, v34 :: v_dual_mov_b32 v30, v35
	v_dual_mov_b32 v31, v32 :: v_dual_mov_b32 v32, v33
	ds_store_b16 v1, v26
	ds_store_b128 v21, v[29:32]
	ds_store_b16 v6, v27
.LBB78_41:
	s_or_b32 exec_lo, exec_lo, s3
	v_and_b32_e32 v26, 15, v4
	s_wait_loadcnt_dscnt 0x0
	s_barrier_signal -1
	s_barrier_wait -1
	global_inv scope:SCOPE_SE
	v_sub_nc_u32_e32 v18, v18, v26
	s_delay_alu instid0(VALU_DEP_1)
	v_add_nc_u32_e32 v17, v17, v18
	v_add_nc_u32_e32 v15, v15, v18
	ds_load_u8 v26, v17
	ds_load_u8 v29, v17 offset:16
	ds_load_u8 v27, v15
	ds_load_u8 v28, v15 offset:16
	s_wait_dscnt 0x2
	v_and_b32_e32 v29, 0xff, v29
	v_and_b32_e32 v30, 1, v26
	s_wait_dscnt 0x0
	v_cmp_ge_u16_e64 s3, v27, v28
	s_delay_alu instid0(VALU_DEP_3) | instskip(NEXT) | instid1(VALU_DEP_3)
	v_cmp_ne_u16_e64 s4, 0, v29
	v_cmp_eq_u32_e64 s2, 1, v30
	s_xor_b32 s2, s2, -1
	s_wait_alu 0xfffe
	s_or_b32 s2, s3, s2
	s_wait_alu 0xfffe
	s_and_b32 s3, s2, s4
	s_wait_alu 0xfffe
	s_and_saveexec_b32 s2, s3
	s_cbranch_execz .LBB78_43
; %bb.42:
	v_lshl_add_u32 v13, v18, 3, v13
	v_mov_b32_e32 v18, 1
	ds_load_2addr_b64 v[29:32], v13 offset1:16
	s_wait_dscnt 0x0
	ds_store_2addr_b64 v13, v[31:32], v[29:30] offset1:16
	ds_store_b8 v15, v28
	ds_store_b8 v15, v27 offset:16
	ds_store_b8 v17, v18
	ds_store_b8 v17, v26 offset:16
.LBB78_43:
	s_wait_alu 0xfffe
	s_or_b32 exec_lo, exec_lo, s2
	s_wait_loadcnt_dscnt 0x0
	s_barrier_signal -1
	s_barrier_wait -1
	global_inv scope:SCOPE_SE
	ds_load_u8 v13, v23
	ds_load_u8 v18, v23 offset:8
	ds_load_u8 v15, v24
	ds_load_u8 v17, v24 offset:8
	s_wait_dscnt 0x3
	v_and_b32_e32 v26, 1, v13
	s_wait_dscnt 0x2
	v_and_b32_e32 v18, 0xff, v18
	s_wait_dscnt 0x0
	v_cmp_ge_u16_e64 s3, v15, v17
	v_cmp_eq_u32_e64 s2, 1, v26
	s_delay_alu instid0(VALU_DEP_3)
	v_cmp_ne_u16_e64 s4, 0, v18
	s_xor_b32 s2, s2, -1
	s_wait_alu 0xfffe
	s_or_b32 s2, s3, s2
	s_wait_alu 0xfffe
	s_and_b32 s3, s2, s4
	s_wait_alu 0xfffe
	s_and_saveexec_b32 s2, s3
	s_cbranch_execz .LBB78_45
; %bb.44:
	ds_load_2addr_b64 v[26:29], v25 offset1:8
	v_mov_b32_e32 v18, 1
	s_wait_dscnt 0x0
	ds_store_2addr_b64 v25, v[28:29], v[26:27] offset1:8
	ds_store_b8 v24, v17
	ds_store_b8 v24, v15 offset:8
	ds_store_b8 v23, v18
	ds_store_b8 v23, v13 offset:8
.LBB78_45:
	s_wait_alu 0xfffe
	s_or_b32 exec_lo, exec_lo, s2
	s_wait_loadcnt_dscnt 0x0
	s_barrier_signal -1
	s_barrier_wait -1
	global_inv scope:SCOPE_SE
	ds_load_u8 v13, v19
	ds_load_u8 v18, v19 offset:4
	ds_load_u8 v15, v20
	ds_load_u8 v17, v20 offset:4
	s_wait_dscnt 0x3
	v_and_b32_e32 v23, 1, v13
	s_wait_dscnt 0x2
	v_and_b32_e32 v18, 0xff, v18
	s_wait_dscnt 0x0
	v_cmp_ge_u16_e64 s3, v15, v17
	v_cmp_eq_u32_e64 s2, 1, v23
	s_delay_alu instid0(VALU_DEP_3)
	v_cmp_ne_u16_e64 s4, 0, v18
	s_xor_b32 s2, s2, -1
	s_wait_alu 0xfffe
	s_or_b32 s2, s3, s2
	s_wait_alu 0xfffe
	s_and_b32 s3, s2, s4
	s_wait_alu 0xfffe
	s_and_saveexec_b32 s2, s3
	s_cbranch_execz .LBB78_47
; %bb.46:
	ds_load_2addr_b64 v[23:26], v22 offset1:4
	v_mov_b32_e32 v18, 1
	s_wait_dscnt 0x0
	ds_store_2addr_b64 v22, v[25:26], v[23:24] offset1:4
	ds_store_b8 v20, v17
	ds_store_b8 v20, v15 offset:4
	ds_store_b8 v19, v18
	ds_store_b8 v19, v13 offset:4
.LBB78_47:
	;; [unrolled: 37-line block ×3, first 2 shown]
	s_wait_alu 0xfffe
	s_or_b32 exec_lo, exec_lo, s2
	s_wait_loadcnt_dscnt 0x0
	s_barrier_signal -1
	s_barrier_wait -1
	global_inv scope:SCOPE_SE
	ds_load_u16 v7, v6
	ds_load_u16 v14, v1
	s_wait_dscnt 0x1
	v_and_b32_e32 v15, 1, v7
	s_wait_dscnt 0x0
	v_and_b32_e32 v16, 0xff, v14
	v_lshrrev_b16 v13, 8, v14
	v_lshrrev_b16 v17, 8, v7
	v_cmp_eq_u32_e64 s2, 1, v15
	s_delay_alu instid0(VALU_DEP_3) | instskip(NEXT) | instid1(VALU_DEP_3)
	v_cmp_ge_u16_e64 s3, v16, v13
	v_cmp_ne_u16_e64 s4, 0, v17
	s_xor_b32 s2, s2, -1
	s_wait_alu 0xfffe
	s_or_b32 s2, s3, s2
	s_wait_alu 0xfffe
	s_and_b32 s3, s2, s4
	s_wait_alu 0xfffe
	s_and_saveexec_b32 s2, s3
	s_cbranch_execz .LBB78_51
; %bb.50:
	ds_load_b128 v[15:18], v21
	v_lshlrev_b16 v14, 8, v14
	v_lshlrev_b16 v7, 8, v7
	s_delay_alu instid0(VALU_DEP_2) | instskip(NEXT) | instid1(VALU_DEP_2)
	v_or_b32_e32 v19, v13, v14
	v_or_b32_e32 v7, 1, v7
	s_wait_dscnt 0x0
	v_dual_mov_b32 v13, v17 :: v_dual_mov_b32 v14, v18
	ds_store_b16 v1, v19
	ds_store_b128 v21, v[13:16]
	ds_store_b16 v6, v7
.LBB78_51:
	s_wait_alu 0xfffe
	s_or_b32 exec_lo, exec_lo, s2
	s_wait_loadcnt_dscnt 0x0
	s_barrier_signal -1
	s_barrier_wait -1
	global_inv scope:SCOPE_SE
	s_and_saveexec_b32 s2, vcc_lo
	s_cbranch_execz .LBB78_56
; %bb.52:
	s_and_saveexec_b32 s2, s0
	s_cbranch_execz .LBB78_54
; %bb.53:
	v_mad_co_u64_u32 v[6:7], null, s10, v4, 0
	v_mad_co_u64_u32 v[13:14], null, s8, v4, v[2:3]
	s_delay_alu instid0(VALU_DEP_2) | instskip(NEXT) | instid1(VALU_DEP_1)
	v_mov_b32_e32 v1, v7
	v_mad_co_u64_u32 v[15:16], null, s11, v4, v[1:2]
	ds_load_u8 v16, v12
	ds_load_b64 v[11:12], v11
	v_mov_b32_e32 v1, v14
	v_mov_b32_e32 v7, v15
	s_delay_alu instid0(VALU_DEP_2) | instskip(NEXT) | instid1(VALU_DEP_2)
	v_mad_co_u64_u32 v[14:15], null, s9, v4, v[1:2]
	v_lshlrev_b64_e32 v[6:7], 3, v[6:7]
	s_delay_alu instid0(VALU_DEP_1) | instskip(SKIP_1) | instid1(VALU_DEP_2)
	v_add_co_u32 v6, vcc_lo, v5, v6
	s_wait_alu 0xfffd
	v_add_co_ci_u32_e64 v7, null, v10, v7, vcc_lo
	s_wait_dscnt 0x1
	global_store_b8 v[13:14], v16, off
	s_wait_dscnt 0x0
	global_store_b64 v[6:7], v[11:12], off
.LBB78_54:
	s_wait_alu 0xfffe
	s_or_b32 exec_lo, exec_lo, s2
	s_delay_alu instid0(SALU_CYCLE_1)
	s_and_b32 exec_lo, exec_lo, s1
	s_cbranch_execz .LBB78_56
; %bb.55:
	v_mad_co_u64_u32 v[6:7], null, s10, v0, 0
	v_mad_co_u64_u32 v[2:3], null, s8, v0, v[2:3]
	ds_load_u8 v4, v8
	ds_load_b64 v[8:9], v9
	v_mov_b32_e32 v1, v7
	s_delay_alu instid0(VALU_DEP_1) | instskip(SKIP_1) | instid1(VALU_DEP_1)
	v_mad_co_u64_u32 v[11:12], null, s11, v0, v[1:2]
	v_mov_b32_e32 v1, v3
	v_mad_co_u64_u32 v[0:1], null, s9, v0, v[1:2]
	s_delay_alu instid0(VALU_DEP_3) | instskip(NEXT) | instid1(VALU_DEP_1)
	v_mov_b32_e32 v7, v11
	v_lshlrev_b64_e32 v[6:7], 3, v[6:7]
	s_delay_alu instid0(VALU_DEP_3) | instskip(NEXT) | instid1(VALU_DEP_2)
	v_mov_b32_e32 v3, v0
	v_add_co_u32 v0, vcc_lo, v5, v6
	s_wait_alu 0xfffd
	s_delay_alu instid0(VALU_DEP_3)
	v_add_co_ci_u32_e64 v1, null, v10, v7, vcc_lo
	s_wait_dscnt 0x1
	global_store_b8 v[2:3], v4, off
	s_wait_dscnt 0x0
	global_store_b64 v[0:1], v[8:9], off
.LBB78_56:
	s_endpgm
	.section	.rodata,"a",@progbits
	.p2align	6, 0x0
	.amdhsa_kernel _ZN2at6native20bitonicSortKVInPlaceILin1ELin1ELi16ELi16EblNS0_4LTOpIbLb1EEEmEEvNS_4cuda6detail10TensorInfoIT3_T6_EES8_S8_S8_NS6_IT4_S8_EES8_T5_
		.amdhsa_group_segment_fixed_size 5120
		.amdhsa_private_segment_fixed_size 0
		.amdhsa_kernarg_size 1128
		.amdhsa_user_sgpr_count 2
		.amdhsa_user_sgpr_dispatch_ptr 0
		.amdhsa_user_sgpr_queue_ptr 0
		.amdhsa_user_sgpr_kernarg_segment_ptr 1
		.amdhsa_user_sgpr_dispatch_id 0
		.amdhsa_user_sgpr_private_segment_size 0
		.amdhsa_wavefront_size32 1
		.amdhsa_uses_dynamic_stack 0
		.amdhsa_enable_private_segment 0
		.amdhsa_system_sgpr_workgroup_id_x 1
		.amdhsa_system_sgpr_workgroup_id_y 1
		.amdhsa_system_sgpr_workgroup_id_z 1
		.amdhsa_system_sgpr_workgroup_info 0
		.amdhsa_system_vgpr_workitem_id 1
		.amdhsa_next_free_vgpr 36
		.amdhsa_next_free_sgpr 31
		.amdhsa_reserve_vcc 1
		.amdhsa_float_round_mode_32 0
		.amdhsa_float_round_mode_16_64 0
		.amdhsa_float_denorm_mode_32 3
		.amdhsa_float_denorm_mode_16_64 3
		.amdhsa_fp16_overflow 0
		.amdhsa_workgroup_processor_mode 1
		.amdhsa_memory_ordered 1
		.amdhsa_forward_progress 1
		.amdhsa_inst_pref_size 54
		.amdhsa_round_robin_scheduling 0
		.amdhsa_exception_fp_ieee_invalid_op 0
		.amdhsa_exception_fp_denorm_src 0
		.amdhsa_exception_fp_ieee_div_zero 0
		.amdhsa_exception_fp_ieee_overflow 0
		.amdhsa_exception_fp_ieee_underflow 0
		.amdhsa_exception_fp_ieee_inexact 0
		.amdhsa_exception_int_div_zero 0
	.end_amdhsa_kernel
	.section	.text._ZN2at6native20bitonicSortKVInPlaceILin1ELin1ELi16ELi16EblNS0_4LTOpIbLb1EEEmEEvNS_4cuda6detail10TensorInfoIT3_T6_EES8_S8_S8_NS6_IT4_S8_EES8_T5_,"axG",@progbits,_ZN2at6native20bitonicSortKVInPlaceILin1ELin1ELi16ELi16EblNS0_4LTOpIbLb1EEEmEEvNS_4cuda6detail10TensorInfoIT3_T6_EES8_S8_S8_NS6_IT4_S8_EES8_T5_,comdat
.Lfunc_end78:
	.size	_ZN2at6native20bitonicSortKVInPlaceILin1ELin1ELi16ELi16EblNS0_4LTOpIbLb1EEEmEEvNS_4cuda6detail10TensorInfoIT3_T6_EES8_S8_S8_NS6_IT4_S8_EES8_T5_, .Lfunc_end78-_ZN2at6native20bitonicSortKVInPlaceILin1ELin1ELi16ELi16EblNS0_4LTOpIbLb1EEEmEEvNS_4cuda6detail10TensorInfoIT3_T6_EES8_S8_S8_NS6_IT4_S8_EES8_T5_
                                        ; -- End function
	.set _ZN2at6native20bitonicSortKVInPlaceILin1ELin1ELi16ELi16EblNS0_4LTOpIbLb1EEEmEEvNS_4cuda6detail10TensorInfoIT3_T6_EES8_S8_S8_NS6_IT4_S8_EES8_T5_.num_vgpr, 36
	.set _ZN2at6native20bitonicSortKVInPlaceILin1ELin1ELi16ELi16EblNS0_4LTOpIbLb1EEEmEEvNS_4cuda6detail10TensorInfoIT3_T6_EES8_S8_S8_NS6_IT4_S8_EES8_T5_.num_agpr, 0
	.set _ZN2at6native20bitonicSortKVInPlaceILin1ELin1ELi16ELi16EblNS0_4LTOpIbLb1EEEmEEvNS_4cuda6detail10TensorInfoIT3_T6_EES8_S8_S8_NS6_IT4_S8_EES8_T5_.numbered_sgpr, 31
	.set _ZN2at6native20bitonicSortKVInPlaceILin1ELin1ELi16ELi16EblNS0_4LTOpIbLb1EEEmEEvNS_4cuda6detail10TensorInfoIT3_T6_EES8_S8_S8_NS6_IT4_S8_EES8_T5_.num_named_barrier, 0
	.set _ZN2at6native20bitonicSortKVInPlaceILin1ELin1ELi16ELi16EblNS0_4LTOpIbLb1EEEmEEvNS_4cuda6detail10TensorInfoIT3_T6_EES8_S8_S8_NS6_IT4_S8_EES8_T5_.private_seg_size, 0
	.set _ZN2at6native20bitonicSortKVInPlaceILin1ELin1ELi16ELi16EblNS0_4LTOpIbLb1EEEmEEvNS_4cuda6detail10TensorInfoIT3_T6_EES8_S8_S8_NS6_IT4_S8_EES8_T5_.uses_vcc, 1
	.set _ZN2at6native20bitonicSortKVInPlaceILin1ELin1ELi16ELi16EblNS0_4LTOpIbLb1EEEmEEvNS_4cuda6detail10TensorInfoIT3_T6_EES8_S8_S8_NS6_IT4_S8_EES8_T5_.uses_flat_scratch, 0
	.set _ZN2at6native20bitonicSortKVInPlaceILin1ELin1ELi16ELi16EblNS0_4LTOpIbLb1EEEmEEvNS_4cuda6detail10TensorInfoIT3_T6_EES8_S8_S8_NS6_IT4_S8_EES8_T5_.has_dyn_sized_stack, 0
	.set _ZN2at6native20bitonicSortKVInPlaceILin1ELin1ELi16ELi16EblNS0_4LTOpIbLb1EEEmEEvNS_4cuda6detail10TensorInfoIT3_T6_EES8_S8_S8_NS6_IT4_S8_EES8_T5_.has_recursion, 0
	.set _ZN2at6native20bitonicSortKVInPlaceILin1ELin1ELi16ELi16EblNS0_4LTOpIbLb1EEEmEEvNS_4cuda6detail10TensorInfoIT3_T6_EES8_S8_S8_NS6_IT4_S8_EES8_T5_.has_indirect_call, 0
	.section	.AMDGPU.csdata,"",@progbits
; Kernel info:
; codeLenInByte = 6912
; TotalNumSgprs: 33
; NumVgprs: 36
; ScratchSize: 0
; MemoryBound: 0
; FloatMode: 240
; IeeeMode: 1
; LDSByteSize: 5120 bytes/workgroup (compile time only)
; SGPRBlocks: 0
; VGPRBlocks: 4
; NumSGPRsForWavesPerEU: 33
; NumVGPRsForWavesPerEU: 36
; Occupancy: 16
; WaveLimiterHint : 1
; COMPUTE_PGM_RSRC2:SCRATCH_EN: 0
; COMPUTE_PGM_RSRC2:USER_SGPR: 2
; COMPUTE_PGM_RSRC2:TRAP_HANDLER: 0
; COMPUTE_PGM_RSRC2:TGID_X_EN: 1
; COMPUTE_PGM_RSRC2:TGID_Y_EN: 1
; COMPUTE_PGM_RSRC2:TGID_Z_EN: 1
; COMPUTE_PGM_RSRC2:TIDIG_COMP_CNT: 1
	.section	.text._ZN2at6native20bitonicSortKVInPlaceILin1ELin1ELi16ELi16EblNS0_4GTOpIbLb1EEEmEEvNS_4cuda6detail10TensorInfoIT3_T6_EES8_S8_S8_NS6_IT4_S8_EES8_T5_,"axG",@progbits,_ZN2at6native20bitonicSortKVInPlaceILin1ELin1ELi16ELi16EblNS0_4GTOpIbLb1EEEmEEvNS_4cuda6detail10TensorInfoIT3_T6_EES8_S8_S8_NS6_IT4_S8_EES8_T5_,comdat
	.protected	_ZN2at6native20bitonicSortKVInPlaceILin1ELin1ELi16ELi16EblNS0_4GTOpIbLb1EEEmEEvNS_4cuda6detail10TensorInfoIT3_T6_EES8_S8_S8_NS6_IT4_S8_EES8_T5_ ; -- Begin function _ZN2at6native20bitonicSortKVInPlaceILin1ELin1ELi16ELi16EblNS0_4GTOpIbLb1EEEmEEvNS_4cuda6detail10TensorInfoIT3_T6_EES8_S8_S8_NS6_IT4_S8_EES8_T5_
	.globl	_ZN2at6native20bitonicSortKVInPlaceILin1ELin1ELi16ELi16EblNS0_4GTOpIbLb1EEEmEEvNS_4cuda6detail10TensorInfoIT3_T6_EES8_S8_S8_NS6_IT4_S8_EES8_T5_
	.p2align	8
	.type	_ZN2at6native20bitonicSortKVInPlaceILin1ELin1ELi16ELi16EblNS0_4GTOpIbLb1EEEmEEvNS_4cuda6detail10TensorInfoIT3_T6_EES8_S8_S8_NS6_IT4_S8_EES8_T5_,@function
_ZN2at6native20bitonicSortKVInPlaceILin1ELin1ELi16ELi16EblNS0_4GTOpIbLb1EEEmEEvNS_4cuda6detail10TensorInfoIT3_T6_EES8_S8_S8_NS6_IT4_S8_EES8_T5_: ; @_ZN2at6native20bitonicSortKVInPlaceILin1ELin1ELi16ELi16EblNS0_4GTOpIbLb1EEEmEEvNS_4cuda6detail10TensorInfoIT3_T6_EES8_S8_S8_NS6_IT4_S8_EES8_T5_
; %bb.0:
	v_mov_b32_e32 v1, 0
	s_lshr_b32 s8, ttmp7, 16
	s_and_b32 s9, ttmp7, 0xffff
	global_load_u16 v1, v1, s[0:1] offset:886
	s_clause 0x1
	s_load_b64 s[2:3], s[0:1], 0x368
	s_load_b128 s[4:7], s[0:1], 0x1a0
	s_wait_kmcnt 0x0
	s_mul_i32 s3, s3, s8
	s_delay_alu instid0(SALU_CYCLE_1) | instskip(NEXT) | instid1(SALU_CYCLE_1)
	s_add_co_i32 s3, s3, s9
	s_mul_i32 s2, s3, s2
	s_delay_alu instid0(SALU_CYCLE_1) | instskip(SKIP_2) | instid1(VALU_DEP_1)
	s_add_co_i32 s2, s2, ttmp9
	s_wait_loadcnt 0x0
	v_and_b32_e32 v1, 0xffff, v1
	v_mul_hi_u32 v2, v1, s2
	v_mul_lo_u32 v1, v1, s2
	s_delay_alu instid0(VALU_DEP_1)
	v_cmp_le_u64_e32 vcc_lo, s[4:5], v[1:2]
	s_cbranch_vccnz .LBB79_56
; %bb.1:
	s_clause 0x1
	s_load_b32 s10, s[0:1], 0x198
	s_load_b64 s[8:9], s[0:1], 0x1b0
	v_bfe_u32 v16, v0, 10, 10
	s_delay_alu instid0(VALU_DEP_1) | instskip(NEXT) | instid1(VALU_DEP_1)
	v_add_co_u32 v4, vcc_lo, v1, v16
	v_add_co_ci_u32_e64 v5, null, 0, v2, vcc_lo
	v_mov_b32_e32 v2, 0
	v_mov_b32_e32 v3, 0
	s_delay_alu instid0(VALU_DEP_3)
	v_dual_mov_b32 v7, v5 :: v_dual_mov_b32 v6, v4
	s_wait_kmcnt 0x0
	s_cmp_lt_i32 s10, 2
	s_cbranch_scc1 .LBB79_9
; %bb.2:
	s_add_co_i32 s2, s10, -1
	s_mov_b32 s3, 0
	v_dual_mov_b32 v2, 0 :: v_dual_mov_b32 v11, v5
	s_wait_alu 0xfffe
	s_lshl_b64 s[12:13], s[2:3], 3
	v_dual_mov_b32 v3, 0 :: v_dual_mov_b32 v8, 0
	v_mov_b32_e32 v10, v4
	s_add_nc_u64 s[12:13], s[0:1], s[12:13]
	s_add_co_i32 s14, s10, 1
	s_add_nc_u64 s[10:11], s[12:13], 8
.LBB79_3:                               ; =>This Inner Loop Header: Depth=1
	s_load_b64 s[12:13], s[10:11], 0x0
                                        ; implicit-def: $vgpr6_vgpr7
	s_mov_b32 s2, exec_lo
	s_wait_kmcnt 0x0
	v_or_b32_e32 v9, s13, v11
	s_delay_alu instid0(VALU_DEP_1)
	v_cmpx_ne_u64_e32 0, v[8:9]
	s_wait_alu 0xfffe
	s_xor_b32 s15, exec_lo, s2
	s_cbranch_execz .LBB79_5
; %bb.4:                                ;   in Loop: Header=BB79_3 Depth=1
	s_cvt_f32_u32 s2, s12
	s_cvt_f32_u32 s16, s13
	s_sub_nc_u64 s[18:19], 0, s[12:13]
	s_wait_alu 0xfffe
	s_delay_alu instid0(SALU_CYCLE_1) | instskip(SKIP_1) | instid1(SALU_CYCLE_2)
	s_fmamk_f32 s2, s16, 0x4f800000, s2
	s_wait_alu 0xfffe
	v_s_rcp_f32 s2, s2
	s_delay_alu instid0(TRANS32_DEP_1) | instskip(SKIP_1) | instid1(SALU_CYCLE_2)
	s_mul_f32 s2, s2, 0x5f7ffffc
	s_wait_alu 0xfffe
	s_mul_f32 s16, s2, 0x2f800000
	s_wait_alu 0xfffe
	s_delay_alu instid0(SALU_CYCLE_2) | instskip(SKIP_1) | instid1(SALU_CYCLE_2)
	s_trunc_f32 s16, s16
	s_wait_alu 0xfffe
	s_fmamk_f32 s2, s16, 0xcf800000, s2
	s_cvt_u32_f32 s17, s16
	s_wait_alu 0xfffe
	s_delay_alu instid0(SALU_CYCLE_1) | instskip(SKIP_1) | instid1(SALU_CYCLE_2)
	s_cvt_u32_f32 s16, s2
	s_wait_alu 0xfffe
	s_mul_u64 s[20:21], s[18:19], s[16:17]
	s_delay_alu instid0(SALU_CYCLE_1)
	s_mul_hi_u32 s23, s16, s21
	s_mul_i32 s22, s16, s21
	s_mul_hi_u32 s2, s16, s20
	s_mul_i32 s25, s17, s20
	s_wait_alu 0xfffe
	s_add_nc_u64 s[22:23], s[2:3], s[22:23]
	s_mul_hi_u32 s24, s17, s20
	s_mul_hi_u32 s26, s17, s21
	s_add_co_u32 s2, s22, s25
	s_add_co_ci_u32 s2, s23, s24
	s_mul_i32 s20, s17, s21
	s_add_co_ci_u32 s21, s26, 0
	s_wait_alu 0xfffe
	s_add_nc_u64 s[20:21], s[2:3], s[20:21]
	s_delay_alu instid0(SALU_CYCLE_1)
	s_add_co_u32 s16, s16, s20
	s_cselect_b32 s2, -1, 0
	s_wait_alu 0xfffe
	s_cmp_lg_u32 s2, 0
	s_add_co_ci_u32 s17, s17, s21
	s_wait_alu 0xfffe
	s_mul_u64 s[18:19], s[18:19], s[16:17]
	s_delay_alu instid0(SALU_CYCLE_1)
	s_mul_hi_u32 s21, s16, s19
	s_mul_i32 s20, s16, s19
	s_mul_hi_u32 s2, s16, s18
	s_mul_i32 s23, s17, s18
	s_wait_alu 0xfffe
	s_add_nc_u64 s[20:21], s[2:3], s[20:21]
	s_mul_hi_u32 s22, s17, s18
	s_mul_hi_u32 s24, s17, s19
	s_add_co_u32 s2, s20, s23
	s_add_co_ci_u32 s2, s21, s22
	s_mul_i32 s18, s17, s19
	s_add_co_ci_u32 s19, s24, 0
	s_wait_alu 0xfffe
	s_add_nc_u64 s[18:19], s[2:3], s[18:19]
	s_delay_alu instid0(SALU_CYCLE_1)
	s_add_co_u32 s2, s16, s18
	s_cselect_b32 s16, -1, 0
	s_wait_alu 0xfffe
	v_mul_hi_u32 v1, v10, s2
	s_cmp_lg_u32 s16, 0
	v_mad_co_u64_u32 v[12:13], null, v11, s2, 0
	s_add_co_ci_u32 s16, s17, s19
	s_wait_alu 0xfffe
	v_mad_co_u64_u32 v[6:7], null, v10, s16, 0
	v_mad_co_u64_u32 v[14:15], null, v11, s16, 0
	s_delay_alu instid0(VALU_DEP_2) | instskip(SKIP_1) | instid1(VALU_DEP_3)
	v_add_co_u32 v1, vcc_lo, v1, v6
	s_wait_alu 0xfffd
	v_add_co_ci_u32_e64 v6, null, 0, v7, vcc_lo
	s_delay_alu instid0(VALU_DEP_2) | instskip(SKIP_1) | instid1(VALU_DEP_2)
	v_add_co_u32 v1, vcc_lo, v1, v12
	s_wait_alu 0xfffd
	v_add_co_ci_u32_e32 v1, vcc_lo, v6, v13, vcc_lo
	s_wait_alu 0xfffd
	v_add_co_ci_u32_e32 v6, vcc_lo, 0, v15, vcc_lo
	s_delay_alu instid0(VALU_DEP_2) | instskip(SKIP_1) | instid1(VALU_DEP_2)
	v_add_co_u32 v1, vcc_lo, v1, v14
	s_wait_alu 0xfffd
	v_add_co_ci_u32_e64 v9, null, 0, v6, vcc_lo
	s_delay_alu instid0(VALU_DEP_2) | instskip(SKIP_1) | instid1(VALU_DEP_3)
	v_mul_lo_u32 v12, s13, v1
	v_mad_co_u64_u32 v[6:7], null, s12, v1, 0
	v_mul_lo_u32 v13, s12, v9
	s_delay_alu instid0(VALU_DEP_2) | instskip(NEXT) | instid1(VALU_DEP_2)
	v_sub_co_u32 v6, vcc_lo, v10, v6
	v_add3_u32 v7, v7, v13, v12
	v_add_co_u32 v13, s2, v1, 2
	s_wait_alu 0xf1ff
	v_add_co_ci_u32_e64 v14, null, 0, v9, s2
	s_delay_alu instid0(VALU_DEP_3) | instskip(SKIP_3) | instid1(VALU_DEP_3)
	v_sub_nc_u32_e32 v12, v11, v7
	v_sub_co_u32 v15, s2, v6, s12
	s_wait_alu 0xfffd
	v_sub_co_ci_u32_e64 v7, null, v11, v7, vcc_lo
	v_subrev_co_ci_u32_e64 v12, null, s13, v12, vcc_lo
	s_delay_alu instid0(VALU_DEP_3) | instskip(SKIP_1) | instid1(VALU_DEP_2)
	v_cmp_le_u32_e32 vcc_lo, s12, v15
	s_wait_alu 0xf1ff
	v_subrev_co_ci_u32_e64 v12, null, 0, v12, s2
	s_wait_alu 0xfffd
	v_cndmask_b32_e64 v15, 0, -1, vcc_lo
	v_cmp_eq_u32_e64 s2, s13, v7
	s_delay_alu instid0(VALU_DEP_3)
	v_cmp_le_u32_e32 vcc_lo, s13, v12
	s_wait_alu 0xfffd
	v_cndmask_b32_e64 v17, 0, -1, vcc_lo
	v_cmp_le_u32_e32 vcc_lo, s12, v6
	s_wait_alu 0xfffd
	v_cndmask_b32_e64 v6, 0, -1, vcc_lo
	;; [unrolled: 3-line block ×3, first 2 shown]
	v_cmp_eq_u32_e32 vcc_lo, s13, v12
	s_wait_alu 0xf1ff
	s_delay_alu instid0(VALU_DEP_2)
	v_cndmask_b32_e64 v6, v18, v6, s2
	s_wait_alu 0xfffd
	v_cndmask_b32_e32 v12, v17, v15, vcc_lo
	v_add_co_u32 v15, vcc_lo, v1, 1
	s_wait_alu 0xfffd
	v_add_co_ci_u32_e64 v17, null, 0, v9, vcc_lo
	s_delay_alu instid0(VALU_DEP_3) | instskip(SKIP_1) | instid1(VALU_DEP_2)
	v_cmp_ne_u32_e32 vcc_lo, 0, v12
	s_wait_alu 0xfffd
	v_dual_cndmask_b32 v7, v17, v14 :: v_dual_cndmask_b32 v12, v15, v13
	v_cmp_ne_u32_e32 vcc_lo, 0, v6
	s_wait_alu 0xfffd
	s_delay_alu instid0(VALU_DEP_2) | instskip(NEXT) | instid1(VALU_DEP_3)
	v_cndmask_b32_e32 v7, v9, v7, vcc_lo
	v_cndmask_b32_e32 v6, v1, v12, vcc_lo
.LBB79_5:                               ;   in Loop: Header=BB79_3 Depth=1
	s_wait_alu 0xfffe
	s_and_not1_saveexec_b32 s2, s15
	s_cbranch_execz .LBB79_7
; %bb.6:                                ;   in Loop: Header=BB79_3 Depth=1
	v_cvt_f32_u32_e32 v1, s12
	s_sub_co_i32 s15, 0, s12
	s_delay_alu instid0(VALU_DEP_1) | instskip(NEXT) | instid1(TRANS32_DEP_1)
	v_rcp_iflag_f32_e32 v1, v1
	v_mul_f32_e32 v1, 0x4f7ffffe, v1
	s_delay_alu instid0(VALU_DEP_1) | instskip(SKIP_1) | instid1(VALU_DEP_1)
	v_cvt_u32_f32_e32 v1, v1
	s_wait_alu 0xfffe
	v_mul_lo_u32 v6, s15, v1
	s_delay_alu instid0(VALU_DEP_1) | instskip(NEXT) | instid1(VALU_DEP_1)
	v_mul_hi_u32 v6, v1, v6
	v_add_nc_u32_e32 v1, v1, v6
	s_delay_alu instid0(VALU_DEP_1) | instskip(NEXT) | instid1(VALU_DEP_1)
	v_mul_hi_u32 v1, v10, v1
	v_mul_lo_u32 v6, v1, s12
	v_add_nc_u32_e32 v7, 1, v1
	s_delay_alu instid0(VALU_DEP_2) | instskip(NEXT) | instid1(VALU_DEP_1)
	v_sub_nc_u32_e32 v6, v10, v6
	v_subrev_nc_u32_e32 v9, s12, v6
	v_cmp_le_u32_e32 vcc_lo, s12, v6
	s_wait_alu 0xfffd
	s_delay_alu instid0(VALU_DEP_2) | instskip(NEXT) | instid1(VALU_DEP_1)
	v_dual_cndmask_b32 v6, v6, v9 :: v_dual_cndmask_b32 v1, v1, v7
	v_cmp_le_u32_e32 vcc_lo, s12, v6
	s_delay_alu instid0(VALU_DEP_2) | instskip(SKIP_1) | instid1(VALU_DEP_1)
	v_add_nc_u32_e32 v7, 1, v1
	s_wait_alu 0xfffd
	v_dual_cndmask_b32 v6, v1, v7 :: v_dual_mov_b32 v7, v8
.LBB79_7:                               ;   in Loop: Header=BB79_3 Depth=1
	s_wait_alu 0xfffe
	s_or_b32 exec_lo, exec_lo, s2
	s_load_b64 s[16:17], s[10:11], 0xc8
	s_delay_alu instid0(VALU_DEP_1)
	v_mul_lo_u32 v1, v7, s12
	v_mul_lo_u32 v9, v6, s13
	v_mad_co_u64_u32 v[12:13], null, v6, s12, 0
	s_add_co_i32 s14, s14, -1
	s_add_nc_u64 s[10:11], s[10:11], -8
	s_wait_alu 0xfffe
	s_cmp_gt_u32 s14, 2
	v_add3_u32 v1, v13, v9, v1
	v_sub_co_u32 v9, vcc_lo, v10, v12
	s_wait_alu 0xfffd
	s_delay_alu instid0(VALU_DEP_2) | instskip(SKIP_1) | instid1(VALU_DEP_2)
	v_sub_co_ci_u32_e64 v1, null, v11, v1, vcc_lo
	s_wait_kmcnt 0x0
	v_mul_lo_u32 v10, s17, v9
	s_delay_alu instid0(VALU_DEP_2) | instskip(SKIP_1) | instid1(VALU_DEP_1)
	v_mul_lo_u32 v1, s16, v1
	v_mad_co_u64_u32 v[2:3], null, s16, v9, v[2:3]
	v_add3_u32 v3, v10, v3, v1
	s_cbranch_scc0 .LBB79_9
; %bb.8:                                ;   in Loop: Header=BB79_3 Depth=1
	v_dual_mov_b32 v11, v7 :: v_dual_mov_b32 v10, v6
	s_branch .LBB79_3
.LBB79_9:
	s_clause 0x1
	s_load_b32 s10, s[0:1], 0x350
	s_load_b64 s[12:13], s[0:1], 0xd0
	v_dual_mov_b32 v8, 0 :: v_dual_mov_b32 v15, v5
	v_dual_mov_b32 v9, 0 :: v_dual_mov_b32 v14, v4
	s_add_nc_u64 s[14:15], s[0:1], 0x368
	s_wait_kmcnt 0x0
	s_cmp_lt_i32 s10, 2
	s_cbranch_scc1 .LBB79_17
; %bb.10:
	s_add_co_i32 s2, s10, -1
	s_mov_b32 s3, 0
	v_dual_mov_b32 v8, 0 :: v_dual_mov_b32 v13, v5
	s_wait_alu 0xfffe
	s_lshl_b64 s[16:17], s[2:3], 3
	v_dual_mov_b32 v9, 0 :: v_dual_mov_b32 v10, 0
	v_mov_b32_e32 v12, v4
	s_wait_alu 0xfffe
	s_add_nc_u64 s[16:17], s[0:1], s[16:17]
	s_add_co_i32 s18, s10, 1
	s_wait_alu 0xfffe
	s_add_nc_u64 s[10:11], s[16:17], 0x1c0
.LBB79_11:                              ; =>This Inner Loop Header: Depth=1
	s_load_b64 s[16:17], s[10:11], 0x0
                                        ; implicit-def: $vgpr14_vgpr15
	s_mov_b32 s2, exec_lo
	s_wait_kmcnt 0x0
	v_or_b32_e32 v11, s17, v13
	s_delay_alu instid0(VALU_DEP_1)
	v_cmpx_ne_u64_e32 0, v[10:11]
	s_wait_alu 0xfffe
	s_xor_b32 s19, exec_lo, s2
	s_cbranch_execz .LBB79_13
; %bb.12:                               ;   in Loop: Header=BB79_11 Depth=1
	s_cvt_f32_u32 s2, s16
	s_cvt_f32_u32 s20, s17
	s_sub_nc_u64 s[22:23], 0, s[16:17]
	s_wait_alu 0xfffe
	s_delay_alu instid0(SALU_CYCLE_1) | instskip(SKIP_1) | instid1(SALU_CYCLE_2)
	s_fmamk_f32 s2, s20, 0x4f800000, s2
	s_wait_alu 0xfffe
	v_s_rcp_f32 s2, s2
	s_delay_alu instid0(TRANS32_DEP_1) | instskip(SKIP_1) | instid1(SALU_CYCLE_2)
	s_mul_f32 s2, s2, 0x5f7ffffc
	s_wait_alu 0xfffe
	s_mul_f32 s20, s2, 0x2f800000
	s_wait_alu 0xfffe
	s_delay_alu instid0(SALU_CYCLE_2) | instskip(SKIP_1) | instid1(SALU_CYCLE_2)
	s_trunc_f32 s20, s20
	s_wait_alu 0xfffe
	s_fmamk_f32 s2, s20, 0xcf800000, s2
	s_cvt_u32_f32 s21, s20
	s_wait_alu 0xfffe
	s_delay_alu instid0(SALU_CYCLE_1) | instskip(SKIP_1) | instid1(SALU_CYCLE_2)
	s_cvt_u32_f32 s20, s2
	s_wait_alu 0xfffe
	s_mul_u64 s[24:25], s[22:23], s[20:21]
	s_delay_alu instid0(SALU_CYCLE_1)
	s_mul_hi_u32 s27, s20, s25
	s_mul_i32 s26, s20, s25
	s_mul_hi_u32 s2, s20, s24
	s_mul_i32 s29, s21, s24
	s_wait_alu 0xfffe
	s_add_nc_u64 s[26:27], s[2:3], s[26:27]
	s_mul_hi_u32 s28, s21, s24
	s_mul_hi_u32 s30, s21, s25
	s_add_co_u32 s2, s26, s29
	s_add_co_ci_u32 s2, s27, s28
	s_mul_i32 s24, s21, s25
	s_add_co_ci_u32 s25, s30, 0
	s_wait_alu 0xfffe
	s_add_nc_u64 s[24:25], s[2:3], s[24:25]
	s_delay_alu instid0(SALU_CYCLE_1)
	s_add_co_u32 s20, s20, s24
	s_cselect_b32 s2, -1, 0
	s_wait_alu 0xfffe
	s_cmp_lg_u32 s2, 0
	s_add_co_ci_u32 s21, s21, s25
	s_wait_alu 0xfffe
	s_mul_u64 s[22:23], s[22:23], s[20:21]
	s_delay_alu instid0(SALU_CYCLE_1)
	s_mul_hi_u32 s25, s20, s23
	s_mul_i32 s24, s20, s23
	s_mul_hi_u32 s2, s20, s22
	s_mul_i32 s27, s21, s22
	s_wait_alu 0xfffe
	s_add_nc_u64 s[24:25], s[2:3], s[24:25]
	s_mul_hi_u32 s26, s21, s22
	s_mul_hi_u32 s28, s21, s23
	s_add_co_u32 s2, s24, s27
	s_add_co_ci_u32 s2, s25, s26
	s_mul_i32 s22, s21, s23
	s_add_co_ci_u32 s23, s28, 0
	s_wait_alu 0xfffe
	s_add_nc_u64 s[22:23], s[2:3], s[22:23]
	s_delay_alu instid0(SALU_CYCLE_1)
	s_add_co_u32 s2, s20, s22
	s_cselect_b32 s20, -1, 0
	s_wait_alu 0xfffe
	v_mul_hi_u32 v1, v12, s2
	s_cmp_lg_u32 s20, 0
	v_mad_co_u64_u32 v[17:18], null, v13, s2, 0
	s_add_co_ci_u32 s20, s21, s23
	s_wait_alu 0xfffe
	v_mad_co_u64_u32 v[14:15], null, v12, s20, 0
	v_mad_co_u64_u32 v[19:20], null, v13, s20, 0
	s_delay_alu instid0(VALU_DEP_2) | instskip(SKIP_1) | instid1(VALU_DEP_3)
	v_add_co_u32 v1, vcc_lo, v1, v14
	s_wait_alu 0xfffd
	v_add_co_ci_u32_e64 v11, null, 0, v15, vcc_lo
	s_delay_alu instid0(VALU_DEP_2) | instskip(SKIP_1) | instid1(VALU_DEP_2)
	v_add_co_u32 v1, vcc_lo, v1, v17
	s_wait_alu 0xfffd
	v_add_co_ci_u32_e32 v1, vcc_lo, v11, v18, vcc_lo
	s_wait_alu 0xfffd
	v_add_co_ci_u32_e32 v11, vcc_lo, 0, v20, vcc_lo
	s_delay_alu instid0(VALU_DEP_2) | instskip(SKIP_1) | instid1(VALU_DEP_2)
	v_add_co_u32 v1, vcc_lo, v1, v19
	s_wait_alu 0xfffd
	v_add_co_ci_u32_e64 v11, null, 0, v11, vcc_lo
	s_delay_alu instid0(VALU_DEP_2) | instskip(SKIP_1) | instid1(VALU_DEP_3)
	v_mul_lo_u32 v17, s17, v1
	v_mad_co_u64_u32 v[14:15], null, s16, v1, 0
	v_mul_lo_u32 v18, s16, v11
	s_delay_alu instid0(VALU_DEP_2) | instskip(NEXT) | instid1(VALU_DEP_2)
	v_sub_co_u32 v14, vcc_lo, v12, v14
	v_add3_u32 v15, v15, v18, v17
	v_add_co_u32 v18, s2, v1, 2
	s_wait_alu 0xf1ff
	v_add_co_ci_u32_e64 v19, null, 0, v11, s2
	s_delay_alu instid0(VALU_DEP_3) | instskip(SKIP_3) | instid1(VALU_DEP_3)
	v_sub_nc_u32_e32 v17, v13, v15
	v_sub_co_u32 v20, s2, v14, s16
	s_wait_alu 0xfffd
	v_sub_co_ci_u32_e64 v15, null, v13, v15, vcc_lo
	v_subrev_co_ci_u32_e64 v17, null, s17, v17, vcc_lo
	s_delay_alu instid0(VALU_DEP_3) | instskip(SKIP_1) | instid1(VALU_DEP_2)
	v_cmp_le_u32_e32 vcc_lo, s16, v20
	s_wait_alu 0xf1ff
	v_subrev_co_ci_u32_e64 v17, null, 0, v17, s2
	s_wait_alu 0xfffd
	v_cndmask_b32_e64 v20, 0, -1, vcc_lo
	v_cmp_eq_u32_e64 s2, s17, v15
	s_delay_alu instid0(VALU_DEP_3)
	v_cmp_le_u32_e32 vcc_lo, s17, v17
	s_wait_alu 0xfffd
	v_cndmask_b32_e64 v21, 0, -1, vcc_lo
	v_cmp_le_u32_e32 vcc_lo, s16, v14
	s_wait_alu 0xfffd
	v_cndmask_b32_e64 v14, 0, -1, vcc_lo
	;; [unrolled: 3-line block ×3, first 2 shown]
	v_cmp_eq_u32_e32 vcc_lo, s17, v17
	s_wait_alu 0xf1ff
	s_delay_alu instid0(VALU_DEP_2)
	v_cndmask_b32_e64 v14, v22, v14, s2
	s_wait_alu 0xfffd
	v_cndmask_b32_e32 v17, v21, v20, vcc_lo
	v_add_co_u32 v20, vcc_lo, v1, 1
	s_wait_alu 0xfffd
	v_add_co_ci_u32_e64 v21, null, 0, v11, vcc_lo
	s_delay_alu instid0(VALU_DEP_3) | instskip(SKIP_1) | instid1(VALU_DEP_2)
	v_cmp_ne_u32_e32 vcc_lo, 0, v17
	s_wait_alu 0xfffd
	v_cndmask_b32_e32 v15, v21, v19, vcc_lo
	v_cndmask_b32_e32 v17, v20, v18, vcc_lo
	v_cmp_ne_u32_e32 vcc_lo, 0, v14
	s_wait_alu 0xfffd
	s_delay_alu instid0(VALU_DEP_2)
	v_dual_cndmask_b32 v15, v11, v15 :: v_dual_cndmask_b32 v14, v1, v17
.LBB79_13:                              ;   in Loop: Header=BB79_11 Depth=1
	s_wait_alu 0xfffe
	s_and_not1_saveexec_b32 s2, s19
	s_cbranch_execz .LBB79_15
; %bb.14:                               ;   in Loop: Header=BB79_11 Depth=1
	v_cvt_f32_u32_e32 v1, s16
	s_sub_co_i32 s19, 0, s16
	s_delay_alu instid0(VALU_DEP_1) | instskip(NEXT) | instid1(TRANS32_DEP_1)
	v_rcp_iflag_f32_e32 v1, v1
	v_mul_f32_e32 v1, 0x4f7ffffe, v1
	s_delay_alu instid0(VALU_DEP_1) | instskip(SKIP_1) | instid1(VALU_DEP_1)
	v_cvt_u32_f32_e32 v1, v1
	s_wait_alu 0xfffe
	v_mul_lo_u32 v11, s19, v1
	s_delay_alu instid0(VALU_DEP_1) | instskip(NEXT) | instid1(VALU_DEP_1)
	v_mul_hi_u32 v11, v1, v11
	v_add_nc_u32_e32 v1, v1, v11
	s_delay_alu instid0(VALU_DEP_1) | instskip(NEXT) | instid1(VALU_DEP_1)
	v_mul_hi_u32 v1, v12, v1
	v_mul_lo_u32 v11, v1, s16
	s_delay_alu instid0(VALU_DEP_1) | instskip(NEXT) | instid1(VALU_DEP_1)
	v_sub_nc_u32_e32 v11, v12, v11
	v_subrev_nc_u32_e32 v15, s16, v11
	v_cmp_le_u32_e32 vcc_lo, s16, v11
	s_wait_alu 0xfffd
	s_delay_alu instid0(VALU_DEP_2) | instskip(NEXT) | instid1(VALU_DEP_1)
	v_dual_cndmask_b32 v11, v11, v15 :: v_dual_add_nc_u32 v14, 1, v1
	v_cndmask_b32_e32 v1, v1, v14, vcc_lo
	v_mov_b32_e32 v15, v10
	s_delay_alu instid0(VALU_DEP_3) | instskip(NEXT) | instid1(VALU_DEP_3)
	v_cmp_le_u32_e32 vcc_lo, s16, v11
	v_add_nc_u32_e32 v14, 1, v1
	s_wait_alu 0xfffd
	s_delay_alu instid0(VALU_DEP_1)
	v_cndmask_b32_e32 v14, v1, v14, vcc_lo
.LBB79_15:                              ;   in Loop: Header=BB79_11 Depth=1
	s_wait_alu 0xfffe
	s_or_b32 exec_lo, exec_lo, s2
	s_load_b64 s[20:21], s[10:11], 0xc8
	v_mul_lo_u32 v1, v15, s16
	v_mul_lo_u32 v11, v14, s17
	v_mad_co_u64_u32 v[17:18], null, v14, s16, 0
	s_add_co_i32 s18, s18, -1
	s_add_nc_u64 s[10:11], s[10:11], -8
	s_wait_alu 0xfffe
	s_cmp_gt_u32 s18, 2
	v_add3_u32 v1, v18, v11, v1
	v_sub_co_u32 v11, vcc_lo, v12, v17
	s_wait_alu 0xfffd
	s_delay_alu instid0(VALU_DEP_2) | instskip(SKIP_1) | instid1(VALU_DEP_2)
	v_sub_co_ci_u32_e64 v1, null, v13, v1, vcc_lo
	s_wait_kmcnt 0x0
	v_mul_lo_u32 v12, s21, v11
	s_delay_alu instid0(VALU_DEP_2) | instskip(SKIP_1) | instid1(VALU_DEP_1)
	v_mul_lo_u32 v1, s20, v1
	v_mad_co_u64_u32 v[8:9], null, s20, v11, v[8:9]
	v_add3_u32 v9, v12, v9, v1
	s_cbranch_scc0 .LBB79_17
; %bb.16:                               ;   in Loop: Header=BB79_11 Depth=1
	v_dual_mov_b32 v12, v14 :: v_dual_mov_b32 v13, v15
	s_branch .LBB79_11
.LBB79_17:
	s_clause 0x2
	s_load_b64 s[2:3], s[0:1], 0x288
	s_load_b64 s[16:17], s[0:1], 0x0
	;; [unrolled: 1-line block ×3, first 2 shown]
	v_mov_b32_e32 v1, 0
	s_load_b64 s[10:11], s[0:1], 0x358
	v_mul_lo_u32 v17, s12, v7
	v_mul_lo_u32 v18, s13, v6
	v_cmp_gt_u64_e32 vcc_lo, s[4:5], v[4:5]
	v_dual_mov_b32 v5, v1 :: v_dual_and_b32 v4, 0x3ff, v0
	s_wait_kmcnt 0x0
	v_mul_lo_u32 v12, s3, v14
	v_mul_lo_u32 v13, s2, v15
	v_mad_co_u64_u32 v[10:11], null, s2, v14, 0
	s_load_b32 s2, s[14:15], 0xc
	v_lshlrev_b64_e32 v[14:15], 3, v[8:9]
	v_mov_b32_e32 v8, 0
	v_mov_b32_e32 v9, 0
	v_add3_u32 v11, v11, v13, v12
	v_mad_co_u64_u32 v[12:13], null, s12, v6, s[16:17]
	v_mov_b32_e32 v6, 0
	v_cmp_gt_u64_e64 s0, s[6:7], v[4:5]
	s_delay_alu instid0(VALU_DEP_4) | instskip(SKIP_3) | instid1(VALU_DEP_3)
	v_lshlrev_b64_e32 v[10:11], 3, v[10:11]
	v_mov_b32_e32 v7, 0
	v_add3_u32 v0, v18, v13, v17
	s_and_b32 s4, vcc_lo, s0
	v_add_co_u32 v5, s1, s18, v10
	s_delay_alu instid0(VALU_DEP_1)
	v_add_co_ci_u32_e64 v10, null, s19, v11, s1
	v_add_co_u32 v2, s1, v12, v2
	s_wait_alu 0xf1ff
	v_add_co_ci_u32_e64 v3, null, v0, v3, s1
	v_add_co_u32 v5, s1, v5, v14
	s_wait_alu 0xf1ff
	v_add_co_ci_u32_e64 v10, null, v10, v15, s1
	v_mov_b32_e32 v14, 0
	s_wait_alu 0xfffe
	s_and_saveexec_b32 s3, s4
	s_cbranch_execz .LBB79_19
; %bb.18:
	v_mad_co_u64_u32 v[8:9], null, s10, v4, 0
	v_mad_co_u64_u32 v[11:12], null, s8, v4, v[2:3]
	s_delay_alu instid0(VALU_DEP_2) | instskip(NEXT) | instid1(VALU_DEP_1)
	v_mov_b32_e32 v0, v9
	v_mad_co_u64_u32 v[13:14], null, s11, v4, v[0:1]
	s_delay_alu instid0(VALU_DEP_1) | instskip(NEXT) | instid1(VALU_DEP_1)
	v_dual_mov_b32 v0, v12 :: v_dual_mov_b32 v9, v13
	v_mad_co_u64_u32 v[12:13], null, s9, v4, v[0:1]
	s_delay_alu instid0(VALU_DEP_2) | instskip(NEXT) | instid1(VALU_DEP_1)
	v_lshlrev_b64_e32 v[8:9], 3, v[8:9]
	v_add_co_u32 v8, s1, v5, v8
	s_wait_alu 0xf1ff
	s_delay_alu instid0(VALU_DEP_2)
	v_add_co_ci_u32_e64 v9, null, v10, v9, s1
	global_load_u8 v14, v[11:12], off
	global_load_b64 v[8:9], v[8:9], off
.LBB79_19:
	s_wait_alu 0xfffe
	s_or_b32 exec_lo, exec_lo, s3
	v_lshlrev_b32_e32 v11, 5, v16
	s_wait_kmcnt 0x0
	s_and_b32 s3, 0xffff, s2
	v_lshlrev_b32_e32 v13, 8, v16
	s_wait_alu 0xfffe
	v_add_nc_u32_e32 v0, s3, v4
	v_cndmask_b32_e64 v16, 0, 1, s4
	v_add_nc_u32_e32 v15, 0x1000, v11
	v_add_nc_u32_e32 v17, 0x1200, v11
	v_lshl_add_u32 v11, v4, 3, v13
	v_cmp_gt_u64_e64 s1, s[6:7], v[0:1]
	s_delay_alu instid0(VALU_DEP_4) | instskip(NEXT) | instid1(VALU_DEP_4)
	v_add_nc_u32_e32 v12, v15, v4
	v_add_nc_u32_e32 v18, v17, v4
	s_wait_loadcnt 0x1
	ds_store_b8 v12, v14
	s_wait_loadcnt 0x0
	ds_store_b64 v11, v[8:9]
	ds_store_b8 v18, v16
	s_and_b32 s4, vcc_lo, s1
	s_wait_alu 0xfffe
	s_and_saveexec_b32 s5, s4
	s_cbranch_execz .LBB79_21
; %bb.20:
	v_mad_co_u64_u32 v[6:7], null, s10, v0, 0
	v_mad_co_u64_u32 v[8:9], null, s8, v0, v[2:3]
	s_delay_alu instid0(VALU_DEP_2) | instskip(NEXT) | instid1(VALU_DEP_1)
	v_mov_b32_e32 v1, v7
	v_mad_co_u64_u32 v[18:19], null, s11, v0, v[1:2]
	s_delay_alu instid0(VALU_DEP_3) | instskip(NEXT) | instid1(VALU_DEP_2)
	v_mov_b32_e32 v1, v9
	v_mov_b32_e32 v7, v18
	s_delay_alu instid0(VALU_DEP_2) | instskip(NEXT) | instid1(VALU_DEP_2)
	v_mad_co_u64_u32 v[18:19], null, s9, v0, v[1:2]
	v_lshlrev_b64_e32 v[6:7], 3, v[6:7]
	s_delay_alu instid0(VALU_DEP_2) | instskip(NEXT) | instid1(VALU_DEP_2)
	v_mov_b32_e32 v9, v18
	v_add_co_u32 v6, s2, v5, v6
	s_wait_alu 0xf1ff
	s_delay_alu instid0(VALU_DEP_3)
	v_add_co_ci_u32_e64 v7, null, v10, v7, s2
	global_load_u8 v1, v[8:9], off
	global_load_b64 v[6:7], v[6:7], off
.LBB79_21:
	s_wait_alu 0xfffe
	s_or_b32 exec_lo, exec_lo, s5
	v_add_nc_u32_e32 v8, v15, v0
	v_lshlrev_b32_e32 v18, 1, v4
	v_lshl_add_u32 v9, s3, 3, v11
	v_cndmask_b32_e64 v14, 0, 1, s4
	v_add_nc_u32_e32 v16, v17, v0
	s_wait_loadcnt 0x1
	ds_store_b8 v8, v1
	s_wait_loadcnt 0x0
	ds_store_b64 v9, v[6:7]
	ds_store_b8 v16, v14
	v_add_nc_u32_e32 v1, v15, v18
	v_add_nc_u32_e32 v6, v17, v18
	s_wait_dscnt 0x0
	s_barrier_signal -1
	s_barrier_wait -1
	global_inv scope:SCOPE_SE
	ds_load_u16 v20, v1
	ds_load_u16 v16, v6
	v_and_b32_e32 v7, 1, v4
	s_wait_dscnt 0x1
	v_and_b32_e32 v19, 0xff, v20
	s_wait_dscnt 0x0
	v_lshrrev_b16 v14, 8, v16
	v_lshrrev_b16 v21, 8, v20
	v_and_b32_e32 v22, 1, v16
	s_delay_alu instid0(VALU_DEP_3) | instskip(NEXT) | instid1(VALU_DEP_3)
	v_cmp_ne_u16_e64 s4, v14, v7
	v_cmp_gt_u16_e64 s2, v19, v21
	s_delay_alu instid0(VALU_DEP_3) | instskip(SKIP_1) | instid1(VALU_DEP_3)
	v_cmp_eq_u32_e64 s3, 1, v22
	s_wait_alu 0xf1ff
	v_cndmask_b32_e64 v19, 0, 1, s4
	s_and_b32 s2, s2, s3
	s_wait_alu 0xfffe
	s_delay_alu instid0(VALU_DEP_1) | instskip(NEXT) | instid1(VALU_DEP_1)
	v_cndmask_b32_e64 v19, v19, v4, s2
	v_and_b32_e32 v19, 1, v19
	s_delay_alu instid0(VALU_DEP_1)
	v_cmp_eq_u32_e64 s2, 1, v19
	v_lshl_add_u32 v19, v4, 3, v11
	s_and_saveexec_b32 s3, s2
	s_wait_alu 0xfffe
	s_xor_b32 s2, exec_lo, s3
	s_cbranch_execz .LBB79_23
; %bb.22:
	ds_load_b128 v[22:25], v19
	v_lshlrev_b16 v20, 8, v20
	v_lshlrev_b16 v16, 8, v16
	s_delay_alu instid0(VALU_DEP_2) | instskip(NEXT) | instid1(VALU_DEP_2)
	v_or_b32_e32 v26, v21, v20
	v_or_b32_e32 v14, v14, v16
	s_wait_dscnt 0x0
	v_dual_mov_b32 v20, v24 :: v_dual_mov_b32 v21, v25
	ds_store_b16 v1, v26
	ds_store_b128 v19, v[20:23]
	ds_store_b16 v6, v14
.LBB79_23:
	s_wait_alu 0xfffe
	s_or_b32 exec_lo, exec_lo, s2
	v_sub_nc_u32_e32 v16, v18, v7
	s_wait_loadcnt_dscnt 0x0
	s_barrier_signal -1
	s_barrier_wait -1
	global_inv scope:SCOPE_SE
	v_add_nc_u32_e32 v7, v17, v16
	v_add_nc_u32_e32 v14, v15, v16
	v_bfe_u32 v25, v4, 1, 1
	v_lshl_add_u32 v16, v16, 3, v13
	ds_load_u8 v21, v7
	ds_load_u8 v22, v14
	ds_load_u8 v24, v14 offset:2
	ds_load_u8 v23, v7 offset:2
	s_wait_dscnt 0x3
	v_and_b32_e32 v20, 1, v21
	s_wait_dscnt 0x1
	v_cmp_gt_u16_e64 s2, v22, v24
	s_wait_dscnt 0x0
	v_cmp_ne_u16_e64 s4, v23, v25
	v_cmp_eq_u32_e64 s3, 1, v20
	s_wait_alu 0xf1ff
	s_delay_alu instid0(VALU_DEP_2) | instskip(SKIP_2) | instid1(VALU_DEP_1)
	v_cndmask_b32_e64 v20, 0, 1, s4
	s_and_b32 s2, s2, s3
	s_wait_alu 0xfffe
	v_cndmask_b32_e64 v25, v20, v25, s2
	v_and_b32_e32 v20, 2, v4
	s_delay_alu instid0(VALU_DEP_2) | instskip(NEXT) | instid1(VALU_DEP_2)
	v_and_b32_e32 v25, 1, v25
	v_cmp_ne_u32_e64 s2, 0, v20
	s_delay_alu instid0(VALU_DEP_2)
	v_cmp_eq_u32_e64 s3, 1, v25
	s_and_saveexec_b32 s4, s3
	s_wait_alu 0xfffe
	s_xor_b32 s3, exec_lo, s4
	s_cbranch_execz .LBB79_25
; %bb.24:
	ds_load_2addr_b64 v[25:28], v16 offset1:2
	s_wait_dscnt 0x0
	ds_store_2addr_b64 v16, v[27:28], v[25:26] offset1:2
	ds_store_b8 v14, v24
	ds_store_b8 v14, v22 offset:2
	ds_store_b8 v7, v23
	ds_store_b8 v7, v21 offset:2
.LBB79_25:
	s_wait_alu 0xfffe
	s_or_b32 exec_lo, exec_lo, s3
	s_wait_loadcnt_dscnt 0x0
	s_barrier_signal -1
	s_barrier_wait -1
	global_inv scope:SCOPE_SE
	ds_load_u16 v22, v1
	ds_load_u16 v21, v6
	v_lshrrev_b32_e32 v24, 1, v20
	v_cndmask_b32_e64 v27, 0, 1, s2
	s_wait_dscnt 0x1
	v_and_b32_e32 v25, 0xff, v22
	s_wait_dscnt 0x0
	v_lshrrev_b16 v20, 8, v21
	v_lshrrev_b16 v23, 8, v22
	v_and_b32_e32 v26, 1, v21
	s_delay_alu instid0(VALU_DEP_3) | instskip(NEXT) | instid1(VALU_DEP_3)
	v_cmp_ne_u16_e64 s4, v20, v24
	v_cmp_gt_u16_e64 s2, v25, v23
	s_delay_alu instid0(VALU_DEP_3) | instskip(SKIP_1) | instid1(VALU_DEP_3)
	v_cmp_eq_u32_e64 s3, 1, v26
	s_wait_alu 0xf1ff
	v_cndmask_b32_e64 v24, 0, 1, s4
	s_and_b32 s2, s2, s3
	s_mov_b32 s3, exec_lo
	s_wait_alu 0xfffe
	s_delay_alu instid0(VALU_DEP_1) | instskip(NEXT) | instid1(VALU_DEP_1)
	v_cndmask_b32_e64 v24, v24, v27, s2
	v_and_b32_e32 v24, 1, v24
	s_delay_alu instid0(VALU_DEP_1)
	v_cmpx_eq_u32_e32 1, v24
	s_cbranch_execz .LBB79_27
; %bb.26:
	ds_load_b128 v[24:27], v19
	v_lshlrev_b16 v22, 8, v22
	v_lshlrev_b16 v28, 8, v21
	s_delay_alu instid0(VALU_DEP_2) | instskip(NEXT) | instid1(VALU_DEP_2)
	v_or_b32_e32 v29, v23, v22
	v_or_b32_e32 v20, v20, v28
	s_wait_dscnt 0x0
	v_dual_mov_b32 v21, v26 :: v_dual_mov_b32 v22, v27
	v_dual_mov_b32 v23, v24 :: v_dual_mov_b32 v24, v25
	ds_store_b16 v1, v29
	ds_store_b128 v19, v[21:24]
	ds_store_b16 v6, v20
.LBB79_27:
	s_or_b32 exec_lo, exec_lo, s3
	v_and_b32_e32 v19, 3, v4
	s_wait_loadcnt_dscnt 0x0
	s_barrier_signal -1
	s_barrier_wait -1
	global_inv scope:SCOPE_SE
	v_sub_nc_u32_e32 v22, v18, v19
	v_bfe_u32 v27, v4, 2, 1
	s_delay_alu instid0(VALU_DEP_2)
	v_add_nc_u32_e32 v19, v17, v22
	v_add_nc_u32_e32 v20, v15, v22
	v_lshl_add_u32 v22, v22, 3, v13
	ds_load_u8 v23, v19
	ds_load_u8 v24, v20
	ds_load_u8 v26, v20 offset:4
	ds_load_u8 v25, v19 offset:4
	s_wait_dscnt 0x3
	v_and_b32_e32 v21, 1, v23
	s_wait_dscnt 0x1
	v_cmp_gt_u16_e64 s2, v24, v26
	s_wait_dscnt 0x0
	v_cmp_ne_u16_e64 s4, v25, v27
	v_cmp_eq_u32_e64 s3, 1, v21
	s_wait_alu 0xf1ff
	s_delay_alu instid0(VALU_DEP_2) | instskip(SKIP_3) | instid1(VALU_DEP_1)
	v_cndmask_b32_e64 v21, 0, 1, s4
	s_mov_b32 s4, exec_lo
	s_and_b32 s2, s2, s3
	s_wait_alu 0xfffe
	v_cndmask_b32_e64 v27, v21, v27, s2
	v_and_b32_e32 v21, 4, v4
	s_delay_alu instid0(VALU_DEP_2) | instskip(NEXT) | instid1(VALU_DEP_2)
	v_and_b32_e32 v27, 1, v27
	v_cmp_ne_u32_e64 s2, 0, v21
	s_delay_alu instid0(VALU_DEP_2)
	v_cmpx_eq_u32_e32 1, v27
	s_cbranch_execz .LBB79_29
; %bb.28:
	ds_load_2addr_b64 v[27:30], v22 offset1:4
	s_wait_dscnt 0x0
	ds_store_2addr_b64 v22, v[29:30], v[27:28] offset1:4
	ds_store_b8 v20, v26
	ds_store_b8 v20, v24 offset:4
	ds_store_b8 v19, v25
	ds_store_b8 v19, v23 offset:4
.LBB79_29:
	s_or_b32 exec_lo, exec_lo, s4
	s_wait_loadcnt_dscnt 0x0
	s_barrier_signal -1
	s_barrier_wait -1
	global_inv scope:SCOPE_SE
	ds_load_u8 v24, v7
	ds_load_u8 v25, v14
	ds_load_u8 v27, v14 offset:2
	ds_load_u8 v26, v7 offset:2
	v_lshrrev_b32_e32 v21, 2, v21
	v_cndmask_b32_e64 v23, 0, 1, s2
	s_wait_dscnt 0x3
	v_and_b32_e32 v28, 1, v24
	s_wait_dscnt 0x1
	v_cmp_gt_u16_e64 s2, v25, v27
	s_wait_dscnt 0x0
	v_cmp_ne_u16_e64 s4, v26, v21
	v_cmp_eq_u32_e64 s3, 1, v28
	s_wait_alu 0xf1ff
	s_delay_alu instid0(VALU_DEP_2) | instskip(SKIP_3) | instid1(VALU_DEP_1)
	v_cndmask_b32_e64 v28, 0, 1, s4
	s_and_b32 s2, s2, s3
	s_mov_b32 s3, exec_lo
	s_wait_alu 0xfffe
	v_cndmask_b32_e64 v28, v28, v23, s2
	s_delay_alu instid0(VALU_DEP_1) | instskip(NEXT) | instid1(VALU_DEP_1)
	v_and_b32_e32 v28, 1, v28
	v_cmpx_eq_u32_e32 1, v28
	s_cbranch_execz .LBB79_31
; %bb.30:
	ds_load_2addr_b64 v[28:31], v16 offset1:2
	s_wait_dscnt 0x0
	ds_store_2addr_b64 v16, v[30:31], v[28:29] offset1:2
	ds_store_b8 v14, v27
	ds_store_b8 v14, v25 offset:2
	ds_store_b8 v7, v26
	ds_store_b8 v7, v24 offset:2
.LBB79_31:
	s_or_b32 exec_lo, exec_lo, s3
	s_wait_loadcnt_dscnt 0x0
	s_barrier_signal -1
	s_barrier_wait -1
	global_inv scope:SCOPE_SE
	ds_load_u16 v27, v1
	ds_load_u16 v25, v6
	s_wait_dscnt 0x1
	v_and_b32_e32 v28, 0xff, v27
	s_wait_dscnt 0x0
	v_lshrrev_b16 v24, 8, v25
	v_lshrrev_b16 v26, 8, v27
	v_and_b32_e32 v29, 1, v25
	s_delay_alu instid0(VALU_DEP_3) | instskip(NEXT) | instid1(VALU_DEP_3)
	v_cmp_ne_u16_e64 s4, v24, v21
	v_cmp_gt_u16_e64 s2, v28, v26
	s_delay_alu instid0(VALU_DEP_3) | instskip(SKIP_1) | instid1(VALU_DEP_3)
	v_cmp_eq_u32_e64 s3, 1, v29
	s_wait_alu 0xf1ff
	v_cndmask_b32_e64 v21, 0, 1, s4
	s_and_b32 s2, s2, s3
	s_wait_alu 0xfffe
	s_delay_alu instid0(VALU_DEP_1) | instskip(NEXT) | instid1(VALU_DEP_1)
	v_cndmask_b32_e64 v21, v21, v23, s2
	v_and_b32_e32 v21, 1, v21
	s_delay_alu instid0(VALU_DEP_1)
	v_cmp_eq_u32_e64 s2, 1, v21
	v_lshl_add_u32 v21, v18, 3, v13
	s_and_saveexec_b32 s3, s2
	s_cbranch_execz .LBB79_33
; %bb.32:
	ds_load_b128 v[28:31], v21
	v_lshlrev_b16 v23, 8, v27
	v_lshlrev_b16 v32, 8, v25
	s_delay_alu instid0(VALU_DEP_2) | instskip(NEXT) | instid1(VALU_DEP_2)
	v_or_b32_e32 v23, v26, v23
	v_or_b32_e32 v24, v24, v32
	s_wait_dscnt 0x0
	v_dual_mov_b32 v25, v30 :: v_dual_mov_b32 v26, v31
	v_dual_mov_b32 v27, v28 :: v_dual_mov_b32 v28, v29
	ds_store_b16 v1, v23
	ds_store_b128 v21, v[25:28]
	ds_store_b16 v6, v24
.LBB79_33:
	s_wait_alu 0xfffe
	s_or_b32 exec_lo, exec_lo, s3
	v_and_b32_e32 v23, 7, v4
	s_wait_loadcnt_dscnt 0x0
	s_barrier_signal -1
	s_barrier_wait -1
	global_inv scope:SCOPE_SE
	v_sub_nc_u32_e32 v25, v18, v23
	v_bfe_u32 v31, v4, 3, 1
	s_delay_alu instid0(VALU_DEP_2)
	v_add_nc_u32_e32 v23, v17, v25
	v_add_nc_u32_e32 v24, v15, v25
	v_lshl_add_u32 v25, v25, 3, v13
	ds_load_u8 v27, v23
	ds_load_u8 v28, v24
	ds_load_u8 v30, v24 offset:8
	ds_load_u8 v29, v23 offset:8
	s_wait_dscnt 0x3
	v_and_b32_e32 v26, 1, v27
	s_wait_dscnt 0x1
	v_cmp_gt_u16_e64 s2, v28, v30
	s_wait_dscnt 0x0
	v_cmp_ne_u16_e64 s4, v29, v31
	v_cmp_eq_u32_e64 s3, 1, v26
	s_wait_alu 0xf1ff
	s_delay_alu instid0(VALU_DEP_2) | instskip(SKIP_3) | instid1(VALU_DEP_1)
	v_cndmask_b32_e64 v26, 0, 1, s4
	s_mov_b32 s4, exec_lo
	s_and_b32 s2, s2, s3
	s_wait_alu 0xfffe
	v_cndmask_b32_e64 v31, v26, v31, s2
	v_and_b32_e32 v26, 8, v4
	s_delay_alu instid0(VALU_DEP_2) | instskip(NEXT) | instid1(VALU_DEP_2)
	v_and_b32_e32 v31, 1, v31
	v_cmp_ne_u32_e64 s2, 0, v26
	s_delay_alu instid0(VALU_DEP_2)
	v_cmpx_eq_u32_e32 1, v31
	s_cbranch_execz .LBB79_35
; %bb.34:
	ds_load_2addr_b64 v[31:34], v25 offset1:8
	s_wait_dscnt 0x0
	ds_store_2addr_b64 v25, v[33:34], v[31:32] offset1:8
	ds_store_b8 v24, v30
	ds_store_b8 v24, v28 offset:8
	ds_store_b8 v23, v29
	ds_store_b8 v23, v27 offset:8
.LBB79_35:
	s_or_b32 exec_lo, exec_lo, s4
	s_wait_loadcnt_dscnt 0x0
	s_barrier_signal -1
	s_barrier_wait -1
	global_inv scope:SCOPE_SE
	ds_load_u8 v28, v19
	ds_load_u8 v29, v20
	ds_load_u8 v31, v20 offset:4
	ds_load_u8 v30, v19 offset:4
	v_lshrrev_b32_e32 v26, 3, v26
	v_cndmask_b32_e64 v27, 0, 1, s2
	s_wait_dscnt 0x3
	v_and_b32_e32 v32, 1, v28
	s_wait_dscnt 0x1
	v_cmp_gt_u16_e64 s2, v29, v31
	s_wait_dscnt 0x0
	v_cmp_ne_u16_e64 s4, v30, v26
	v_cmp_eq_u32_e64 s3, 1, v32
	s_wait_alu 0xf1ff
	s_delay_alu instid0(VALU_DEP_2) | instskip(SKIP_3) | instid1(VALU_DEP_1)
	v_cndmask_b32_e64 v32, 0, 1, s4
	s_and_b32 s2, s2, s3
	s_mov_b32 s3, exec_lo
	s_wait_alu 0xfffe
	v_cndmask_b32_e64 v32, v32, v27, s2
	s_delay_alu instid0(VALU_DEP_1) | instskip(NEXT) | instid1(VALU_DEP_1)
	v_and_b32_e32 v32, 1, v32
	v_cmpx_eq_u32_e32 1, v32
	s_cbranch_execz .LBB79_37
; %bb.36:
	ds_load_2addr_b64 v[32:35], v22 offset1:4
	s_wait_dscnt 0x0
	ds_store_2addr_b64 v22, v[34:35], v[32:33] offset1:4
	ds_store_b8 v20, v31
	ds_store_b8 v20, v29 offset:4
	ds_store_b8 v19, v30
	ds_store_b8 v19, v28 offset:4
.LBB79_37:
	s_or_b32 exec_lo, exec_lo, s3
	s_wait_loadcnt_dscnt 0x0
	s_barrier_signal -1
	s_barrier_wait -1
	global_inv scope:SCOPE_SE
	ds_load_u8 v28, v7
	ds_load_u8 v29, v14
	ds_load_u8 v31, v14 offset:2
	ds_load_u8 v30, v7 offset:2
	s_wait_dscnt 0x3
	v_and_b32_e32 v32, 1, v28
	s_wait_dscnt 0x1
	v_cmp_gt_u16_e64 s2, v29, v31
	s_wait_dscnt 0x0
	v_cmp_ne_u16_e64 s4, v30, v26
	v_cmp_eq_u32_e64 s3, 1, v32
	s_wait_alu 0xf1ff
	s_delay_alu instid0(VALU_DEP_2) | instskip(SKIP_3) | instid1(VALU_DEP_1)
	v_cndmask_b32_e64 v32, 0, 1, s4
	s_and_b32 s2, s2, s3
	s_mov_b32 s3, exec_lo
	s_wait_alu 0xfffe
	v_cndmask_b32_e64 v32, v32, v27, s2
	s_delay_alu instid0(VALU_DEP_1) | instskip(NEXT) | instid1(VALU_DEP_1)
	v_and_b32_e32 v32, 1, v32
	v_cmpx_eq_u32_e32 1, v32
	s_cbranch_execz .LBB79_39
; %bb.38:
	ds_load_2addr_b64 v[32:35], v16 offset1:2
	s_wait_dscnt 0x0
	ds_store_2addr_b64 v16, v[34:35], v[32:33] offset1:2
	ds_store_b8 v14, v31
	ds_store_b8 v14, v29 offset:2
	ds_store_b8 v7, v30
	ds_store_b8 v7, v28 offset:2
.LBB79_39:
	s_or_b32 exec_lo, exec_lo, s3
	s_wait_loadcnt_dscnt 0x0
	s_barrier_signal -1
	s_barrier_wait -1
	global_inv scope:SCOPE_SE
	ds_load_u16 v31, v1
	ds_load_u16 v29, v6
	s_wait_dscnt 0x1
	v_and_b32_e32 v32, 0xff, v31
	s_wait_dscnt 0x0
	v_lshrrev_b16 v28, 8, v29
	v_lshrrev_b16 v30, 8, v31
	v_and_b32_e32 v33, 1, v29
	s_delay_alu instid0(VALU_DEP_3) | instskip(NEXT) | instid1(VALU_DEP_3)
	v_cmp_ne_u16_e64 s4, v28, v26
	v_cmp_gt_u16_e64 s2, v32, v30
	s_delay_alu instid0(VALU_DEP_3) | instskip(SKIP_1) | instid1(VALU_DEP_3)
	v_cmp_eq_u32_e64 s3, 1, v33
	s_wait_alu 0xf1ff
	v_cndmask_b32_e64 v26, 0, 1, s4
	s_and_b32 s2, s2, s3
	s_mov_b32 s3, exec_lo
	s_wait_alu 0xfffe
	s_delay_alu instid0(VALU_DEP_1) | instskip(NEXT) | instid1(VALU_DEP_1)
	v_cndmask_b32_e64 v26, v26, v27, s2
	v_and_b32_e32 v26, 1, v26
	s_delay_alu instid0(VALU_DEP_1)
	v_cmpx_eq_u32_e32 1, v26
	s_cbranch_execz .LBB79_41
; %bb.40:
	ds_load_b128 v[32:35], v21
	v_lshlrev_b16 v26, 8, v31
	v_lshlrev_b16 v27, 8, v29
	s_delay_alu instid0(VALU_DEP_2) | instskip(NEXT) | instid1(VALU_DEP_2)
	v_or_b32_e32 v26, v30, v26
	v_or_b32_e32 v27, v28, v27
	s_wait_dscnt 0x0
	v_dual_mov_b32 v29, v34 :: v_dual_mov_b32 v30, v35
	v_dual_mov_b32 v31, v32 :: v_dual_mov_b32 v32, v33
	ds_store_b16 v1, v26
	ds_store_b128 v21, v[29:32]
	ds_store_b16 v6, v27
.LBB79_41:
	s_or_b32 exec_lo, exec_lo, s3
	v_and_b32_e32 v26, 15, v4
	s_wait_loadcnt_dscnt 0x0
	s_barrier_signal -1
	s_barrier_wait -1
	global_inv scope:SCOPE_SE
	v_sub_nc_u32_e32 v18, v18, v26
	s_delay_alu instid0(VALU_DEP_1)
	v_add_nc_u32_e32 v17, v17, v18
	v_add_nc_u32_e32 v15, v15, v18
	ds_load_u8 v26, v17
	ds_load_u8 v29, v17 offset:16
	ds_load_u8 v27, v15
	ds_load_u8 v28, v15 offset:16
	s_wait_dscnt 0x2
	v_and_b32_e32 v29, 0xff, v29
	v_and_b32_e32 v30, 1, v26
	s_wait_dscnt 0x0
	v_cmp_le_u16_e64 s3, v27, v28
	s_delay_alu instid0(VALU_DEP_3) | instskip(NEXT) | instid1(VALU_DEP_3)
	v_cmp_ne_u16_e64 s4, 0, v29
	v_cmp_eq_u32_e64 s2, 1, v30
	s_xor_b32 s2, s2, -1
	s_wait_alu 0xfffe
	s_or_b32 s2, s3, s2
	s_wait_alu 0xfffe
	s_and_b32 s3, s2, s4
	s_wait_alu 0xfffe
	s_and_saveexec_b32 s2, s3
	s_cbranch_execz .LBB79_43
; %bb.42:
	v_lshl_add_u32 v13, v18, 3, v13
	v_mov_b32_e32 v18, 1
	ds_load_2addr_b64 v[29:32], v13 offset1:16
	s_wait_dscnt 0x0
	ds_store_2addr_b64 v13, v[31:32], v[29:30] offset1:16
	ds_store_b8 v15, v28
	ds_store_b8 v15, v27 offset:16
	ds_store_b8 v17, v18
	ds_store_b8 v17, v26 offset:16
.LBB79_43:
	s_wait_alu 0xfffe
	s_or_b32 exec_lo, exec_lo, s2
	s_wait_loadcnt_dscnt 0x0
	s_barrier_signal -1
	s_barrier_wait -1
	global_inv scope:SCOPE_SE
	ds_load_u8 v13, v23
	ds_load_u8 v18, v23 offset:8
	ds_load_u8 v15, v24
	ds_load_u8 v17, v24 offset:8
	s_wait_dscnt 0x3
	v_and_b32_e32 v26, 1, v13
	s_wait_dscnt 0x2
	v_and_b32_e32 v18, 0xff, v18
	s_wait_dscnt 0x0
	v_cmp_le_u16_e64 s3, v15, v17
	v_cmp_eq_u32_e64 s2, 1, v26
	s_delay_alu instid0(VALU_DEP_3)
	v_cmp_ne_u16_e64 s4, 0, v18
	s_xor_b32 s2, s2, -1
	s_wait_alu 0xfffe
	s_or_b32 s2, s3, s2
	s_wait_alu 0xfffe
	s_and_b32 s3, s2, s4
	s_wait_alu 0xfffe
	s_and_saveexec_b32 s2, s3
	s_cbranch_execz .LBB79_45
; %bb.44:
	ds_load_2addr_b64 v[26:29], v25 offset1:8
	v_mov_b32_e32 v18, 1
	s_wait_dscnt 0x0
	ds_store_2addr_b64 v25, v[28:29], v[26:27] offset1:8
	ds_store_b8 v24, v17
	ds_store_b8 v24, v15 offset:8
	ds_store_b8 v23, v18
	ds_store_b8 v23, v13 offset:8
.LBB79_45:
	s_wait_alu 0xfffe
	s_or_b32 exec_lo, exec_lo, s2
	s_wait_loadcnt_dscnt 0x0
	s_barrier_signal -1
	s_barrier_wait -1
	global_inv scope:SCOPE_SE
	ds_load_u8 v13, v19
	ds_load_u8 v18, v19 offset:4
	ds_load_u8 v15, v20
	ds_load_u8 v17, v20 offset:4
	s_wait_dscnt 0x3
	v_and_b32_e32 v23, 1, v13
	s_wait_dscnt 0x2
	v_and_b32_e32 v18, 0xff, v18
	s_wait_dscnt 0x0
	v_cmp_le_u16_e64 s3, v15, v17
	v_cmp_eq_u32_e64 s2, 1, v23
	s_delay_alu instid0(VALU_DEP_3)
	v_cmp_ne_u16_e64 s4, 0, v18
	s_xor_b32 s2, s2, -1
	s_wait_alu 0xfffe
	s_or_b32 s2, s3, s2
	s_wait_alu 0xfffe
	s_and_b32 s3, s2, s4
	s_wait_alu 0xfffe
	s_and_saveexec_b32 s2, s3
	s_cbranch_execz .LBB79_47
; %bb.46:
	ds_load_2addr_b64 v[23:26], v22 offset1:4
	v_mov_b32_e32 v18, 1
	s_wait_dscnt 0x0
	ds_store_2addr_b64 v22, v[25:26], v[23:24] offset1:4
	ds_store_b8 v20, v17
	ds_store_b8 v20, v15 offset:4
	ds_store_b8 v19, v18
	ds_store_b8 v19, v13 offset:4
.LBB79_47:
	;; [unrolled: 37-line block ×3, first 2 shown]
	s_wait_alu 0xfffe
	s_or_b32 exec_lo, exec_lo, s2
	s_wait_loadcnt_dscnt 0x0
	s_barrier_signal -1
	s_barrier_wait -1
	global_inv scope:SCOPE_SE
	ds_load_u16 v7, v6
	ds_load_u16 v14, v1
	s_wait_dscnt 0x1
	v_and_b32_e32 v15, 1, v7
	s_wait_dscnt 0x0
	v_and_b32_e32 v16, 0xff, v14
	v_lshrrev_b16 v13, 8, v14
	v_lshrrev_b16 v17, 8, v7
	v_cmp_eq_u32_e64 s2, 1, v15
	s_delay_alu instid0(VALU_DEP_3) | instskip(NEXT) | instid1(VALU_DEP_3)
	v_cmp_le_u16_e64 s3, v16, v13
	v_cmp_ne_u16_e64 s4, 0, v17
	s_xor_b32 s2, s2, -1
	s_wait_alu 0xfffe
	s_or_b32 s2, s3, s2
	s_wait_alu 0xfffe
	s_and_b32 s3, s2, s4
	s_wait_alu 0xfffe
	s_and_saveexec_b32 s2, s3
	s_cbranch_execz .LBB79_51
; %bb.50:
	ds_load_b128 v[15:18], v21
	v_lshlrev_b16 v14, 8, v14
	v_lshlrev_b16 v7, 8, v7
	s_delay_alu instid0(VALU_DEP_2) | instskip(NEXT) | instid1(VALU_DEP_2)
	v_or_b32_e32 v19, v13, v14
	v_or_b32_e32 v7, 1, v7
	s_wait_dscnt 0x0
	v_dual_mov_b32 v13, v17 :: v_dual_mov_b32 v14, v18
	ds_store_b16 v1, v19
	ds_store_b128 v21, v[13:16]
	ds_store_b16 v6, v7
.LBB79_51:
	s_wait_alu 0xfffe
	s_or_b32 exec_lo, exec_lo, s2
	s_wait_loadcnt_dscnt 0x0
	s_barrier_signal -1
	s_barrier_wait -1
	global_inv scope:SCOPE_SE
	s_and_saveexec_b32 s2, vcc_lo
	s_cbranch_execz .LBB79_56
; %bb.52:
	s_and_saveexec_b32 s2, s0
	s_cbranch_execz .LBB79_54
; %bb.53:
	v_mad_co_u64_u32 v[6:7], null, s10, v4, 0
	v_mad_co_u64_u32 v[13:14], null, s8, v4, v[2:3]
	s_delay_alu instid0(VALU_DEP_2) | instskip(NEXT) | instid1(VALU_DEP_1)
	v_mov_b32_e32 v1, v7
	v_mad_co_u64_u32 v[15:16], null, s11, v4, v[1:2]
	ds_load_u8 v16, v12
	ds_load_b64 v[11:12], v11
	v_mov_b32_e32 v1, v14
	v_mov_b32_e32 v7, v15
	s_delay_alu instid0(VALU_DEP_2) | instskip(NEXT) | instid1(VALU_DEP_2)
	v_mad_co_u64_u32 v[14:15], null, s9, v4, v[1:2]
	v_lshlrev_b64_e32 v[6:7], 3, v[6:7]
	s_delay_alu instid0(VALU_DEP_1) | instskip(SKIP_1) | instid1(VALU_DEP_2)
	v_add_co_u32 v6, vcc_lo, v5, v6
	s_wait_alu 0xfffd
	v_add_co_ci_u32_e64 v7, null, v10, v7, vcc_lo
	s_wait_dscnt 0x1
	global_store_b8 v[13:14], v16, off
	s_wait_dscnt 0x0
	global_store_b64 v[6:7], v[11:12], off
.LBB79_54:
	s_wait_alu 0xfffe
	s_or_b32 exec_lo, exec_lo, s2
	s_delay_alu instid0(SALU_CYCLE_1)
	s_and_b32 exec_lo, exec_lo, s1
	s_cbranch_execz .LBB79_56
; %bb.55:
	v_mad_co_u64_u32 v[6:7], null, s10, v0, 0
	v_mad_co_u64_u32 v[2:3], null, s8, v0, v[2:3]
	ds_load_u8 v4, v8
	ds_load_b64 v[8:9], v9
	v_mov_b32_e32 v1, v7
	s_delay_alu instid0(VALU_DEP_1) | instskip(SKIP_1) | instid1(VALU_DEP_1)
	v_mad_co_u64_u32 v[11:12], null, s11, v0, v[1:2]
	v_mov_b32_e32 v1, v3
	v_mad_co_u64_u32 v[0:1], null, s9, v0, v[1:2]
	s_delay_alu instid0(VALU_DEP_3) | instskip(NEXT) | instid1(VALU_DEP_1)
	v_mov_b32_e32 v7, v11
	v_lshlrev_b64_e32 v[6:7], 3, v[6:7]
	s_delay_alu instid0(VALU_DEP_3) | instskip(NEXT) | instid1(VALU_DEP_2)
	v_mov_b32_e32 v3, v0
	v_add_co_u32 v0, vcc_lo, v5, v6
	s_wait_alu 0xfffd
	s_delay_alu instid0(VALU_DEP_3)
	v_add_co_ci_u32_e64 v1, null, v10, v7, vcc_lo
	s_wait_dscnt 0x1
	global_store_b8 v[2:3], v4, off
	s_wait_dscnt 0x0
	global_store_b64 v[0:1], v[8:9], off
.LBB79_56:
	s_endpgm
	.section	.rodata,"a",@progbits
	.p2align	6, 0x0
	.amdhsa_kernel _ZN2at6native20bitonicSortKVInPlaceILin1ELin1ELi16ELi16EblNS0_4GTOpIbLb1EEEmEEvNS_4cuda6detail10TensorInfoIT3_T6_EES8_S8_S8_NS6_IT4_S8_EES8_T5_
		.amdhsa_group_segment_fixed_size 5120
		.amdhsa_private_segment_fixed_size 0
		.amdhsa_kernarg_size 1128
		.amdhsa_user_sgpr_count 2
		.amdhsa_user_sgpr_dispatch_ptr 0
		.amdhsa_user_sgpr_queue_ptr 0
		.amdhsa_user_sgpr_kernarg_segment_ptr 1
		.amdhsa_user_sgpr_dispatch_id 0
		.amdhsa_user_sgpr_private_segment_size 0
		.amdhsa_wavefront_size32 1
		.amdhsa_uses_dynamic_stack 0
		.amdhsa_enable_private_segment 0
		.amdhsa_system_sgpr_workgroup_id_x 1
		.amdhsa_system_sgpr_workgroup_id_y 1
		.amdhsa_system_sgpr_workgroup_id_z 1
		.amdhsa_system_sgpr_workgroup_info 0
		.amdhsa_system_vgpr_workitem_id 1
		.amdhsa_next_free_vgpr 36
		.amdhsa_next_free_sgpr 31
		.amdhsa_reserve_vcc 1
		.amdhsa_float_round_mode_32 0
		.amdhsa_float_round_mode_16_64 0
		.amdhsa_float_denorm_mode_32 3
		.amdhsa_float_denorm_mode_16_64 3
		.amdhsa_fp16_overflow 0
		.amdhsa_workgroup_processor_mode 1
		.amdhsa_memory_ordered 1
		.amdhsa_forward_progress 1
		.amdhsa_inst_pref_size 54
		.amdhsa_round_robin_scheduling 0
		.amdhsa_exception_fp_ieee_invalid_op 0
		.amdhsa_exception_fp_denorm_src 0
		.amdhsa_exception_fp_ieee_div_zero 0
		.amdhsa_exception_fp_ieee_overflow 0
		.amdhsa_exception_fp_ieee_underflow 0
		.amdhsa_exception_fp_ieee_inexact 0
		.amdhsa_exception_int_div_zero 0
	.end_amdhsa_kernel
	.section	.text._ZN2at6native20bitonicSortKVInPlaceILin1ELin1ELi16ELi16EblNS0_4GTOpIbLb1EEEmEEvNS_4cuda6detail10TensorInfoIT3_T6_EES8_S8_S8_NS6_IT4_S8_EES8_T5_,"axG",@progbits,_ZN2at6native20bitonicSortKVInPlaceILin1ELin1ELi16ELi16EblNS0_4GTOpIbLb1EEEmEEvNS_4cuda6detail10TensorInfoIT3_T6_EES8_S8_S8_NS6_IT4_S8_EES8_T5_,comdat
.Lfunc_end79:
	.size	_ZN2at6native20bitonicSortKVInPlaceILin1ELin1ELi16ELi16EblNS0_4GTOpIbLb1EEEmEEvNS_4cuda6detail10TensorInfoIT3_T6_EES8_S8_S8_NS6_IT4_S8_EES8_T5_, .Lfunc_end79-_ZN2at6native20bitonicSortKVInPlaceILin1ELin1ELi16ELi16EblNS0_4GTOpIbLb1EEEmEEvNS_4cuda6detail10TensorInfoIT3_T6_EES8_S8_S8_NS6_IT4_S8_EES8_T5_
                                        ; -- End function
	.set _ZN2at6native20bitonicSortKVInPlaceILin1ELin1ELi16ELi16EblNS0_4GTOpIbLb1EEEmEEvNS_4cuda6detail10TensorInfoIT3_T6_EES8_S8_S8_NS6_IT4_S8_EES8_T5_.num_vgpr, 36
	.set _ZN2at6native20bitonicSortKVInPlaceILin1ELin1ELi16ELi16EblNS0_4GTOpIbLb1EEEmEEvNS_4cuda6detail10TensorInfoIT3_T6_EES8_S8_S8_NS6_IT4_S8_EES8_T5_.num_agpr, 0
	.set _ZN2at6native20bitonicSortKVInPlaceILin1ELin1ELi16ELi16EblNS0_4GTOpIbLb1EEEmEEvNS_4cuda6detail10TensorInfoIT3_T6_EES8_S8_S8_NS6_IT4_S8_EES8_T5_.numbered_sgpr, 31
	.set _ZN2at6native20bitonicSortKVInPlaceILin1ELin1ELi16ELi16EblNS0_4GTOpIbLb1EEEmEEvNS_4cuda6detail10TensorInfoIT3_T6_EES8_S8_S8_NS6_IT4_S8_EES8_T5_.num_named_barrier, 0
	.set _ZN2at6native20bitonicSortKVInPlaceILin1ELin1ELi16ELi16EblNS0_4GTOpIbLb1EEEmEEvNS_4cuda6detail10TensorInfoIT3_T6_EES8_S8_S8_NS6_IT4_S8_EES8_T5_.private_seg_size, 0
	.set _ZN2at6native20bitonicSortKVInPlaceILin1ELin1ELi16ELi16EblNS0_4GTOpIbLb1EEEmEEvNS_4cuda6detail10TensorInfoIT3_T6_EES8_S8_S8_NS6_IT4_S8_EES8_T5_.uses_vcc, 1
	.set _ZN2at6native20bitonicSortKVInPlaceILin1ELin1ELi16ELi16EblNS0_4GTOpIbLb1EEEmEEvNS_4cuda6detail10TensorInfoIT3_T6_EES8_S8_S8_NS6_IT4_S8_EES8_T5_.uses_flat_scratch, 0
	.set _ZN2at6native20bitonicSortKVInPlaceILin1ELin1ELi16ELi16EblNS0_4GTOpIbLb1EEEmEEvNS_4cuda6detail10TensorInfoIT3_T6_EES8_S8_S8_NS6_IT4_S8_EES8_T5_.has_dyn_sized_stack, 0
	.set _ZN2at6native20bitonicSortKVInPlaceILin1ELin1ELi16ELi16EblNS0_4GTOpIbLb1EEEmEEvNS_4cuda6detail10TensorInfoIT3_T6_EES8_S8_S8_NS6_IT4_S8_EES8_T5_.has_recursion, 0
	.set _ZN2at6native20bitonicSortKVInPlaceILin1ELin1ELi16ELi16EblNS0_4GTOpIbLb1EEEmEEvNS_4cuda6detail10TensorInfoIT3_T6_EES8_S8_S8_NS6_IT4_S8_EES8_T5_.has_indirect_call, 0
	.section	.AMDGPU.csdata,"",@progbits
; Kernel info:
; codeLenInByte = 6912
; TotalNumSgprs: 33
; NumVgprs: 36
; ScratchSize: 0
; MemoryBound: 0
; FloatMode: 240
; IeeeMode: 1
; LDSByteSize: 5120 bytes/workgroup (compile time only)
; SGPRBlocks: 0
; VGPRBlocks: 4
; NumSGPRsForWavesPerEU: 33
; NumVGPRsForWavesPerEU: 36
; Occupancy: 16
; WaveLimiterHint : 1
; COMPUTE_PGM_RSRC2:SCRATCH_EN: 0
; COMPUTE_PGM_RSRC2:USER_SGPR: 2
; COMPUTE_PGM_RSRC2:TRAP_HANDLER: 0
; COMPUTE_PGM_RSRC2:TGID_X_EN: 1
; COMPUTE_PGM_RSRC2:TGID_Y_EN: 1
; COMPUTE_PGM_RSRC2:TGID_Z_EN: 1
; COMPUTE_PGM_RSRC2:TIDIG_COMP_CNT: 1
	.section	.text._ZN2at6native18radixSortKVInPlaceILin2ELin1ELi512ELi8EhljEEvNS_4cuda6detail10TensorInfoIT3_T5_EES6_S6_S6_NS4_IT4_S6_EES6_b,"axG",@progbits,_ZN2at6native18radixSortKVInPlaceILin2ELin1ELi512ELi8EhljEEvNS_4cuda6detail10TensorInfoIT3_T5_EES6_S6_S6_NS4_IT4_S6_EES6_b,comdat
	.protected	_ZN2at6native18radixSortKVInPlaceILin2ELin1ELi512ELi8EhljEEvNS_4cuda6detail10TensorInfoIT3_T5_EES6_S6_S6_NS4_IT4_S6_EES6_b ; -- Begin function _ZN2at6native18radixSortKVInPlaceILin2ELin1ELi512ELi8EhljEEvNS_4cuda6detail10TensorInfoIT3_T5_EES6_S6_S6_NS4_IT4_S6_EES6_b
	.globl	_ZN2at6native18radixSortKVInPlaceILin2ELin1ELi512ELi8EhljEEvNS_4cuda6detail10TensorInfoIT3_T5_EES6_S6_S6_NS4_IT4_S6_EES6_b
	.p2align	8
	.type	_ZN2at6native18radixSortKVInPlaceILin2ELin1ELi512ELi8EhljEEvNS_4cuda6detail10TensorInfoIT3_T5_EES6_S6_S6_NS4_IT4_S6_EES6_b,@function
_ZN2at6native18radixSortKVInPlaceILin2ELin1ELi512ELi8EhljEEvNS_4cuda6detail10TensorInfoIT3_T5_EES6_S6_S6_NS4_IT4_S6_EES6_b: ; @_ZN2at6native18radixSortKVInPlaceILin2ELin1ELi512ELi8EhljEEvNS_4cuda6detail10TensorInfoIT3_T5_EES6_S6_S6_NS4_IT4_S6_EES6_b
; %bb.0:
	s_clause 0x1
	s_load_b64 s[2:3], s[0:1], 0x1c8
	s_load_b96 s[12:14], s[0:1], 0xd8
	s_lshr_b32 s4, ttmp7, 16
	s_wait_kmcnt 0x0
	s_mul_i32 s3, s3, s4
	s_and_b32 s4, ttmp7, 0xffff
	s_delay_alu instid0(SALU_CYCLE_1) | instskip(NEXT) | instid1(SALU_CYCLE_1)
	s_add_co_i32 s3, s3, s4
	s_mul_i32 s4, s3, s2
	s_delay_alu instid0(SALU_CYCLE_1) | instskip(NEXT) | instid1(SALU_CYCLE_1)
	s_add_co_i32 s4, s4, ttmp9
	s_cmp_ge_u32 s4, s12
	s_cbranch_scc1 .LBB80_102
; %bb.1:
	s_load_b32 s2, s[0:1], 0x1b8
	s_add_nc_u64 s[10:11], s[0:1], 0xe8
	s_mov_b32 s9, 0
	s_mov_b32 s12, s4
	s_wait_kmcnt 0x0
	s_cmp_lt_i32 s2, 2
	s_cbranch_scc1 .LBB80_4
; %bb.2:
	s_add_co_i32 s8, s2, -1
	s_add_co_i32 s5, s2, 1
	s_lshl_b64 s[6:7], s[8:9], 2
	s_mov_b32 s12, s4
	s_add_nc_u64 s[6:7], s[10:11], s[6:7]
	s_delay_alu instid0(SALU_CYCLE_1)
	s_add_nc_u64 s[2:3], s[6:7], 8
.LBB80_3:                               ; =>This Inner Loop Header: Depth=1
	s_clause 0x1
	s_load_b32 s6, s[2:3], 0x0
	s_load_b32 s7, s[2:3], 0x64
	s_mov_b32 s16, s12
	s_add_nc_u64 s[2:3], s[2:3], -4
	s_wait_kmcnt 0x0
	s_cvt_f32_u32 s8, s6
	s_sub_co_i32 s15, 0, s6
	s_wait_alu 0xfffe
	s_delay_alu instid0(SALU_CYCLE_1) | instskip(NEXT) | instid1(TRANS32_DEP_1)
	v_rcp_iflag_f32_e32 v1, s8
	v_readfirstlane_b32 s8, v1
	s_mul_f32 s8, s8, 0x4f7ffffe
	s_wait_alu 0xfffe
	s_delay_alu instid0(SALU_CYCLE_2) | instskip(SKIP_1) | instid1(SALU_CYCLE_2)
	s_cvt_u32_f32 s8, s8
	s_wait_alu 0xfffe
	s_mul_i32 s15, s15, s8
	s_delay_alu instid0(SALU_CYCLE_1) | instskip(NEXT) | instid1(SALU_CYCLE_1)
	s_mul_hi_u32 s15, s8, s15
	s_add_co_i32 s8, s8, s15
	s_wait_alu 0xfffe
	s_mul_hi_u32 s8, s12, s8
	s_wait_alu 0xfffe
	s_mul_i32 s12, s8, s6
	s_add_co_i32 s15, s8, 1
	s_sub_co_i32 s12, s16, s12
	s_delay_alu instid0(SALU_CYCLE_1)
	s_sub_co_i32 s17, s12, s6
	s_cmp_ge_u32 s12, s6
	s_cselect_b32 s8, s15, s8
	s_cselect_b32 s12, s17, s12
	s_wait_alu 0xfffe
	s_add_co_i32 s15, s8, 1
	s_cmp_ge_u32 s12, s6
	s_cselect_b32 s12, s15, s8
	s_add_co_i32 s5, s5, -1
	s_mul_i32 s6, s12, s6
	s_delay_alu instid0(SALU_CYCLE_1) | instskip(NEXT) | instid1(SALU_CYCLE_1)
	s_sub_co_i32 s6, s16, s6
	s_mul_i32 s6, s7, s6
	s_delay_alu instid0(SALU_CYCLE_1)
	s_add_co_i32 s9, s6, s9
	s_cmp_gt_u32 s5, 2
	s_cbranch_scc1 .LBB80_3
.LBB80_4:
	s_clause 0x2
	s_load_b64 s[16:17], s[0:1], 0x1c0
	s_load_b64 s[2:3], s[0:1], 0x0
	s_load_b32 s5, s[0:1], 0x6c
	s_add_nc_u64 s[20:21], s[0:1], 0x1c8
	v_and_b32_e32 v44, 0x3ff, v0
	s_delay_alu instid0(VALU_DEP_1)
	v_mul_lo_u32 v47, s14, v44
	s_wait_kmcnt 0x0
	s_bitcmp1_b32 s17, 0
	s_mul_i32 s4, s5, s4
	s_cselect_b32 s0, -1, 0
	s_mov_b32 s5, 0
	s_xor_b32 s8, s0, -1
	v_cmp_gt_u32_e64 s0, s13, v44
	s_wait_alu 0xfffe
	v_cndmask_b32_e64 v1, 0, -1, s8
	v_cndmask_b32_e64 v3, 0, -1, s8
	s_add_nc_u64 s[18:19], s[2:3], s[4:5]
	s_delay_alu instid0(VALU_DEP_2) | instskip(SKIP_1) | instid1(VALU_DEP_1)
	v_lshlrev_b32_e32 v2, 8, v1
	v_and_b32_e32 v1, 0xff, v1
	v_or_b32_e32 v1, v1, v2
	s_delay_alu instid0(VALU_DEP_1) | instskip(SKIP_1) | instid1(VALU_DEP_1)
	v_and_b32_e32 v2, 0xffff, v1
	v_lshlrev_b32_e32 v1, 16, v1
	v_or_b32_e32 v1, v2, v1
	s_delay_alu instid0(VALU_DEP_1)
	v_mov_b32_e32 v2, v1
	s_and_saveexec_b32 s1, s0
	s_cbranch_execz .LBB80_6
; %bb.5:
	global_load_u8 v3, v47, s[18:19]
	v_mov_b32_e32 v5, v1
	s_wait_loadcnt 0x0
	v_perm_b32 v4, v3, v1, 0x3020104
	s_delay_alu instid0(VALU_DEP_1)
	v_dual_mov_b32 v1, v4 :: v_dual_mov_b32 v2, v5
.LBB80_6:
	s_or_b32 exec_lo, exec_lo, s1
	v_add_nc_u32_e32 v28, 0x200, v44
	s_delay_alu instid0(VALU_DEP_1)
	v_cmp_gt_u32_e64 s1, s13, v28
	s_and_saveexec_b32 s2, s1
	s_cbranch_execz .LBB80_8
; %bb.7:
	v_mul_lo_u32 v4, s14, v28
	global_load_u8 v4, v4, s[18:19]
	s_wait_loadcnt 0x0
	v_perm_b32 v1, v1, v4, 0x7060004
.LBB80_8:
	s_or_b32 exec_lo, exec_lo, s2
	v_or_b32_e32 v24, 0x400, v44
	s_delay_alu instid0(VALU_DEP_1)
	v_cmp_gt_u32_e64 s2, s13, v24
	s_and_saveexec_b32 s3, s2
	s_cbranch_execz .LBB80_10
; %bb.9:
	v_mul_lo_u32 v4, s14, v24
	global_load_u8 v4, v4, s[18:19]
	s_wait_loadcnt 0x0
	v_perm_b32 v4, v4, v1, 0xc0c0304
	s_delay_alu instid0(VALU_DEP_1) | instskip(NEXT) | instid1(VALU_DEP_1)
	v_lshlrev_b32_e32 v4, 16, v4
	v_and_or_b32 v1, 0xffff, v1, v4
.LBB80_10:
	s_or_b32 exec_lo, exec_lo, s3
	v_add_nc_u32_e32 v21, 0x600, v44
	s_delay_alu instid0(VALU_DEP_1)
	v_cmp_gt_u32_e64 s3, s13, v21
	s_and_saveexec_b32 s4, s3
	s_cbranch_execz .LBB80_12
; %bb.11:
	v_mul_lo_u32 v4, s14, v21
	global_load_u8 v4, v4, s[18:19]
	s_wait_loadcnt 0x0
	v_perm_b32 v4, v1, v4, 0xc0c0006
	s_delay_alu instid0(VALU_DEP_1) | instskip(NEXT) | instid1(VALU_DEP_1)
	v_lshlrev_b32_e32 v4, 16, v4
	v_and_or_b32 v1, 0xffff, v1, v4
.LBB80_12:
	s_or_b32 exec_lo, exec_lo, s4
	v_or_b32_e32 v19, 0x800, v44
	s_delay_alu instid0(VALU_DEP_1)
	v_cmp_gt_u32_e64 s4, s13, v19
	s_and_saveexec_b32 s5, s4
	s_cbranch_execz .LBB80_14
; %bb.13:
	v_mul_lo_u32 v4, s14, v19
	global_load_u8 v4, v4, s[18:19]
	s_wait_loadcnt 0x0
	v_perm_b32 v2, v4, v2, 0x3020104
.LBB80_14:
	s_or_b32 exec_lo, exec_lo, s5
	v_add_nc_u32_e32 v17, 0xa00, v44
	s_delay_alu instid0(VALU_DEP_1)
	v_cmp_gt_u32_e64 s5, s13, v17
	s_and_saveexec_b32 s6, s5
	s_cbranch_execz .LBB80_16
; %bb.15:
	v_mul_lo_u32 v4, s14, v17
	global_load_u8 v4, v4, s[18:19]
	s_wait_loadcnt 0x0
	v_perm_b32 v2, v2, v4, 0x7060004
.LBB80_16:
	s_or_b32 exec_lo, exec_lo, s6
	v_or_b32_e32 v16, 0xc00, v44
	s_delay_alu instid0(VALU_DEP_1)
	v_cmp_gt_u32_e64 s6, s13, v16
	s_and_saveexec_b32 s7, s6
	s_cbranch_execz .LBB80_18
; %bb.17:
	v_mul_lo_u32 v4, s14, v16
	global_load_u8 v4, v4, s[18:19]
	s_wait_loadcnt 0x0
	v_perm_b32 v2, v2, v4, 0x7000504
.LBB80_18:
	s_or_b32 exec_lo, exec_lo, s7
	s_clause 0x1
	s_load_b32 s15, s[10:11], 0x6c
	s_load_b64 s[10:11], s[10:11], 0x0
	v_add_nc_u32_e32 v15, 0xe00, v44
	s_delay_alu instid0(VALU_DEP_1)
	v_cmp_gt_u32_e64 s7, s13, v15
	s_and_saveexec_b32 s13, s7
	s_cbranch_execz .LBB80_20
; %bb.19:
	v_mul_lo_u32 v4, s14, v15
	global_load_u8 v4, v4, s[18:19]
	s_wait_loadcnt 0x0
	v_perm_b32 v2, v2, v4, 0x60504
.LBB80_20:
	s_wait_alu 0xfffe
	s_or_b32 exec_lo, exec_lo, s13
	v_lshrrev_b32_e32 v62, 5, v44
	v_lshrrev_b32_e32 v18, 5, v28
	;; [unrolled: 1-line block ×5, first 2 shown]
	s_delay_alu instid0(VALU_DEP_4) | instskip(SKIP_4) | instid1(VALU_DEP_4)
	v_dual_mov_b32 v42, 0 :: v_dual_and_b32 v5, 60, v18
	v_and_b32_e32 v4, 28, v62
	v_and_b32_e32 v7, 0x5c, v23
	v_lshrrev_b32_e32 v22, 5, v21
	v_lshrrev_b32_e32 v29, 2, v44
	v_dual_mov_b32 v43, v42 :: v_dual_add_nc_u32 v48, v4, v44
	v_dual_mov_b32 v11, v42 :: v_dual_and_b32 v4, 60, v20
	v_mov_b32_e32 v12, v42
	v_add_nc_u32_e32 v52, v7, v44
	v_and_b32_e32 v7, 0x7c, v26
	s_delay_alu instid0(VALU_DEP_4)
	v_add_nc_u32_e32 v50, v4, v44
	v_and_b32_e32 v4, 0x7c, v22
	v_lshrrev_b32_e32 v25, 5, v17
	v_lshrrev_b32_e32 v27, 5, v15
	v_dual_mov_b32 v13, 0 :: v_dual_add_nc_u32 v54, v7, v44
	v_lshlrev_b32_e32 v57, 3, v44
	v_and_b32_e32 v7, 0xfc, v29
	v_add_nc_u32_e32 v51, v4, v44
	v_and_b32_e32 v4, 0x7c, v25
	v_and_b32_e32 v9, 0xfc, v27
	v_lshrrev_b32_e32 v6, 8, v1
	v_add_nc_u32_e32 v56, v7, v57
	v_dual_mov_b32 v10, v42 :: v_dual_add_nc_u32 v49, v5, v44
	v_lshrrev_b32_e32 v5, 24, v1
	v_lshrrev_b32_e32 v8, 8, v2
	v_dual_mov_b32 v14, 0 :: v_dual_add_nc_u32 v53, v4, v44
	v_lshrrev_b32_e32 v4, 24, v2
	v_add_nc_u32_e32 v55, v9, v44
	v_mov_b32_e32 v9, v42
	v_mov_b32_e32 v7, v42
	ds_store_b8 v48, v3
	ds_store_b8 v49, v6 offset:512
	ds_store_b8_d16_hi v50, v1 offset:1024
	ds_store_b8 v51, v5 offset:1536
	ds_store_b8 v52, v2 offset:2048
	;; [unrolled: 1-line block ×3, first 2 shown]
	ds_store_b8_d16_hi v54, v2 offset:3072
	ds_store_b8 v55, v4 offset:3584
	s_wait_dscnt 0x0
	s_barrier_signal -1
	s_barrier_wait -1
	global_inv scope:SCOPE_SE
	ds_load_2addr_b32 v[45:46], v56 offset1:1
	s_wait_kmcnt 0x0
	s_mul_i32 s12, s15, s12
	v_mul_lo_u32 v41, s16, v44
	s_mov_b32 s13, 0
	s_wait_alu 0xfffe
	s_add_co_i32 s12, s12, s9
	v_dual_mov_b32 v1, v42 :: v_dual_mov_b32 v2, v42
	v_dual_mov_b32 v3, v42 :: v_dual_mov_b32 v4, v42
	v_dual_mov_b32 v5, v42 :: v_dual_mov_b32 v6, v42
	v_mov_b32_e32 v8, v42
	s_wait_alu 0xfffe
	s_lshl_b64 s[12:13], s[12:13], 3
	s_wait_loadcnt_dscnt 0x0
	s_wait_alu 0xfffe
	s_add_nc_u64 s[12:13], s[10:11], s[12:13]
	s_barrier_signal -1
	s_barrier_wait -1
	global_inv scope:SCOPE_SE
	s_and_saveexec_b32 s9, s0
	s_cbranch_execnz .LBB80_53
; %bb.21:
	s_wait_alu 0xfffe
	s_or_b32 exec_lo, exec_lo, s9
	s_and_saveexec_b32 s9, s1
	s_cbranch_execnz .LBB80_54
.LBB80_22:
	s_wait_alu 0xfffe
	s_or_b32 exec_lo, exec_lo, s9
	s_and_saveexec_b32 s9, s2
	s_cbranch_execnz .LBB80_55
.LBB80_23:
	s_wait_alu 0xfffe
	s_or_b32 exec_lo, exec_lo, s9
	s_and_saveexec_b32 s9, s3
	s_cbranch_execnz .LBB80_56
.LBB80_24:
	s_wait_alu 0xfffe
	s_or_b32 exec_lo, exec_lo, s9
	s_and_saveexec_b32 s9, s4
	s_cbranch_execnz .LBB80_57
.LBB80_25:
	s_wait_alu 0xfffe
	s_or_b32 exec_lo, exec_lo, s9
	s_and_saveexec_b32 s9, s5
	s_cbranch_execnz .LBB80_58
.LBB80_26:
	s_wait_alu 0xfffe
	s_or_b32 exec_lo, exec_lo, s9
	s_and_saveexec_b32 s9, s6
	s_cbranch_execnz .LBB80_59
.LBB80_27:
	s_wait_alu 0xfffe
	s_or_b32 exec_lo, exec_lo, s9
	s_and_saveexec_b32 s9, s7
	s_cbranch_execz .LBB80_29
.LBB80_28:
	v_mul_lo_u32 v7, s16, v15
	v_mov_b32_e32 v8, 0
	s_delay_alu instid0(VALU_DEP_1) | instskip(NEXT) | instid1(VALU_DEP_1)
	v_lshlrev_b64_e32 v[7:8], 3, v[7:8]
	v_add_co_u32 v7, vcc_lo, s12, v7
	s_wait_alu 0xfffd
	s_delay_alu instid0(VALU_DEP_2)
	v_add_co_ci_u32_e64 v8, null, s13, v8, vcc_lo
	global_load_b64 v[7:8], v[7:8], off
.LBB80_29:
	s_wait_alu 0xfffe
	s_or_b32 exec_lo, exec_lo, s9
	v_lshl_add_u32 v58, v62, 3, v57
	v_lshl_add_u32 v59, v18, 3, v57
	;; [unrolled: 1-line block ×5, first 2 shown]
	s_wait_loadcnt 0x0
	ds_store_b64 v58, v[13:14]
	ds_store_b64 v59, v[42:43] offset:4096
	ds_store_b64 v60, v[9:10] offset:8192
	;; [unrolled: 1-line block ×3, first 2 shown]
	v_lshlrev_b32_e32 v9, 3, v57
	v_lshl_add_u32 v42, v23, 3, v57
	v_lshl_add_u32 v43, v25, 3, v57
	;; [unrolled: 1-line block ×3, first 2 shown]
	ds_store_b64 v42, v[1:2] offset:16384
	ds_store_b64 v43, v[3:4] offset:20480
	;; [unrolled: 1-line block ×4, first 2 shown]
	v_lshl_add_u32 v65, v29, 3, v9
	s_wait_dscnt 0x0
	s_barrier_signal -1
	s_barrier_wait -1
	global_inv scope:SCOPE_SE
	ds_load_2addr_b64 v[13:16], v65 offset1:1
	ds_load_2addr_b64 v[9:12], v65 offset0:2 offset1:3
	ds_load_2addr_b64 v[5:8], v65 offset0:4 offset1:5
	ds_load_2addr_b64 v[1:4], v65 offset0:6 offset1:7
	v_bfe_u32 v69, v0, 10, 10
	v_bfe_u32 v70, v0, 20, 10
	v_mbcnt_lo_u32_b32 v67, -1, 0
	v_and_b32_e32 v68, 0x3e0, v44
	v_lshlrev_b32_e32 v66, 2, v57
	s_and_b32 vcc_lo, exec_lo, s8
	s_wait_loadcnt_dscnt 0x0
	s_barrier_signal -1
	s_barrier_wait -1
	global_inv scope:SCOPE_SE
	s_wait_alu 0xfffe
	s_cbranch_vccz .LBB80_60
; %bb.30:
	s_getpc_b64 s[8:9]
	s_wait_alu 0xfffe
	s_sext_i32_i16 s9, s9
	s_add_co_u32 s8, s8, _ZN7rocprim17ROCPRIM_400000_NS16block_radix_sortIhLj512ELj8ElLj1ELj1ELj0ELNS0_26block_radix_rank_algorithmE1ELNS0_18block_padding_hintE2ELNS0_4arch9wavefront6targetE0EE19radix_bits_per_passE@rel32@lo+12
	s_wait_alu 0xfffe
	s_add_co_ci_u32 s9, s9, _ZN7rocprim17ROCPRIM_400000_NS16block_radix_sortIhLj512ELj8ElLj1ELj1ELj0ELNS0_26block_radix_rank_algorithmE1ELNS0_18block_padding_hintE2ELNS0_4arch9wavefront6targetE0EE19radix_bits_per_passE@rel32@hi+24
	v_or_b32_e32 v17, v67, v68
	s_load_b32 s8, s[8:9], 0x0
	s_mov_b32 s24, 0
	v_and_or_b32 v18, 0x1f00, v57, v67
	s_mov_b32 s25, s24
	s_mov_b32 s26, s24
	;; [unrolled: 1-line block ×3, first 2 shown]
	v_lshlrev_b32_e32 v19, 3, v17
	v_mad_u32_u24 v29, v18, 7, v18
	ds_store_b64 v19, v[45:46]
	; wave barrier
	ds_load_u8 v0, v18
	ds_load_u8 v71, v18 offset:32
	ds_load_u8 v72, v18 offset:64
	;; [unrolled: 1-line block ×7, first 2 shown]
	v_mad_u32_u24 v17, v17, 56, v19
	s_wait_loadcnt_dscnt 0x0
	s_barrier_signal -1
	s_barrier_wait -1
	global_inv scope:SCOPE_SE
	s_wait_kmcnt 0x0
	s_min_u32 s8, s8, 8
	ds_store_b128 v17, v[13:16]
	ds_store_b128 v17, v[9:12] offset:16
	s_wait_alu 0xfffe
	s_lshl_b32 s8, -1, s8
	ds_store_b128 v17, v[5:8] offset:32
	ds_store_b128 v17, v[1:4] offset:48
	s_wait_alu 0xfffe
	s_not_b32 s9, s8
	; wave barrier
	s_wait_alu 0xfffe
	v_and_b32_e32 v39, s9, v0
	ds_load_2addr_b64 v[25:28], v29 offset1:32
	ds_load_2addr_b64 v[21:24], v29 offset0:64 offset1:96
	ds_load_2addr_b64 v[17:20], v29 offset0:128 offset1:160
	;; [unrolled: 1-line block ×3, first 2 shown]
	s_wait_loadcnt_dscnt 0x0
	s_barrier_signal -1
	v_and_b32_e32 v33, 1, v39
	v_lshlrev_b32_e32 v34, 30, v39
	v_lshlrev_b32_e32 v36, 29, v39
	;; [unrolled: 1-line block ×3, first 2 shown]
	s_barrier_wait -1
	v_add_co_u32 v33, s8, v33, -1
	s_wait_alu 0xf1ff
	v_cndmask_b32_e64 v35, 0, 1, s8
	v_not_b32_e32 v37, v34
	v_cmp_gt_i32_e64 s8, 0, v34
	v_not_b32_e32 v34, v36
	global_inv scope:SCOPE_SE
	v_cmp_ne_u32_e32 vcc_lo, 0, v35
	v_ashrrev_i32_e32 v35, 31, v37
	v_lshlrev_b32_e32 v37, 28, v39
	v_ashrrev_i32_e32 v34, 31, v34
	s_wait_alu 0xfffd
	v_xor_b32_e32 v33, vcc_lo, v33
	v_cmp_gt_i32_e32 vcc_lo, 0, v36
	s_wait_alu 0xf1ff
	v_xor_b32_e32 v35, s8, v35
	v_not_b32_e32 v36, v37
	s_load_b32 s8, s[20:21], 0xc
	v_and_b32_e32 v33, exec_lo, v33
	v_xor_b32_e32 v34, vcc_lo, v34
	v_cmp_gt_i32_e32 vcc_lo, 0, v37
	v_lshlrev_b32_e32 v37, 26, v39
	s_delay_alu instid0(VALU_DEP_4) | instskip(SKIP_2) | instid1(VALU_DEP_3)
	v_and_b32_e32 v33, v33, v35
	v_ashrrev_i32_e32 v35, 31, v36
	v_not_b32_e32 v36, v38
	v_and_b32_e32 v33, v33, v34
	s_wait_alu 0xfffd
	s_delay_alu instid0(VALU_DEP_3) | instskip(SKIP_3) | instid1(VALU_DEP_4)
	v_xor_b32_e32 v34, vcc_lo, v35
	v_cmp_gt_i32_e32 vcc_lo, 0, v38
	v_ashrrev_i32_e32 v35, 31, v36
	v_not_b32_e32 v36, v37
	v_and_b32_e32 v33, v33, v34
	v_lshlrev_b32_e32 v34, 25, v39
	s_wait_alu 0xfffd
	v_xor_b32_e32 v35, vcc_lo, v35
	v_cmp_gt_i32_e32 vcc_lo, 0, v37
	v_ashrrev_i32_e32 v36, 31, v36
	s_wait_kmcnt 0x0
	s_lshr_b32 s10, s8, 16
	v_not_b32_e32 v37, v34
	v_and_b32_e32 v33, v33, v35
	v_lshlrev_b32_e32 v35, 24, v39
	s_wait_alu 0xfffd
	v_xor_b32_e32 v36, vcc_lo, v36
	v_cmp_gt_i32_e32 vcc_lo, 0, v34
	v_ashrrev_i32_e32 v34, 31, v37
	v_mad_u32_u24 v38, v70, s10, v69
	v_not_b32_e32 v37, v35
	v_and_b32_e32 v36, v33, v36
	s_and_b32 s8, s8, 0xffff
	s_wait_alu 0xfffd
	v_xor_b32_e32 v40, vcc_lo, v34
	v_cmp_gt_i32_e32 vcc_lo, 0, v35
	v_ashrrev_i32_e32 v35, 31, v37
	s_wait_alu 0xfffe
	v_mad_co_u64_u32 v[33:34], null, v38, s8, v[44:45]
	v_and_b32_e32 v34, v36, v40
	s_wait_alu 0xfffd
	v_xor_b32_e32 v40, vcc_lo, v35
	v_dual_mov_b32 v38, s27 :: v_dual_mov_b32 v37, s26
	v_dual_mov_b32 v36, s25 :: v_dual_mov_b32 v35, s24
	s_delay_alu instid0(VALU_DEP_3)
	v_and_b32_e32 v34, v34, v40
	v_and_b32_e32 v39, 0xff, v39
	v_lshrrev_b32_e32 v33, 3, v33
	ds_store_b128 v66, v[35:38] offset:64
	ds_store_b128 v66, v[35:38] offset:80
	v_mbcnt_lo_u32_b32 v78, v34, 0
	v_lshlrev_b32_e32 v35, 6, v39
	v_and_b32_e32 v33, 0x1ffffffc, v33
	v_cmp_ne_u32_e64 s8, 0, v34
	s_wait_loadcnt_dscnt 0x0
	v_cmp_eq_u32_e32 vcc_lo, 0, v78
	s_barrier_signal -1
	v_add_nc_u32_e32 v79, v33, v35
	s_barrier_wait -1
	global_inv scope:SCOPE_SE
	s_and_b32 s10, s8, vcc_lo
	; wave barrier
	s_wait_alu 0xfffe
	s_and_saveexec_b32 s8, s10
; %bb.31:
	v_bcnt_u32_b32 v34, v34, 0
	ds_store_b32 v79, v34 offset:64
; %bb.32:
	s_wait_alu 0xfffe
	s_or_b32 exec_lo, exec_lo, s8
	v_and_b32_e32 v34, s9, v71
	; wave barrier
	s_delay_alu instid0(VALU_DEP_1)
	v_and_b32_e32 v36, 1, v34
	v_lshlrev_b32_e32 v37, 30, v34
	v_lshlrev_b32_e32 v38, 29, v34
	;; [unrolled: 1-line block ×4, first 2 shown]
	v_add_co_u32 v36, s8, v36, -1
	s_wait_alu 0xf1ff
	v_cndmask_b32_e64 v40, 0, 1, s8
	v_not_b32_e32 v83, v37
	v_cmp_gt_i32_e64 s8, 0, v37
	v_not_b32_e32 v37, v38
	v_lshlrev_b32_e32 v81, 26, v34
	v_cmp_ne_u32_e32 vcc_lo, 0, v40
	v_ashrrev_i32_e32 v40, 31, v83
	v_lshlrev_b32_e32 v82, 25, v34
	v_ashrrev_i32_e32 v37, 31, v37
	v_and_b32_e32 v35, 0xff, v34
	s_wait_alu 0xfffd
	v_xor_b32_e32 v36, vcc_lo, v36
	v_cmp_gt_i32_e32 vcc_lo, 0, v38
	v_not_b32_e32 v38, v39
	s_wait_alu 0xf1ff
	v_xor_b32_e32 v40, s8, v40
	v_cmp_gt_i32_e64 s8, 0, v39
	v_and_b32_e32 v36, exec_lo, v36
	v_not_b32_e32 v39, v80
	v_ashrrev_i32_e32 v38, 31, v38
	s_wait_alu 0xfffd
	v_xor_b32_e32 v37, vcc_lo, v37
	v_cmp_gt_i32_e32 vcc_lo, 0, v80
	v_and_b32_e32 v36, v36, v40
	v_not_b32_e32 v40, v81
	v_ashrrev_i32_e32 v39, 31, v39
	s_wait_alu 0xf1ff
	v_xor_b32_e32 v38, s8, v38
	v_lshlrev_b32_e32 v34, 24, v34
	v_and_b32_e32 v36, v36, v37
	v_cmp_gt_i32_e64 s8, 0, v81
	v_not_b32_e32 v37, v82
	v_ashrrev_i32_e32 v40, 31, v40
	s_wait_alu 0xfffd
	v_xor_b32_e32 v39, vcc_lo, v39
	v_and_b32_e32 v36, v36, v38
	v_cmp_gt_i32_e32 vcc_lo, 0, v82
	v_not_b32_e32 v38, v34
	v_ashrrev_i32_e32 v37, 31, v37
	s_wait_alu 0xf1ff
	v_xor_b32_e32 v40, s8, v40
	v_and_b32_e32 v36, v36, v39
	v_lshlrev_b32_e32 v35, 6, v35
	v_cmp_gt_i32_e64 s8, 0, v34
	v_ashrrev_i32_e32 v34, 31, v38
	s_wait_alu 0xfffd
	v_xor_b32_e32 v37, vcc_lo, v37
	v_and_b32_e32 v36, v36, v40
	v_add_nc_u32_e32 v82, v33, v35
	s_wait_alu 0xf1ff
	v_xor_b32_e32 v34, s8, v34
	s_delay_alu instid0(VALU_DEP_3) | instskip(SKIP_2) | instid1(VALU_DEP_1)
	v_and_b32_e32 v35, v36, v37
	ds_load_b32 v80, v82 offset:64
	; wave barrier
	v_and_b32_e32 v34, v35, v34
	v_mbcnt_lo_u32_b32 v81, v34, 0
	v_cmp_ne_u32_e64 s8, 0, v34
	s_delay_alu instid0(VALU_DEP_2)
	v_cmp_eq_u32_e32 vcc_lo, 0, v81
	s_and_b32 s10, s8, vcc_lo
	s_wait_alu 0xfffe
	s_and_saveexec_b32 s8, s10
	s_cbranch_execz .LBB80_34
; %bb.33:
	s_wait_dscnt 0x0
	v_bcnt_u32_b32 v34, v34, v80
	ds_store_b32 v82, v34 offset:64
.LBB80_34:
	s_wait_alu 0xfffe
	s_or_b32 exec_lo, exec_lo, s8
	v_and_b32_e32 v34, s9, v72
	; wave barrier
	s_delay_alu instid0(VALU_DEP_1)
	v_and_b32_e32 v36, 1, v34
	v_lshlrev_b32_e32 v37, 30, v34
	v_lshlrev_b32_e32 v38, 29, v34
	;; [unrolled: 1-line block ×4, first 2 shown]
	v_add_co_u32 v36, s8, v36, -1
	s_wait_alu 0xf1ff
	v_cndmask_b32_e64 v40, 0, 1, s8
	v_not_b32_e32 v86, v37
	v_cmp_gt_i32_e64 s8, 0, v37
	v_not_b32_e32 v37, v38
	v_lshlrev_b32_e32 v84, 26, v34
	v_cmp_ne_u32_e32 vcc_lo, 0, v40
	v_ashrrev_i32_e32 v40, 31, v86
	v_lshlrev_b32_e32 v85, 25, v34
	v_ashrrev_i32_e32 v37, 31, v37
	v_and_b32_e32 v35, 0xff, v34
	s_wait_alu 0xfffd
	v_xor_b32_e32 v36, vcc_lo, v36
	v_cmp_gt_i32_e32 vcc_lo, 0, v38
	v_not_b32_e32 v38, v39
	s_wait_alu 0xf1ff
	v_xor_b32_e32 v40, s8, v40
	v_cmp_gt_i32_e64 s8, 0, v39
	v_and_b32_e32 v36, exec_lo, v36
	v_not_b32_e32 v39, v83
	v_ashrrev_i32_e32 v38, 31, v38
	s_wait_alu 0xfffd
	v_xor_b32_e32 v37, vcc_lo, v37
	v_cmp_gt_i32_e32 vcc_lo, 0, v83
	v_and_b32_e32 v36, v36, v40
	v_not_b32_e32 v40, v84
	v_ashrrev_i32_e32 v39, 31, v39
	s_wait_alu 0xf1ff
	v_xor_b32_e32 v38, s8, v38
	v_lshlrev_b32_e32 v34, 24, v34
	v_and_b32_e32 v36, v36, v37
	v_cmp_gt_i32_e64 s8, 0, v84
	v_not_b32_e32 v37, v85
	v_ashrrev_i32_e32 v40, 31, v40
	s_wait_alu 0xfffd
	v_xor_b32_e32 v39, vcc_lo, v39
	v_and_b32_e32 v36, v36, v38
	v_cmp_gt_i32_e32 vcc_lo, 0, v85
	v_not_b32_e32 v38, v34
	v_ashrrev_i32_e32 v37, 31, v37
	s_wait_alu 0xf1ff
	v_xor_b32_e32 v40, s8, v40
	v_and_b32_e32 v36, v36, v39
	v_lshlrev_b32_e32 v35, 6, v35
	v_cmp_gt_i32_e64 s8, 0, v34
	v_ashrrev_i32_e32 v34, 31, v38
	s_wait_alu 0xfffd
	v_xor_b32_e32 v37, vcc_lo, v37
	v_and_b32_e32 v36, v36, v40
	v_add_nc_u32_e32 v85, v33, v35
	s_wait_alu 0xf1ff
	v_xor_b32_e32 v34, s8, v34
	s_delay_alu instid0(VALU_DEP_3) | instskip(SKIP_2) | instid1(VALU_DEP_1)
	v_and_b32_e32 v35, v36, v37
	ds_load_b32 v83, v85 offset:64
	; wave barrier
	v_and_b32_e32 v34, v35, v34
	v_mbcnt_lo_u32_b32 v84, v34, 0
	v_cmp_ne_u32_e64 s8, 0, v34
	s_delay_alu instid0(VALU_DEP_2)
	v_cmp_eq_u32_e32 vcc_lo, 0, v84
	s_and_b32 s10, s8, vcc_lo
	s_wait_alu 0xfffe
	s_and_saveexec_b32 s8, s10
	s_cbranch_execz .LBB80_36
; %bb.35:
	s_wait_dscnt 0x0
	v_bcnt_u32_b32 v34, v34, v83
	ds_store_b32 v85, v34 offset:64
.LBB80_36:
	s_wait_alu 0xfffe
	s_or_b32 exec_lo, exec_lo, s8
	v_and_b32_e32 v34, s9, v73
	; wave barrier
	s_delay_alu instid0(VALU_DEP_1)
	v_and_b32_e32 v36, 1, v34
	v_lshlrev_b32_e32 v37, 30, v34
	v_lshlrev_b32_e32 v38, 29, v34
	;; [unrolled: 1-line block ×4, first 2 shown]
	v_add_co_u32 v36, s8, v36, -1
	s_wait_alu 0xf1ff
	v_cndmask_b32_e64 v40, 0, 1, s8
	v_not_b32_e32 v89, v37
	v_cmp_gt_i32_e64 s8, 0, v37
	v_not_b32_e32 v37, v38
	v_lshlrev_b32_e32 v87, 26, v34
	v_cmp_ne_u32_e32 vcc_lo, 0, v40
	v_ashrrev_i32_e32 v40, 31, v89
	v_lshlrev_b32_e32 v88, 25, v34
	v_ashrrev_i32_e32 v37, 31, v37
	v_and_b32_e32 v35, 0xff, v34
	s_wait_alu 0xfffd
	v_xor_b32_e32 v36, vcc_lo, v36
	v_cmp_gt_i32_e32 vcc_lo, 0, v38
	v_not_b32_e32 v38, v39
	s_wait_alu 0xf1ff
	v_xor_b32_e32 v40, s8, v40
	v_cmp_gt_i32_e64 s8, 0, v39
	v_and_b32_e32 v36, exec_lo, v36
	v_not_b32_e32 v39, v86
	v_ashrrev_i32_e32 v38, 31, v38
	s_wait_alu 0xfffd
	v_xor_b32_e32 v37, vcc_lo, v37
	v_cmp_gt_i32_e32 vcc_lo, 0, v86
	v_and_b32_e32 v36, v36, v40
	v_not_b32_e32 v40, v87
	v_ashrrev_i32_e32 v39, 31, v39
	s_wait_alu 0xf1ff
	v_xor_b32_e32 v38, s8, v38
	v_lshlrev_b32_e32 v34, 24, v34
	v_and_b32_e32 v36, v36, v37
	v_cmp_gt_i32_e64 s8, 0, v87
	v_not_b32_e32 v37, v88
	v_ashrrev_i32_e32 v40, 31, v40
	s_wait_alu 0xfffd
	v_xor_b32_e32 v39, vcc_lo, v39
	v_and_b32_e32 v36, v36, v38
	v_cmp_gt_i32_e32 vcc_lo, 0, v88
	v_not_b32_e32 v38, v34
	v_ashrrev_i32_e32 v37, 31, v37
	s_wait_alu 0xf1ff
	v_xor_b32_e32 v40, s8, v40
	v_and_b32_e32 v36, v36, v39
	v_lshlrev_b32_e32 v35, 6, v35
	v_cmp_gt_i32_e64 s8, 0, v34
	v_ashrrev_i32_e32 v34, 31, v38
	s_wait_alu 0xfffd
	v_xor_b32_e32 v37, vcc_lo, v37
	v_and_b32_e32 v36, v36, v40
	v_add_nc_u32_e32 v88, v33, v35
	s_wait_alu 0xf1ff
	v_xor_b32_e32 v34, s8, v34
	s_delay_alu instid0(VALU_DEP_3) | instskip(SKIP_2) | instid1(VALU_DEP_1)
	v_and_b32_e32 v35, v36, v37
	ds_load_b32 v86, v88 offset:64
	; wave barrier
	v_and_b32_e32 v34, v35, v34
	v_mbcnt_lo_u32_b32 v87, v34, 0
	v_cmp_ne_u32_e64 s8, 0, v34
	s_delay_alu instid0(VALU_DEP_2)
	v_cmp_eq_u32_e32 vcc_lo, 0, v87
	s_and_b32 s10, s8, vcc_lo
	s_wait_alu 0xfffe
	s_and_saveexec_b32 s8, s10
	s_cbranch_execz .LBB80_38
; %bb.37:
	s_wait_dscnt 0x0
	v_bcnt_u32_b32 v34, v34, v86
	ds_store_b32 v88, v34 offset:64
.LBB80_38:
	s_wait_alu 0xfffe
	s_or_b32 exec_lo, exec_lo, s8
	v_and_b32_e32 v34, s9, v74
	; wave barrier
	s_delay_alu instid0(VALU_DEP_1)
	v_and_b32_e32 v36, 1, v34
	v_lshlrev_b32_e32 v37, 30, v34
	v_lshlrev_b32_e32 v38, 29, v34
	;; [unrolled: 1-line block ×4, first 2 shown]
	v_add_co_u32 v36, s8, v36, -1
	s_wait_alu 0xf1ff
	v_cndmask_b32_e64 v40, 0, 1, s8
	v_not_b32_e32 v92, v37
	v_cmp_gt_i32_e64 s8, 0, v37
	v_not_b32_e32 v37, v38
	v_lshlrev_b32_e32 v90, 26, v34
	v_cmp_ne_u32_e32 vcc_lo, 0, v40
	v_ashrrev_i32_e32 v40, 31, v92
	v_lshlrev_b32_e32 v91, 25, v34
	v_ashrrev_i32_e32 v37, 31, v37
	v_and_b32_e32 v35, 0xff, v34
	s_wait_alu 0xfffd
	v_xor_b32_e32 v36, vcc_lo, v36
	v_cmp_gt_i32_e32 vcc_lo, 0, v38
	v_not_b32_e32 v38, v39
	s_wait_alu 0xf1ff
	v_xor_b32_e32 v40, s8, v40
	v_cmp_gt_i32_e64 s8, 0, v39
	v_and_b32_e32 v36, exec_lo, v36
	v_not_b32_e32 v39, v89
	v_ashrrev_i32_e32 v38, 31, v38
	s_wait_alu 0xfffd
	v_xor_b32_e32 v37, vcc_lo, v37
	v_cmp_gt_i32_e32 vcc_lo, 0, v89
	v_and_b32_e32 v36, v36, v40
	v_not_b32_e32 v40, v90
	v_ashrrev_i32_e32 v39, 31, v39
	s_wait_alu 0xf1ff
	v_xor_b32_e32 v38, s8, v38
	v_lshlrev_b32_e32 v34, 24, v34
	v_and_b32_e32 v36, v36, v37
	v_cmp_gt_i32_e64 s8, 0, v90
	v_not_b32_e32 v37, v91
	v_ashrrev_i32_e32 v40, 31, v40
	s_wait_alu 0xfffd
	v_xor_b32_e32 v39, vcc_lo, v39
	v_and_b32_e32 v36, v36, v38
	v_cmp_gt_i32_e32 vcc_lo, 0, v91
	v_not_b32_e32 v38, v34
	v_ashrrev_i32_e32 v37, 31, v37
	s_wait_alu 0xf1ff
	v_xor_b32_e32 v40, s8, v40
	v_and_b32_e32 v36, v36, v39
	v_lshlrev_b32_e32 v35, 6, v35
	v_cmp_gt_i32_e64 s8, 0, v34
	v_ashrrev_i32_e32 v34, 31, v38
	s_wait_alu 0xfffd
	v_xor_b32_e32 v37, vcc_lo, v37
	v_and_b32_e32 v36, v36, v40
	v_add_nc_u32_e32 v91, v33, v35
	s_wait_alu 0xf1ff
	v_xor_b32_e32 v34, s8, v34
	s_delay_alu instid0(VALU_DEP_3) | instskip(SKIP_2) | instid1(VALU_DEP_1)
	v_and_b32_e32 v35, v36, v37
	ds_load_b32 v89, v91 offset:64
	; wave barrier
	v_and_b32_e32 v34, v35, v34
	v_mbcnt_lo_u32_b32 v90, v34, 0
	v_cmp_ne_u32_e64 s8, 0, v34
	s_delay_alu instid0(VALU_DEP_2)
	v_cmp_eq_u32_e32 vcc_lo, 0, v90
	s_and_b32 s10, s8, vcc_lo
	s_wait_alu 0xfffe
	s_and_saveexec_b32 s8, s10
	s_cbranch_execz .LBB80_40
; %bb.39:
	s_wait_dscnt 0x0
	v_bcnt_u32_b32 v34, v34, v89
	ds_store_b32 v91, v34 offset:64
.LBB80_40:
	s_wait_alu 0xfffe
	s_or_b32 exec_lo, exec_lo, s8
	v_and_b32_e32 v34, s9, v75
	; wave barrier
	s_delay_alu instid0(VALU_DEP_1)
	v_and_b32_e32 v36, 1, v34
	v_lshlrev_b32_e32 v37, 30, v34
	v_lshlrev_b32_e32 v38, 29, v34
	;; [unrolled: 1-line block ×4, first 2 shown]
	v_add_co_u32 v36, s8, v36, -1
	s_wait_alu 0xf1ff
	v_cndmask_b32_e64 v40, 0, 1, s8
	v_not_b32_e32 v95, v37
	v_cmp_gt_i32_e64 s8, 0, v37
	v_not_b32_e32 v37, v38
	v_lshlrev_b32_e32 v93, 26, v34
	v_cmp_ne_u32_e32 vcc_lo, 0, v40
	v_ashrrev_i32_e32 v40, 31, v95
	v_lshlrev_b32_e32 v94, 25, v34
	v_ashrrev_i32_e32 v37, 31, v37
	v_and_b32_e32 v35, 0xff, v34
	s_wait_alu 0xfffd
	v_xor_b32_e32 v36, vcc_lo, v36
	v_cmp_gt_i32_e32 vcc_lo, 0, v38
	v_not_b32_e32 v38, v39
	s_wait_alu 0xf1ff
	v_xor_b32_e32 v40, s8, v40
	v_cmp_gt_i32_e64 s8, 0, v39
	v_and_b32_e32 v36, exec_lo, v36
	v_not_b32_e32 v39, v92
	v_ashrrev_i32_e32 v38, 31, v38
	s_wait_alu 0xfffd
	v_xor_b32_e32 v37, vcc_lo, v37
	v_cmp_gt_i32_e32 vcc_lo, 0, v92
	v_and_b32_e32 v36, v36, v40
	v_not_b32_e32 v40, v93
	v_ashrrev_i32_e32 v39, 31, v39
	s_wait_alu 0xf1ff
	v_xor_b32_e32 v38, s8, v38
	v_lshlrev_b32_e32 v34, 24, v34
	v_and_b32_e32 v36, v36, v37
	v_cmp_gt_i32_e64 s8, 0, v93
	v_not_b32_e32 v37, v94
	v_ashrrev_i32_e32 v40, 31, v40
	s_wait_alu 0xfffd
	v_xor_b32_e32 v39, vcc_lo, v39
	v_and_b32_e32 v36, v36, v38
	v_cmp_gt_i32_e32 vcc_lo, 0, v94
	v_not_b32_e32 v38, v34
	v_ashrrev_i32_e32 v37, 31, v37
	s_wait_alu 0xf1ff
	v_xor_b32_e32 v40, s8, v40
	v_and_b32_e32 v36, v36, v39
	v_lshlrev_b32_e32 v35, 6, v35
	v_cmp_gt_i32_e64 s8, 0, v34
	v_ashrrev_i32_e32 v34, 31, v38
	s_wait_alu 0xfffd
	v_xor_b32_e32 v37, vcc_lo, v37
	v_and_b32_e32 v36, v36, v40
	v_add_nc_u32_e32 v94, v33, v35
	s_wait_alu 0xf1ff
	v_xor_b32_e32 v34, s8, v34
	s_delay_alu instid0(VALU_DEP_3) | instskip(SKIP_2) | instid1(VALU_DEP_1)
	v_and_b32_e32 v35, v36, v37
	ds_load_b32 v92, v94 offset:64
	; wave barrier
	v_and_b32_e32 v34, v35, v34
	v_mbcnt_lo_u32_b32 v93, v34, 0
	v_cmp_ne_u32_e64 s8, 0, v34
	s_delay_alu instid0(VALU_DEP_2)
	v_cmp_eq_u32_e32 vcc_lo, 0, v93
	s_and_b32 s10, s8, vcc_lo
	s_wait_alu 0xfffe
	s_and_saveexec_b32 s8, s10
	s_cbranch_execz .LBB80_42
; %bb.41:
	s_wait_dscnt 0x0
	v_bcnt_u32_b32 v34, v34, v92
	ds_store_b32 v94, v34 offset:64
.LBB80_42:
	s_wait_alu 0xfffe
	s_or_b32 exec_lo, exec_lo, s8
	v_and_b32_e32 v34, s9, v76
	; wave barrier
	s_delay_alu instid0(VALU_DEP_1)
	v_and_b32_e32 v36, 1, v34
	v_lshlrev_b32_e32 v37, 30, v34
	v_lshlrev_b32_e32 v38, 29, v34
	;; [unrolled: 1-line block ×4, first 2 shown]
	v_add_co_u32 v36, s8, v36, -1
	s_wait_alu 0xf1ff
	v_cndmask_b32_e64 v40, 0, 1, s8
	v_not_b32_e32 v98, v37
	v_cmp_gt_i32_e64 s8, 0, v37
	v_not_b32_e32 v37, v38
	v_lshlrev_b32_e32 v96, 26, v34
	v_cmp_ne_u32_e32 vcc_lo, 0, v40
	v_ashrrev_i32_e32 v40, 31, v98
	v_lshlrev_b32_e32 v97, 25, v34
	v_ashrrev_i32_e32 v37, 31, v37
	v_and_b32_e32 v35, 0xff, v34
	s_wait_alu 0xfffd
	v_xor_b32_e32 v36, vcc_lo, v36
	v_cmp_gt_i32_e32 vcc_lo, 0, v38
	v_not_b32_e32 v38, v39
	s_wait_alu 0xf1ff
	v_xor_b32_e32 v40, s8, v40
	v_cmp_gt_i32_e64 s8, 0, v39
	v_and_b32_e32 v36, exec_lo, v36
	v_not_b32_e32 v39, v95
	v_ashrrev_i32_e32 v38, 31, v38
	s_wait_alu 0xfffd
	v_xor_b32_e32 v37, vcc_lo, v37
	v_cmp_gt_i32_e32 vcc_lo, 0, v95
	v_and_b32_e32 v36, v36, v40
	v_not_b32_e32 v40, v96
	v_ashrrev_i32_e32 v39, 31, v39
	s_wait_alu 0xf1ff
	v_xor_b32_e32 v38, s8, v38
	v_lshlrev_b32_e32 v34, 24, v34
	v_and_b32_e32 v36, v36, v37
	v_cmp_gt_i32_e64 s8, 0, v96
	v_not_b32_e32 v37, v97
	v_ashrrev_i32_e32 v40, 31, v40
	s_wait_alu 0xfffd
	v_xor_b32_e32 v39, vcc_lo, v39
	v_and_b32_e32 v36, v36, v38
	v_cmp_gt_i32_e32 vcc_lo, 0, v97
	v_not_b32_e32 v38, v34
	v_ashrrev_i32_e32 v37, 31, v37
	s_wait_alu 0xf1ff
	v_xor_b32_e32 v40, s8, v40
	v_and_b32_e32 v36, v36, v39
	v_lshlrev_b32_e32 v35, 6, v35
	v_cmp_gt_i32_e64 s8, 0, v34
	v_ashrrev_i32_e32 v34, 31, v38
	s_wait_alu 0xfffd
	v_xor_b32_e32 v37, vcc_lo, v37
	v_and_b32_e32 v36, v36, v40
	v_add_nc_u32_e32 v97, v33, v35
	s_wait_alu 0xf1ff
	v_xor_b32_e32 v34, s8, v34
	s_delay_alu instid0(VALU_DEP_3) | instskip(SKIP_2) | instid1(VALU_DEP_1)
	v_and_b32_e32 v35, v36, v37
	ds_load_b32 v95, v97 offset:64
	; wave barrier
	v_and_b32_e32 v34, v35, v34
	v_mbcnt_lo_u32_b32 v96, v34, 0
	v_cmp_ne_u32_e64 s8, 0, v34
	s_delay_alu instid0(VALU_DEP_2)
	v_cmp_eq_u32_e32 vcc_lo, 0, v96
	s_and_b32 s10, s8, vcc_lo
	s_wait_alu 0xfffe
	s_and_saveexec_b32 s8, s10
	s_cbranch_execz .LBB80_44
; %bb.43:
	s_wait_dscnt 0x0
	v_bcnt_u32_b32 v34, v34, v95
	ds_store_b32 v97, v34 offset:64
.LBB80_44:
	s_wait_alu 0xfffe
	s_or_b32 exec_lo, exec_lo, s8
	v_and_b32_e32 v34, s9, v77
	; wave barrier
	s_delay_alu instid0(VALU_DEP_1)
	v_and_b32_e32 v36, 1, v34
	v_lshlrev_b32_e32 v37, 30, v34
	v_lshlrev_b32_e32 v38, 29, v34
	;; [unrolled: 1-line block ×4, first 2 shown]
	v_add_co_u32 v36, s8, v36, -1
	s_wait_alu 0xf1ff
	v_cndmask_b32_e64 v40, 0, 1, s8
	v_not_b32_e32 v101, v37
	v_cmp_gt_i32_e64 s8, 0, v37
	v_not_b32_e32 v37, v38
	v_lshlrev_b32_e32 v99, 26, v34
	v_cmp_ne_u32_e32 vcc_lo, 0, v40
	v_ashrrev_i32_e32 v40, 31, v101
	v_lshlrev_b32_e32 v100, 25, v34
	v_ashrrev_i32_e32 v37, 31, v37
	v_and_b32_e32 v35, 0xff, v34
	s_wait_alu 0xfffd
	v_xor_b32_e32 v36, vcc_lo, v36
	v_cmp_gt_i32_e32 vcc_lo, 0, v38
	v_not_b32_e32 v38, v39
	s_wait_alu 0xf1ff
	v_xor_b32_e32 v40, s8, v40
	v_cmp_gt_i32_e64 s8, 0, v39
	v_and_b32_e32 v36, exec_lo, v36
	v_not_b32_e32 v39, v98
	v_ashrrev_i32_e32 v38, 31, v38
	s_wait_alu 0xfffd
	v_xor_b32_e32 v37, vcc_lo, v37
	v_cmp_gt_i32_e32 vcc_lo, 0, v98
	v_and_b32_e32 v36, v36, v40
	v_not_b32_e32 v40, v99
	v_ashrrev_i32_e32 v39, 31, v39
	s_wait_alu 0xf1ff
	v_xor_b32_e32 v38, s8, v38
	v_lshlrev_b32_e32 v34, 24, v34
	v_and_b32_e32 v36, v36, v37
	v_cmp_gt_i32_e64 s8, 0, v99
	v_not_b32_e32 v37, v100
	v_ashrrev_i32_e32 v40, 31, v40
	s_wait_alu 0xfffd
	v_xor_b32_e32 v39, vcc_lo, v39
	v_and_b32_e32 v36, v36, v38
	v_cmp_gt_i32_e32 vcc_lo, 0, v100
	v_not_b32_e32 v38, v34
	v_ashrrev_i32_e32 v37, 31, v37
	s_wait_alu 0xf1ff
	v_xor_b32_e32 v40, s8, v40
	v_and_b32_e32 v36, v36, v39
	v_lshlrev_b32_e32 v35, 6, v35
	v_cmp_gt_i32_e64 s8, 0, v34
	v_ashrrev_i32_e32 v34, 31, v38
	s_wait_alu 0xfffd
	v_xor_b32_e32 v37, vcc_lo, v37
	v_and_b32_e32 v36, v36, v40
	v_add_nc_u32_e32 v100, v33, v35
	s_wait_alu 0xf1ff
	v_xor_b32_e32 v33, s8, v34
	s_delay_alu instid0(VALU_DEP_3) | instskip(SKIP_2) | instid1(VALU_DEP_1)
	v_and_b32_e32 v34, v36, v37
	ds_load_b32 v98, v100 offset:64
	; wave barrier
	v_and_b32_e32 v33, v34, v33
	v_mbcnt_lo_u32_b32 v99, v33, 0
	v_cmp_ne_u32_e64 s8, 0, v33
	s_delay_alu instid0(VALU_DEP_2)
	v_cmp_eq_u32_e32 vcc_lo, 0, v99
	s_and_b32 s9, s8, vcc_lo
	s_wait_alu 0xfffe
	s_and_saveexec_b32 s8, s9
	s_cbranch_execz .LBB80_46
; %bb.45:
	s_wait_dscnt 0x0
	v_bcnt_u32_b32 v33, v33, v98
	ds_store_b32 v100, v33 offset:64
.LBB80_46:
	s_wait_alu 0xfffe
	s_or_b32 exec_lo, exec_lo, s8
	; wave barrier
	s_wait_loadcnt_dscnt 0x0
	s_barrier_signal -1
	s_barrier_wait -1
	global_inv scope:SCOPE_SE
	ds_load_b128 v[37:40], v66 offset:64
	ds_load_b128 v[33:36], v66 offset:80
	v_min_u32_e32 v103, 0x1e0, v68
	s_mov_b32 s15, exec_lo
	s_wait_dscnt 0x1
	v_add_nc_u32_e32 v101, v38, v37
	s_delay_alu instid0(VALU_DEP_1) | instskip(SKIP_1) | instid1(VALU_DEP_1)
	v_add3_u32 v101, v101, v39, v40
	s_wait_dscnt 0x0
	v_add3_u32 v101, v101, v33, v34
	s_delay_alu instid0(VALU_DEP_1) | instskip(SKIP_1) | instid1(VALU_DEP_2)
	v_add3_u32 v36, v101, v35, v36
	v_and_b32_e32 v101, 15, v67
	v_mov_b32_dpp v102, v36 row_shr:1 row_mask:0xf bank_mask:0xf
	s_delay_alu instid0(VALU_DEP_2)
	v_cmp_eq_u32_e32 vcc_lo, 0, v101
	v_cmp_lt_u32_e64 s8, 1, v101
	v_cmp_lt_u32_e64 s9, 3, v101
	;; [unrolled: 1-line block ×3, first 2 shown]
	s_wait_alu 0xfffd
	v_cndmask_b32_e64 v102, v102, 0, vcc_lo
	s_delay_alu instid0(VALU_DEP_1) | instskip(NEXT) | instid1(VALU_DEP_1)
	v_add_nc_u32_e32 v36, v102, v36
	v_mov_b32_dpp v102, v36 row_shr:2 row_mask:0xf bank_mask:0xf
	s_wait_alu 0xf1ff
	s_delay_alu instid0(VALU_DEP_1) | instskip(NEXT) | instid1(VALU_DEP_1)
	v_cndmask_b32_e64 v102, 0, v102, s8
	v_add_nc_u32_e32 v36, v36, v102
	s_delay_alu instid0(VALU_DEP_1) | instskip(NEXT) | instid1(VALU_DEP_1)
	v_mov_b32_dpp v102, v36 row_shr:4 row_mask:0xf bank_mask:0xf
	v_cndmask_b32_e64 v102, 0, v102, s9
	s_delay_alu instid0(VALU_DEP_1) | instskip(NEXT) | instid1(VALU_DEP_1)
	v_add_nc_u32_e32 v36, v36, v102
	v_mov_b32_dpp v102, v36 row_shr:8 row_mask:0xf bank_mask:0xf
	s_delay_alu instid0(VALU_DEP_1) | instskip(SKIP_1) | instid1(VALU_DEP_2)
	v_cndmask_b32_e64 v101, 0, v102, s10
	v_bfe_i32 v102, v67, 4, 1
	v_add_nc_u32_e32 v36, v36, v101
	ds_swizzle_b32 v101, v36 offset:swizzle(BROADCAST,32,15)
	s_wait_dscnt 0x0
	v_and_b32_e32 v101, v102, v101
	v_or_b32_e32 v102, 31, v103
	s_delay_alu instid0(VALU_DEP_2) | instskip(NEXT) | instid1(VALU_DEP_2)
	v_add_nc_u32_e32 v36, v36, v101
	v_cmpx_eq_u32_e64 v44, v102
; %bb.47:
	v_lshlrev_b32_e32 v101, 2, v62
	ds_store_b32 v101, v36
; %bb.48:
	s_wait_alu 0xfffe
	s_or_b32 exec_lo, exec_lo, s15
	s_delay_alu instid0(SALU_CYCLE_1)
	s_mov_b32 s15, exec_lo
	s_wait_loadcnt_dscnt 0x0
	s_barrier_signal -1
	s_barrier_wait -1
	global_inv scope:SCOPE_SE
	v_cmpx_gt_u32_e32 16, v44
	s_cbranch_execz .LBB80_50
; %bb.49:
	v_lshlrev_b32_e32 v101, 2, v44
	ds_load_b32 v102, v101
	s_wait_dscnt 0x0
	v_mov_b32_dpp v103, v102 row_shr:1 row_mask:0xf bank_mask:0xf
	s_delay_alu instid0(VALU_DEP_1) | instskip(NEXT) | instid1(VALU_DEP_1)
	v_cndmask_b32_e64 v103, v103, 0, vcc_lo
	v_add_nc_u32_e32 v102, v103, v102
	s_delay_alu instid0(VALU_DEP_1) | instskip(NEXT) | instid1(VALU_DEP_1)
	v_mov_b32_dpp v103, v102 row_shr:2 row_mask:0xf bank_mask:0xf
	v_cndmask_b32_e64 v103, 0, v103, s8
	s_delay_alu instid0(VALU_DEP_1) | instskip(NEXT) | instid1(VALU_DEP_1)
	v_add_nc_u32_e32 v102, v102, v103
	v_mov_b32_dpp v103, v102 row_shr:4 row_mask:0xf bank_mask:0xf
	s_delay_alu instid0(VALU_DEP_1) | instskip(NEXT) | instid1(VALU_DEP_1)
	v_cndmask_b32_e64 v103, 0, v103, s9
	v_add_nc_u32_e32 v102, v102, v103
	s_delay_alu instid0(VALU_DEP_1) | instskip(NEXT) | instid1(VALU_DEP_1)
	v_mov_b32_dpp v103, v102 row_shr:8 row_mask:0xf bank_mask:0xf
	v_cndmask_b32_e64 v103, 0, v103, s10
	s_delay_alu instid0(VALU_DEP_1)
	v_add_nc_u32_e32 v102, v102, v103
	ds_store_b32 v101, v102
.LBB80_50:
	s_wait_alu 0xfffe
	s_or_b32 exec_lo, exec_lo, s15
	v_mov_b32_e32 v101, 0
	s_mov_b32 s8, exec_lo
	s_wait_loadcnt_dscnt 0x0
	s_barrier_signal -1
	s_barrier_wait -1
	global_inv scope:SCOPE_SE
	v_cmpx_lt_u32_e32 31, v44
; %bb.51:
	v_lshl_add_u32 v101, v62, 2, -4
	ds_load_b32 v101, v101
; %bb.52:
	s_wait_alu 0xfffe
	s_or_b32 exec_lo, exec_lo, s8
	v_sub_co_u32 v102, vcc_lo, v67, 1
	s_wait_dscnt 0x0
	v_add_nc_u32_e32 v36, v101, v36
	s_delay_alu instid0(VALU_DEP_2) | instskip(SKIP_1) | instid1(VALU_DEP_1)
	v_cmp_gt_i32_e64 s8, 0, v102
	s_wait_alu 0xf1ff
	v_cndmask_b32_e64 v102, v102, v67, s8
	s_delay_alu instid0(VALU_DEP_1)
	v_lshlrev_b32_e32 v102, 2, v102
	ds_bpermute_b32 v36, v102, v36
	s_wait_dscnt 0x0
	s_wait_alu 0xfffd
	v_cndmask_b32_e32 v36, v36, v101, vcc_lo
	v_cmp_ne_u32_e32 vcc_lo, 0, v44
	s_wait_alu 0xfffd
	s_delay_alu instid0(VALU_DEP_2) | instskip(NEXT) | instid1(VALU_DEP_1)
	v_cndmask_b32_e32 v36, 0, v36, vcc_lo
	v_add_nc_u32_e32 v37, v36, v37
	s_delay_alu instid0(VALU_DEP_1) | instskip(NEXT) | instid1(VALU_DEP_1)
	v_add_nc_u32_e32 v38, v37, v38
	v_add_nc_u32_e32 v39, v38, v39
	s_delay_alu instid0(VALU_DEP_1) | instskip(NEXT) | instid1(VALU_DEP_1)
	v_add_nc_u32_e32 v101, v39, v40
	;; [unrolled: 3-line block ×3, first 2 shown]
	v_add_nc_u32_e32 v104, v103, v35
	ds_store_b128 v66, v[36:39] offset:64
	ds_store_b128 v66, v[101:104] offset:80
	s_wait_loadcnt_dscnt 0x0
	s_barrier_signal -1
	s_barrier_wait -1
	global_inv scope:SCOPE_SE
	ds_load_b32 v33, v79 offset:64
	ds_load_b32 v34, v82 offset:64
	;; [unrolled: 1-line block ×8, first 2 shown]
	v_mad_u32_u24 v79, v44, 56, v57
	s_wait_loadcnt_dscnt 0x0
	s_barrier_signal -1
	s_barrier_wait -1
	global_inv scope:SCOPE_SE
	v_add_nc_u32_e32 v78, v33, v78
	v_add3_u32 v80, v81, v80, v34
	v_add3_u32 v35, v84, v83, v35
	;; [unrolled: 1-line block ×7, first 2 shown]
	ds_store_b8 v78, v0
	ds_store_b8 v80, v71
	;; [unrolled: 1-line block ×8, first 2 shown]
	v_lshlrev_b32_e32 v0, 3, v78
	v_lshlrev_b32_e32 v71, 3, v80
	;; [unrolled: 1-line block ×5, first 2 shown]
	s_wait_loadcnt_dscnt 0x0
	s_barrier_signal -1
	s_barrier_wait -1
	global_inv scope:SCOPE_SE
	ds_load_b64 v[33:34], v57
	s_wait_loadcnt_dscnt 0x0
	s_barrier_signal -1
	s_barrier_wait -1
	global_inv scope:SCOPE_SE
	v_lshlrev_b32_e32 v38, 3, v38
	v_lshlrev_b32_e32 v39, 3, v39
	;; [unrolled: 1-line block ×3, first 2 shown]
	ds_store_b64 v0, v[25:26]
	ds_store_b64 v71, v[27:28]
	;; [unrolled: 1-line block ×8, first 2 shown]
	s_wait_loadcnt_dscnt 0x0
	s_barrier_signal -1
	s_barrier_wait -1
	global_inv scope:SCOPE_SE
	ds_load_b128 v[29:32], v79
	ds_load_b128 v[25:28], v79 offset:16
	ds_load_b128 v[21:24], v79 offset:32
	;; [unrolled: 1-line block ×3, first 2 shown]
	s_branch .LBB80_84
.LBB80_53:
	v_lshlrev_b64_e32 v[1:2], 3, v[41:42]
	v_dual_mov_b32 v43, v42 :: v_dual_mov_b32 v10, v42
	v_dual_mov_b32 v9, v42 :: v_dual_mov_b32 v12, v42
	v_mov_b32_e32 v11, v42
	s_wait_alu 0xfffe
	s_delay_alu instid0(VALU_DEP_4) | instskip(NEXT) | instid1(VALU_DEP_1)
	v_add_co_u32 v1, vcc_lo, s12, v1
	v_add_co_ci_u32_e64 v2, null, s13, v2, vcc_lo
	v_dual_mov_b32 v3, v42 :: v_dual_mov_b32 v6, v42
	v_dual_mov_b32 v5, v42 :: v_dual_mov_b32 v8, v42
	global_load_b64 v[13:14], v[1:2], off
	v_dual_mov_b32 v1, v42 :: v_dual_mov_b32 v4, v42
	v_dual_mov_b32 v2, v42 :: v_dual_mov_b32 v7, v42
	s_or_b32 exec_lo, exec_lo, s9
	s_and_saveexec_b32 s9, s1
	s_cbranch_execz .LBB80_22
.LBB80_54:
	v_mul_lo_u32 v30, s16, v28
	v_mov_b32_e32 v31, 0
	s_delay_alu instid0(VALU_DEP_1) | instskip(NEXT) | instid1(VALU_DEP_1)
	v_lshlrev_b64_e32 v[30:31], 3, v[30:31]
	v_add_co_u32 v30, vcc_lo, s12, v30
	s_wait_alu 0xfffd
	s_delay_alu instid0(VALU_DEP_2)
	v_add_co_ci_u32_e64 v31, null, s13, v31, vcc_lo
	global_load_b64 v[42:43], v[30:31], off
	s_wait_alu 0xfffe
	s_or_b32 exec_lo, exec_lo, s9
	s_and_saveexec_b32 s9, s2
	s_cbranch_execz .LBB80_23
.LBB80_55:
	v_mul_lo_u32 v9, s16, v24
	v_mov_b32_e32 v10, 0
	s_delay_alu instid0(VALU_DEP_1) | instskip(NEXT) | instid1(VALU_DEP_1)
	v_lshlrev_b64_e32 v[9:10], 3, v[9:10]
	v_add_co_u32 v9, vcc_lo, s12, v9
	s_wait_alu 0xfffd
	s_delay_alu instid0(VALU_DEP_2)
	v_add_co_ci_u32_e64 v10, null, s13, v10, vcc_lo
	global_load_b64 v[9:10], v[9:10], off
	s_wait_alu 0xfffe
	s_or_b32 exec_lo, exec_lo, s9
	s_and_saveexec_b32 s9, s3
	s_cbranch_execz .LBB80_24
.LBB80_56:
	v_mul_lo_u32 v11, s16, v21
	v_mov_b32_e32 v12, 0
	s_delay_alu instid0(VALU_DEP_1) | instskip(NEXT) | instid1(VALU_DEP_1)
	v_lshlrev_b64_e32 v[11:12], 3, v[11:12]
	v_add_co_u32 v11, vcc_lo, s12, v11
	s_wait_alu 0xfffd
	s_delay_alu instid0(VALU_DEP_2)
	v_add_co_ci_u32_e64 v12, null, s13, v12, vcc_lo
	global_load_b64 v[11:12], v[11:12], off
	s_wait_alu 0xfffe
	s_or_b32 exec_lo, exec_lo, s9
	s_and_saveexec_b32 s9, s4
	s_cbranch_execz .LBB80_25
.LBB80_57:
	v_mul_lo_u32 v1, s16, v19
	v_mov_b32_e32 v2, 0
	s_delay_alu instid0(VALU_DEP_1) | instskip(NEXT) | instid1(VALU_DEP_1)
	v_lshlrev_b64_e32 v[1:2], 3, v[1:2]
	v_add_co_u32 v1, vcc_lo, s12, v1
	s_wait_alu 0xfffd
	s_delay_alu instid0(VALU_DEP_2)
	v_add_co_ci_u32_e64 v2, null, s13, v2, vcc_lo
	global_load_b64 v[1:2], v[1:2], off
	s_wait_alu 0xfffe
	s_or_b32 exec_lo, exec_lo, s9
	s_and_saveexec_b32 s9, s5
	s_cbranch_execz .LBB80_26
.LBB80_58:
	v_mul_lo_u32 v3, s16, v17
	v_mov_b32_e32 v4, 0
	s_delay_alu instid0(VALU_DEP_1) | instskip(NEXT) | instid1(VALU_DEP_1)
	v_lshlrev_b64_e32 v[3:4], 3, v[3:4]
	v_add_co_u32 v3, vcc_lo, s12, v3
	s_wait_alu 0xfffd
	s_delay_alu instid0(VALU_DEP_2)
	v_add_co_ci_u32_e64 v4, null, s13, v4, vcc_lo
	global_load_b64 v[3:4], v[3:4], off
	s_wait_alu 0xfffe
	s_or_b32 exec_lo, exec_lo, s9
	s_and_saveexec_b32 s9, s6
	s_cbranch_execz .LBB80_27
.LBB80_59:
	v_mul_lo_u32 v5, s16, v16
	v_mov_b32_e32 v6, 0
	s_delay_alu instid0(VALU_DEP_1) | instskip(NEXT) | instid1(VALU_DEP_1)
	v_lshlrev_b64_e32 v[5:6], 3, v[5:6]
	v_add_co_u32 v5, vcc_lo, s12, v5
	s_wait_alu 0xfffd
	s_delay_alu instid0(VALU_DEP_2)
	v_add_co_ci_u32_e64 v6, null, s13, v6, vcc_lo
	global_load_b64 v[5:6], v[5:6], off
	s_wait_alu 0xfffe
	s_or_b32 exec_lo, exec_lo, s9
	s_and_saveexec_b32 s9, s7
	s_cbranch_execnz .LBB80_28
	s_branch .LBB80_29
.LBB80_60:
                                        ; implicit-def: $vgpr19_vgpr20
                                        ; implicit-def: $vgpr23_vgpr24
                                        ; implicit-def: $vgpr27_vgpr28
                                        ; implicit-def: $vgpr31_vgpr32
                                        ; implicit-def: $vgpr34
	s_cbranch_execz .LBB80_84
; %bb.61:
	v_or_b32_e32 v0, v67, v68
	s_getpc_b64 s[8:9]
	s_wait_alu 0xfffe
	s_sext_i32_i16 s9, s9
	s_add_co_u32 s8, s8, _ZN7rocprim17ROCPRIM_400000_NS16block_radix_sortIhLj512ELj8ElLj1ELj1ELj0ELNS0_26block_radix_rank_algorithmE1ELNS0_18block_padding_hintE2ELNS0_4arch9wavefront6targetE0EE19radix_bits_per_passE@rel32@lo+12
	s_wait_alu 0xfffe
	s_add_co_ci_u32 s9, s9, _ZN7rocprim17ROCPRIM_400000_NS16block_radix_sortIhLj512ELj8ElLj1ELj1ELj0ELNS0_26block_radix_rank_algorithmE1ELNS0_18block_padding_hintE2ELNS0_4arch9wavefront6targetE0EE19radix_bits_per_passE@rel32@hi+24
	s_wait_dscnt 0x0
	v_not_b32_e32 v18, v46
	s_load_b32 s8, s[8:9], 0x0
	v_not_b32_e32 v17, v45
	v_lshlrev_b32_e32 v19, 3, v0
	v_and_or_b32 v20, 0x1f00, v57, v67
	ds_store_b64 v19, v[17:18]
	; wave barrier
	ds_load_u8 v24, v20
	v_mad_u32_u24 v0, v0, 56, v19
	ds_load_u8 v25, v20 offset:32
	ds_load_u8 v26, v20 offset:64
	;; [unrolled: 1-line block ×7, first 2 shown]
	s_wait_loadcnt_dscnt 0x0
	s_barrier_signal -1
	s_barrier_wait -1
	global_inv scope:SCOPE_SE
	ds_store_b128 v0, v[13:16]
	ds_store_b128 v0, v[9:12] offset:16
	v_mad_u32_u24 v17, v20, 7, v20
	ds_store_b128 v0, v[5:8] offset:32
	ds_store_b128 v0, v[1:4] offset:48
	s_wait_kmcnt 0x0
	s_min_u32 s8, s8, 8
	s_wait_alu 0xfffe
	s_lshl_b32 s8, -1, s8
	; wave barrier
	s_wait_alu 0xfffe
	s_not_b32 s9, s8
	ds_load_2addr_b64 v[0:3], v17 offset1:32
	ds_load_2addr_b64 v[8:11], v17 offset0:64 offset1:96
	ds_load_2addr_b64 v[4:7], v17 offset0:128 offset1:160
	s_wait_alu 0xfffe
	v_and_b32_e32 v22, s9, v24
	s_delay_alu instid0(VALU_DEP_1) | instskip(SKIP_2) | instid1(VALU_DEP_3)
	v_and_b32_e32 v12, 1, v22
	v_lshlrev_b32_e32 v16, 30, v22
	v_lshlrev_b32_e32 v20, 28, v22
	v_add_co_u32 v18, s8, v12, -1
	s_wait_alu 0xf1ff
	v_cndmask_b32_e64 v19, 0, 1, s8
	ds_load_2addr_b64 v[12:15], v17 offset0:192 offset1:224
	v_not_b32_e32 v17, v16
	v_cmp_gt_i32_e64 s8, 0, v16
	s_wait_loadcnt_dscnt 0x0
	v_cmp_ne_u32_e32 vcc_lo, 0, v19
	v_lshlrev_b32_e32 v19, 29, v22
	v_ashrrev_i32_e32 v16, 31, v17
	s_barrier_signal -1
	s_barrier_wait -1
	s_wait_alu 0xfffd
	v_xor_b32_e32 v17, vcc_lo, v18
	global_inv scope:SCOPE_SE
	s_wait_alu 0xf1ff
	v_xor_b32_e32 v16, s8, v16
	s_load_b32 s8, s[20:21], 0xc
	s_mov_b32 s20, 0
	v_not_b32_e32 v18, v19
	s_mov_b32 s21, s20
	s_mov_b32 s22, s20
	;; [unrolled: 1-line block ×3, first 2 shown]
	v_and_b32_e32 v17, exec_lo, v17
	v_cmp_gt_i32_e32 vcc_lo, 0, v19
	v_ashrrev_i32_e32 v18, 31, v18
	v_not_b32_e32 v19, v20
	s_delay_alu instid0(VALU_DEP_4)
	v_and_b32_e32 v16, v17, v16
	v_lshlrev_b32_e32 v17, 27, v22
	s_wait_alu 0xfffd
	v_xor_b32_e32 v18, vcc_lo, v18
	v_cmp_gt_i32_e32 vcc_lo, 0, v20
	v_ashrrev_i32_e32 v19, 31, v19
	v_not_b32_e32 v20, v17
	s_delay_alu instid0(VALU_DEP_4)
	v_and_b32_e32 v16, v16, v18
	v_lshlrev_b32_e32 v18, 26, v22
	s_wait_alu 0xfffd
	v_xor_b32_e32 v19, vcc_lo, v19
	v_cmp_gt_i32_e32 vcc_lo, 0, v17
	v_ashrrev_i32_e32 v17, 31, v20
	s_wait_kmcnt 0x0
	s_lshr_b32 s10, s8, 16
	v_not_b32_e32 v20, v18
	v_and_b32_e32 v16, v16, v19
	v_lshlrev_b32_e32 v19, 25, v22
	s_wait_alu 0xfffd
	v_xor_b32_e32 v17, vcc_lo, v17
	v_cmp_gt_i32_e32 vcc_lo, 0, v18
	v_ashrrev_i32_e32 v18, 31, v20
	v_mad_u32_u24 v21, v70, s10, v69
	v_not_b32_e32 v20, v19
	v_and_b32_e32 v16, v16, v17
	v_lshlrev_b32_e32 v17, 24, v22
	s_wait_alu 0xfffd
	v_xor_b32_e32 v18, vcc_lo, v18
	v_cmp_gt_i32_e32 vcc_lo, 0, v19
	v_ashrrev_i32_e32 v19, 31, v20
	s_and_b32 s8, s8, 0xffff
	v_not_b32_e32 v20, v17
	v_and_b32_e32 v18, v16, v18
	s_wait_alu 0xfffd
	v_xor_b32_e32 v19, vcc_lo, v19
	v_cmp_gt_i32_e32 vcc_lo, 0, v17
	v_ashrrev_i32_e32 v20, 31, v20
	s_wait_alu 0xfffe
	v_mad_co_u64_u32 v[16:17], null, v21, s8, v[44:45]
	v_and_b32_e32 v17, v18, v19
	s_wait_alu 0xfffd
	v_xor_b32_e32 v23, vcc_lo, v20
	v_dual_mov_b32 v18, s20 :: v_dual_mov_b32 v19, s21
	v_dual_mov_b32 v20, s22 :: v_dual_mov_b32 v21, s23
	s_delay_alu instid0(VALU_DEP_3)
	v_and_b32_e32 v17, v17, v23
	v_and_b32_e32 v22, 0xff, v22
	v_lshrrev_b32_e32 v16, 3, v16
	ds_store_b128 v66, v[18:21] offset:64
	ds_store_b128 v66, v[18:21] offset:80
	v_mbcnt_lo_u32_b32 v32, v17, 0
	v_lshlrev_b32_e32 v18, 6, v22
	v_and_b32_e32 v16, 0x1ffffffc, v16
	v_cmp_ne_u32_e64 s8, 0, v17
	s_wait_loadcnt_dscnt 0x0
	v_cmp_eq_u32_e32 vcc_lo, 0, v32
	s_barrier_signal -1
	v_add_nc_u32_e32 v33, v16, v18
	s_barrier_wait -1
	global_inv scope:SCOPE_SE
	s_and_b32 s10, s8, vcc_lo
	; wave barrier
	s_wait_alu 0xfffe
	s_and_saveexec_b32 s8, s10
; %bb.62:
	v_bcnt_u32_b32 v17, v17, 0
	ds_store_b32 v33, v17 offset:64
; %bb.63:
	s_wait_alu 0xfffe
	s_or_b32 exec_lo, exec_lo, s8
	v_and_b32_e32 v17, s9, v25
	; wave barrier
	s_delay_alu instid0(VALU_DEP_1)
	v_and_b32_e32 v19, 1, v17
	v_lshlrev_b32_e32 v20, 30, v17
	v_lshlrev_b32_e32 v21, 29, v17
	;; [unrolled: 1-line block ×4, first 2 shown]
	v_add_co_u32 v19, s8, v19, -1
	s_wait_alu 0xf1ff
	v_cndmask_b32_e64 v23, 0, 1, s8
	v_not_b32_e32 v37, v20
	v_cmp_gt_i32_e64 s8, 0, v20
	v_not_b32_e32 v20, v21
	v_lshlrev_b32_e32 v35, 26, v17
	v_cmp_ne_u32_e32 vcc_lo, 0, v23
	v_ashrrev_i32_e32 v23, 31, v37
	v_lshlrev_b32_e32 v36, 25, v17
	v_ashrrev_i32_e32 v20, 31, v20
	v_and_b32_e32 v18, 0xff, v17
	s_wait_alu 0xfffd
	v_xor_b32_e32 v19, vcc_lo, v19
	v_cmp_gt_i32_e32 vcc_lo, 0, v21
	v_not_b32_e32 v21, v22
	s_wait_alu 0xf1ff
	v_xor_b32_e32 v23, s8, v23
	v_cmp_gt_i32_e64 s8, 0, v22
	v_and_b32_e32 v19, exec_lo, v19
	v_not_b32_e32 v22, v34
	v_ashrrev_i32_e32 v21, 31, v21
	s_wait_alu 0xfffd
	v_xor_b32_e32 v20, vcc_lo, v20
	v_cmp_gt_i32_e32 vcc_lo, 0, v34
	v_and_b32_e32 v19, v19, v23
	v_not_b32_e32 v23, v35
	v_ashrrev_i32_e32 v22, 31, v22
	s_wait_alu 0xf1ff
	v_xor_b32_e32 v21, s8, v21
	v_lshlrev_b32_e32 v17, 24, v17
	v_and_b32_e32 v19, v19, v20
	v_cmp_gt_i32_e64 s8, 0, v35
	v_not_b32_e32 v20, v36
	v_ashrrev_i32_e32 v23, 31, v23
	s_wait_alu 0xfffd
	v_xor_b32_e32 v22, vcc_lo, v22
	v_and_b32_e32 v19, v19, v21
	v_cmp_gt_i32_e32 vcc_lo, 0, v36
	v_not_b32_e32 v21, v17
	v_ashrrev_i32_e32 v20, 31, v20
	s_wait_alu 0xf1ff
	v_xor_b32_e32 v23, s8, v23
	v_and_b32_e32 v19, v19, v22
	v_lshlrev_b32_e32 v18, 6, v18
	v_cmp_gt_i32_e64 s8, 0, v17
	v_ashrrev_i32_e32 v17, 31, v21
	s_wait_alu 0xfffd
	v_xor_b32_e32 v20, vcc_lo, v20
	v_and_b32_e32 v19, v19, v23
	v_add_nc_u32_e32 v36, v16, v18
	s_wait_alu 0xf1ff
	v_xor_b32_e32 v17, s8, v17
	s_delay_alu instid0(VALU_DEP_3) | instskip(SKIP_2) | instid1(VALU_DEP_1)
	v_and_b32_e32 v18, v19, v20
	ds_load_b32 v34, v36 offset:64
	; wave barrier
	v_and_b32_e32 v17, v18, v17
	v_mbcnt_lo_u32_b32 v35, v17, 0
	v_cmp_ne_u32_e64 s8, 0, v17
	s_delay_alu instid0(VALU_DEP_2)
	v_cmp_eq_u32_e32 vcc_lo, 0, v35
	s_and_b32 s10, s8, vcc_lo
	s_wait_alu 0xfffe
	s_and_saveexec_b32 s8, s10
	s_cbranch_execz .LBB80_65
; %bb.64:
	s_wait_dscnt 0x0
	v_bcnt_u32_b32 v17, v17, v34
	ds_store_b32 v36, v17 offset:64
.LBB80_65:
	s_wait_alu 0xfffe
	s_or_b32 exec_lo, exec_lo, s8
	v_and_b32_e32 v17, s9, v26
	; wave barrier
	s_delay_alu instid0(VALU_DEP_1)
	v_and_b32_e32 v19, 1, v17
	v_lshlrev_b32_e32 v20, 30, v17
	v_lshlrev_b32_e32 v21, 29, v17
	;; [unrolled: 1-line block ×4, first 2 shown]
	v_add_co_u32 v19, s8, v19, -1
	s_wait_alu 0xf1ff
	v_cndmask_b32_e64 v23, 0, 1, s8
	v_not_b32_e32 v40, v20
	v_cmp_gt_i32_e64 s8, 0, v20
	v_not_b32_e32 v20, v21
	v_lshlrev_b32_e32 v38, 26, v17
	v_cmp_ne_u32_e32 vcc_lo, 0, v23
	v_ashrrev_i32_e32 v23, 31, v40
	v_lshlrev_b32_e32 v39, 25, v17
	v_ashrrev_i32_e32 v20, 31, v20
	v_and_b32_e32 v18, 0xff, v17
	s_wait_alu 0xfffd
	v_xor_b32_e32 v19, vcc_lo, v19
	v_cmp_gt_i32_e32 vcc_lo, 0, v21
	v_not_b32_e32 v21, v22
	s_wait_alu 0xf1ff
	v_xor_b32_e32 v23, s8, v23
	v_cmp_gt_i32_e64 s8, 0, v22
	v_and_b32_e32 v19, exec_lo, v19
	v_not_b32_e32 v22, v37
	v_ashrrev_i32_e32 v21, 31, v21
	s_wait_alu 0xfffd
	v_xor_b32_e32 v20, vcc_lo, v20
	v_cmp_gt_i32_e32 vcc_lo, 0, v37
	v_and_b32_e32 v19, v19, v23
	v_not_b32_e32 v23, v38
	v_ashrrev_i32_e32 v22, 31, v22
	s_wait_alu 0xf1ff
	v_xor_b32_e32 v21, s8, v21
	v_lshlrev_b32_e32 v17, 24, v17
	v_and_b32_e32 v19, v19, v20
	v_cmp_gt_i32_e64 s8, 0, v38
	v_not_b32_e32 v20, v39
	v_ashrrev_i32_e32 v23, 31, v23
	s_wait_alu 0xfffd
	v_xor_b32_e32 v22, vcc_lo, v22
	v_and_b32_e32 v19, v19, v21
	v_cmp_gt_i32_e32 vcc_lo, 0, v39
	v_not_b32_e32 v21, v17
	v_ashrrev_i32_e32 v20, 31, v20
	s_wait_alu 0xf1ff
	v_xor_b32_e32 v23, s8, v23
	v_and_b32_e32 v19, v19, v22
	v_lshlrev_b32_e32 v18, 6, v18
	v_cmp_gt_i32_e64 s8, 0, v17
	v_ashrrev_i32_e32 v17, 31, v21
	s_wait_alu 0xfffd
	v_xor_b32_e32 v20, vcc_lo, v20
	v_and_b32_e32 v19, v19, v23
	v_add_nc_u32_e32 v39, v16, v18
	s_wait_alu 0xf1ff
	v_xor_b32_e32 v17, s8, v17
	s_delay_alu instid0(VALU_DEP_3) | instskip(SKIP_2) | instid1(VALU_DEP_1)
	v_and_b32_e32 v18, v19, v20
	ds_load_b32 v37, v39 offset:64
	; wave barrier
	v_and_b32_e32 v17, v18, v17
	v_mbcnt_lo_u32_b32 v38, v17, 0
	v_cmp_ne_u32_e64 s8, 0, v17
	s_delay_alu instid0(VALU_DEP_2)
	v_cmp_eq_u32_e32 vcc_lo, 0, v38
	s_and_b32 s10, s8, vcc_lo
	s_wait_alu 0xfffe
	s_and_saveexec_b32 s8, s10
	s_cbranch_execz .LBB80_67
; %bb.66:
	s_wait_dscnt 0x0
	v_bcnt_u32_b32 v17, v17, v37
	ds_store_b32 v39, v17 offset:64
.LBB80_67:
	s_wait_alu 0xfffe
	s_or_b32 exec_lo, exec_lo, s8
	v_and_b32_e32 v17, s9, v27
	; wave barrier
	s_delay_alu instid0(VALU_DEP_1)
	v_and_b32_e32 v19, 1, v17
	v_lshlrev_b32_e32 v20, 30, v17
	v_lshlrev_b32_e32 v21, 29, v17
	v_lshlrev_b32_e32 v22, 28, v17
	v_lshlrev_b32_e32 v40, 27, v17
	v_add_co_u32 v19, s8, v19, -1
	s_wait_alu 0xf1ff
	v_cndmask_b32_e64 v23, 0, 1, s8
	v_not_b32_e32 v69, v20
	v_cmp_gt_i32_e64 s8, 0, v20
	v_not_b32_e32 v20, v21
	v_lshlrev_b32_e32 v45, 26, v17
	v_cmp_ne_u32_e32 vcc_lo, 0, v23
	v_ashrrev_i32_e32 v23, 31, v69
	v_lshlrev_b32_e32 v46, 25, v17
	v_ashrrev_i32_e32 v20, 31, v20
	v_and_b32_e32 v18, 0xff, v17
	s_wait_alu 0xfffd
	v_xor_b32_e32 v19, vcc_lo, v19
	v_cmp_gt_i32_e32 vcc_lo, 0, v21
	v_not_b32_e32 v21, v22
	s_wait_alu 0xf1ff
	v_xor_b32_e32 v23, s8, v23
	v_cmp_gt_i32_e64 s8, 0, v22
	v_and_b32_e32 v19, exec_lo, v19
	v_not_b32_e32 v22, v40
	v_ashrrev_i32_e32 v21, 31, v21
	s_wait_alu 0xfffd
	v_xor_b32_e32 v20, vcc_lo, v20
	v_cmp_gt_i32_e32 vcc_lo, 0, v40
	v_and_b32_e32 v19, v19, v23
	v_not_b32_e32 v23, v45
	v_ashrrev_i32_e32 v22, 31, v22
	s_wait_alu 0xf1ff
	v_xor_b32_e32 v21, s8, v21
	v_lshlrev_b32_e32 v17, 24, v17
	v_and_b32_e32 v19, v19, v20
	v_cmp_gt_i32_e64 s8, 0, v45
	v_not_b32_e32 v20, v46
	v_ashrrev_i32_e32 v23, 31, v23
	s_wait_alu 0xfffd
	v_xor_b32_e32 v22, vcc_lo, v22
	v_and_b32_e32 v19, v19, v21
	v_cmp_gt_i32_e32 vcc_lo, 0, v46
	v_not_b32_e32 v21, v17
	v_ashrrev_i32_e32 v20, 31, v20
	s_wait_alu 0xf1ff
	v_xor_b32_e32 v23, s8, v23
	v_and_b32_e32 v19, v19, v22
	v_lshlrev_b32_e32 v18, 6, v18
	v_cmp_gt_i32_e64 s8, 0, v17
	v_ashrrev_i32_e32 v17, 31, v21
	s_wait_alu 0xfffd
	v_xor_b32_e32 v20, vcc_lo, v20
	v_and_b32_e32 v19, v19, v23
	v_add_nc_u32_e32 v46, v16, v18
	s_wait_alu 0xf1ff
	v_xor_b32_e32 v17, s8, v17
	s_delay_alu instid0(VALU_DEP_3) | instskip(SKIP_2) | instid1(VALU_DEP_1)
	v_and_b32_e32 v18, v19, v20
	ds_load_b32 v40, v46 offset:64
	; wave barrier
	v_and_b32_e32 v17, v18, v17
	v_mbcnt_lo_u32_b32 v45, v17, 0
	v_cmp_ne_u32_e64 s8, 0, v17
	s_delay_alu instid0(VALU_DEP_2)
	v_cmp_eq_u32_e32 vcc_lo, 0, v45
	s_and_b32 s10, s8, vcc_lo
	s_wait_alu 0xfffe
	s_and_saveexec_b32 s8, s10
	s_cbranch_execz .LBB80_69
; %bb.68:
	s_wait_dscnt 0x0
	v_bcnt_u32_b32 v17, v17, v40
	ds_store_b32 v46, v17 offset:64
.LBB80_69:
	s_wait_alu 0xfffe
	s_or_b32 exec_lo, exec_lo, s8
	v_and_b32_e32 v17, s9, v28
	; wave barrier
	s_delay_alu instid0(VALU_DEP_1)
	v_and_b32_e32 v19, 1, v17
	v_lshlrev_b32_e32 v20, 30, v17
	v_lshlrev_b32_e32 v21, 29, v17
	;; [unrolled: 1-line block ×4, first 2 shown]
	v_add_co_u32 v19, s8, v19, -1
	s_wait_alu 0xf1ff
	v_cndmask_b32_e64 v23, 0, 1, s8
	v_not_b32_e32 v72, v20
	v_cmp_gt_i32_e64 s8, 0, v20
	v_not_b32_e32 v20, v21
	v_lshlrev_b32_e32 v70, 26, v17
	v_cmp_ne_u32_e32 vcc_lo, 0, v23
	v_ashrrev_i32_e32 v23, 31, v72
	v_lshlrev_b32_e32 v71, 25, v17
	v_ashrrev_i32_e32 v20, 31, v20
	v_and_b32_e32 v18, 0xff, v17
	s_wait_alu 0xfffd
	v_xor_b32_e32 v19, vcc_lo, v19
	v_cmp_gt_i32_e32 vcc_lo, 0, v21
	v_not_b32_e32 v21, v22
	s_wait_alu 0xf1ff
	v_xor_b32_e32 v23, s8, v23
	v_cmp_gt_i32_e64 s8, 0, v22
	v_and_b32_e32 v19, exec_lo, v19
	v_not_b32_e32 v22, v69
	v_ashrrev_i32_e32 v21, 31, v21
	s_wait_alu 0xfffd
	v_xor_b32_e32 v20, vcc_lo, v20
	v_cmp_gt_i32_e32 vcc_lo, 0, v69
	v_and_b32_e32 v19, v19, v23
	v_not_b32_e32 v23, v70
	v_ashrrev_i32_e32 v22, 31, v22
	s_wait_alu 0xf1ff
	v_xor_b32_e32 v21, s8, v21
	v_lshlrev_b32_e32 v17, 24, v17
	v_and_b32_e32 v19, v19, v20
	v_cmp_gt_i32_e64 s8, 0, v70
	v_not_b32_e32 v20, v71
	v_ashrrev_i32_e32 v23, 31, v23
	s_wait_alu 0xfffd
	v_xor_b32_e32 v22, vcc_lo, v22
	v_and_b32_e32 v19, v19, v21
	v_cmp_gt_i32_e32 vcc_lo, 0, v71
	v_not_b32_e32 v21, v17
	v_ashrrev_i32_e32 v20, 31, v20
	s_wait_alu 0xf1ff
	v_xor_b32_e32 v23, s8, v23
	v_and_b32_e32 v19, v19, v22
	v_lshlrev_b32_e32 v18, 6, v18
	v_cmp_gt_i32_e64 s8, 0, v17
	v_ashrrev_i32_e32 v17, 31, v21
	s_wait_alu 0xfffd
	v_xor_b32_e32 v20, vcc_lo, v20
	v_and_b32_e32 v19, v19, v23
	v_add_nc_u32_e32 v71, v16, v18
	s_wait_alu 0xf1ff
	v_xor_b32_e32 v17, s8, v17
	s_delay_alu instid0(VALU_DEP_3) | instskip(SKIP_2) | instid1(VALU_DEP_1)
	v_and_b32_e32 v18, v19, v20
	ds_load_b32 v69, v71 offset:64
	; wave barrier
	v_and_b32_e32 v17, v18, v17
	v_mbcnt_lo_u32_b32 v70, v17, 0
	v_cmp_ne_u32_e64 s8, 0, v17
	s_delay_alu instid0(VALU_DEP_2)
	v_cmp_eq_u32_e32 vcc_lo, 0, v70
	s_and_b32 s10, s8, vcc_lo
	s_wait_alu 0xfffe
	s_and_saveexec_b32 s8, s10
	s_cbranch_execz .LBB80_71
; %bb.70:
	s_wait_dscnt 0x0
	v_bcnt_u32_b32 v17, v17, v69
	ds_store_b32 v71, v17 offset:64
.LBB80_71:
	s_wait_alu 0xfffe
	s_or_b32 exec_lo, exec_lo, s8
	v_and_b32_e32 v17, s9, v29
	; wave barrier
	s_delay_alu instid0(VALU_DEP_1)
	v_and_b32_e32 v19, 1, v17
	v_lshlrev_b32_e32 v20, 30, v17
	v_lshlrev_b32_e32 v21, 29, v17
	;; [unrolled: 1-line block ×4, first 2 shown]
	v_add_co_u32 v19, s8, v19, -1
	s_wait_alu 0xf1ff
	v_cndmask_b32_e64 v23, 0, 1, s8
	v_not_b32_e32 v75, v20
	v_cmp_gt_i32_e64 s8, 0, v20
	v_not_b32_e32 v20, v21
	v_lshlrev_b32_e32 v73, 26, v17
	v_cmp_ne_u32_e32 vcc_lo, 0, v23
	v_ashrrev_i32_e32 v23, 31, v75
	v_lshlrev_b32_e32 v74, 25, v17
	v_ashrrev_i32_e32 v20, 31, v20
	v_and_b32_e32 v18, 0xff, v17
	s_wait_alu 0xfffd
	v_xor_b32_e32 v19, vcc_lo, v19
	v_cmp_gt_i32_e32 vcc_lo, 0, v21
	v_not_b32_e32 v21, v22
	s_wait_alu 0xf1ff
	v_xor_b32_e32 v23, s8, v23
	v_cmp_gt_i32_e64 s8, 0, v22
	v_and_b32_e32 v19, exec_lo, v19
	v_not_b32_e32 v22, v72
	v_ashrrev_i32_e32 v21, 31, v21
	s_wait_alu 0xfffd
	v_xor_b32_e32 v20, vcc_lo, v20
	v_cmp_gt_i32_e32 vcc_lo, 0, v72
	v_and_b32_e32 v19, v19, v23
	v_not_b32_e32 v23, v73
	v_ashrrev_i32_e32 v22, 31, v22
	s_wait_alu 0xf1ff
	v_xor_b32_e32 v21, s8, v21
	v_lshlrev_b32_e32 v17, 24, v17
	v_and_b32_e32 v19, v19, v20
	v_cmp_gt_i32_e64 s8, 0, v73
	v_not_b32_e32 v20, v74
	v_ashrrev_i32_e32 v23, 31, v23
	s_wait_alu 0xfffd
	v_xor_b32_e32 v22, vcc_lo, v22
	v_and_b32_e32 v19, v19, v21
	v_cmp_gt_i32_e32 vcc_lo, 0, v74
	v_not_b32_e32 v21, v17
	v_ashrrev_i32_e32 v20, 31, v20
	s_wait_alu 0xf1ff
	v_xor_b32_e32 v23, s8, v23
	v_and_b32_e32 v19, v19, v22
	v_lshlrev_b32_e32 v18, 6, v18
	v_cmp_gt_i32_e64 s8, 0, v17
	v_ashrrev_i32_e32 v17, 31, v21
	s_wait_alu 0xfffd
	v_xor_b32_e32 v20, vcc_lo, v20
	v_and_b32_e32 v19, v19, v23
	v_add_nc_u32_e32 v74, v16, v18
	s_wait_alu 0xf1ff
	v_xor_b32_e32 v17, s8, v17
	s_delay_alu instid0(VALU_DEP_3) | instskip(SKIP_2) | instid1(VALU_DEP_1)
	v_and_b32_e32 v18, v19, v20
	ds_load_b32 v72, v74 offset:64
	; wave barrier
	v_and_b32_e32 v17, v18, v17
	v_mbcnt_lo_u32_b32 v73, v17, 0
	v_cmp_ne_u32_e64 s8, 0, v17
	s_delay_alu instid0(VALU_DEP_2)
	v_cmp_eq_u32_e32 vcc_lo, 0, v73
	s_and_b32 s10, s8, vcc_lo
	s_wait_alu 0xfffe
	s_and_saveexec_b32 s8, s10
	s_cbranch_execz .LBB80_73
; %bb.72:
	s_wait_dscnt 0x0
	v_bcnt_u32_b32 v17, v17, v72
	ds_store_b32 v74, v17 offset:64
.LBB80_73:
	s_wait_alu 0xfffe
	s_or_b32 exec_lo, exec_lo, s8
	v_and_b32_e32 v17, s9, v30
	; wave barrier
	s_delay_alu instid0(VALU_DEP_1)
	v_and_b32_e32 v19, 1, v17
	v_lshlrev_b32_e32 v20, 30, v17
	v_lshlrev_b32_e32 v21, 29, v17
	;; [unrolled: 1-line block ×4, first 2 shown]
	v_add_co_u32 v19, s8, v19, -1
	s_wait_alu 0xf1ff
	v_cndmask_b32_e64 v23, 0, 1, s8
	v_not_b32_e32 v78, v20
	v_cmp_gt_i32_e64 s8, 0, v20
	v_not_b32_e32 v20, v21
	v_lshlrev_b32_e32 v76, 26, v17
	v_cmp_ne_u32_e32 vcc_lo, 0, v23
	v_ashrrev_i32_e32 v23, 31, v78
	v_lshlrev_b32_e32 v77, 25, v17
	v_ashrrev_i32_e32 v20, 31, v20
	v_and_b32_e32 v18, 0xff, v17
	s_wait_alu 0xfffd
	v_xor_b32_e32 v19, vcc_lo, v19
	v_cmp_gt_i32_e32 vcc_lo, 0, v21
	v_not_b32_e32 v21, v22
	s_wait_alu 0xf1ff
	v_xor_b32_e32 v23, s8, v23
	v_cmp_gt_i32_e64 s8, 0, v22
	v_and_b32_e32 v19, exec_lo, v19
	v_not_b32_e32 v22, v75
	v_ashrrev_i32_e32 v21, 31, v21
	s_wait_alu 0xfffd
	v_xor_b32_e32 v20, vcc_lo, v20
	v_cmp_gt_i32_e32 vcc_lo, 0, v75
	v_and_b32_e32 v19, v19, v23
	v_not_b32_e32 v23, v76
	v_ashrrev_i32_e32 v22, 31, v22
	s_wait_alu 0xf1ff
	v_xor_b32_e32 v21, s8, v21
	v_lshlrev_b32_e32 v17, 24, v17
	v_and_b32_e32 v19, v19, v20
	v_cmp_gt_i32_e64 s8, 0, v76
	v_not_b32_e32 v20, v77
	v_ashrrev_i32_e32 v23, 31, v23
	s_wait_alu 0xfffd
	v_xor_b32_e32 v22, vcc_lo, v22
	v_and_b32_e32 v19, v19, v21
	v_cmp_gt_i32_e32 vcc_lo, 0, v77
	v_not_b32_e32 v21, v17
	v_ashrrev_i32_e32 v20, 31, v20
	s_wait_alu 0xf1ff
	v_xor_b32_e32 v23, s8, v23
	v_and_b32_e32 v19, v19, v22
	v_lshlrev_b32_e32 v18, 6, v18
	v_cmp_gt_i32_e64 s8, 0, v17
	v_ashrrev_i32_e32 v17, 31, v21
	s_wait_alu 0xfffd
	v_xor_b32_e32 v20, vcc_lo, v20
	v_and_b32_e32 v19, v19, v23
	v_add_nc_u32_e32 v77, v16, v18
	s_wait_alu 0xf1ff
	v_xor_b32_e32 v17, s8, v17
	s_delay_alu instid0(VALU_DEP_3) | instskip(SKIP_2) | instid1(VALU_DEP_1)
	v_and_b32_e32 v18, v19, v20
	ds_load_b32 v75, v77 offset:64
	; wave barrier
	v_and_b32_e32 v17, v18, v17
	v_mbcnt_lo_u32_b32 v76, v17, 0
	v_cmp_ne_u32_e64 s8, 0, v17
	s_delay_alu instid0(VALU_DEP_2)
	v_cmp_eq_u32_e32 vcc_lo, 0, v76
	s_and_b32 s10, s8, vcc_lo
	s_wait_alu 0xfffe
	s_and_saveexec_b32 s8, s10
	s_cbranch_execz .LBB80_75
; %bb.74:
	s_wait_dscnt 0x0
	v_bcnt_u32_b32 v17, v17, v75
	ds_store_b32 v77, v17 offset:64
.LBB80_75:
	s_wait_alu 0xfffe
	s_or_b32 exec_lo, exec_lo, s8
	v_and_b32_e32 v17, s9, v31
	; wave barrier
	s_delay_alu instid0(VALU_DEP_1)
	v_and_b32_e32 v19, 1, v17
	v_lshlrev_b32_e32 v20, 30, v17
	v_lshlrev_b32_e32 v21, 29, v17
	;; [unrolled: 1-line block ×4, first 2 shown]
	v_add_co_u32 v19, s8, v19, -1
	s_wait_alu 0xf1ff
	v_cndmask_b32_e64 v23, 0, 1, s8
	v_not_b32_e32 v81, v20
	v_cmp_gt_i32_e64 s8, 0, v20
	v_not_b32_e32 v20, v21
	v_lshlrev_b32_e32 v79, 26, v17
	v_cmp_ne_u32_e32 vcc_lo, 0, v23
	v_ashrrev_i32_e32 v23, 31, v81
	v_lshlrev_b32_e32 v80, 25, v17
	v_ashrrev_i32_e32 v20, 31, v20
	v_and_b32_e32 v18, 0xff, v17
	s_wait_alu 0xfffd
	v_xor_b32_e32 v19, vcc_lo, v19
	v_cmp_gt_i32_e32 vcc_lo, 0, v21
	v_not_b32_e32 v21, v22
	s_wait_alu 0xf1ff
	v_xor_b32_e32 v23, s8, v23
	v_cmp_gt_i32_e64 s8, 0, v22
	v_and_b32_e32 v19, exec_lo, v19
	v_not_b32_e32 v22, v78
	v_ashrrev_i32_e32 v21, 31, v21
	s_wait_alu 0xfffd
	v_xor_b32_e32 v20, vcc_lo, v20
	v_cmp_gt_i32_e32 vcc_lo, 0, v78
	v_and_b32_e32 v19, v19, v23
	v_not_b32_e32 v23, v79
	v_ashrrev_i32_e32 v22, 31, v22
	s_wait_alu 0xf1ff
	v_xor_b32_e32 v21, s8, v21
	v_lshlrev_b32_e32 v17, 24, v17
	v_and_b32_e32 v19, v19, v20
	v_cmp_gt_i32_e64 s8, 0, v79
	v_not_b32_e32 v20, v80
	v_ashrrev_i32_e32 v23, 31, v23
	s_wait_alu 0xfffd
	v_xor_b32_e32 v22, vcc_lo, v22
	v_and_b32_e32 v19, v19, v21
	v_cmp_gt_i32_e32 vcc_lo, 0, v80
	v_not_b32_e32 v21, v17
	v_ashrrev_i32_e32 v20, 31, v20
	s_wait_alu 0xf1ff
	v_xor_b32_e32 v23, s8, v23
	v_and_b32_e32 v19, v19, v22
	v_lshlrev_b32_e32 v18, 6, v18
	v_cmp_gt_i32_e64 s8, 0, v17
	v_ashrrev_i32_e32 v17, 31, v21
	s_wait_alu 0xfffd
	v_xor_b32_e32 v20, vcc_lo, v20
	v_and_b32_e32 v19, v19, v23
	v_add_nc_u32_e32 v80, v16, v18
	s_wait_alu 0xf1ff
	v_xor_b32_e32 v16, s8, v17
	s_delay_alu instid0(VALU_DEP_3) | instskip(SKIP_2) | instid1(VALU_DEP_1)
	v_and_b32_e32 v17, v19, v20
	ds_load_b32 v78, v80 offset:64
	; wave barrier
	v_and_b32_e32 v16, v17, v16
	v_mbcnt_lo_u32_b32 v79, v16, 0
	v_cmp_ne_u32_e64 s8, 0, v16
	s_delay_alu instid0(VALU_DEP_2)
	v_cmp_eq_u32_e32 vcc_lo, 0, v79
	s_and_b32 s9, s8, vcc_lo
	s_wait_alu 0xfffe
	s_and_saveexec_b32 s8, s9
	s_cbranch_execz .LBB80_77
; %bb.76:
	s_wait_dscnt 0x0
	v_bcnt_u32_b32 v16, v16, v78
	ds_store_b32 v80, v16 offset:64
.LBB80_77:
	s_wait_alu 0xfffe
	s_or_b32 exec_lo, exec_lo, s8
	; wave barrier
	s_wait_loadcnt_dscnt 0x0
	s_barrier_signal -1
	s_barrier_wait -1
	global_inv scope:SCOPE_SE
	ds_load_b128 v[20:23], v66 offset:64
	ds_load_b128 v[16:19], v66 offset:80
	v_min_u32_e32 v68, 0x1e0, v68
	s_mov_b32 s15, exec_lo
	s_delay_alu instid0(VALU_DEP_1) | instskip(SKIP_2) | instid1(VALU_DEP_1)
	v_or_b32_e32 v68, 31, v68
	s_wait_dscnt 0x1
	v_add_nc_u32_e32 v81, v21, v20
	v_add3_u32 v81, v81, v22, v23
	s_wait_dscnt 0x0
	s_delay_alu instid0(VALU_DEP_1) | instskip(NEXT) | instid1(VALU_DEP_1)
	v_add3_u32 v81, v81, v16, v17
	v_add3_u32 v19, v81, v18, v19
	v_and_b32_e32 v81, 15, v67
	s_delay_alu instid0(VALU_DEP_2) | instskip(NEXT) | instid1(VALU_DEP_2)
	v_mov_b32_dpp v82, v19 row_shr:1 row_mask:0xf bank_mask:0xf
	v_cmp_eq_u32_e32 vcc_lo, 0, v81
	v_cmp_lt_u32_e64 s8, 1, v81
	v_cmp_lt_u32_e64 s9, 3, v81
	;; [unrolled: 1-line block ×3, first 2 shown]
	s_wait_alu 0xfffd
	v_cndmask_b32_e64 v82, v82, 0, vcc_lo
	s_delay_alu instid0(VALU_DEP_1) | instskip(NEXT) | instid1(VALU_DEP_1)
	v_add_nc_u32_e32 v19, v82, v19
	v_mov_b32_dpp v82, v19 row_shr:2 row_mask:0xf bank_mask:0xf
	s_wait_alu 0xf1ff
	s_delay_alu instid0(VALU_DEP_1) | instskip(NEXT) | instid1(VALU_DEP_1)
	v_cndmask_b32_e64 v82, 0, v82, s8
	v_add_nc_u32_e32 v19, v19, v82
	s_delay_alu instid0(VALU_DEP_1) | instskip(NEXT) | instid1(VALU_DEP_1)
	v_mov_b32_dpp v82, v19 row_shr:4 row_mask:0xf bank_mask:0xf
	v_cndmask_b32_e64 v82, 0, v82, s9
	s_delay_alu instid0(VALU_DEP_1) | instskip(NEXT) | instid1(VALU_DEP_1)
	v_add_nc_u32_e32 v19, v19, v82
	v_mov_b32_dpp v82, v19 row_shr:8 row_mask:0xf bank_mask:0xf
	s_delay_alu instid0(VALU_DEP_1) | instskip(SKIP_1) | instid1(VALU_DEP_2)
	v_cndmask_b32_e64 v81, 0, v82, s10
	v_bfe_i32 v82, v67, 4, 1
	v_add_nc_u32_e32 v19, v19, v81
	ds_swizzle_b32 v81, v19 offset:swizzle(BROADCAST,32,15)
	s_wait_dscnt 0x0
	v_and_b32_e32 v81, v82, v81
	s_delay_alu instid0(VALU_DEP_1)
	v_add_nc_u32_e32 v19, v19, v81
	v_cmpx_eq_u32_e64 v44, v68
; %bb.78:
	v_lshlrev_b32_e32 v68, 2, v62
	ds_store_b32 v68, v19
; %bb.79:
	s_wait_alu 0xfffe
	s_or_b32 exec_lo, exec_lo, s15
	s_delay_alu instid0(SALU_CYCLE_1)
	s_mov_b32 s15, exec_lo
	s_wait_loadcnt_dscnt 0x0
	s_barrier_signal -1
	s_barrier_wait -1
	global_inv scope:SCOPE_SE
	v_cmpx_gt_u32_e32 16, v44
	s_cbranch_execz .LBB80_81
; %bb.80:
	v_lshlrev_b32_e32 v68, 2, v44
	ds_load_b32 v81, v68
	s_wait_dscnt 0x0
	v_mov_b32_dpp v82, v81 row_shr:1 row_mask:0xf bank_mask:0xf
	s_delay_alu instid0(VALU_DEP_1) | instskip(NEXT) | instid1(VALU_DEP_1)
	v_cndmask_b32_e64 v82, v82, 0, vcc_lo
	v_add_nc_u32_e32 v81, v82, v81
	s_delay_alu instid0(VALU_DEP_1) | instskip(NEXT) | instid1(VALU_DEP_1)
	v_mov_b32_dpp v82, v81 row_shr:2 row_mask:0xf bank_mask:0xf
	v_cndmask_b32_e64 v82, 0, v82, s8
	s_delay_alu instid0(VALU_DEP_1) | instskip(NEXT) | instid1(VALU_DEP_1)
	v_add_nc_u32_e32 v81, v81, v82
	v_mov_b32_dpp v82, v81 row_shr:4 row_mask:0xf bank_mask:0xf
	s_delay_alu instid0(VALU_DEP_1) | instskip(NEXT) | instid1(VALU_DEP_1)
	v_cndmask_b32_e64 v82, 0, v82, s9
	v_add_nc_u32_e32 v81, v81, v82
	s_delay_alu instid0(VALU_DEP_1) | instskip(NEXT) | instid1(VALU_DEP_1)
	v_mov_b32_dpp v82, v81 row_shr:8 row_mask:0xf bank_mask:0xf
	v_cndmask_b32_e64 v82, 0, v82, s10
	s_delay_alu instid0(VALU_DEP_1)
	v_add_nc_u32_e32 v81, v81, v82
	ds_store_b32 v68, v81
.LBB80_81:
	s_wait_alu 0xfffe
	s_or_b32 exec_lo, exec_lo, s15
	v_mov_b32_e32 v68, 0
	s_mov_b32 s8, exec_lo
	s_wait_loadcnt_dscnt 0x0
	s_barrier_signal -1
	s_barrier_wait -1
	global_inv scope:SCOPE_SE
	v_cmpx_lt_u32_e32 31, v44
; %bb.82:
	v_lshl_add_u32 v62, v62, 2, -4
	ds_load_b32 v68, v62
; %bb.83:
	s_wait_alu 0xfffe
	s_or_b32 exec_lo, exec_lo, s8
	v_sub_co_u32 v62, vcc_lo, v67, 1
	s_wait_dscnt 0x0
	v_add_nc_u32_e32 v19, v68, v19
	s_delay_alu instid0(VALU_DEP_2) | instskip(SKIP_1) | instid1(VALU_DEP_1)
	v_cmp_gt_i32_e64 s8, 0, v62
	s_wait_alu 0xf1ff
	v_cndmask_b32_e64 v62, v62, v67, s8
	s_delay_alu instid0(VALU_DEP_1)
	v_lshlrev_b32_e32 v62, 2, v62
	ds_bpermute_b32 v19, v62, v19
	s_wait_dscnt 0x0
	s_wait_alu 0xfffd
	v_cndmask_b32_e32 v19, v19, v68, vcc_lo
	v_cmp_ne_u32_e32 vcc_lo, 0, v44
	s_wait_alu 0xfffd
	s_delay_alu instid0(VALU_DEP_2) | instskip(NEXT) | instid1(VALU_DEP_1)
	v_cndmask_b32_e32 v19, 0, v19, vcc_lo
	v_add_nc_u32_e32 v20, v19, v20
	s_delay_alu instid0(VALU_DEP_1) | instskip(NEXT) | instid1(VALU_DEP_1)
	v_add_nc_u32_e32 v21, v20, v21
	v_add_nc_u32_e32 v22, v21, v22
	s_delay_alu instid0(VALU_DEP_1) | instskip(NEXT) | instid1(VALU_DEP_1)
	v_add_nc_u32_e32 v81, v22, v23
	v_add_nc_u32_e32 v82, v81, v16
	s_delay_alu instid0(VALU_DEP_1) | instskip(NEXT) | instid1(VALU_DEP_1)
	v_add_nc_u32_e32 v83, v82, v17
	v_add_nc_u32_e32 v84, v83, v18
	ds_store_b128 v66, v[19:22] offset:64
	ds_store_b128 v66, v[81:84] offset:80
	s_wait_loadcnt_dscnt 0x0
	s_barrier_signal -1
	s_barrier_wait -1
	global_inv scope:SCOPE_SE
	ds_load_b32 v16, v33 offset:64
	ds_load_b32 v17, v36 offset:64
	;; [unrolled: 1-line block ×8, first 2 shown]
	v_mad_u32_u24 v36, v44, 56, v57
	s_wait_loadcnt_dscnt 0x0
	s_barrier_signal -1
	s_barrier_wait -1
	global_inv scope:SCOPE_SE
	v_add_nc_u32_e32 v16, v16, v32
	v_add3_u32 v17, v35, v34, v17
	v_add3_u32 v18, v38, v37, v18
	;; [unrolled: 1-line block ×7, first 2 shown]
	ds_store_b8 v16, v24
	ds_store_b8 v17, v25
	;; [unrolled: 1-line block ×8, first 2 shown]
	v_lshlrev_b32_e32 v16, 3, v16
	v_lshlrev_b32_e32 v17, 3, v17
	;; [unrolled: 1-line block ×8, first 2 shown]
	s_wait_loadcnt_dscnt 0x0
	s_barrier_signal -1
	s_barrier_wait -1
	global_inv scope:SCOPE_SE
	ds_load_b64 v[33:34], v57
	s_wait_loadcnt_dscnt 0x0
	s_barrier_signal -1
	s_barrier_wait -1
	global_inv scope:SCOPE_SE
	ds_store_b64 v16, v[0:1]
	ds_store_b64 v17, v[2:3]
	;; [unrolled: 1-line block ×8, first 2 shown]
	s_wait_loadcnt_dscnt 0x0
	s_barrier_signal -1
	s_barrier_wait -1
	global_inv scope:SCOPE_SE
	ds_load_b128 v[29:32], v36
	ds_load_b128 v[25:28], v36 offset:16
	ds_load_b128 v[21:24], v36 offset:32
	;; [unrolled: 1-line block ×3, first 2 shown]
	v_not_b32_e32 v33, v33
	v_not_b32_e32 v34, v34
.LBB80_84:
	s_wait_loadcnt_dscnt 0x0
	s_barrier_signal -1
	s_barrier_wait -1
	global_inv scope:SCOPE_SE
	ds_store_2addr_b32 v56, v33, v34 offset1:1
	s_wait_loadcnt_dscnt 0x0
	s_barrier_signal -1
	s_barrier_wait -1
	global_inv scope:SCOPE_SE
	ds_load_u8 v8, v49 offset:512
	ds_load_u8 v7, v50 offset:1024
	;; [unrolled: 1-line block ×7, first 2 shown]
	v_add_co_u32 v0, s8, s18, v47
	s_wait_alu 0xf1ff
	v_add_co_ci_u32_e64 v1, null, s19, 0, s8
	s_and_saveexec_b32 s8, s0
	s_cbranch_execnz .LBB80_103
; %bb.85:
	s_wait_alu 0xfffe
	s_or_b32 exec_lo, exec_lo, s8
	s_and_saveexec_b32 s8, s1
	s_cbranch_execnz .LBB80_104
.LBB80_86:
	s_wait_alu 0xfffe
	s_or_b32 exec_lo, exec_lo, s8
	s_and_saveexec_b32 s8, s2
	s_cbranch_execnz .LBB80_105
.LBB80_87:
	s_wait_alu 0xfffe
	s_or_b32 exec_lo, exec_lo, s8
	s_and_saveexec_b32 s8, s3
	s_cbranch_execnz .LBB80_106
.LBB80_88:
	s_wait_alu 0xfffe
	s_or_b32 exec_lo, exec_lo, s8
	s_and_saveexec_b32 s8, s4
	s_cbranch_execnz .LBB80_107
.LBB80_89:
	s_wait_alu 0xfffe
	s_or_b32 exec_lo, exec_lo, s8
	s_and_saveexec_b32 s8, s5
	s_cbranch_execnz .LBB80_108
.LBB80_90:
	s_wait_alu 0xfffe
	s_or_b32 exec_lo, exec_lo, s8
	s_and_saveexec_b32 s8, s6
	s_cbranch_execnz .LBB80_109
.LBB80_91:
	s_wait_alu 0xfffe
	s_or_b32 exec_lo, exec_lo, s8
	s_and_saveexec_b32 s8, s7
	s_cbranch_execz .LBB80_93
.LBB80_92:
	s_mul_i32 s9, s14, 0xe00
	s_wait_alu 0xfffe
	v_add_co_u32 v0, vcc_lo, v0, s9
	s_wait_alu 0xfffd
	v_add_co_ci_u32_e64 v1, null, 0, v1, vcc_lo
	s_wait_dscnt 0x0
	global_store_b8 v[0:1], v2, off
.LBB80_93:
	s_wait_alu 0xfffe
	s_or_b32 exec_lo, exec_lo, s8
	s_wait_storecnt 0x0
	s_wait_loadcnt_dscnt 0x0
	s_barrier_signal -1
	s_barrier_wait -1
	global_inv scope:SCOPE_SE
	ds_store_2addr_b64 v65, v[29:30], v[31:32] offset1:1
	ds_store_2addr_b64 v65, v[25:26], v[27:28] offset0:2 offset1:3
	ds_store_2addr_b64 v65, v[21:22], v[23:24] offset0:4 offset1:5
	;; [unrolled: 1-line block ×3, first 2 shown]
	s_wait_loadcnt_dscnt 0x0
	s_barrier_signal -1
	s_barrier_wait -1
	global_inv scope:SCOPE_SE
	ds_load_b64 v[14:15], v59 offset:4096
	ds_load_b64 v[12:13], v60 offset:8192
	;; [unrolled: 1-line block ×7, first 2 shown]
	v_mov_b32_e32 v42, 0
	s_delay_alu instid0(VALU_DEP_1) | instskip(NEXT) | instid1(VALU_DEP_1)
	v_lshlrev_b64_e32 v[2:3], 3, v[41:42]
	v_add_co_u32 v2, vcc_lo, s12, v2
	s_wait_alu 0xfffd
	s_delay_alu instid0(VALU_DEP_2)
	v_add_co_ci_u32_e64 v3, null, s13, v3, vcc_lo
	s_and_saveexec_b32 s8, s0
	s_cbranch_execnz .LBB80_110
; %bb.94:
	s_wait_alu 0xfffe
	s_or_b32 exec_lo, exec_lo, s8
	s_and_saveexec_b32 s0, s1
	s_cbranch_execnz .LBB80_111
.LBB80_95:
	s_or_b32 exec_lo, exec_lo, s0
	s_and_saveexec_b32 s0, s2
	s_cbranch_execnz .LBB80_112
.LBB80_96:
	s_or_b32 exec_lo, exec_lo, s0
	s_and_saveexec_b32 s0, s3
	s_cbranch_execnz .LBB80_113
.LBB80_97:
	s_or_b32 exec_lo, exec_lo, s0
	s_and_saveexec_b32 s0, s4
	s_cbranch_execnz .LBB80_114
.LBB80_98:
	s_or_b32 exec_lo, exec_lo, s0
	s_and_saveexec_b32 s0, s5
	s_cbranch_execnz .LBB80_115
.LBB80_99:
	s_or_b32 exec_lo, exec_lo, s0
	s_and_saveexec_b32 s0, s6
	s_cbranch_execnz .LBB80_116
.LBB80_100:
	s_or_b32 exec_lo, exec_lo, s0
	s_and_saveexec_b32 s0, s7
	s_cbranch_execz .LBB80_102
.LBB80_101:
	s_mul_i32 s0, s16, 0xe00
	s_mov_b32 s1, 0
	s_delay_alu instid0(SALU_CYCLE_1) | instskip(NEXT) | instid1(SALU_CYCLE_1)
	s_lshl_b64 s[0:1], s[0:1], 3
	v_add_co_u32 v2, vcc_lo, v2, s0
	s_wait_alu 0xfffd
	v_add_co_ci_u32_e64 v3, null, s1, v3, vcc_lo
	s_wait_dscnt 0x0
	global_store_b64 v[2:3], v[0:1], off
.LBB80_102:
	s_nop 0
	s_sendmsg sendmsg(MSG_DEALLOC_VGPRS)
	s_endpgm
.LBB80_103:
	ds_load_u8 v9, v48
	s_wait_dscnt 0x0
	global_store_b8 v[0:1], v9, off
	s_wait_alu 0xfffe
	s_or_b32 exec_lo, exec_lo, s8
	s_and_saveexec_b32 s8, s1
	s_cbranch_execz .LBB80_86
.LBB80_104:
	s_lshl_b32 s9, s14, 9
	s_wait_alu 0xfffe
	v_add_co_u32 v9, vcc_lo, v0, s9
	s_wait_alu 0xfffd
	v_add_co_ci_u32_e64 v10, null, 0, v1, vcc_lo
	s_wait_dscnt 0x6
	global_store_b8 v[9:10], v8, off
	s_or_b32 exec_lo, exec_lo, s8
	s_and_saveexec_b32 s8, s2
	s_cbranch_execz .LBB80_87
.LBB80_105:
	s_lshl_b32 s9, s14, 10
	s_wait_dscnt 0x6
	s_wait_alu 0xfffe
	v_add_co_u32 v8, vcc_lo, v0, s9
	s_wait_alu 0xfffd
	v_add_co_ci_u32_e64 v9, null, 0, v1, vcc_lo
	s_wait_dscnt 0x5
	global_store_b8 v[8:9], v7, off
	s_or_b32 exec_lo, exec_lo, s8
	s_and_saveexec_b32 s8, s3
	s_cbranch_execz .LBB80_88
.LBB80_106:
	s_mul_i32 s9, s14, 0x600
	s_wait_dscnt 0x5
	s_wait_alu 0xfffe
	v_add_co_u32 v7, vcc_lo, v0, s9
	s_wait_alu 0xfffd
	v_add_co_ci_u32_e64 v8, null, 0, v1, vcc_lo
	s_wait_dscnt 0x4
	global_store_b8 v[7:8], v6, off
	s_or_b32 exec_lo, exec_lo, s8
	s_and_saveexec_b32 s8, s4
	s_cbranch_execz .LBB80_89
.LBB80_107:
	s_lshl_b32 s9, s14, 11
	s_wait_dscnt 0x4
	s_wait_alu 0xfffe
	v_add_co_u32 v6, vcc_lo, v0, s9
	s_wait_alu 0xfffd
	v_add_co_ci_u32_e64 v7, null, 0, v1, vcc_lo
	s_wait_dscnt 0x3
	global_store_b8 v[6:7], v5, off
	s_or_b32 exec_lo, exec_lo, s8
	s_and_saveexec_b32 s8, s5
	s_cbranch_execz .LBB80_90
.LBB80_108:
	s_mul_i32 s9, s14, 0xa00
	s_wait_dscnt 0x3
	s_wait_alu 0xfffe
	v_add_co_u32 v5, vcc_lo, v0, s9
	s_wait_alu 0xfffd
	v_add_co_ci_u32_e64 v6, null, 0, v1, vcc_lo
	s_wait_dscnt 0x2
	global_store_b8 v[5:6], v4, off
	s_or_b32 exec_lo, exec_lo, s8
	s_and_saveexec_b32 s8, s6
	s_cbranch_execz .LBB80_91
.LBB80_109:
	s_mul_i32 s9, s14, 0xc00
	s_wait_dscnt 0x2
	s_wait_alu 0xfffe
	v_add_co_u32 v4, vcc_lo, v0, s9
	s_wait_alu 0xfffd
	v_add_co_ci_u32_e64 v5, null, 0, v1, vcc_lo
	s_wait_dscnt 0x1
	global_store_b8 v[4:5], v3, off
	s_or_b32 exec_lo, exec_lo, s8
	s_and_saveexec_b32 s8, s7
	s_cbranch_execnz .LBB80_92
	s_branch .LBB80_93
.LBB80_110:
	ds_load_b64 v[16:17], v58
	s_wait_dscnt 0x0
	global_store_b64 v[2:3], v[16:17], off
	s_wait_alu 0xfffe
	s_or_b32 exec_lo, exec_lo, s8
	s_and_saveexec_b32 s0, s1
	s_cbranch_execz .LBB80_95
.LBB80_111:
	s_lshl_b32 s8, s16, 9
	s_mov_b32 s9, 0
	s_wait_alu 0xfffe
	s_lshl_b64 s[8:9], s[8:9], 3
	s_wait_alu 0xfffe
	v_add_co_u32 v16, vcc_lo, v2, s8
	s_wait_alu 0xfffd
	v_add_co_ci_u32_e64 v17, null, s9, v3, vcc_lo
	s_wait_dscnt 0x6
	global_store_b64 v[16:17], v[14:15], off
	s_or_b32 exec_lo, exec_lo, s0
	s_and_saveexec_b32 s0, s2
	s_cbranch_execz .LBB80_96
.LBB80_112:
	s_lshl_b32 s8, s16, 10
	s_mov_b32 s9, 0
	s_wait_alu 0xfffe
	s_lshl_b64 s[8:9], s[8:9], 3
	s_wait_dscnt 0x6
	s_wait_alu 0xfffe
	v_add_co_u32 v14, vcc_lo, v2, s8
	s_wait_alu 0xfffd
	v_add_co_ci_u32_e64 v15, null, s9, v3, vcc_lo
	s_wait_dscnt 0x5
	global_store_b64 v[14:15], v[12:13], off
	s_or_b32 exec_lo, exec_lo, s0
	s_and_saveexec_b32 s0, s3
	s_cbranch_execz .LBB80_97
.LBB80_113:
	s_mul_i32 s2, s16, 0x600
	s_mov_b32 s3, 0
	s_delay_alu instid0(SALU_CYCLE_1)
	s_lshl_b64 s[2:3], s[2:3], 3
	s_wait_dscnt 0x5
	v_add_co_u32 v12, vcc_lo, v2, s2
	s_wait_alu 0xfffd
	v_add_co_ci_u32_e64 v13, null, s3, v3, vcc_lo
	s_wait_dscnt 0x4
	global_store_b64 v[12:13], v[10:11], off
	s_or_b32 exec_lo, exec_lo, s0
	s_and_saveexec_b32 s0, s4
	s_cbranch_execz .LBB80_98
.LBB80_114:
	s_lshl_b32 s2, s16, 11
	s_mov_b32 s3, 0
	s_wait_alu 0xfffe
	s_lshl_b64 s[2:3], s[2:3], 3
	s_wait_dscnt 0x4
	s_wait_alu 0xfffe
	v_add_co_u32 v10, vcc_lo, v2, s2
	s_wait_alu 0xfffd
	v_add_co_ci_u32_e64 v11, null, s3, v3, vcc_lo
	s_wait_dscnt 0x3
	global_store_b64 v[10:11], v[8:9], off
	s_or_b32 exec_lo, exec_lo, s0
	s_and_saveexec_b32 s0, s5
	s_cbranch_execz .LBB80_99
.LBB80_115:
	s_mul_i32 s2, s16, 0xa00
	s_mov_b32 s3, 0
	s_wait_alu 0xfffe
	s_lshl_b64 s[2:3], s[2:3], 3
	s_wait_dscnt 0x3
	s_wait_alu 0xfffe
	v_add_co_u32 v8, vcc_lo, v2, s2
	s_wait_alu 0xfffd
	v_add_co_ci_u32_e64 v9, null, s3, v3, vcc_lo
	s_wait_dscnt 0x2
	global_store_b64 v[8:9], v[6:7], off
	s_or_b32 exec_lo, exec_lo, s0
	s_and_saveexec_b32 s0, s6
	s_cbranch_execz .LBB80_100
.LBB80_116:
	s_mul_i32 s2, s16, 0xc00
	s_mov_b32 s3, 0
	s_wait_alu 0xfffe
	s_lshl_b64 s[2:3], s[2:3], 3
	s_wait_dscnt 0x2
	s_wait_alu 0xfffe
	v_add_co_u32 v6, vcc_lo, v2, s2
	s_wait_alu 0xfffd
	v_add_co_ci_u32_e64 v7, null, s3, v3, vcc_lo
	s_wait_dscnt 0x1
	global_store_b64 v[6:7], v[4:5], off
	s_or_b32 exec_lo, exec_lo, s0
	s_and_saveexec_b32 s0, s7
	s_cbranch_execnz .LBB80_101
	s_branch .LBB80_102
	.section	.rodata,"a",@progbits
	.p2align	6, 0x0
	.amdhsa_kernel _ZN2at6native18radixSortKVInPlaceILin2ELin1ELi512ELi8EhljEEvNS_4cuda6detail10TensorInfoIT3_T5_EES6_S6_S6_NS4_IT4_S6_EES6_b
		.amdhsa_group_segment_fixed_size 33792
		.amdhsa_private_segment_fixed_size 0
		.amdhsa_kernarg_size 712
		.amdhsa_user_sgpr_count 2
		.amdhsa_user_sgpr_dispatch_ptr 0
		.amdhsa_user_sgpr_queue_ptr 0
		.amdhsa_user_sgpr_kernarg_segment_ptr 1
		.amdhsa_user_sgpr_dispatch_id 0
		.amdhsa_user_sgpr_private_segment_size 0
		.amdhsa_wavefront_size32 1
		.amdhsa_uses_dynamic_stack 0
		.amdhsa_enable_private_segment 0
		.amdhsa_system_sgpr_workgroup_id_x 1
		.amdhsa_system_sgpr_workgroup_id_y 1
		.amdhsa_system_sgpr_workgroup_id_z 1
		.amdhsa_system_sgpr_workgroup_info 0
		.amdhsa_system_vgpr_workitem_id 2
		.amdhsa_next_free_vgpr 105
		.amdhsa_next_free_sgpr 28
		.amdhsa_reserve_vcc 1
		.amdhsa_float_round_mode_32 0
		.amdhsa_float_round_mode_16_64 0
		.amdhsa_float_denorm_mode_32 3
		.amdhsa_float_denorm_mode_16_64 3
		.amdhsa_fp16_overflow 0
		.amdhsa_workgroup_processor_mode 1
		.amdhsa_memory_ordered 1
		.amdhsa_forward_progress 1
		.amdhsa_inst_pref_size 100
		.amdhsa_round_robin_scheduling 0
		.amdhsa_exception_fp_ieee_invalid_op 0
		.amdhsa_exception_fp_denorm_src 0
		.amdhsa_exception_fp_ieee_div_zero 0
		.amdhsa_exception_fp_ieee_overflow 0
		.amdhsa_exception_fp_ieee_underflow 0
		.amdhsa_exception_fp_ieee_inexact 0
		.amdhsa_exception_int_div_zero 0
	.end_amdhsa_kernel
	.section	.text._ZN2at6native18radixSortKVInPlaceILin2ELin1ELi512ELi8EhljEEvNS_4cuda6detail10TensorInfoIT3_T5_EES6_S6_S6_NS4_IT4_S6_EES6_b,"axG",@progbits,_ZN2at6native18radixSortKVInPlaceILin2ELin1ELi512ELi8EhljEEvNS_4cuda6detail10TensorInfoIT3_T5_EES6_S6_S6_NS4_IT4_S6_EES6_b,comdat
.Lfunc_end80:
	.size	_ZN2at6native18radixSortKVInPlaceILin2ELin1ELi512ELi8EhljEEvNS_4cuda6detail10TensorInfoIT3_T5_EES6_S6_S6_NS4_IT4_S6_EES6_b, .Lfunc_end80-_ZN2at6native18radixSortKVInPlaceILin2ELin1ELi512ELi8EhljEEvNS_4cuda6detail10TensorInfoIT3_T5_EES6_S6_S6_NS4_IT4_S6_EES6_b
                                        ; -- End function
	.set _ZN2at6native18radixSortKVInPlaceILin2ELin1ELi512ELi8EhljEEvNS_4cuda6detail10TensorInfoIT3_T5_EES6_S6_S6_NS4_IT4_S6_EES6_b.num_vgpr, 105
	.set _ZN2at6native18radixSortKVInPlaceILin2ELin1ELi512ELi8EhljEEvNS_4cuda6detail10TensorInfoIT3_T5_EES6_S6_S6_NS4_IT4_S6_EES6_b.num_agpr, 0
	.set _ZN2at6native18radixSortKVInPlaceILin2ELin1ELi512ELi8EhljEEvNS_4cuda6detail10TensorInfoIT3_T5_EES6_S6_S6_NS4_IT4_S6_EES6_b.numbered_sgpr, 28
	.set _ZN2at6native18radixSortKVInPlaceILin2ELin1ELi512ELi8EhljEEvNS_4cuda6detail10TensorInfoIT3_T5_EES6_S6_S6_NS4_IT4_S6_EES6_b.num_named_barrier, 0
	.set _ZN2at6native18radixSortKVInPlaceILin2ELin1ELi512ELi8EhljEEvNS_4cuda6detail10TensorInfoIT3_T5_EES6_S6_S6_NS4_IT4_S6_EES6_b.private_seg_size, 0
	.set _ZN2at6native18radixSortKVInPlaceILin2ELin1ELi512ELi8EhljEEvNS_4cuda6detail10TensorInfoIT3_T5_EES6_S6_S6_NS4_IT4_S6_EES6_b.uses_vcc, 1
	.set _ZN2at6native18radixSortKVInPlaceILin2ELin1ELi512ELi8EhljEEvNS_4cuda6detail10TensorInfoIT3_T5_EES6_S6_S6_NS4_IT4_S6_EES6_b.uses_flat_scratch, 0
	.set _ZN2at6native18radixSortKVInPlaceILin2ELin1ELi512ELi8EhljEEvNS_4cuda6detail10TensorInfoIT3_T5_EES6_S6_S6_NS4_IT4_S6_EES6_b.has_dyn_sized_stack, 0
	.set _ZN2at6native18radixSortKVInPlaceILin2ELin1ELi512ELi8EhljEEvNS_4cuda6detail10TensorInfoIT3_T5_EES6_S6_S6_NS4_IT4_S6_EES6_b.has_recursion, 0
	.set _ZN2at6native18radixSortKVInPlaceILin2ELin1ELi512ELi8EhljEEvNS_4cuda6detail10TensorInfoIT3_T5_EES6_S6_S6_NS4_IT4_S6_EES6_b.has_indirect_call, 0
	.section	.AMDGPU.csdata,"",@progbits
; Kernel info:
; codeLenInByte = 12768
; TotalNumSgprs: 30
; NumVgprs: 105
; ScratchSize: 0
; MemoryBound: 0
; FloatMode: 240
; IeeeMode: 1
; LDSByteSize: 33792 bytes/workgroup (compile time only)
; SGPRBlocks: 0
; VGPRBlocks: 13
; NumSGPRsForWavesPerEU: 30
; NumVGPRsForWavesPerEU: 105
; Occupancy: 12
; WaveLimiterHint : 1
; COMPUTE_PGM_RSRC2:SCRATCH_EN: 0
; COMPUTE_PGM_RSRC2:USER_SGPR: 2
; COMPUTE_PGM_RSRC2:TRAP_HANDLER: 0
; COMPUTE_PGM_RSRC2:TGID_X_EN: 1
; COMPUTE_PGM_RSRC2:TGID_Y_EN: 1
; COMPUTE_PGM_RSRC2:TGID_Z_EN: 1
; COMPUTE_PGM_RSRC2:TIDIG_COMP_CNT: 2
	.section	.text._ZN2at6native18radixSortKVInPlaceILin2ELin1ELi256ELi8EhljEEvNS_4cuda6detail10TensorInfoIT3_T5_EES6_S6_S6_NS4_IT4_S6_EES6_b,"axG",@progbits,_ZN2at6native18radixSortKVInPlaceILin2ELin1ELi256ELi8EhljEEvNS_4cuda6detail10TensorInfoIT3_T5_EES6_S6_S6_NS4_IT4_S6_EES6_b,comdat
	.protected	_ZN2at6native18radixSortKVInPlaceILin2ELin1ELi256ELi8EhljEEvNS_4cuda6detail10TensorInfoIT3_T5_EES6_S6_S6_NS4_IT4_S6_EES6_b ; -- Begin function _ZN2at6native18radixSortKVInPlaceILin2ELin1ELi256ELi8EhljEEvNS_4cuda6detail10TensorInfoIT3_T5_EES6_S6_S6_NS4_IT4_S6_EES6_b
	.globl	_ZN2at6native18radixSortKVInPlaceILin2ELin1ELi256ELi8EhljEEvNS_4cuda6detail10TensorInfoIT3_T5_EES6_S6_S6_NS4_IT4_S6_EES6_b
	.p2align	8
	.type	_ZN2at6native18radixSortKVInPlaceILin2ELin1ELi256ELi8EhljEEvNS_4cuda6detail10TensorInfoIT3_T5_EES6_S6_S6_NS4_IT4_S6_EES6_b,@function
_ZN2at6native18radixSortKVInPlaceILin2ELin1ELi256ELi8EhljEEvNS_4cuda6detail10TensorInfoIT3_T5_EES6_S6_S6_NS4_IT4_S6_EES6_b: ; @_ZN2at6native18radixSortKVInPlaceILin2ELin1ELi256ELi8EhljEEvNS_4cuda6detail10TensorInfoIT3_T5_EES6_S6_S6_NS4_IT4_S6_EES6_b
; %bb.0:
	s_clause 0x1
	s_load_b64 s[2:3], s[0:1], 0x1c8
	s_load_b96 s[8:10], s[0:1], 0xd8
	s_lshr_b32 s4, ttmp7, 16
	s_wait_kmcnt 0x0
	s_mul_i32 s3, s3, s4
	s_and_b32 s4, ttmp7, 0xffff
	s_delay_alu instid0(SALU_CYCLE_1) | instskip(NEXT) | instid1(SALU_CYCLE_1)
	s_add_co_i32 s3, s3, s4
	s_mul_i32 s4, s3, s2
	s_delay_alu instid0(SALU_CYCLE_1) | instskip(NEXT) | instid1(SALU_CYCLE_1)
	s_add_co_i32 s4, s4, ttmp9
	s_cmp_ge_u32 s4, s8
	s_cbranch_scc1 .LBB81_102
; %bb.1:
	s_load_b32 s2, s[0:1], 0x1b8
	s_add_nc_u64 s[20:21], s[0:1], 0xe8
	s_mov_b32 s17, 0
	s_mov_b32 s11, s4
	s_wait_kmcnt 0x0
	s_cmp_lt_i32 s2, 2
	s_cbranch_scc1 .LBB81_4
; %bb.2:
	s_add_co_i32 s16, s2, -1
	s_add_co_i32 s5, s2, 1
	s_lshl_b64 s[6:7], s[16:17], 2
	s_mov_b32 s11, s4
	s_add_nc_u64 s[6:7], s[20:21], s[6:7]
	s_delay_alu instid0(SALU_CYCLE_1)
	s_add_nc_u64 s[2:3], s[6:7], 8
.LBB81_3:                               ; =>This Inner Loop Header: Depth=1
	s_clause 0x1
	s_load_b32 s6, s[2:3], 0x0
	s_load_b32 s7, s[2:3], 0x64
	s_mov_b32 s13, s11
	s_add_nc_u64 s[2:3], s[2:3], -4
	s_wait_kmcnt 0x0
	s_cvt_f32_u32 s8, s6
	s_sub_co_i32 s12, 0, s6
	s_wait_alu 0xfffe
	s_delay_alu instid0(SALU_CYCLE_1) | instskip(NEXT) | instid1(TRANS32_DEP_1)
	v_rcp_iflag_f32_e32 v1, s8
	v_readfirstlane_b32 s8, v1
	s_mul_f32 s8, s8, 0x4f7ffffe
	s_wait_alu 0xfffe
	s_delay_alu instid0(SALU_CYCLE_2) | instskip(SKIP_1) | instid1(SALU_CYCLE_2)
	s_cvt_u32_f32 s8, s8
	s_wait_alu 0xfffe
	s_mul_i32 s12, s12, s8
	s_delay_alu instid0(SALU_CYCLE_1) | instskip(NEXT) | instid1(SALU_CYCLE_1)
	s_mul_hi_u32 s12, s8, s12
	s_add_co_i32 s8, s8, s12
	s_wait_alu 0xfffe
	s_mul_hi_u32 s8, s11, s8
	s_wait_alu 0xfffe
	s_mul_i32 s11, s8, s6
	s_add_co_i32 s12, s8, 1
	s_sub_co_i32 s11, s13, s11
	s_delay_alu instid0(SALU_CYCLE_1)
	s_sub_co_i32 s14, s11, s6
	s_cmp_ge_u32 s11, s6
	s_cselect_b32 s8, s12, s8
	s_cselect_b32 s11, s14, s11
	s_wait_alu 0xfffe
	s_add_co_i32 s12, s8, 1
	s_cmp_ge_u32 s11, s6
	s_cselect_b32 s11, s12, s8
	s_add_co_i32 s5, s5, -1
	s_mul_i32 s6, s11, s6
	s_delay_alu instid0(SALU_CYCLE_1) | instskip(NEXT) | instid1(SALU_CYCLE_1)
	s_sub_co_i32 s6, s13, s6
	s_mul_i32 s6, s7, s6
	s_delay_alu instid0(SALU_CYCLE_1)
	s_add_co_i32 s17, s6, s17
	s_cmp_gt_u32 s5, 2
	s_cbranch_scc1 .LBB81_3
.LBB81_4:
	s_clause 0x2
	s_load_b64 s[12:13], s[0:1], 0x1c0
	s_load_b64 s[2:3], s[0:1], 0x0
	s_load_b32 s5, s[0:1], 0x6c
	s_add_nc_u64 s[18:19], s[0:1], 0x1c8
	v_and_b32_e32 v44, 0x3ff, v0
	s_delay_alu instid0(VALU_DEP_1)
	v_mul_lo_u32 v47, s10, v44
	s_wait_kmcnt 0x0
	s_bitcmp1_b32 s13, 0
	s_mul_i32 s4, s5, s4
	s_cselect_b32 s0, -1, 0
	s_mov_b32 s5, 0
	s_xor_b32 s8, s0, -1
	v_cmp_gt_u32_e64 s0, s9, v44
	s_wait_alu 0xfffe
	v_cndmask_b32_e64 v1, 0, -1, s8
	v_cndmask_b32_e64 v3, 0, -1, s8
	s_add_nc_u64 s[14:15], s[2:3], s[4:5]
	s_delay_alu instid0(VALU_DEP_2) | instskip(SKIP_1) | instid1(VALU_DEP_1)
	v_lshlrev_b32_e32 v2, 8, v1
	v_and_b32_e32 v1, 0xff, v1
	v_or_b32_e32 v1, v1, v2
	s_delay_alu instid0(VALU_DEP_1) | instskip(SKIP_1) | instid1(VALU_DEP_1)
	v_and_b32_e32 v2, 0xffff, v1
	v_lshlrev_b32_e32 v1, 16, v1
	v_or_b32_e32 v1, v2, v1
	s_delay_alu instid0(VALU_DEP_1)
	v_mov_b32_e32 v2, v1
	s_and_saveexec_b32 s1, s0
	s_cbranch_execz .LBB81_6
; %bb.5:
	global_load_u8 v3, v47, s[14:15]
	v_mov_b32_e32 v5, v1
	s_wait_loadcnt 0x0
	v_perm_b32 v4, v3, v1, 0x3020104
	s_delay_alu instid0(VALU_DEP_1)
	v_dual_mov_b32 v1, v4 :: v_dual_mov_b32 v2, v5
.LBB81_6:
	s_or_b32 exec_lo, exec_lo, s1
	v_add_nc_u32_e32 v28, 0x100, v44
	s_delay_alu instid0(VALU_DEP_1)
	v_cmp_gt_u32_e64 s1, s9, v28
	s_and_saveexec_b32 s2, s1
	s_cbranch_execz .LBB81_8
; %bb.7:
	v_mul_lo_u32 v4, s10, v28
	global_load_u8 v4, v4, s[14:15]
	s_wait_loadcnt 0x0
	v_perm_b32 v1, v1, v4, 0x7060004
.LBB81_8:
	s_or_b32 exec_lo, exec_lo, s2
	v_add_nc_u32_e32 v24, 0x200, v44
	s_delay_alu instid0(VALU_DEP_1)
	v_cmp_gt_u32_e64 s2, s9, v24
	s_and_saveexec_b32 s3, s2
	s_cbranch_execz .LBB81_10
; %bb.9:
	v_mul_lo_u32 v4, s10, v24
	global_load_u8 v4, v4, s[14:15]
	s_wait_loadcnt 0x0
	v_perm_b32 v4, v4, v1, 0xc0c0304
	s_delay_alu instid0(VALU_DEP_1) | instskip(NEXT) | instid1(VALU_DEP_1)
	v_lshlrev_b32_e32 v4, 16, v4
	v_and_or_b32 v1, 0xffff, v1, v4
.LBB81_10:
	s_or_b32 exec_lo, exec_lo, s3
	v_add_nc_u32_e32 v21, 0x300, v44
	s_delay_alu instid0(VALU_DEP_1)
	v_cmp_gt_u32_e64 s3, s9, v21
	s_and_saveexec_b32 s4, s3
	s_cbranch_execz .LBB81_12
; %bb.11:
	v_mul_lo_u32 v4, s10, v21
	global_load_u8 v4, v4, s[14:15]
	s_wait_loadcnt 0x0
	v_perm_b32 v4, v1, v4, 0xc0c0006
	s_delay_alu instid0(VALU_DEP_1) | instskip(NEXT) | instid1(VALU_DEP_1)
	v_lshlrev_b32_e32 v4, 16, v4
	v_and_or_b32 v1, 0xffff, v1, v4
.LBB81_12:
	s_or_b32 exec_lo, exec_lo, s4
	v_or_b32_e32 v19, 0x400, v44
	s_delay_alu instid0(VALU_DEP_1)
	v_cmp_gt_u32_e64 s4, s9, v19
	s_and_saveexec_b32 s5, s4
	s_cbranch_execz .LBB81_14
; %bb.13:
	v_mul_lo_u32 v4, s10, v19
	global_load_u8 v4, v4, s[14:15]
	s_wait_loadcnt 0x0
	v_perm_b32 v2, v4, v2, 0x3020104
.LBB81_14:
	s_or_b32 exec_lo, exec_lo, s5
	v_add_nc_u32_e32 v17, 0x500, v44
	s_delay_alu instid0(VALU_DEP_1)
	v_cmp_gt_u32_e64 s5, s9, v17
	s_and_saveexec_b32 s6, s5
	s_cbranch_execz .LBB81_16
; %bb.15:
	v_mul_lo_u32 v4, s10, v17
	global_load_u8 v4, v4, s[14:15]
	s_wait_loadcnt 0x0
	v_perm_b32 v2, v2, v4, 0x7060004
.LBB81_16:
	s_or_b32 exec_lo, exec_lo, s6
	v_add_nc_u32_e32 v16, 0x600, v44
	s_delay_alu instid0(VALU_DEP_1)
	v_cmp_gt_u32_e64 s6, s9, v16
	s_and_saveexec_b32 s7, s6
	s_cbranch_execz .LBB81_18
; %bb.17:
	v_mul_lo_u32 v4, s10, v16
	global_load_u8 v4, v4, s[14:15]
	s_wait_loadcnt 0x0
	v_perm_b32 v2, v2, v4, 0x7000504
.LBB81_18:
	s_or_b32 exec_lo, exec_lo, s7
	s_clause 0x1
	s_load_b32 s13, s[20:21], 0x6c
	s_load_b64 s[20:21], s[20:21], 0x0
	v_add_nc_u32_e32 v15, 0x700, v44
	s_delay_alu instid0(VALU_DEP_1)
	v_cmp_gt_u32_e64 s7, s9, v15
	s_and_saveexec_b32 s9, s7
	s_cbranch_execz .LBB81_20
; %bb.19:
	v_mul_lo_u32 v4, s10, v15
	global_load_u8 v4, v4, s[14:15]
	s_wait_loadcnt 0x0
	v_perm_b32 v2, v2, v4, 0x60504
.LBB81_20:
	s_wait_alu 0xfffe
	s_or_b32 exec_lo, exec_lo, s9
	v_lshrrev_b32_e32 v62, 5, v44
	v_lshrrev_b32_e32 v18, 5, v28
	;; [unrolled: 1-line block ×5, first 2 shown]
	s_delay_alu instid0(VALU_DEP_4) | instskip(SKIP_4) | instid1(VALU_DEP_4)
	v_dual_mov_b32 v42, 0 :: v_dual_and_b32 v5, 60, v18
	v_and_b32_e32 v4, 28, v62
	v_and_b32_e32 v7, 60, v23
	v_lshrrev_b32_e32 v22, 5, v21
	v_lshrrev_b32_e32 v29, 2, v44
	v_dual_mov_b32 v43, v42 :: v_dual_add_nc_u32 v48, v4, v44
	v_dual_mov_b32 v11, v42 :: v_dual_and_b32 v4, 60, v20
	v_mov_b32_e32 v12, v42
	v_add_nc_u32_e32 v52, v7, v44
	v_and_b32_e32 v7, 0x7c, v26
	s_delay_alu instid0(VALU_DEP_4)
	v_add_nc_u32_e32 v50, v4, v44
	v_and_b32_e32 v4, 60, v22
	v_lshrrev_b32_e32 v25, 5, v17
	v_lshrrev_b32_e32 v27, 5, v15
	v_dual_mov_b32 v13, 0 :: v_dual_add_nc_u32 v54, v7, v44
	v_lshlrev_b32_e32 v57, 3, v44
	v_and_b32_e32 v7, 0xfc, v29
	v_add_nc_u32_e32 v51, v4, v44
	v_and_b32_e32 v4, 0x7c, v25
	v_and_b32_e32 v9, 0x7c, v27
	v_lshrrev_b32_e32 v6, 8, v1
	v_add_nc_u32_e32 v56, v7, v57
	v_dual_mov_b32 v10, v42 :: v_dual_add_nc_u32 v49, v5, v44
	v_lshrrev_b32_e32 v5, 24, v1
	v_lshrrev_b32_e32 v8, 8, v2
	v_dual_mov_b32 v14, 0 :: v_dual_add_nc_u32 v53, v4, v44
	v_lshrrev_b32_e32 v4, 24, v2
	v_add_nc_u32_e32 v55, v9, v44
	v_mov_b32_e32 v9, v42
	v_mov_b32_e32 v7, v42
	ds_store_b8 v48, v3
	ds_store_b8 v49, v6 offset:256
	ds_store_b8_d16_hi v50, v1 offset:512
	ds_store_b8 v51, v5 offset:768
	ds_store_b8 v52, v2 offset:1024
	;; [unrolled: 1-line block ×3, first 2 shown]
	ds_store_b8_d16_hi v54, v2 offset:1536
	ds_store_b8 v55, v4 offset:1792
	s_wait_dscnt 0x0
	s_barrier_signal -1
	s_barrier_wait -1
	global_inv scope:SCOPE_SE
	ds_load_2addr_b32 v[45:46], v56 offset1:1
	s_wait_kmcnt 0x0
	s_mul_i32 s9, s13, s11
	v_mul_lo_u32 v41, s12, v44
	s_mov_b32 s23, 0
	s_wait_alu 0xfffe
	s_add_co_i32 s22, s9, s17
	v_dual_mov_b32 v1, v42 :: v_dual_mov_b32 v2, v42
	v_dual_mov_b32 v3, v42 :: v_dual_mov_b32 v4, v42
	;; [unrolled: 1-line block ×3, first 2 shown]
	v_mov_b32_e32 v8, v42
	s_lshl_b64 s[16:17], s[22:23], 3
	s_wait_loadcnt_dscnt 0x0
	s_add_nc_u64 s[16:17], s[20:21], s[16:17]
	s_barrier_signal -1
	s_barrier_wait -1
	global_inv scope:SCOPE_SE
	s_and_saveexec_b32 s9, s0
	s_cbranch_execnz .LBB81_53
; %bb.21:
	s_wait_alu 0xfffe
	s_or_b32 exec_lo, exec_lo, s9
	s_and_saveexec_b32 s9, s1
	s_cbranch_execnz .LBB81_54
.LBB81_22:
	s_wait_alu 0xfffe
	s_or_b32 exec_lo, exec_lo, s9
	s_and_saveexec_b32 s9, s2
	s_cbranch_execnz .LBB81_55
.LBB81_23:
	s_wait_alu 0xfffe
	s_or_b32 exec_lo, exec_lo, s9
	s_and_saveexec_b32 s9, s3
	s_cbranch_execnz .LBB81_56
.LBB81_24:
	s_wait_alu 0xfffe
	s_or_b32 exec_lo, exec_lo, s9
	s_and_saveexec_b32 s9, s4
	s_cbranch_execnz .LBB81_57
.LBB81_25:
	s_wait_alu 0xfffe
	s_or_b32 exec_lo, exec_lo, s9
	s_and_saveexec_b32 s9, s5
	s_cbranch_execnz .LBB81_58
.LBB81_26:
	s_wait_alu 0xfffe
	s_or_b32 exec_lo, exec_lo, s9
	s_and_saveexec_b32 s9, s6
	s_cbranch_execnz .LBB81_59
.LBB81_27:
	s_wait_alu 0xfffe
	s_or_b32 exec_lo, exec_lo, s9
	s_and_saveexec_b32 s9, s7
	s_cbranch_execz .LBB81_29
.LBB81_28:
	v_mul_lo_u32 v7, s12, v15
	v_mov_b32_e32 v8, 0
	s_delay_alu instid0(VALU_DEP_1) | instskip(NEXT) | instid1(VALU_DEP_1)
	v_lshlrev_b64_e32 v[7:8], 3, v[7:8]
	v_add_co_u32 v7, vcc_lo, s16, v7
	s_wait_alu 0xfffd
	s_delay_alu instid0(VALU_DEP_2)
	v_add_co_ci_u32_e64 v8, null, s17, v8, vcc_lo
	global_load_b64 v[7:8], v[7:8], off
.LBB81_29:
	s_wait_alu 0xfffe
	s_or_b32 exec_lo, exec_lo, s9
	v_lshl_add_u32 v58, v62, 3, v57
	v_lshl_add_u32 v59, v18, 3, v57
	;; [unrolled: 1-line block ×5, first 2 shown]
	s_wait_loadcnt 0x0
	ds_store_b64 v58, v[13:14]
	ds_store_b64 v59, v[42:43] offset:2048
	ds_store_b64 v60, v[9:10] offset:4096
	;; [unrolled: 1-line block ×3, first 2 shown]
	v_lshlrev_b32_e32 v9, 3, v57
	v_lshl_add_u32 v42, v23, 3, v57
	v_lshl_add_u32 v43, v25, 3, v57
	;; [unrolled: 1-line block ×3, first 2 shown]
	ds_store_b64 v42, v[1:2] offset:8192
	ds_store_b64 v43, v[3:4] offset:10240
	;; [unrolled: 1-line block ×4, first 2 shown]
	v_lshl_add_u32 v65, v29, 3, v9
	s_wait_dscnt 0x0
	s_barrier_signal -1
	s_barrier_wait -1
	global_inv scope:SCOPE_SE
	ds_load_2addr_b64 v[13:16], v65 offset1:1
	ds_load_2addr_b64 v[9:12], v65 offset0:2 offset1:3
	ds_load_2addr_b64 v[5:8], v65 offset0:4 offset1:5
	;; [unrolled: 1-line block ×3, first 2 shown]
	v_bfe_u32 v69, v0, 10, 10
	v_bfe_u32 v70, v0, 20, 10
	v_mbcnt_lo_u32_b32 v67, -1, 0
	v_and_b32_e32 v68, 0x3e0, v44
	v_lshlrev_b32_e32 v66, 2, v57
	s_and_b32 vcc_lo, exec_lo, s8
	s_wait_loadcnt_dscnt 0x0
	s_barrier_signal -1
	s_barrier_wait -1
	global_inv scope:SCOPE_SE
	s_wait_alu 0xfffe
	s_cbranch_vccz .LBB81_60
; %bb.30:
	s_getpc_b64 s[8:9]
	s_wait_alu 0xfffe
	s_sext_i32_i16 s9, s9
	s_add_co_u32 s8, s8, _ZN7rocprim17ROCPRIM_400000_NS16block_radix_sortIhLj256ELj8ElLj1ELj1ELj0ELNS0_26block_radix_rank_algorithmE1ELNS0_18block_padding_hintE2ELNS0_4arch9wavefront6targetE0EE19radix_bits_per_passE@rel32@lo+12
	s_wait_alu 0xfffe
	s_add_co_ci_u32 s9, s9, _ZN7rocprim17ROCPRIM_400000_NS16block_radix_sortIhLj256ELj8ElLj1ELj1ELj0ELNS0_26block_radix_rank_algorithmE1ELNS0_18block_padding_hintE2ELNS0_4arch9wavefront6targetE0EE19radix_bits_per_passE@rel32@hi+24
	v_or_b32_e32 v17, v67, v68
	s_load_b32 s8, s[8:9], 0x0
	s_mov_b32 s20, 0
	v_and_or_b32 v18, 0x1f00, v57, v67
	s_mov_b32 s21, s20
	s_mov_b32 s22, s20
	;; [unrolled: 1-line block ×3, first 2 shown]
	v_lshlrev_b32_e32 v19, 3, v17
	v_mad_u32_u24 v29, v18, 7, v18
	ds_store_b64 v19, v[45:46]
	; wave barrier
	ds_load_u8 v0, v18
	ds_load_u8 v71, v18 offset:32
	ds_load_u8 v72, v18 offset:64
	;; [unrolled: 1-line block ×7, first 2 shown]
	v_mad_u32_u24 v17, v17, 56, v19
	s_wait_loadcnt_dscnt 0x0
	s_barrier_signal -1
	s_barrier_wait -1
	global_inv scope:SCOPE_SE
	s_wait_kmcnt 0x0
	s_min_u32 s8, s8, 8
	ds_store_b128 v17, v[13:16]
	ds_store_b128 v17, v[9:12] offset:16
	s_wait_alu 0xfffe
	s_lshl_b32 s8, -1, s8
	ds_store_b128 v17, v[5:8] offset:32
	ds_store_b128 v17, v[1:4] offset:48
	s_wait_alu 0xfffe
	s_not_b32 s9, s8
	; wave barrier
	s_wait_alu 0xfffe
	v_and_b32_e32 v39, s9, v0
	ds_load_2addr_b64 v[25:28], v29 offset1:32
	ds_load_2addr_b64 v[21:24], v29 offset0:64 offset1:96
	ds_load_2addr_b64 v[17:20], v29 offset0:128 offset1:160
	;; [unrolled: 1-line block ×3, first 2 shown]
	s_wait_loadcnt_dscnt 0x0
	s_barrier_signal -1
	v_and_b32_e32 v33, 1, v39
	v_lshlrev_b32_e32 v34, 30, v39
	v_lshlrev_b32_e32 v36, 29, v39
	;; [unrolled: 1-line block ×3, first 2 shown]
	s_barrier_wait -1
	v_add_co_u32 v33, s8, v33, -1
	s_wait_alu 0xf1ff
	v_cndmask_b32_e64 v35, 0, 1, s8
	v_not_b32_e32 v37, v34
	v_cmp_gt_i32_e64 s8, 0, v34
	v_not_b32_e32 v34, v36
	global_inv scope:SCOPE_SE
	v_cmp_ne_u32_e32 vcc_lo, 0, v35
	v_ashrrev_i32_e32 v35, 31, v37
	v_lshlrev_b32_e32 v37, 28, v39
	v_ashrrev_i32_e32 v34, 31, v34
	s_wait_alu 0xfffd
	v_xor_b32_e32 v33, vcc_lo, v33
	v_cmp_gt_i32_e32 vcc_lo, 0, v36
	s_wait_alu 0xf1ff
	v_xor_b32_e32 v35, s8, v35
	v_not_b32_e32 v36, v37
	s_load_b32 s8, s[18:19], 0xc
	v_and_b32_e32 v33, exec_lo, v33
	v_xor_b32_e32 v34, vcc_lo, v34
	v_cmp_gt_i32_e32 vcc_lo, 0, v37
	v_lshlrev_b32_e32 v37, 26, v39
	s_delay_alu instid0(VALU_DEP_4) | instskip(SKIP_2) | instid1(VALU_DEP_3)
	v_and_b32_e32 v33, v33, v35
	v_ashrrev_i32_e32 v35, 31, v36
	v_not_b32_e32 v36, v38
	v_and_b32_e32 v33, v33, v34
	s_wait_alu 0xfffd
	s_delay_alu instid0(VALU_DEP_3) | instskip(SKIP_3) | instid1(VALU_DEP_4)
	v_xor_b32_e32 v34, vcc_lo, v35
	v_cmp_gt_i32_e32 vcc_lo, 0, v38
	v_ashrrev_i32_e32 v35, 31, v36
	v_not_b32_e32 v36, v37
	v_and_b32_e32 v33, v33, v34
	v_lshlrev_b32_e32 v34, 25, v39
	s_wait_alu 0xfffd
	v_xor_b32_e32 v35, vcc_lo, v35
	v_cmp_gt_i32_e32 vcc_lo, 0, v37
	v_ashrrev_i32_e32 v36, 31, v36
	s_wait_kmcnt 0x0
	s_lshr_b32 s11, s8, 16
	v_not_b32_e32 v37, v34
	v_and_b32_e32 v33, v33, v35
	v_lshlrev_b32_e32 v35, 24, v39
	s_wait_alu 0xfffd
	v_xor_b32_e32 v36, vcc_lo, v36
	v_cmp_gt_i32_e32 vcc_lo, 0, v34
	v_ashrrev_i32_e32 v34, 31, v37
	s_wait_alu 0xfffe
	v_mad_u32_u24 v38, v70, s11, v69
	v_not_b32_e32 v37, v35
	v_and_b32_e32 v36, v33, v36
	s_and_b32 s8, s8, 0xffff
	s_wait_alu 0xfffd
	v_xor_b32_e32 v40, vcc_lo, v34
	v_cmp_gt_i32_e32 vcc_lo, 0, v35
	v_ashrrev_i32_e32 v35, 31, v37
	s_wait_alu 0xfffe
	v_mad_co_u64_u32 v[33:34], null, v38, s8, v[44:45]
	v_and_b32_e32 v34, v36, v40
	s_wait_alu 0xfffd
	v_xor_b32_e32 v40, vcc_lo, v35
	v_dual_mov_b32 v38, s23 :: v_dual_mov_b32 v37, s22
	v_dual_mov_b32 v36, s21 :: v_dual_mov_b32 v35, s20
	s_delay_alu instid0(VALU_DEP_3)
	v_and_b32_e32 v34, v34, v40
	v_and_b32_e32 v39, 0xff, v39
	v_lshrrev_b32_e32 v33, 3, v33
	ds_store_b128 v66, v[35:38] offset:32
	ds_store_b128 v66, v[35:38] offset:48
	v_mbcnt_lo_u32_b32 v78, v34, 0
	v_lshlrev_b32_e32 v35, 5, v39
	v_and_b32_e32 v33, 0x1ffffffc, v33
	v_cmp_ne_u32_e64 s8, 0, v34
	s_wait_loadcnt_dscnt 0x0
	v_cmp_eq_u32_e32 vcc_lo, 0, v78
	s_barrier_signal -1
	v_add_nc_u32_e32 v79, v33, v35
	s_barrier_wait -1
	global_inv scope:SCOPE_SE
	s_and_b32 s11, s8, vcc_lo
	; wave barrier
	s_wait_alu 0xfffe
	s_and_saveexec_b32 s8, s11
; %bb.31:
	v_bcnt_u32_b32 v34, v34, 0
	ds_store_b32 v79, v34 offset:32
; %bb.32:
	s_wait_alu 0xfffe
	s_or_b32 exec_lo, exec_lo, s8
	v_and_b32_e32 v34, s9, v71
	; wave barrier
	s_delay_alu instid0(VALU_DEP_1)
	v_and_b32_e32 v36, 1, v34
	v_lshlrev_b32_e32 v37, 30, v34
	v_lshlrev_b32_e32 v38, 29, v34
	;; [unrolled: 1-line block ×4, first 2 shown]
	v_add_co_u32 v36, s8, v36, -1
	s_wait_alu 0xf1ff
	v_cndmask_b32_e64 v40, 0, 1, s8
	v_not_b32_e32 v83, v37
	v_cmp_gt_i32_e64 s8, 0, v37
	v_not_b32_e32 v37, v38
	v_lshlrev_b32_e32 v81, 26, v34
	v_cmp_ne_u32_e32 vcc_lo, 0, v40
	v_ashrrev_i32_e32 v40, 31, v83
	v_lshlrev_b32_e32 v82, 25, v34
	v_ashrrev_i32_e32 v37, 31, v37
	v_and_b32_e32 v35, 0xff, v34
	s_wait_alu 0xfffd
	v_xor_b32_e32 v36, vcc_lo, v36
	v_cmp_gt_i32_e32 vcc_lo, 0, v38
	v_not_b32_e32 v38, v39
	s_wait_alu 0xf1ff
	v_xor_b32_e32 v40, s8, v40
	v_cmp_gt_i32_e64 s8, 0, v39
	v_and_b32_e32 v36, exec_lo, v36
	v_not_b32_e32 v39, v80
	v_ashrrev_i32_e32 v38, 31, v38
	s_wait_alu 0xfffd
	v_xor_b32_e32 v37, vcc_lo, v37
	v_cmp_gt_i32_e32 vcc_lo, 0, v80
	v_and_b32_e32 v36, v36, v40
	v_not_b32_e32 v40, v81
	v_ashrrev_i32_e32 v39, 31, v39
	s_wait_alu 0xf1ff
	v_xor_b32_e32 v38, s8, v38
	v_lshlrev_b32_e32 v34, 24, v34
	v_and_b32_e32 v36, v36, v37
	v_cmp_gt_i32_e64 s8, 0, v81
	v_not_b32_e32 v37, v82
	v_ashrrev_i32_e32 v40, 31, v40
	s_wait_alu 0xfffd
	v_xor_b32_e32 v39, vcc_lo, v39
	v_and_b32_e32 v36, v36, v38
	v_cmp_gt_i32_e32 vcc_lo, 0, v82
	v_not_b32_e32 v38, v34
	v_ashrrev_i32_e32 v37, 31, v37
	s_wait_alu 0xf1ff
	v_xor_b32_e32 v40, s8, v40
	v_and_b32_e32 v36, v36, v39
	v_lshlrev_b32_e32 v35, 5, v35
	v_cmp_gt_i32_e64 s8, 0, v34
	v_ashrrev_i32_e32 v34, 31, v38
	s_wait_alu 0xfffd
	v_xor_b32_e32 v37, vcc_lo, v37
	v_and_b32_e32 v36, v36, v40
	v_add_nc_u32_e32 v82, v33, v35
	s_wait_alu 0xf1ff
	v_xor_b32_e32 v34, s8, v34
	s_delay_alu instid0(VALU_DEP_3) | instskip(SKIP_2) | instid1(VALU_DEP_1)
	v_and_b32_e32 v35, v36, v37
	ds_load_b32 v80, v82 offset:32
	; wave barrier
	v_and_b32_e32 v34, v35, v34
	v_mbcnt_lo_u32_b32 v81, v34, 0
	v_cmp_ne_u32_e64 s8, 0, v34
	s_delay_alu instid0(VALU_DEP_2)
	v_cmp_eq_u32_e32 vcc_lo, 0, v81
	s_and_b32 s11, s8, vcc_lo
	s_wait_alu 0xfffe
	s_and_saveexec_b32 s8, s11
	s_cbranch_execz .LBB81_34
; %bb.33:
	s_wait_dscnt 0x0
	v_bcnt_u32_b32 v34, v34, v80
	ds_store_b32 v82, v34 offset:32
.LBB81_34:
	s_wait_alu 0xfffe
	s_or_b32 exec_lo, exec_lo, s8
	v_and_b32_e32 v34, s9, v72
	; wave barrier
	s_delay_alu instid0(VALU_DEP_1)
	v_and_b32_e32 v36, 1, v34
	v_lshlrev_b32_e32 v37, 30, v34
	v_lshlrev_b32_e32 v38, 29, v34
	;; [unrolled: 1-line block ×4, first 2 shown]
	v_add_co_u32 v36, s8, v36, -1
	s_wait_alu 0xf1ff
	v_cndmask_b32_e64 v40, 0, 1, s8
	v_not_b32_e32 v86, v37
	v_cmp_gt_i32_e64 s8, 0, v37
	v_not_b32_e32 v37, v38
	v_lshlrev_b32_e32 v84, 26, v34
	v_cmp_ne_u32_e32 vcc_lo, 0, v40
	v_ashrrev_i32_e32 v40, 31, v86
	v_lshlrev_b32_e32 v85, 25, v34
	v_ashrrev_i32_e32 v37, 31, v37
	v_and_b32_e32 v35, 0xff, v34
	s_wait_alu 0xfffd
	v_xor_b32_e32 v36, vcc_lo, v36
	v_cmp_gt_i32_e32 vcc_lo, 0, v38
	v_not_b32_e32 v38, v39
	s_wait_alu 0xf1ff
	v_xor_b32_e32 v40, s8, v40
	v_cmp_gt_i32_e64 s8, 0, v39
	v_and_b32_e32 v36, exec_lo, v36
	v_not_b32_e32 v39, v83
	v_ashrrev_i32_e32 v38, 31, v38
	s_wait_alu 0xfffd
	v_xor_b32_e32 v37, vcc_lo, v37
	v_cmp_gt_i32_e32 vcc_lo, 0, v83
	v_and_b32_e32 v36, v36, v40
	v_not_b32_e32 v40, v84
	v_ashrrev_i32_e32 v39, 31, v39
	s_wait_alu 0xf1ff
	v_xor_b32_e32 v38, s8, v38
	v_lshlrev_b32_e32 v34, 24, v34
	v_and_b32_e32 v36, v36, v37
	v_cmp_gt_i32_e64 s8, 0, v84
	v_not_b32_e32 v37, v85
	v_ashrrev_i32_e32 v40, 31, v40
	s_wait_alu 0xfffd
	v_xor_b32_e32 v39, vcc_lo, v39
	v_and_b32_e32 v36, v36, v38
	v_cmp_gt_i32_e32 vcc_lo, 0, v85
	v_not_b32_e32 v38, v34
	v_ashrrev_i32_e32 v37, 31, v37
	s_wait_alu 0xf1ff
	v_xor_b32_e32 v40, s8, v40
	v_and_b32_e32 v36, v36, v39
	v_lshlrev_b32_e32 v35, 5, v35
	v_cmp_gt_i32_e64 s8, 0, v34
	v_ashrrev_i32_e32 v34, 31, v38
	s_wait_alu 0xfffd
	v_xor_b32_e32 v37, vcc_lo, v37
	v_and_b32_e32 v36, v36, v40
	v_add_nc_u32_e32 v85, v33, v35
	s_wait_alu 0xf1ff
	v_xor_b32_e32 v34, s8, v34
	s_delay_alu instid0(VALU_DEP_3) | instskip(SKIP_2) | instid1(VALU_DEP_1)
	v_and_b32_e32 v35, v36, v37
	ds_load_b32 v83, v85 offset:32
	; wave barrier
	v_and_b32_e32 v34, v35, v34
	v_mbcnt_lo_u32_b32 v84, v34, 0
	v_cmp_ne_u32_e64 s8, 0, v34
	s_delay_alu instid0(VALU_DEP_2)
	v_cmp_eq_u32_e32 vcc_lo, 0, v84
	s_and_b32 s11, s8, vcc_lo
	s_wait_alu 0xfffe
	s_and_saveexec_b32 s8, s11
	s_cbranch_execz .LBB81_36
; %bb.35:
	s_wait_dscnt 0x0
	v_bcnt_u32_b32 v34, v34, v83
	ds_store_b32 v85, v34 offset:32
.LBB81_36:
	s_wait_alu 0xfffe
	s_or_b32 exec_lo, exec_lo, s8
	v_and_b32_e32 v34, s9, v73
	; wave barrier
	s_delay_alu instid0(VALU_DEP_1)
	v_and_b32_e32 v36, 1, v34
	v_lshlrev_b32_e32 v37, 30, v34
	v_lshlrev_b32_e32 v38, 29, v34
	;; [unrolled: 1-line block ×4, first 2 shown]
	v_add_co_u32 v36, s8, v36, -1
	s_wait_alu 0xf1ff
	v_cndmask_b32_e64 v40, 0, 1, s8
	v_not_b32_e32 v89, v37
	v_cmp_gt_i32_e64 s8, 0, v37
	v_not_b32_e32 v37, v38
	v_lshlrev_b32_e32 v87, 26, v34
	v_cmp_ne_u32_e32 vcc_lo, 0, v40
	v_ashrrev_i32_e32 v40, 31, v89
	v_lshlrev_b32_e32 v88, 25, v34
	v_ashrrev_i32_e32 v37, 31, v37
	v_and_b32_e32 v35, 0xff, v34
	s_wait_alu 0xfffd
	v_xor_b32_e32 v36, vcc_lo, v36
	v_cmp_gt_i32_e32 vcc_lo, 0, v38
	v_not_b32_e32 v38, v39
	s_wait_alu 0xf1ff
	v_xor_b32_e32 v40, s8, v40
	v_cmp_gt_i32_e64 s8, 0, v39
	v_and_b32_e32 v36, exec_lo, v36
	v_not_b32_e32 v39, v86
	v_ashrrev_i32_e32 v38, 31, v38
	s_wait_alu 0xfffd
	v_xor_b32_e32 v37, vcc_lo, v37
	v_cmp_gt_i32_e32 vcc_lo, 0, v86
	v_and_b32_e32 v36, v36, v40
	v_not_b32_e32 v40, v87
	v_ashrrev_i32_e32 v39, 31, v39
	s_wait_alu 0xf1ff
	v_xor_b32_e32 v38, s8, v38
	v_lshlrev_b32_e32 v34, 24, v34
	v_and_b32_e32 v36, v36, v37
	v_cmp_gt_i32_e64 s8, 0, v87
	v_not_b32_e32 v37, v88
	v_ashrrev_i32_e32 v40, 31, v40
	s_wait_alu 0xfffd
	v_xor_b32_e32 v39, vcc_lo, v39
	v_and_b32_e32 v36, v36, v38
	v_cmp_gt_i32_e32 vcc_lo, 0, v88
	v_not_b32_e32 v38, v34
	v_ashrrev_i32_e32 v37, 31, v37
	s_wait_alu 0xf1ff
	v_xor_b32_e32 v40, s8, v40
	v_and_b32_e32 v36, v36, v39
	v_lshlrev_b32_e32 v35, 5, v35
	v_cmp_gt_i32_e64 s8, 0, v34
	v_ashrrev_i32_e32 v34, 31, v38
	s_wait_alu 0xfffd
	v_xor_b32_e32 v37, vcc_lo, v37
	v_and_b32_e32 v36, v36, v40
	v_add_nc_u32_e32 v88, v33, v35
	s_wait_alu 0xf1ff
	v_xor_b32_e32 v34, s8, v34
	s_delay_alu instid0(VALU_DEP_3) | instskip(SKIP_2) | instid1(VALU_DEP_1)
	v_and_b32_e32 v35, v36, v37
	ds_load_b32 v86, v88 offset:32
	; wave barrier
	v_and_b32_e32 v34, v35, v34
	v_mbcnt_lo_u32_b32 v87, v34, 0
	v_cmp_ne_u32_e64 s8, 0, v34
	s_delay_alu instid0(VALU_DEP_2)
	v_cmp_eq_u32_e32 vcc_lo, 0, v87
	s_and_b32 s11, s8, vcc_lo
	s_wait_alu 0xfffe
	s_and_saveexec_b32 s8, s11
	s_cbranch_execz .LBB81_38
; %bb.37:
	s_wait_dscnt 0x0
	v_bcnt_u32_b32 v34, v34, v86
	ds_store_b32 v88, v34 offset:32
.LBB81_38:
	s_wait_alu 0xfffe
	s_or_b32 exec_lo, exec_lo, s8
	v_and_b32_e32 v34, s9, v74
	; wave barrier
	s_delay_alu instid0(VALU_DEP_1)
	v_and_b32_e32 v36, 1, v34
	v_lshlrev_b32_e32 v37, 30, v34
	v_lshlrev_b32_e32 v38, 29, v34
	;; [unrolled: 1-line block ×4, first 2 shown]
	v_add_co_u32 v36, s8, v36, -1
	s_wait_alu 0xf1ff
	v_cndmask_b32_e64 v40, 0, 1, s8
	v_not_b32_e32 v92, v37
	v_cmp_gt_i32_e64 s8, 0, v37
	v_not_b32_e32 v37, v38
	v_lshlrev_b32_e32 v90, 26, v34
	v_cmp_ne_u32_e32 vcc_lo, 0, v40
	v_ashrrev_i32_e32 v40, 31, v92
	v_lshlrev_b32_e32 v91, 25, v34
	v_ashrrev_i32_e32 v37, 31, v37
	v_and_b32_e32 v35, 0xff, v34
	s_wait_alu 0xfffd
	v_xor_b32_e32 v36, vcc_lo, v36
	v_cmp_gt_i32_e32 vcc_lo, 0, v38
	v_not_b32_e32 v38, v39
	s_wait_alu 0xf1ff
	v_xor_b32_e32 v40, s8, v40
	v_cmp_gt_i32_e64 s8, 0, v39
	v_and_b32_e32 v36, exec_lo, v36
	v_not_b32_e32 v39, v89
	v_ashrrev_i32_e32 v38, 31, v38
	s_wait_alu 0xfffd
	v_xor_b32_e32 v37, vcc_lo, v37
	v_cmp_gt_i32_e32 vcc_lo, 0, v89
	v_and_b32_e32 v36, v36, v40
	v_not_b32_e32 v40, v90
	v_ashrrev_i32_e32 v39, 31, v39
	s_wait_alu 0xf1ff
	v_xor_b32_e32 v38, s8, v38
	v_lshlrev_b32_e32 v34, 24, v34
	v_and_b32_e32 v36, v36, v37
	v_cmp_gt_i32_e64 s8, 0, v90
	v_not_b32_e32 v37, v91
	v_ashrrev_i32_e32 v40, 31, v40
	s_wait_alu 0xfffd
	v_xor_b32_e32 v39, vcc_lo, v39
	v_and_b32_e32 v36, v36, v38
	v_cmp_gt_i32_e32 vcc_lo, 0, v91
	v_not_b32_e32 v38, v34
	v_ashrrev_i32_e32 v37, 31, v37
	s_wait_alu 0xf1ff
	v_xor_b32_e32 v40, s8, v40
	v_and_b32_e32 v36, v36, v39
	v_lshlrev_b32_e32 v35, 5, v35
	v_cmp_gt_i32_e64 s8, 0, v34
	v_ashrrev_i32_e32 v34, 31, v38
	s_wait_alu 0xfffd
	v_xor_b32_e32 v37, vcc_lo, v37
	v_and_b32_e32 v36, v36, v40
	v_add_nc_u32_e32 v91, v33, v35
	s_wait_alu 0xf1ff
	v_xor_b32_e32 v34, s8, v34
	s_delay_alu instid0(VALU_DEP_3) | instskip(SKIP_2) | instid1(VALU_DEP_1)
	v_and_b32_e32 v35, v36, v37
	ds_load_b32 v89, v91 offset:32
	; wave barrier
	v_and_b32_e32 v34, v35, v34
	v_mbcnt_lo_u32_b32 v90, v34, 0
	v_cmp_ne_u32_e64 s8, 0, v34
	s_delay_alu instid0(VALU_DEP_2)
	v_cmp_eq_u32_e32 vcc_lo, 0, v90
	s_and_b32 s11, s8, vcc_lo
	s_wait_alu 0xfffe
	s_and_saveexec_b32 s8, s11
	s_cbranch_execz .LBB81_40
; %bb.39:
	s_wait_dscnt 0x0
	v_bcnt_u32_b32 v34, v34, v89
	ds_store_b32 v91, v34 offset:32
.LBB81_40:
	s_wait_alu 0xfffe
	s_or_b32 exec_lo, exec_lo, s8
	v_and_b32_e32 v34, s9, v75
	; wave barrier
	s_delay_alu instid0(VALU_DEP_1)
	v_and_b32_e32 v36, 1, v34
	v_lshlrev_b32_e32 v37, 30, v34
	v_lshlrev_b32_e32 v38, 29, v34
	;; [unrolled: 1-line block ×4, first 2 shown]
	v_add_co_u32 v36, s8, v36, -1
	s_wait_alu 0xf1ff
	v_cndmask_b32_e64 v40, 0, 1, s8
	v_not_b32_e32 v95, v37
	v_cmp_gt_i32_e64 s8, 0, v37
	v_not_b32_e32 v37, v38
	v_lshlrev_b32_e32 v93, 26, v34
	v_cmp_ne_u32_e32 vcc_lo, 0, v40
	v_ashrrev_i32_e32 v40, 31, v95
	v_lshlrev_b32_e32 v94, 25, v34
	v_ashrrev_i32_e32 v37, 31, v37
	v_and_b32_e32 v35, 0xff, v34
	s_wait_alu 0xfffd
	v_xor_b32_e32 v36, vcc_lo, v36
	v_cmp_gt_i32_e32 vcc_lo, 0, v38
	v_not_b32_e32 v38, v39
	s_wait_alu 0xf1ff
	v_xor_b32_e32 v40, s8, v40
	v_cmp_gt_i32_e64 s8, 0, v39
	v_and_b32_e32 v36, exec_lo, v36
	v_not_b32_e32 v39, v92
	v_ashrrev_i32_e32 v38, 31, v38
	s_wait_alu 0xfffd
	v_xor_b32_e32 v37, vcc_lo, v37
	v_cmp_gt_i32_e32 vcc_lo, 0, v92
	v_and_b32_e32 v36, v36, v40
	v_not_b32_e32 v40, v93
	v_ashrrev_i32_e32 v39, 31, v39
	s_wait_alu 0xf1ff
	v_xor_b32_e32 v38, s8, v38
	v_lshlrev_b32_e32 v34, 24, v34
	v_and_b32_e32 v36, v36, v37
	v_cmp_gt_i32_e64 s8, 0, v93
	v_not_b32_e32 v37, v94
	v_ashrrev_i32_e32 v40, 31, v40
	s_wait_alu 0xfffd
	v_xor_b32_e32 v39, vcc_lo, v39
	v_and_b32_e32 v36, v36, v38
	v_cmp_gt_i32_e32 vcc_lo, 0, v94
	v_not_b32_e32 v38, v34
	v_ashrrev_i32_e32 v37, 31, v37
	s_wait_alu 0xf1ff
	v_xor_b32_e32 v40, s8, v40
	v_and_b32_e32 v36, v36, v39
	v_lshlrev_b32_e32 v35, 5, v35
	v_cmp_gt_i32_e64 s8, 0, v34
	v_ashrrev_i32_e32 v34, 31, v38
	s_wait_alu 0xfffd
	v_xor_b32_e32 v37, vcc_lo, v37
	v_and_b32_e32 v36, v36, v40
	v_add_nc_u32_e32 v94, v33, v35
	s_wait_alu 0xf1ff
	v_xor_b32_e32 v34, s8, v34
	s_delay_alu instid0(VALU_DEP_3) | instskip(SKIP_2) | instid1(VALU_DEP_1)
	v_and_b32_e32 v35, v36, v37
	ds_load_b32 v92, v94 offset:32
	; wave barrier
	v_and_b32_e32 v34, v35, v34
	v_mbcnt_lo_u32_b32 v93, v34, 0
	v_cmp_ne_u32_e64 s8, 0, v34
	s_delay_alu instid0(VALU_DEP_2)
	v_cmp_eq_u32_e32 vcc_lo, 0, v93
	s_and_b32 s11, s8, vcc_lo
	s_wait_alu 0xfffe
	s_and_saveexec_b32 s8, s11
	s_cbranch_execz .LBB81_42
; %bb.41:
	s_wait_dscnt 0x0
	v_bcnt_u32_b32 v34, v34, v92
	ds_store_b32 v94, v34 offset:32
.LBB81_42:
	s_wait_alu 0xfffe
	s_or_b32 exec_lo, exec_lo, s8
	v_and_b32_e32 v34, s9, v76
	; wave barrier
	s_delay_alu instid0(VALU_DEP_1)
	v_and_b32_e32 v36, 1, v34
	v_lshlrev_b32_e32 v37, 30, v34
	v_lshlrev_b32_e32 v38, 29, v34
	;; [unrolled: 1-line block ×4, first 2 shown]
	v_add_co_u32 v36, s8, v36, -1
	s_wait_alu 0xf1ff
	v_cndmask_b32_e64 v40, 0, 1, s8
	v_not_b32_e32 v98, v37
	v_cmp_gt_i32_e64 s8, 0, v37
	v_not_b32_e32 v37, v38
	v_lshlrev_b32_e32 v96, 26, v34
	v_cmp_ne_u32_e32 vcc_lo, 0, v40
	v_ashrrev_i32_e32 v40, 31, v98
	v_lshlrev_b32_e32 v97, 25, v34
	v_ashrrev_i32_e32 v37, 31, v37
	v_and_b32_e32 v35, 0xff, v34
	s_wait_alu 0xfffd
	v_xor_b32_e32 v36, vcc_lo, v36
	v_cmp_gt_i32_e32 vcc_lo, 0, v38
	v_not_b32_e32 v38, v39
	s_wait_alu 0xf1ff
	v_xor_b32_e32 v40, s8, v40
	v_cmp_gt_i32_e64 s8, 0, v39
	v_and_b32_e32 v36, exec_lo, v36
	v_not_b32_e32 v39, v95
	v_ashrrev_i32_e32 v38, 31, v38
	s_wait_alu 0xfffd
	v_xor_b32_e32 v37, vcc_lo, v37
	v_cmp_gt_i32_e32 vcc_lo, 0, v95
	v_and_b32_e32 v36, v36, v40
	v_not_b32_e32 v40, v96
	v_ashrrev_i32_e32 v39, 31, v39
	s_wait_alu 0xf1ff
	v_xor_b32_e32 v38, s8, v38
	v_lshlrev_b32_e32 v34, 24, v34
	v_and_b32_e32 v36, v36, v37
	v_cmp_gt_i32_e64 s8, 0, v96
	v_not_b32_e32 v37, v97
	v_ashrrev_i32_e32 v40, 31, v40
	s_wait_alu 0xfffd
	v_xor_b32_e32 v39, vcc_lo, v39
	v_and_b32_e32 v36, v36, v38
	v_cmp_gt_i32_e32 vcc_lo, 0, v97
	v_not_b32_e32 v38, v34
	v_ashrrev_i32_e32 v37, 31, v37
	s_wait_alu 0xf1ff
	v_xor_b32_e32 v40, s8, v40
	v_and_b32_e32 v36, v36, v39
	v_lshlrev_b32_e32 v35, 5, v35
	v_cmp_gt_i32_e64 s8, 0, v34
	v_ashrrev_i32_e32 v34, 31, v38
	s_wait_alu 0xfffd
	v_xor_b32_e32 v37, vcc_lo, v37
	v_and_b32_e32 v36, v36, v40
	v_add_nc_u32_e32 v97, v33, v35
	s_wait_alu 0xf1ff
	v_xor_b32_e32 v34, s8, v34
	s_delay_alu instid0(VALU_DEP_3) | instskip(SKIP_2) | instid1(VALU_DEP_1)
	v_and_b32_e32 v35, v36, v37
	ds_load_b32 v95, v97 offset:32
	; wave barrier
	v_and_b32_e32 v34, v35, v34
	v_mbcnt_lo_u32_b32 v96, v34, 0
	v_cmp_ne_u32_e64 s8, 0, v34
	s_delay_alu instid0(VALU_DEP_2)
	v_cmp_eq_u32_e32 vcc_lo, 0, v96
	s_and_b32 s11, s8, vcc_lo
	s_wait_alu 0xfffe
	s_and_saveexec_b32 s8, s11
	s_cbranch_execz .LBB81_44
; %bb.43:
	s_wait_dscnt 0x0
	v_bcnt_u32_b32 v34, v34, v95
	ds_store_b32 v97, v34 offset:32
.LBB81_44:
	s_wait_alu 0xfffe
	s_or_b32 exec_lo, exec_lo, s8
	v_and_b32_e32 v34, s9, v77
	; wave barrier
	s_delay_alu instid0(VALU_DEP_1)
	v_and_b32_e32 v36, 1, v34
	v_lshlrev_b32_e32 v37, 30, v34
	v_lshlrev_b32_e32 v38, 29, v34
	;; [unrolled: 1-line block ×4, first 2 shown]
	v_add_co_u32 v36, s8, v36, -1
	s_wait_alu 0xf1ff
	v_cndmask_b32_e64 v40, 0, 1, s8
	v_not_b32_e32 v101, v37
	v_cmp_gt_i32_e64 s8, 0, v37
	v_not_b32_e32 v37, v38
	v_lshlrev_b32_e32 v99, 26, v34
	v_cmp_ne_u32_e32 vcc_lo, 0, v40
	v_ashrrev_i32_e32 v40, 31, v101
	v_lshlrev_b32_e32 v100, 25, v34
	v_ashrrev_i32_e32 v37, 31, v37
	v_and_b32_e32 v35, 0xff, v34
	s_wait_alu 0xfffd
	v_xor_b32_e32 v36, vcc_lo, v36
	v_cmp_gt_i32_e32 vcc_lo, 0, v38
	v_not_b32_e32 v38, v39
	s_wait_alu 0xf1ff
	v_xor_b32_e32 v40, s8, v40
	v_cmp_gt_i32_e64 s8, 0, v39
	v_and_b32_e32 v36, exec_lo, v36
	v_not_b32_e32 v39, v98
	v_ashrrev_i32_e32 v38, 31, v38
	s_wait_alu 0xfffd
	v_xor_b32_e32 v37, vcc_lo, v37
	v_cmp_gt_i32_e32 vcc_lo, 0, v98
	v_and_b32_e32 v36, v36, v40
	v_not_b32_e32 v40, v99
	v_ashrrev_i32_e32 v39, 31, v39
	s_wait_alu 0xf1ff
	v_xor_b32_e32 v38, s8, v38
	v_lshlrev_b32_e32 v34, 24, v34
	v_and_b32_e32 v36, v36, v37
	v_cmp_gt_i32_e64 s8, 0, v99
	v_not_b32_e32 v37, v100
	v_ashrrev_i32_e32 v40, 31, v40
	s_wait_alu 0xfffd
	v_xor_b32_e32 v39, vcc_lo, v39
	v_and_b32_e32 v36, v36, v38
	v_cmp_gt_i32_e32 vcc_lo, 0, v100
	v_not_b32_e32 v38, v34
	v_ashrrev_i32_e32 v37, 31, v37
	s_wait_alu 0xf1ff
	v_xor_b32_e32 v40, s8, v40
	v_and_b32_e32 v36, v36, v39
	v_lshlrev_b32_e32 v35, 5, v35
	v_cmp_gt_i32_e64 s8, 0, v34
	v_ashrrev_i32_e32 v34, 31, v38
	s_wait_alu 0xfffd
	v_xor_b32_e32 v37, vcc_lo, v37
	v_and_b32_e32 v36, v36, v40
	v_add_nc_u32_e32 v100, v33, v35
	s_wait_alu 0xf1ff
	v_xor_b32_e32 v33, s8, v34
	s_delay_alu instid0(VALU_DEP_3) | instskip(SKIP_2) | instid1(VALU_DEP_1)
	v_and_b32_e32 v34, v36, v37
	ds_load_b32 v98, v100 offset:32
	; wave barrier
	v_and_b32_e32 v33, v34, v33
	v_mbcnt_lo_u32_b32 v99, v33, 0
	v_cmp_ne_u32_e64 s8, 0, v33
	s_delay_alu instid0(VALU_DEP_2)
	v_cmp_eq_u32_e32 vcc_lo, 0, v99
	s_and_b32 s9, s8, vcc_lo
	s_wait_alu 0xfffe
	s_and_saveexec_b32 s8, s9
	s_cbranch_execz .LBB81_46
; %bb.45:
	s_wait_dscnt 0x0
	v_bcnt_u32_b32 v33, v33, v98
	ds_store_b32 v100, v33 offset:32
.LBB81_46:
	s_wait_alu 0xfffe
	s_or_b32 exec_lo, exec_lo, s8
	; wave barrier
	s_wait_loadcnt_dscnt 0x0
	s_barrier_signal -1
	s_barrier_wait -1
	global_inv scope:SCOPE_SE
	ds_load_b128 v[37:40], v66 offset:32
	ds_load_b128 v[33:36], v66 offset:48
	v_min_u32_e32 v103, 0xe0, v68
	s_mov_b32 s8, exec_lo
	s_wait_dscnt 0x1
	v_add_nc_u32_e32 v101, v38, v37
	s_delay_alu instid0(VALU_DEP_1) | instskip(SKIP_1) | instid1(VALU_DEP_1)
	v_add3_u32 v101, v101, v39, v40
	s_wait_dscnt 0x0
	v_add3_u32 v101, v101, v33, v34
	s_delay_alu instid0(VALU_DEP_1) | instskip(SKIP_1) | instid1(VALU_DEP_2)
	v_add3_u32 v36, v101, v35, v36
	v_and_b32_e32 v101, 15, v67
	v_mov_b32_dpp v102, v36 row_shr:1 row_mask:0xf bank_mask:0xf
	s_delay_alu instid0(VALU_DEP_2) | instskip(SKIP_1) | instid1(VALU_DEP_2)
	v_cmp_ne_u32_e32 vcc_lo, 0, v101
	s_wait_alu 0xfffd
	v_cndmask_b32_e32 v102, 0, v102, vcc_lo
	v_cmp_lt_u32_e32 vcc_lo, 1, v101
	s_delay_alu instid0(VALU_DEP_2) | instskip(NEXT) | instid1(VALU_DEP_1)
	v_add_nc_u32_e32 v36, v102, v36
	v_mov_b32_dpp v102, v36 row_shr:2 row_mask:0xf bank_mask:0xf
	s_wait_alu 0xfffd
	s_delay_alu instid0(VALU_DEP_1) | instskip(SKIP_1) | instid1(VALU_DEP_2)
	v_cndmask_b32_e32 v102, 0, v102, vcc_lo
	v_cmp_lt_u32_e32 vcc_lo, 3, v101
	v_add_nc_u32_e32 v36, v36, v102
	s_delay_alu instid0(VALU_DEP_1) | instskip(SKIP_1) | instid1(VALU_DEP_1)
	v_mov_b32_dpp v102, v36 row_shr:4 row_mask:0xf bank_mask:0xf
	s_wait_alu 0xfffd
	v_cndmask_b32_e32 v102, 0, v102, vcc_lo
	v_cmp_lt_u32_e32 vcc_lo, 7, v101
	s_delay_alu instid0(VALU_DEP_2) | instskip(NEXT) | instid1(VALU_DEP_1)
	v_add_nc_u32_e32 v36, v36, v102
	v_mov_b32_dpp v102, v36 row_shr:8 row_mask:0xf bank_mask:0xf
	s_wait_alu 0xfffd
	s_delay_alu instid0(VALU_DEP_1) | instskip(SKIP_1) | instid1(VALU_DEP_2)
	v_cndmask_b32_e32 v101, 0, v102, vcc_lo
	v_bfe_i32 v102, v67, 4, 1
	v_add_nc_u32_e32 v36, v36, v101
	ds_swizzle_b32 v101, v36 offset:swizzle(BROADCAST,32,15)
	s_wait_dscnt 0x0
	v_and_b32_e32 v101, v102, v101
	v_or_b32_e32 v102, 31, v103
	s_delay_alu instid0(VALU_DEP_2) | instskip(NEXT) | instid1(VALU_DEP_2)
	v_add_nc_u32_e32 v36, v36, v101
	v_cmpx_eq_u32_e64 v44, v102
; %bb.47:
	v_lshlrev_b32_e32 v101, 2, v62
	ds_store_b32 v101, v36
; %bb.48:
	s_wait_alu 0xfffe
	s_or_b32 exec_lo, exec_lo, s8
	s_delay_alu instid0(SALU_CYCLE_1)
	s_mov_b32 s8, exec_lo
	s_wait_loadcnt_dscnt 0x0
	s_barrier_signal -1
	s_barrier_wait -1
	global_inv scope:SCOPE_SE
	v_cmpx_gt_u32_e32 8, v44
	s_cbranch_execz .LBB81_50
; %bb.49:
	v_lshlrev_b32_e32 v101, 2, v44
	ds_load_b32 v102, v101
	s_wait_dscnt 0x0
	v_mov_b32_dpp v104, v102 row_shr:1 row_mask:0xf bank_mask:0xf
	v_and_b32_e32 v103, 7, v67
	s_delay_alu instid0(VALU_DEP_1) | instskip(SKIP_1) | instid1(VALU_DEP_3)
	v_cmp_ne_u32_e32 vcc_lo, 0, v103
	s_wait_alu 0xfffd
	v_cndmask_b32_e32 v104, 0, v104, vcc_lo
	v_cmp_lt_u32_e32 vcc_lo, 1, v103
	s_delay_alu instid0(VALU_DEP_2) | instskip(NEXT) | instid1(VALU_DEP_1)
	v_add_nc_u32_e32 v102, v104, v102
	v_mov_b32_dpp v104, v102 row_shr:2 row_mask:0xf bank_mask:0xf
	s_wait_alu 0xfffd
	s_delay_alu instid0(VALU_DEP_1) | instskip(SKIP_1) | instid1(VALU_DEP_2)
	v_cndmask_b32_e32 v104, 0, v104, vcc_lo
	v_cmp_lt_u32_e32 vcc_lo, 3, v103
	v_add_nc_u32_e32 v102, v102, v104
	s_delay_alu instid0(VALU_DEP_1) | instskip(SKIP_1) | instid1(VALU_DEP_1)
	v_mov_b32_dpp v104, v102 row_shr:4 row_mask:0xf bank_mask:0xf
	s_wait_alu 0xfffd
	v_cndmask_b32_e32 v103, 0, v104, vcc_lo
	s_delay_alu instid0(VALU_DEP_1)
	v_add_nc_u32_e32 v102, v102, v103
	ds_store_b32 v101, v102
.LBB81_50:
	s_wait_alu 0xfffe
	s_or_b32 exec_lo, exec_lo, s8
	v_mov_b32_e32 v101, 0
	s_mov_b32 s8, exec_lo
	s_wait_loadcnt_dscnt 0x0
	s_barrier_signal -1
	s_barrier_wait -1
	global_inv scope:SCOPE_SE
	v_cmpx_lt_u32_e32 31, v44
; %bb.51:
	v_lshl_add_u32 v101, v62, 2, -4
	ds_load_b32 v101, v101
; %bb.52:
	s_wait_alu 0xfffe
	s_or_b32 exec_lo, exec_lo, s8
	v_sub_co_u32 v102, vcc_lo, v67, 1
	s_wait_dscnt 0x0
	v_add_nc_u32_e32 v36, v101, v36
	s_delay_alu instid0(VALU_DEP_2) | instskip(SKIP_1) | instid1(VALU_DEP_1)
	v_cmp_gt_i32_e64 s8, 0, v102
	s_wait_alu 0xf1ff
	v_cndmask_b32_e64 v102, v102, v67, s8
	s_delay_alu instid0(VALU_DEP_1)
	v_lshlrev_b32_e32 v102, 2, v102
	ds_bpermute_b32 v36, v102, v36
	s_wait_dscnt 0x0
	s_wait_alu 0xfffd
	v_cndmask_b32_e32 v36, v36, v101, vcc_lo
	v_cmp_ne_u32_e32 vcc_lo, 0, v44
	s_wait_alu 0xfffd
	s_delay_alu instid0(VALU_DEP_2) | instskip(NEXT) | instid1(VALU_DEP_1)
	v_cndmask_b32_e32 v36, 0, v36, vcc_lo
	v_add_nc_u32_e32 v37, v36, v37
	s_delay_alu instid0(VALU_DEP_1) | instskip(NEXT) | instid1(VALU_DEP_1)
	v_add_nc_u32_e32 v38, v37, v38
	v_add_nc_u32_e32 v39, v38, v39
	s_delay_alu instid0(VALU_DEP_1) | instskip(NEXT) | instid1(VALU_DEP_1)
	v_add_nc_u32_e32 v101, v39, v40
	;; [unrolled: 3-line block ×3, first 2 shown]
	v_add_nc_u32_e32 v104, v103, v35
	ds_store_b128 v66, v[36:39] offset:32
	ds_store_b128 v66, v[101:104] offset:48
	s_wait_loadcnt_dscnt 0x0
	s_barrier_signal -1
	s_barrier_wait -1
	global_inv scope:SCOPE_SE
	ds_load_b32 v33, v79 offset:32
	ds_load_b32 v34, v82 offset:32
	;; [unrolled: 1-line block ×8, first 2 shown]
	v_mad_u32_u24 v79, v44, 56, v57
	s_wait_loadcnt_dscnt 0x0
	s_barrier_signal -1
	s_barrier_wait -1
	global_inv scope:SCOPE_SE
	v_add_nc_u32_e32 v78, v33, v78
	v_add3_u32 v80, v81, v80, v34
	v_add3_u32 v35, v84, v83, v35
	;; [unrolled: 1-line block ×7, first 2 shown]
	ds_store_b8 v78, v0
	ds_store_b8 v80, v71
	;; [unrolled: 1-line block ×8, first 2 shown]
	v_lshlrev_b32_e32 v0, 3, v78
	v_lshlrev_b32_e32 v71, 3, v80
	;; [unrolled: 1-line block ×5, first 2 shown]
	s_wait_loadcnt_dscnt 0x0
	s_barrier_signal -1
	s_barrier_wait -1
	global_inv scope:SCOPE_SE
	ds_load_b64 v[33:34], v57
	s_wait_loadcnt_dscnt 0x0
	s_barrier_signal -1
	s_barrier_wait -1
	global_inv scope:SCOPE_SE
	v_lshlrev_b32_e32 v38, 3, v38
	v_lshlrev_b32_e32 v39, 3, v39
	;; [unrolled: 1-line block ×3, first 2 shown]
	ds_store_b64 v0, v[25:26]
	ds_store_b64 v71, v[27:28]
	;; [unrolled: 1-line block ×8, first 2 shown]
	s_wait_loadcnt_dscnt 0x0
	s_barrier_signal -1
	s_barrier_wait -1
	global_inv scope:SCOPE_SE
	ds_load_b128 v[29:32], v79
	ds_load_b128 v[25:28], v79 offset:16
	ds_load_b128 v[21:24], v79 offset:32
	;; [unrolled: 1-line block ×3, first 2 shown]
	s_branch .LBB81_84
.LBB81_53:
	v_lshlrev_b64_e32 v[1:2], 3, v[41:42]
	v_dual_mov_b32 v43, v42 :: v_dual_mov_b32 v10, v42
	v_dual_mov_b32 v9, v42 :: v_dual_mov_b32 v12, v42
	v_mov_b32_e32 v11, v42
	s_delay_alu instid0(VALU_DEP_4) | instskip(NEXT) | instid1(VALU_DEP_1)
	v_add_co_u32 v1, vcc_lo, s16, v1
	v_add_co_ci_u32_e64 v2, null, s17, v2, vcc_lo
	v_dual_mov_b32 v3, v42 :: v_dual_mov_b32 v6, v42
	v_dual_mov_b32 v5, v42 :: v_dual_mov_b32 v8, v42
	global_load_b64 v[13:14], v[1:2], off
	v_dual_mov_b32 v1, v42 :: v_dual_mov_b32 v4, v42
	v_dual_mov_b32 v2, v42 :: v_dual_mov_b32 v7, v42
	s_wait_alu 0xfffe
	s_or_b32 exec_lo, exec_lo, s9
	s_and_saveexec_b32 s9, s1
	s_cbranch_execz .LBB81_22
.LBB81_54:
	v_mul_lo_u32 v30, s12, v28
	v_mov_b32_e32 v31, 0
	s_delay_alu instid0(VALU_DEP_1) | instskip(NEXT) | instid1(VALU_DEP_1)
	v_lshlrev_b64_e32 v[30:31], 3, v[30:31]
	v_add_co_u32 v30, vcc_lo, s16, v30
	s_wait_alu 0xfffd
	s_delay_alu instid0(VALU_DEP_2)
	v_add_co_ci_u32_e64 v31, null, s17, v31, vcc_lo
	global_load_b64 v[42:43], v[30:31], off
	s_wait_alu 0xfffe
	s_or_b32 exec_lo, exec_lo, s9
	s_and_saveexec_b32 s9, s2
	s_cbranch_execz .LBB81_23
.LBB81_55:
	v_mul_lo_u32 v9, s12, v24
	v_mov_b32_e32 v10, 0
	s_delay_alu instid0(VALU_DEP_1) | instskip(NEXT) | instid1(VALU_DEP_1)
	v_lshlrev_b64_e32 v[9:10], 3, v[9:10]
	v_add_co_u32 v9, vcc_lo, s16, v9
	s_wait_alu 0xfffd
	s_delay_alu instid0(VALU_DEP_2)
	v_add_co_ci_u32_e64 v10, null, s17, v10, vcc_lo
	global_load_b64 v[9:10], v[9:10], off
	s_wait_alu 0xfffe
	s_or_b32 exec_lo, exec_lo, s9
	s_and_saveexec_b32 s9, s3
	s_cbranch_execz .LBB81_24
.LBB81_56:
	v_mul_lo_u32 v11, s12, v21
	v_mov_b32_e32 v12, 0
	s_delay_alu instid0(VALU_DEP_1) | instskip(NEXT) | instid1(VALU_DEP_1)
	v_lshlrev_b64_e32 v[11:12], 3, v[11:12]
	v_add_co_u32 v11, vcc_lo, s16, v11
	s_wait_alu 0xfffd
	s_delay_alu instid0(VALU_DEP_2)
	v_add_co_ci_u32_e64 v12, null, s17, v12, vcc_lo
	global_load_b64 v[11:12], v[11:12], off
	s_wait_alu 0xfffe
	s_or_b32 exec_lo, exec_lo, s9
	s_and_saveexec_b32 s9, s4
	s_cbranch_execz .LBB81_25
.LBB81_57:
	v_mul_lo_u32 v1, s12, v19
	v_mov_b32_e32 v2, 0
	s_delay_alu instid0(VALU_DEP_1) | instskip(NEXT) | instid1(VALU_DEP_1)
	v_lshlrev_b64_e32 v[1:2], 3, v[1:2]
	v_add_co_u32 v1, vcc_lo, s16, v1
	s_wait_alu 0xfffd
	s_delay_alu instid0(VALU_DEP_2)
	v_add_co_ci_u32_e64 v2, null, s17, v2, vcc_lo
	global_load_b64 v[1:2], v[1:2], off
	s_wait_alu 0xfffe
	s_or_b32 exec_lo, exec_lo, s9
	s_and_saveexec_b32 s9, s5
	s_cbranch_execz .LBB81_26
.LBB81_58:
	v_mul_lo_u32 v3, s12, v17
	v_mov_b32_e32 v4, 0
	s_delay_alu instid0(VALU_DEP_1) | instskip(NEXT) | instid1(VALU_DEP_1)
	v_lshlrev_b64_e32 v[3:4], 3, v[3:4]
	v_add_co_u32 v3, vcc_lo, s16, v3
	s_wait_alu 0xfffd
	s_delay_alu instid0(VALU_DEP_2)
	v_add_co_ci_u32_e64 v4, null, s17, v4, vcc_lo
	global_load_b64 v[3:4], v[3:4], off
	s_wait_alu 0xfffe
	s_or_b32 exec_lo, exec_lo, s9
	s_and_saveexec_b32 s9, s6
	s_cbranch_execz .LBB81_27
.LBB81_59:
	v_mul_lo_u32 v5, s12, v16
	v_mov_b32_e32 v6, 0
	s_delay_alu instid0(VALU_DEP_1) | instskip(NEXT) | instid1(VALU_DEP_1)
	v_lshlrev_b64_e32 v[5:6], 3, v[5:6]
	v_add_co_u32 v5, vcc_lo, s16, v5
	s_wait_alu 0xfffd
	s_delay_alu instid0(VALU_DEP_2)
	v_add_co_ci_u32_e64 v6, null, s17, v6, vcc_lo
	global_load_b64 v[5:6], v[5:6], off
	s_wait_alu 0xfffe
	s_or_b32 exec_lo, exec_lo, s9
	s_and_saveexec_b32 s9, s7
	s_cbranch_execnz .LBB81_28
	s_branch .LBB81_29
.LBB81_60:
                                        ; implicit-def: $vgpr19_vgpr20
                                        ; implicit-def: $vgpr23_vgpr24
                                        ; implicit-def: $vgpr27_vgpr28
                                        ; implicit-def: $vgpr31_vgpr32
                                        ; implicit-def: $vgpr34
	s_cbranch_execz .LBB81_84
; %bb.61:
	v_or_b32_e32 v0, v67, v68
	s_getpc_b64 s[8:9]
	s_wait_alu 0xfffe
	s_sext_i32_i16 s9, s9
	s_add_co_u32 s8, s8, _ZN7rocprim17ROCPRIM_400000_NS16block_radix_sortIhLj256ELj8ElLj1ELj1ELj0ELNS0_26block_radix_rank_algorithmE1ELNS0_18block_padding_hintE2ELNS0_4arch9wavefront6targetE0EE19radix_bits_per_passE@rel32@lo+12
	s_wait_alu 0xfffe
	s_add_co_ci_u32 s9, s9, _ZN7rocprim17ROCPRIM_400000_NS16block_radix_sortIhLj256ELj8ElLj1ELj1ELj0ELNS0_26block_radix_rank_algorithmE1ELNS0_18block_padding_hintE2ELNS0_4arch9wavefront6targetE0EE19radix_bits_per_passE@rel32@hi+24
	s_mov_b32 s20, 0
	s_load_b32 s8, s[8:9], 0x0
	s_wait_dscnt 0x0
	v_not_b32_e32 v18, v46
	v_not_b32_e32 v17, v45
	v_and_or_b32 v20, 0x1f00, v57, v67
	s_mov_b32 s21, s20
	s_mov_b32 s22, s20
	;; [unrolled: 1-line block ×3, first 2 shown]
	v_lshlrev_b32_e32 v19, 3, v0
	ds_store_b64 v19, v[17:18]
	; wave barrier
	ds_load_u8 v24, v20
	v_mad_u32_u24 v0, v0, 56, v19
	ds_load_u8 v25, v20 offset:32
	ds_load_u8 v26, v20 offset:64
	;; [unrolled: 1-line block ×7, first 2 shown]
	s_wait_loadcnt_dscnt 0x0
	s_barrier_signal -1
	s_wait_kmcnt 0x0
	s_min_u32 s8, s8, 8
	s_barrier_wait -1
	s_wait_alu 0xfffe
	s_lshl_b32 s8, -1, s8
	global_inv scope:SCOPE_SE
	s_wait_alu 0xfffe
	s_not_b32 s9, s8
	ds_store_b128 v0, v[13:16]
	ds_store_b128 v0, v[9:12] offset:16
	v_mad_u32_u24 v17, v20, 7, v20
	ds_store_b128 v0, v[5:8] offset:32
	ds_store_b128 v0, v[1:4] offset:48
	; wave barrier
	ds_load_2addr_b64 v[0:3], v17 offset1:32
	ds_load_2addr_b64 v[8:11], v17 offset0:64 offset1:96
	ds_load_2addr_b64 v[4:7], v17 offset0:128 offset1:160
	s_wait_alu 0xfffe
	v_and_b32_e32 v22, s9, v24
	s_delay_alu instid0(VALU_DEP_1) | instskip(SKIP_2) | instid1(VALU_DEP_3)
	v_and_b32_e32 v12, 1, v22
	v_lshlrev_b32_e32 v16, 30, v22
	v_lshlrev_b32_e32 v20, 28, v22
	v_add_co_u32 v18, s8, v12, -1
	s_wait_alu 0xf1ff
	v_cndmask_b32_e64 v19, 0, 1, s8
	ds_load_2addr_b64 v[12:15], v17 offset0:192 offset1:224
	v_not_b32_e32 v17, v16
	v_cmp_gt_i32_e64 s8, 0, v16
	s_wait_loadcnt_dscnt 0x0
	v_cmp_ne_u32_e32 vcc_lo, 0, v19
	v_lshlrev_b32_e32 v19, 29, v22
	v_ashrrev_i32_e32 v16, 31, v17
	s_barrier_signal -1
	s_barrier_wait -1
	s_wait_alu 0xfffd
	v_xor_b32_e32 v17, vcc_lo, v18
	v_not_b32_e32 v18, v19
	s_wait_alu 0xf1ff
	v_xor_b32_e32 v16, s8, v16
	v_cmp_gt_i32_e32 vcc_lo, 0, v19
	v_not_b32_e32 v19, v20
	v_and_b32_e32 v17, exec_lo, v17
	v_ashrrev_i32_e32 v18, 31, v18
	global_inv scope:SCOPE_SE
	s_load_b32 s8, s[18:19], 0xc
	v_ashrrev_i32_e32 v19, 31, v19
	v_and_b32_e32 v16, v17, v16
	v_lshlrev_b32_e32 v17, 27, v22
	v_xor_b32_e32 v18, vcc_lo, v18
	v_cmp_gt_i32_e32 vcc_lo, 0, v20
	s_delay_alu instid0(VALU_DEP_3) | instskip(NEXT) | instid1(VALU_DEP_3)
	v_not_b32_e32 v20, v17
	v_and_b32_e32 v16, v16, v18
	v_lshlrev_b32_e32 v18, 26, v22
	s_wait_alu 0xfffd
	v_xor_b32_e32 v19, vcc_lo, v19
	v_cmp_gt_i32_e32 vcc_lo, 0, v17
	v_ashrrev_i32_e32 v17, 31, v20
	v_not_b32_e32 v20, v18
	s_delay_alu instid0(VALU_DEP_4)
	v_and_b32_e32 v16, v16, v19
	v_lshlrev_b32_e32 v19, 25, v22
	s_wait_alu 0xfffd
	v_xor_b32_e32 v17, vcc_lo, v17
	v_cmp_gt_i32_e32 vcc_lo, 0, v18
	v_ashrrev_i32_e32 v18, 31, v20
	s_wait_kmcnt 0x0
	s_lshr_b32 s11, s8, 16
	v_not_b32_e32 v20, v19
	v_and_b32_e32 v16, v16, v17
	v_lshlrev_b32_e32 v17, 24, v22
	s_wait_alu 0xfffd
	v_xor_b32_e32 v18, vcc_lo, v18
	v_cmp_gt_i32_e32 vcc_lo, 0, v19
	v_ashrrev_i32_e32 v19, 31, v20
	s_wait_alu 0xfffe
	v_mad_u32_u24 v21, v70, s11, v69
	v_not_b32_e32 v20, v17
	v_and_b32_e32 v18, v16, v18
	s_and_b32 s8, s8, 0xffff
	s_wait_alu 0xfffd
	v_xor_b32_e32 v19, vcc_lo, v19
	v_cmp_gt_i32_e32 vcc_lo, 0, v17
	v_ashrrev_i32_e32 v20, 31, v20
	s_wait_alu 0xfffe
	v_mad_co_u64_u32 v[16:17], null, v21, s8, v[44:45]
	v_and_b32_e32 v17, v18, v19
	s_wait_alu 0xfffd
	v_xor_b32_e32 v23, vcc_lo, v20
	v_dual_mov_b32 v18, s20 :: v_dual_mov_b32 v19, s21
	v_dual_mov_b32 v20, s22 :: v_dual_mov_b32 v21, s23
	s_delay_alu instid0(VALU_DEP_3)
	v_and_b32_e32 v17, v17, v23
	v_and_b32_e32 v22, 0xff, v22
	v_lshrrev_b32_e32 v16, 3, v16
	ds_store_b128 v66, v[18:21] offset:32
	ds_store_b128 v66, v[18:21] offset:48
	v_mbcnt_lo_u32_b32 v32, v17, 0
	v_lshlrev_b32_e32 v18, 5, v22
	v_and_b32_e32 v16, 0x1ffffffc, v16
	v_cmp_ne_u32_e64 s8, 0, v17
	s_wait_loadcnt_dscnt 0x0
	v_cmp_eq_u32_e32 vcc_lo, 0, v32
	s_barrier_signal -1
	v_add_nc_u32_e32 v33, v16, v18
	s_barrier_wait -1
	global_inv scope:SCOPE_SE
	s_and_b32 s11, s8, vcc_lo
	; wave barrier
	s_wait_alu 0xfffe
	s_and_saveexec_b32 s8, s11
; %bb.62:
	v_bcnt_u32_b32 v17, v17, 0
	ds_store_b32 v33, v17 offset:32
; %bb.63:
	s_wait_alu 0xfffe
	s_or_b32 exec_lo, exec_lo, s8
	v_and_b32_e32 v17, s9, v25
	; wave barrier
	s_delay_alu instid0(VALU_DEP_1)
	v_and_b32_e32 v19, 1, v17
	v_lshlrev_b32_e32 v20, 30, v17
	v_lshlrev_b32_e32 v21, 29, v17
	;; [unrolled: 1-line block ×4, first 2 shown]
	v_add_co_u32 v19, s8, v19, -1
	s_wait_alu 0xf1ff
	v_cndmask_b32_e64 v23, 0, 1, s8
	v_not_b32_e32 v37, v20
	v_cmp_gt_i32_e64 s8, 0, v20
	v_not_b32_e32 v20, v21
	v_lshlrev_b32_e32 v35, 26, v17
	v_cmp_ne_u32_e32 vcc_lo, 0, v23
	v_ashrrev_i32_e32 v23, 31, v37
	v_lshlrev_b32_e32 v36, 25, v17
	v_ashrrev_i32_e32 v20, 31, v20
	v_and_b32_e32 v18, 0xff, v17
	s_wait_alu 0xfffd
	v_xor_b32_e32 v19, vcc_lo, v19
	v_cmp_gt_i32_e32 vcc_lo, 0, v21
	v_not_b32_e32 v21, v22
	s_wait_alu 0xf1ff
	v_xor_b32_e32 v23, s8, v23
	v_cmp_gt_i32_e64 s8, 0, v22
	v_and_b32_e32 v19, exec_lo, v19
	v_not_b32_e32 v22, v34
	v_ashrrev_i32_e32 v21, 31, v21
	s_wait_alu 0xfffd
	v_xor_b32_e32 v20, vcc_lo, v20
	v_cmp_gt_i32_e32 vcc_lo, 0, v34
	v_and_b32_e32 v19, v19, v23
	v_not_b32_e32 v23, v35
	v_ashrrev_i32_e32 v22, 31, v22
	s_wait_alu 0xf1ff
	v_xor_b32_e32 v21, s8, v21
	v_lshlrev_b32_e32 v17, 24, v17
	v_and_b32_e32 v19, v19, v20
	v_cmp_gt_i32_e64 s8, 0, v35
	v_not_b32_e32 v20, v36
	v_ashrrev_i32_e32 v23, 31, v23
	s_wait_alu 0xfffd
	v_xor_b32_e32 v22, vcc_lo, v22
	v_and_b32_e32 v19, v19, v21
	v_cmp_gt_i32_e32 vcc_lo, 0, v36
	v_not_b32_e32 v21, v17
	v_ashrrev_i32_e32 v20, 31, v20
	s_wait_alu 0xf1ff
	v_xor_b32_e32 v23, s8, v23
	v_and_b32_e32 v19, v19, v22
	v_lshlrev_b32_e32 v18, 5, v18
	v_cmp_gt_i32_e64 s8, 0, v17
	v_ashrrev_i32_e32 v17, 31, v21
	s_wait_alu 0xfffd
	v_xor_b32_e32 v20, vcc_lo, v20
	v_and_b32_e32 v19, v19, v23
	v_add_nc_u32_e32 v36, v16, v18
	s_wait_alu 0xf1ff
	v_xor_b32_e32 v17, s8, v17
	s_delay_alu instid0(VALU_DEP_3) | instskip(SKIP_2) | instid1(VALU_DEP_1)
	v_and_b32_e32 v18, v19, v20
	ds_load_b32 v34, v36 offset:32
	; wave barrier
	v_and_b32_e32 v17, v18, v17
	v_mbcnt_lo_u32_b32 v35, v17, 0
	v_cmp_ne_u32_e64 s8, 0, v17
	s_delay_alu instid0(VALU_DEP_2)
	v_cmp_eq_u32_e32 vcc_lo, 0, v35
	s_and_b32 s11, s8, vcc_lo
	s_wait_alu 0xfffe
	s_and_saveexec_b32 s8, s11
	s_cbranch_execz .LBB81_65
; %bb.64:
	s_wait_dscnt 0x0
	v_bcnt_u32_b32 v17, v17, v34
	ds_store_b32 v36, v17 offset:32
.LBB81_65:
	s_wait_alu 0xfffe
	s_or_b32 exec_lo, exec_lo, s8
	v_and_b32_e32 v17, s9, v26
	; wave barrier
	s_delay_alu instid0(VALU_DEP_1)
	v_and_b32_e32 v19, 1, v17
	v_lshlrev_b32_e32 v20, 30, v17
	v_lshlrev_b32_e32 v21, 29, v17
	;; [unrolled: 1-line block ×4, first 2 shown]
	v_add_co_u32 v19, s8, v19, -1
	s_wait_alu 0xf1ff
	v_cndmask_b32_e64 v23, 0, 1, s8
	v_not_b32_e32 v40, v20
	v_cmp_gt_i32_e64 s8, 0, v20
	v_not_b32_e32 v20, v21
	v_lshlrev_b32_e32 v38, 26, v17
	v_cmp_ne_u32_e32 vcc_lo, 0, v23
	v_ashrrev_i32_e32 v23, 31, v40
	v_lshlrev_b32_e32 v39, 25, v17
	v_ashrrev_i32_e32 v20, 31, v20
	v_and_b32_e32 v18, 0xff, v17
	s_wait_alu 0xfffd
	v_xor_b32_e32 v19, vcc_lo, v19
	v_cmp_gt_i32_e32 vcc_lo, 0, v21
	v_not_b32_e32 v21, v22
	s_wait_alu 0xf1ff
	v_xor_b32_e32 v23, s8, v23
	v_cmp_gt_i32_e64 s8, 0, v22
	v_and_b32_e32 v19, exec_lo, v19
	v_not_b32_e32 v22, v37
	v_ashrrev_i32_e32 v21, 31, v21
	s_wait_alu 0xfffd
	v_xor_b32_e32 v20, vcc_lo, v20
	v_cmp_gt_i32_e32 vcc_lo, 0, v37
	v_and_b32_e32 v19, v19, v23
	v_not_b32_e32 v23, v38
	v_ashrrev_i32_e32 v22, 31, v22
	s_wait_alu 0xf1ff
	v_xor_b32_e32 v21, s8, v21
	v_lshlrev_b32_e32 v17, 24, v17
	v_and_b32_e32 v19, v19, v20
	v_cmp_gt_i32_e64 s8, 0, v38
	v_not_b32_e32 v20, v39
	v_ashrrev_i32_e32 v23, 31, v23
	s_wait_alu 0xfffd
	v_xor_b32_e32 v22, vcc_lo, v22
	v_and_b32_e32 v19, v19, v21
	v_cmp_gt_i32_e32 vcc_lo, 0, v39
	v_not_b32_e32 v21, v17
	v_ashrrev_i32_e32 v20, 31, v20
	s_wait_alu 0xf1ff
	v_xor_b32_e32 v23, s8, v23
	v_and_b32_e32 v19, v19, v22
	v_lshlrev_b32_e32 v18, 5, v18
	v_cmp_gt_i32_e64 s8, 0, v17
	v_ashrrev_i32_e32 v17, 31, v21
	s_wait_alu 0xfffd
	v_xor_b32_e32 v20, vcc_lo, v20
	v_and_b32_e32 v19, v19, v23
	v_add_nc_u32_e32 v39, v16, v18
	s_wait_alu 0xf1ff
	v_xor_b32_e32 v17, s8, v17
	s_delay_alu instid0(VALU_DEP_3) | instskip(SKIP_2) | instid1(VALU_DEP_1)
	v_and_b32_e32 v18, v19, v20
	ds_load_b32 v37, v39 offset:32
	; wave barrier
	v_and_b32_e32 v17, v18, v17
	v_mbcnt_lo_u32_b32 v38, v17, 0
	v_cmp_ne_u32_e64 s8, 0, v17
	s_delay_alu instid0(VALU_DEP_2)
	v_cmp_eq_u32_e32 vcc_lo, 0, v38
	s_and_b32 s11, s8, vcc_lo
	s_wait_alu 0xfffe
	s_and_saveexec_b32 s8, s11
	s_cbranch_execz .LBB81_67
; %bb.66:
	s_wait_dscnt 0x0
	v_bcnt_u32_b32 v17, v17, v37
	ds_store_b32 v39, v17 offset:32
.LBB81_67:
	s_wait_alu 0xfffe
	s_or_b32 exec_lo, exec_lo, s8
	v_and_b32_e32 v17, s9, v27
	; wave barrier
	s_delay_alu instid0(VALU_DEP_1)
	v_and_b32_e32 v19, 1, v17
	v_lshlrev_b32_e32 v20, 30, v17
	v_lshlrev_b32_e32 v21, 29, v17
	;; [unrolled: 1-line block ×4, first 2 shown]
	v_add_co_u32 v19, s8, v19, -1
	s_wait_alu 0xf1ff
	v_cndmask_b32_e64 v23, 0, 1, s8
	v_not_b32_e32 v69, v20
	v_cmp_gt_i32_e64 s8, 0, v20
	v_not_b32_e32 v20, v21
	v_lshlrev_b32_e32 v45, 26, v17
	v_cmp_ne_u32_e32 vcc_lo, 0, v23
	v_ashrrev_i32_e32 v23, 31, v69
	v_lshlrev_b32_e32 v46, 25, v17
	v_ashrrev_i32_e32 v20, 31, v20
	v_and_b32_e32 v18, 0xff, v17
	s_wait_alu 0xfffd
	v_xor_b32_e32 v19, vcc_lo, v19
	v_cmp_gt_i32_e32 vcc_lo, 0, v21
	v_not_b32_e32 v21, v22
	s_wait_alu 0xf1ff
	v_xor_b32_e32 v23, s8, v23
	v_cmp_gt_i32_e64 s8, 0, v22
	v_and_b32_e32 v19, exec_lo, v19
	v_not_b32_e32 v22, v40
	v_ashrrev_i32_e32 v21, 31, v21
	s_wait_alu 0xfffd
	v_xor_b32_e32 v20, vcc_lo, v20
	v_cmp_gt_i32_e32 vcc_lo, 0, v40
	v_and_b32_e32 v19, v19, v23
	v_not_b32_e32 v23, v45
	v_ashrrev_i32_e32 v22, 31, v22
	s_wait_alu 0xf1ff
	v_xor_b32_e32 v21, s8, v21
	v_lshlrev_b32_e32 v17, 24, v17
	v_and_b32_e32 v19, v19, v20
	v_cmp_gt_i32_e64 s8, 0, v45
	v_not_b32_e32 v20, v46
	v_ashrrev_i32_e32 v23, 31, v23
	s_wait_alu 0xfffd
	v_xor_b32_e32 v22, vcc_lo, v22
	v_and_b32_e32 v19, v19, v21
	v_cmp_gt_i32_e32 vcc_lo, 0, v46
	v_not_b32_e32 v21, v17
	v_ashrrev_i32_e32 v20, 31, v20
	s_wait_alu 0xf1ff
	v_xor_b32_e32 v23, s8, v23
	v_and_b32_e32 v19, v19, v22
	v_lshlrev_b32_e32 v18, 5, v18
	v_cmp_gt_i32_e64 s8, 0, v17
	v_ashrrev_i32_e32 v17, 31, v21
	s_wait_alu 0xfffd
	v_xor_b32_e32 v20, vcc_lo, v20
	v_and_b32_e32 v19, v19, v23
	v_add_nc_u32_e32 v46, v16, v18
	s_wait_alu 0xf1ff
	v_xor_b32_e32 v17, s8, v17
	s_delay_alu instid0(VALU_DEP_3) | instskip(SKIP_2) | instid1(VALU_DEP_1)
	v_and_b32_e32 v18, v19, v20
	ds_load_b32 v40, v46 offset:32
	; wave barrier
	v_and_b32_e32 v17, v18, v17
	v_mbcnt_lo_u32_b32 v45, v17, 0
	v_cmp_ne_u32_e64 s8, 0, v17
	s_delay_alu instid0(VALU_DEP_2)
	v_cmp_eq_u32_e32 vcc_lo, 0, v45
	s_and_b32 s11, s8, vcc_lo
	s_wait_alu 0xfffe
	s_and_saveexec_b32 s8, s11
	s_cbranch_execz .LBB81_69
; %bb.68:
	s_wait_dscnt 0x0
	v_bcnt_u32_b32 v17, v17, v40
	ds_store_b32 v46, v17 offset:32
.LBB81_69:
	s_wait_alu 0xfffe
	s_or_b32 exec_lo, exec_lo, s8
	v_and_b32_e32 v17, s9, v28
	; wave barrier
	s_delay_alu instid0(VALU_DEP_1)
	v_and_b32_e32 v19, 1, v17
	v_lshlrev_b32_e32 v20, 30, v17
	v_lshlrev_b32_e32 v21, 29, v17
	;; [unrolled: 1-line block ×4, first 2 shown]
	v_add_co_u32 v19, s8, v19, -1
	s_wait_alu 0xf1ff
	v_cndmask_b32_e64 v23, 0, 1, s8
	v_not_b32_e32 v72, v20
	v_cmp_gt_i32_e64 s8, 0, v20
	v_not_b32_e32 v20, v21
	v_lshlrev_b32_e32 v70, 26, v17
	v_cmp_ne_u32_e32 vcc_lo, 0, v23
	v_ashrrev_i32_e32 v23, 31, v72
	v_lshlrev_b32_e32 v71, 25, v17
	v_ashrrev_i32_e32 v20, 31, v20
	v_and_b32_e32 v18, 0xff, v17
	s_wait_alu 0xfffd
	v_xor_b32_e32 v19, vcc_lo, v19
	v_cmp_gt_i32_e32 vcc_lo, 0, v21
	v_not_b32_e32 v21, v22
	s_wait_alu 0xf1ff
	v_xor_b32_e32 v23, s8, v23
	v_cmp_gt_i32_e64 s8, 0, v22
	v_and_b32_e32 v19, exec_lo, v19
	v_not_b32_e32 v22, v69
	v_ashrrev_i32_e32 v21, 31, v21
	s_wait_alu 0xfffd
	v_xor_b32_e32 v20, vcc_lo, v20
	v_cmp_gt_i32_e32 vcc_lo, 0, v69
	v_and_b32_e32 v19, v19, v23
	v_not_b32_e32 v23, v70
	v_ashrrev_i32_e32 v22, 31, v22
	s_wait_alu 0xf1ff
	v_xor_b32_e32 v21, s8, v21
	v_lshlrev_b32_e32 v17, 24, v17
	v_and_b32_e32 v19, v19, v20
	v_cmp_gt_i32_e64 s8, 0, v70
	v_not_b32_e32 v20, v71
	v_ashrrev_i32_e32 v23, 31, v23
	s_wait_alu 0xfffd
	v_xor_b32_e32 v22, vcc_lo, v22
	v_and_b32_e32 v19, v19, v21
	v_cmp_gt_i32_e32 vcc_lo, 0, v71
	v_not_b32_e32 v21, v17
	v_ashrrev_i32_e32 v20, 31, v20
	s_wait_alu 0xf1ff
	v_xor_b32_e32 v23, s8, v23
	v_and_b32_e32 v19, v19, v22
	v_lshlrev_b32_e32 v18, 5, v18
	v_cmp_gt_i32_e64 s8, 0, v17
	v_ashrrev_i32_e32 v17, 31, v21
	s_wait_alu 0xfffd
	v_xor_b32_e32 v20, vcc_lo, v20
	v_and_b32_e32 v19, v19, v23
	v_add_nc_u32_e32 v71, v16, v18
	s_wait_alu 0xf1ff
	v_xor_b32_e32 v17, s8, v17
	s_delay_alu instid0(VALU_DEP_3) | instskip(SKIP_2) | instid1(VALU_DEP_1)
	v_and_b32_e32 v18, v19, v20
	ds_load_b32 v69, v71 offset:32
	; wave barrier
	v_and_b32_e32 v17, v18, v17
	v_mbcnt_lo_u32_b32 v70, v17, 0
	v_cmp_ne_u32_e64 s8, 0, v17
	s_delay_alu instid0(VALU_DEP_2)
	v_cmp_eq_u32_e32 vcc_lo, 0, v70
	s_and_b32 s11, s8, vcc_lo
	s_wait_alu 0xfffe
	s_and_saveexec_b32 s8, s11
	s_cbranch_execz .LBB81_71
; %bb.70:
	s_wait_dscnt 0x0
	v_bcnt_u32_b32 v17, v17, v69
	ds_store_b32 v71, v17 offset:32
.LBB81_71:
	s_wait_alu 0xfffe
	s_or_b32 exec_lo, exec_lo, s8
	v_and_b32_e32 v17, s9, v29
	; wave barrier
	s_delay_alu instid0(VALU_DEP_1)
	v_and_b32_e32 v19, 1, v17
	v_lshlrev_b32_e32 v20, 30, v17
	v_lshlrev_b32_e32 v21, 29, v17
	;; [unrolled: 1-line block ×4, first 2 shown]
	v_add_co_u32 v19, s8, v19, -1
	s_wait_alu 0xf1ff
	v_cndmask_b32_e64 v23, 0, 1, s8
	v_not_b32_e32 v75, v20
	v_cmp_gt_i32_e64 s8, 0, v20
	v_not_b32_e32 v20, v21
	v_lshlrev_b32_e32 v73, 26, v17
	v_cmp_ne_u32_e32 vcc_lo, 0, v23
	v_ashrrev_i32_e32 v23, 31, v75
	v_lshlrev_b32_e32 v74, 25, v17
	v_ashrrev_i32_e32 v20, 31, v20
	v_and_b32_e32 v18, 0xff, v17
	s_wait_alu 0xfffd
	v_xor_b32_e32 v19, vcc_lo, v19
	v_cmp_gt_i32_e32 vcc_lo, 0, v21
	v_not_b32_e32 v21, v22
	s_wait_alu 0xf1ff
	v_xor_b32_e32 v23, s8, v23
	v_cmp_gt_i32_e64 s8, 0, v22
	v_and_b32_e32 v19, exec_lo, v19
	v_not_b32_e32 v22, v72
	v_ashrrev_i32_e32 v21, 31, v21
	s_wait_alu 0xfffd
	v_xor_b32_e32 v20, vcc_lo, v20
	v_cmp_gt_i32_e32 vcc_lo, 0, v72
	v_and_b32_e32 v19, v19, v23
	v_not_b32_e32 v23, v73
	v_ashrrev_i32_e32 v22, 31, v22
	s_wait_alu 0xf1ff
	v_xor_b32_e32 v21, s8, v21
	v_lshlrev_b32_e32 v17, 24, v17
	v_and_b32_e32 v19, v19, v20
	v_cmp_gt_i32_e64 s8, 0, v73
	v_not_b32_e32 v20, v74
	v_ashrrev_i32_e32 v23, 31, v23
	s_wait_alu 0xfffd
	v_xor_b32_e32 v22, vcc_lo, v22
	v_and_b32_e32 v19, v19, v21
	v_cmp_gt_i32_e32 vcc_lo, 0, v74
	v_not_b32_e32 v21, v17
	v_ashrrev_i32_e32 v20, 31, v20
	s_wait_alu 0xf1ff
	v_xor_b32_e32 v23, s8, v23
	v_and_b32_e32 v19, v19, v22
	v_lshlrev_b32_e32 v18, 5, v18
	v_cmp_gt_i32_e64 s8, 0, v17
	v_ashrrev_i32_e32 v17, 31, v21
	s_wait_alu 0xfffd
	v_xor_b32_e32 v20, vcc_lo, v20
	v_and_b32_e32 v19, v19, v23
	v_add_nc_u32_e32 v74, v16, v18
	s_wait_alu 0xf1ff
	v_xor_b32_e32 v17, s8, v17
	s_delay_alu instid0(VALU_DEP_3) | instskip(SKIP_2) | instid1(VALU_DEP_1)
	v_and_b32_e32 v18, v19, v20
	ds_load_b32 v72, v74 offset:32
	; wave barrier
	v_and_b32_e32 v17, v18, v17
	v_mbcnt_lo_u32_b32 v73, v17, 0
	v_cmp_ne_u32_e64 s8, 0, v17
	s_delay_alu instid0(VALU_DEP_2)
	v_cmp_eq_u32_e32 vcc_lo, 0, v73
	s_and_b32 s11, s8, vcc_lo
	s_wait_alu 0xfffe
	s_and_saveexec_b32 s8, s11
	s_cbranch_execz .LBB81_73
; %bb.72:
	s_wait_dscnt 0x0
	v_bcnt_u32_b32 v17, v17, v72
	ds_store_b32 v74, v17 offset:32
.LBB81_73:
	s_wait_alu 0xfffe
	s_or_b32 exec_lo, exec_lo, s8
	v_and_b32_e32 v17, s9, v30
	; wave barrier
	s_delay_alu instid0(VALU_DEP_1)
	v_and_b32_e32 v19, 1, v17
	v_lshlrev_b32_e32 v20, 30, v17
	v_lshlrev_b32_e32 v21, 29, v17
	v_lshlrev_b32_e32 v22, 28, v17
	v_lshlrev_b32_e32 v75, 27, v17
	v_add_co_u32 v19, s8, v19, -1
	s_wait_alu 0xf1ff
	v_cndmask_b32_e64 v23, 0, 1, s8
	v_not_b32_e32 v78, v20
	v_cmp_gt_i32_e64 s8, 0, v20
	v_not_b32_e32 v20, v21
	v_lshlrev_b32_e32 v76, 26, v17
	v_cmp_ne_u32_e32 vcc_lo, 0, v23
	v_ashrrev_i32_e32 v23, 31, v78
	v_lshlrev_b32_e32 v77, 25, v17
	v_ashrrev_i32_e32 v20, 31, v20
	v_and_b32_e32 v18, 0xff, v17
	s_wait_alu 0xfffd
	v_xor_b32_e32 v19, vcc_lo, v19
	v_cmp_gt_i32_e32 vcc_lo, 0, v21
	v_not_b32_e32 v21, v22
	s_wait_alu 0xf1ff
	v_xor_b32_e32 v23, s8, v23
	v_cmp_gt_i32_e64 s8, 0, v22
	v_and_b32_e32 v19, exec_lo, v19
	v_not_b32_e32 v22, v75
	v_ashrrev_i32_e32 v21, 31, v21
	s_wait_alu 0xfffd
	v_xor_b32_e32 v20, vcc_lo, v20
	v_cmp_gt_i32_e32 vcc_lo, 0, v75
	v_and_b32_e32 v19, v19, v23
	v_not_b32_e32 v23, v76
	v_ashrrev_i32_e32 v22, 31, v22
	s_wait_alu 0xf1ff
	v_xor_b32_e32 v21, s8, v21
	v_lshlrev_b32_e32 v17, 24, v17
	v_and_b32_e32 v19, v19, v20
	v_cmp_gt_i32_e64 s8, 0, v76
	v_not_b32_e32 v20, v77
	v_ashrrev_i32_e32 v23, 31, v23
	s_wait_alu 0xfffd
	v_xor_b32_e32 v22, vcc_lo, v22
	v_and_b32_e32 v19, v19, v21
	v_cmp_gt_i32_e32 vcc_lo, 0, v77
	v_not_b32_e32 v21, v17
	v_ashrrev_i32_e32 v20, 31, v20
	s_wait_alu 0xf1ff
	v_xor_b32_e32 v23, s8, v23
	v_and_b32_e32 v19, v19, v22
	v_lshlrev_b32_e32 v18, 5, v18
	v_cmp_gt_i32_e64 s8, 0, v17
	v_ashrrev_i32_e32 v17, 31, v21
	s_wait_alu 0xfffd
	v_xor_b32_e32 v20, vcc_lo, v20
	v_and_b32_e32 v19, v19, v23
	v_add_nc_u32_e32 v77, v16, v18
	s_wait_alu 0xf1ff
	v_xor_b32_e32 v17, s8, v17
	s_delay_alu instid0(VALU_DEP_3) | instskip(SKIP_2) | instid1(VALU_DEP_1)
	v_and_b32_e32 v18, v19, v20
	ds_load_b32 v75, v77 offset:32
	; wave barrier
	v_and_b32_e32 v17, v18, v17
	v_mbcnt_lo_u32_b32 v76, v17, 0
	v_cmp_ne_u32_e64 s8, 0, v17
	s_delay_alu instid0(VALU_DEP_2)
	v_cmp_eq_u32_e32 vcc_lo, 0, v76
	s_and_b32 s11, s8, vcc_lo
	s_wait_alu 0xfffe
	s_and_saveexec_b32 s8, s11
	s_cbranch_execz .LBB81_75
; %bb.74:
	s_wait_dscnt 0x0
	v_bcnt_u32_b32 v17, v17, v75
	ds_store_b32 v77, v17 offset:32
.LBB81_75:
	s_wait_alu 0xfffe
	s_or_b32 exec_lo, exec_lo, s8
	v_and_b32_e32 v17, s9, v31
	; wave barrier
	s_delay_alu instid0(VALU_DEP_1)
	v_and_b32_e32 v19, 1, v17
	v_lshlrev_b32_e32 v20, 30, v17
	v_lshlrev_b32_e32 v21, 29, v17
	;; [unrolled: 1-line block ×4, first 2 shown]
	v_add_co_u32 v19, s8, v19, -1
	s_wait_alu 0xf1ff
	v_cndmask_b32_e64 v23, 0, 1, s8
	v_not_b32_e32 v81, v20
	v_cmp_gt_i32_e64 s8, 0, v20
	v_not_b32_e32 v20, v21
	v_lshlrev_b32_e32 v79, 26, v17
	v_cmp_ne_u32_e32 vcc_lo, 0, v23
	v_ashrrev_i32_e32 v23, 31, v81
	v_lshlrev_b32_e32 v80, 25, v17
	v_ashrrev_i32_e32 v20, 31, v20
	v_and_b32_e32 v18, 0xff, v17
	s_wait_alu 0xfffd
	v_xor_b32_e32 v19, vcc_lo, v19
	v_cmp_gt_i32_e32 vcc_lo, 0, v21
	v_not_b32_e32 v21, v22
	s_wait_alu 0xf1ff
	v_xor_b32_e32 v23, s8, v23
	v_cmp_gt_i32_e64 s8, 0, v22
	v_and_b32_e32 v19, exec_lo, v19
	v_not_b32_e32 v22, v78
	v_ashrrev_i32_e32 v21, 31, v21
	s_wait_alu 0xfffd
	v_xor_b32_e32 v20, vcc_lo, v20
	v_cmp_gt_i32_e32 vcc_lo, 0, v78
	v_and_b32_e32 v19, v19, v23
	v_not_b32_e32 v23, v79
	v_ashrrev_i32_e32 v22, 31, v22
	s_wait_alu 0xf1ff
	v_xor_b32_e32 v21, s8, v21
	v_lshlrev_b32_e32 v17, 24, v17
	v_and_b32_e32 v19, v19, v20
	v_cmp_gt_i32_e64 s8, 0, v79
	v_not_b32_e32 v20, v80
	v_ashrrev_i32_e32 v23, 31, v23
	s_wait_alu 0xfffd
	v_xor_b32_e32 v22, vcc_lo, v22
	v_and_b32_e32 v19, v19, v21
	v_cmp_gt_i32_e32 vcc_lo, 0, v80
	v_not_b32_e32 v21, v17
	v_ashrrev_i32_e32 v20, 31, v20
	s_wait_alu 0xf1ff
	v_xor_b32_e32 v23, s8, v23
	v_and_b32_e32 v19, v19, v22
	v_lshlrev_b32_e32 v18, 5, v18
	v_cmp_gt_i32_e64 s8, 0, v17
	v_ashrrev_i32_e32 v17, 31, v21
	s_wait_alu 0xfffd
	v_xor_b32_e32 v20, vcc_lo, v20
	v_and_b32_e32 v19, v19, v23
	v_add_nc_u32_e32 v80, v16, v18
	s_wait_alu 0xf1ff
	v_xor_b32_e32 v16, s8, v17
	s_delay_alu instid0(VALU_DEP_3) | instskip(SKIP_2) | instid1(VALU_DEP_1)
	v_and_b32_e32 v17, v19, v20
	ds_load_b32 v78, v80 offset:32
	; wave barrier
	v_and_b32_e32 v16, v17, v16
	v_mbcnt_lo_u32_b32 v79, v16, 0
	v_cmp_ne_u32_e64 s8, 0, v16
	s_delay_alu instid0(VALU_DEP_2)
	v_cmp_eq_u32_e32 vcc_lo, 0, v79
	s_and_b32 s9, s8, vcc_lo
	s_wait_alu 0xfffe
	s_and_saveexec_b32 s8, s9
	s_cbranch_execz .LBB81_77
; %bb.76:
	s_wait_dscnt 0x0
	v_bcnt_u32_b32 v16, v16, v78
	ds_store_b32 v80, v16 offset:32
.LBB81_77:
	s_wait_alu 0xfffe
	s_or_b32 exec_lo, exec_lo, s8
	; wave barrier
	s_wait_loadcnt_dscnt 0x0
	s_barrier_signal -1
	s_barrier_wait -1
	global_inv scope:SCOPE_SE
	ds_load_b128 v[20:23], v66 offset:32
	ds_load_b128 v[16:19], v66 offset:48
	v_min_u32_e32 v68, 0xe0, v68
	s_mov_b32 s8, exec_lo
	s_delay_alu instid0(VALU_DEP_1) | instskip(SKIP_2) | instid1(VALU_DEP_1)
	v_or_b32_e32 v68, 31, v68
	s_wait_dscnt 0x1
	v_add_nc_u32_e32 v81, v21, v20
	v_add3_u32 v81, v81, v22, v23
	s_wait_dscnt 0x0
	s_delay_alu instid0(VALU_DEP_1) | instskip(NEXT) | instid1(VALU_DEP_1)
	v_add3_u32 v81, v81, v16, v17
	v_add3_u32 v19, v81, v18, v19
	v_and_b32_e32 v81, 15, v67
	s_delay_alu instid0(VALU_DEP_2) | instskip(NEXT) | instid1(VALU_DEP_2)
	v_mov_b32_dpp v82, v19 row_shr:1 row_mask:0xf bank_mask:0xf
	v_cmp_ne_u32_e32 vcc_lo, 0, v81
	s_wait_alu 0xfffd
	s_delay_alu instid0(VALU_DEP_2) | instskip(SKIP_1) | instid1(VALU_DEP_2)
	v_cndmask_b32_e32 v82, 0, v82, vcc_lo
	v_cmp_lt_u32_e32 vcc_lo, 1, v81
	v_add_nc_u32_e32 v19, v82, v19
	s_delay_alu instid0(VALU_DEP_1) | instskip(SKIP_1) | instid1(VALU_DEP_1)
	v_mov_b32_dpp v82, v19 row_shr:2 row_mask:0xf bank_mask:0xf
	s_wait_alu 0xfffd
	v_cndmask_b32_e32 v82, 0, v82, vcc_lo
	v_cmp_lt_u32_e32 vcc_lo, 3, v81
	s_delay_alu instid0(VALU_DEP_2) | instskip(NEXT) | instid1(VALU_DEP_1)
	v_add_nc_u32_e32 v19, v19, v82
	v_mov_b32_dpp v82, v19 row_shr:4 row_mask:0xf bank_mask:0xf
	s_wait_alu 0xfffd
	s_delay_alu instid0(VALU_DEP_1) | instskip(SKIP_1) | instid1(VALU_DEP_2)
	v_cndmask_b32_e32 v82, 0, v82, vcc_lo
	v_cmp_lt_u32_e32 vcc_lo, 7, v81
	v_add_nc_u32_e32 v19, v19, v82
	s_delay_alu instid0(VALU_DEP_1) | instskip(SKIP_1) | instid1(VALU_DEP_1)
	v_mov_b32_dpp v82, v19 row_shr:8 row_mask:0xf bank_mask:0xf
	s_wait_alu 0xfffd
	v_cndmask_b32_e32 v81, 0, v82, vcc_lo
	v_bfe_i32 v82, v67, 4, 1
	s_delay_alu instid0(VALU_DEP_2) | instskip(SKIP_3) | instid1(VALU_DEP_1)
	v_add_nc_u32_e32 v19, v19, v81
	ds_swizzle_b32 v81, v19 offset:swizzle(BROADCAST,32,15)
	s_wait_dscnt 0x0
	v_and_b32_e32 v81, v82, v81
	v_add_nc_u32_e32 v19, v19, v81
	v_cmpx_eq_u32_e64 v44, v68
; %bb.78:
	v_lshlrev_b32_e32 v68, 2, v62
	ds_store_b32 v68, v19
; %bb.79:
	s_wait_alu 0xfffe
	s_or_b32 exec_lo, exec_lo, s8
	s_delay_alu instid0(SALU_CYCLE_1)
	s_mov_b32 s8, exec_lo
	s_wait_loadcnt_dscnt 0x0
	s_barrier_signal -1
	s_barrier_wait -1
	global_inv scope:SCOPE_SE
	v_cmpx_gt_u32_e32 8, v44
	s_cbranch_execz .LBB81_81
; %bb.80:
	v_and_b32_e32 v82, 7, v67
	s_delay_alu instid0(VALU_DEP_1)
	v_cmp_ne_u32_e32 vcc_lo, 0, v82
	v_lshlrev_b32_e32 v68, 2, v44
	ds_load_b32 v81, v68
	s_wait_dscnt 0x0
	v_mov_b32_dpp v83, v81 row_shr:1 row_mask:0xf bank_mask:0xf
	s_wait_alu 0xfffd
	s_delay_alu instid0(VALU_DEP_1) | instskip(SKIP_1) | instid1(VALU_DEP_2)
	v_cndmask_b32_e32 v83, 0, v83, vcc_lo
	v_cmp_lt_u32_e32 vcc_lo, 1, v82
	v_add_nc_u32_e32 v81, v83, v81
	s_delay_alu instid0(VALU_DEP_1) | instskip(SKIP_1) | instid1(VALU_DEP_1)
	v_mov_b32_dpp v83, v81 row_shr:2 row_mask:0xf bank_mask:0xf
	s_wait_alu 0xfffd
	v_cndmask_b32_e32 v83, 0, v83, vcc_lo
	v_cmp_lt_u32_e32 vcc_lo, 3, v82
	s_delay_alu instid0(VALU_DEP_2) | instskip(NEXT) | instid1(VALU_DEP_1)
	v_add_nc_u32_e32 v81, v81, v83
	v_mov_b32_dpp v83, v81 row_shr:4 row_mask:0xf bank_mask:0xf
	s_wait_alu 0xfffd
	s_delay_alu instid0(VALU_DEP_1) | instskip(NEXT) | instid1(VALU_DEP_1)
	v_cndmask_b32_e32 v82, 0, v83, vcc_lo
	v_add_nc_u32_e32 v81, v81, v82
	ds_store_b32 v68, v81
.LBB81_81:
	s_wait_alu 0xfffe
	s_or_b32 exec_lo, exec_lo, s8
	v_mov_b32_e32 v68, 0
	s_mov_b32 s8, exec_lo
	s_wait_loadcnt_dscnt 0x0
	s_barrier_signal -1
	s_barrier_wait -1
	global_inv scope:SCOPE_SE
	v_cmpx_lt_u32_e32 31, v44
; %bb.82:
	v_lshl_add_u32 v62, v62, 2, -4
	ds_load_b32 v68, v62
; %bb.83:
	s_wait_alu 0xfffe
	s_or_b32 exec_lo, exec_lo, s8
	v_sub_co_u32 v62, vcc_lo, v67, 1
	s_wait_dscnt 0x0
	v_add_nc_u32_e32 v19, v68, v19
	s_delay_alu instid0(VALU_DEP_2) | instskip(SKIP_1) | instid1(VALU_DEP_1)
	v_cmp_gt_i32_e64 s8, 0, v62
	s_wait_alu 0xf1ff
	v_cndmask_b32_e64 v62, v62, v67, s8
	s_delay_alu instid0(VALU_DEP_1)
	v_lshlrev_b32_e32 v62, 2, v62
	ds_bpermute_b32 v19, v62, v19
	s_wait_dscnt 0x0
	s_wait_alu 0xfffd
	v_cndmask_b32_e32 v19, v19, v68, vcc_lo
	v_cmp_ne_u32_e32 vcc_lo, 0, v44
	s_wait_alu 0xfffd
	s_delay_alu instid0(VALU_DEP_2) | instskip(NEXT) | instid1(VALU_DEP_1)
	v_cndmask_b32_e32 v19, 0, v19, vcc_lo
	v_add_nc_u32_e32 v20, v19, v20
	s_delay_alu instid0(VALU_DEP_1) | instskip(NEXT) | instid1(VALU_DEP_1)
	v_add_nc_u32_e32 v21, v20, v21
	v_add_nc_u32_e32 v22, v21, v22
	s_delay_alu instid0(VALU_DEP_1) | instskip(NEXT) | instid1(VALU_DEP_1)
	v_add_nc_u32_e32 v81, v22, v23
	;; [unrolled: 3-line block ×3, first 2 shown]
	v_add_nc_u32_e32 v84, v83, v18
	ds_store_b128 v66, v[19:22] offset:32
	ds_store_b128 v66, v[81:84] offset:48
	s_wait_loadcnt_dscnt 0x0
	s_barrier_signal -1
	s_barrier_wait -1
	global_inv scope:SCOPE_SE
	ds_load_b32 v16, v33 offset:32
	ds_load_b32 v17, v36 offset:32
	;; [unrolled: 1-line block ×8, first 2 shown]
	v_mad_u32_u24 v36, v44, 56, v57
	s_wait_loadcnt_dscnt 0x0
	s_barrier_signal -1
	s_barrier_wait -1
	global_inv scope:SCOPE_SE
	v_add_nc_u32_e32 v16, v16, v32
	v_add3_u32 v17, v35, v34, v17
	v_add3_u32 v18, v38, v37, v18
	;; [unrolled: 1-line block ×7, first 2 shown]
	ds_store_b8 v16, v24
	ds_store_b8 v17, v25
	;; [unrolled: 1-line block ×8, first 2 shown]
	v_lshlrev_b32_e32 v16, 3, v16
	v_lshlrev_b32_e32 v17, 3, v17
	;; [unrolled: 1-line block ×8, first 2 shown]
	s_wait_loadcnt_dscnt 0x0
	s_barrier_signal -1
	s_barrier_wait -1
	global_inv scope:SCOPE_SE
	ds_load_b64 v[33:34], v57
	s_wait_loadcnt_dscnt 0x0
	s_barrier_signal -1
	s_barrier_wait -1
	global_inv scope:SCOPE_SE
	ds_store_b64 v16, v[0:1]
	ds_store_b64 v17, v[2:3]
	;; [unrolled: 1-line block ×8, first 2 shown]
	s_wait_loadcnt_dscnt 0x0
	s_barrier_signal -1
	s_barrier_wait -1
	global_inv scope:SCOPE_SE
	ds_load_b128 v[29:32], v36
	ds_load_b128 v[25:28], v36 offset:16
	ds_load_b128 v[21:24], v36 offset:32
	;; [unrolled: 1-line block ×3, first 2 shown]
	v_not_b32_e32 v33, v33
	v_not_b32_e32 v34, v34
.LBB81_84:
	s_wait_loadcnt_dscnt 0x0
	s_barrier_signal -1
	s_barrier_wait -1
	global_inv scope:SCOPE_SE
	ds_store_2addr_b32 v56, v33, v34 offset1:1
	s_wait_loadcnt_dscnt 0x0
	s_barrier_signal -1
	s_barrier_wait -1
	global_inv scope:SCOPE_SE
	ds_load_u8 v8, v49 offset:256
	ds_load_u8 v7, v50 offset:512
	;; [unrolled: 1-line block ×7, first 2 shown]
	v_add_co_u32 v0, s8, s14, v47
	s_wait_alu 0xf1ff
	v_add_co_ci_u32_e64 v1, null, s15, 0, s8
	s_and_saveexec_b32 s8, s0
	s_cbranch_execnz .LBB81_103
; %bb.85:
	s_wait_alu 0xfffe
	s_or_b32 exec_lo, exec_lo, s8
	s_and_saveexec_b32 s8, s1
	s_cbranch_execnz .LBB81_104
.LBB81_86:
	s_wait_alu 0xfffe
	s_or_b32 exec_lo, exec_lo, s8
	s_and_saveexec_b32 s8, s2
	s_cbranch_execnz .LBB81_105
.LBB81_87:
	s_wait_alu 0xfffe
	s_or_b32 exec_lo, exec_lo, s8
	s_and_saveexec_b32 s8, s3
	s_cbranch_execnz .LBB81_106
.LBB81_88:
	s_wait_alu 0xfffe
	s_or_b32 exec_lo, exec_lo, s8
	s_and_saveexec_b32 s8, s4
	s_cbranch_execnz .LBB81_107
.LBB81_89:
	s_wait_alu 0xfffe
	s_or_b32 exec_lo, exec_lo, s8
	s_and_saveexec_b32 s8, s5
	s_cbranch_execnz .LBB81_108
.LBB81_90:
	s_wait_alu 0xfffe
	s_or_b32 exec_lo, exec_lo, s8
	s_and_saveexec_b32 s8, s6
	s_cbranch_execnz .LBB81_109
.LBB81_91:
	s_wait_alu 0xfffe
	s_or_b32 exec_lo, exec_lo, s8
	s_and_saveexec_b32 s8, s7
	s_cbranch_execz .LBB81_93
.LBB81_92:
	s_mul_i32 s9, s10, 0x700
	s_wait_alu 0xfffe
	v_add_co_u32 v0, vcc_lo, v0, s9
	s_wait_alu 0xfffd
	v_add_co_ci_u32_e64 v1, null, 0, v1, vcc_lo
	s_wait_dscnt 0x0
	global_store_b8 v[0:1], v2, off
.LBB81_93:
	s_wait_alu 0xfffe
	s_or_b32 exec_lo, exec_lo, s8
	s_wait_storecnt 0x0
	s_wait_loadcnt_dscnt 0x0
	s_barrier_signal -1
	s_barrier_wait -1
	global_inv scope:SCOPE_SE
	ds_store_2addr_b64 v65, v[29:30], v[31:32] offset1:1
	ds_store_2addr_b64 v65, v[25:26], v[27:28] offset0:2 offset1:3
	ds_store_2addr_b64 v65, v[21:22], v[23:24] offset0:4 offset1:5
	;; [unrolled: 1-line block ×3, first 2 shown]
	s_wait_loadcnt_dscnt 0x0
	s_barrier_signal -1
	s_barrier_wait -1
	global_inv scope:SCOPE_SE
	ds_load_b64 v[14:15], v59 offset:2048
	ds_load_b64 v[12:13], v60 offset:4096
	ds_load_b64 v[10:11], v61 offset:6144
	ds_load_b64 v[8:9], v42 offset:8192
	ds_load_b64 v[6:7], v43 offset:10240
	ds_load_b64 v[4:5], v63 offset:12288
	ds_load_b64 v[0:1], v64 offset:14336
	v_mov_b32_e32 v42, 0
	s_delay_alu instid0(VALU_DEP_1) | instskip(NEXT) | instid1(VALU_DEP_1)
	v_lshlrev_b64_e32 v[2:3], 3, v[41:42]
	v_add_co_u32 v2, vcc_lo, s16, v2
	s_wait_alu 0xfffd
	s_delay_alu instid0(VALU_DEP_2)
	v_add_co_ci_u32_e64 v3, null, s17, v3, vcc_lo
	s_and_saveexec_b32 s8, s0
	s_cbranch_execnz .LBB81_110
; %bb.94:
	s_wait_alu 0xfffe
	s_or_b32 exec_lo, exec_lo, s8
	s_and_saveexec_b32 s0, s1
	s_cbranch_execnz .LBB81_111
.LBB81_95:
	s_or_b32 exec_lo, exec_lo, s0
	s_and_saveexec_b32 s0, s2
	s_cbranch_execnz .LBB81_112
.LBB81_96:
	s_or_b32 exec_lo, exec_lo, s0
	s_and_saveexec_b32 s0, s3
	s_cbranch_execnz .LBB81_113
.LBB81_97:
	s_or_b32 exec_lo, exec_lo, s0
	s_and_saveexec_b32 s0, s4
	s_cbranch_execnz .LBB81_114
.LBB81_98:
	s_or_b32 exec_lo, exec_lo, s0
	s_and_saveexec_b32 s0, s5
	s_cbranch_execnz .LBB81_115
.LBB81_99:
	s_or_b32 exec_lo, exec_lo, s0
	s_and_saveexec_b32 s0, s6
	s_cbranch_execnz .LBB81_116
.LBB81_100:
	s_or_b32 exec_lo, exec_lo, s0
	s_and_saveexec_b32 s0, s7
	s_cbranch_execz .LBB81_102
.LBB81_101:
	s_mul_i32 s0, s12, 0x700
	s_mov_b32 s1, 0
	s_delay_alu instid0(SALU_CYCLE_1) | instskip(NEXT) | instid1(SALU_CYCLE_1)
	s_lshl_b64 s[0:1], s[0:1], 3
	v_add_co_u32 v2, vcc_lo, v2, s0
	s_wait_alu 0xfffd
	v_add_co_ci_u32_e64 v3, null, s1, v3, vcc_lo
	s_wait_dscnt 0x0
	global_store_b64 v[2:3], v[0:1], off
.LBB81_102:
	s_nop 0
	s_sendmsg sendmsg(MSG_DEALLOC_VGPRS)
	s_endpgm
.LBB81_103:
	ds_load_u8 v9, v48
	s_wait_dscnt 0x0
	global_store_b8 v[0:1], v9, off
	s_wait_alu 0xfffe
	s_or_b32 exec_lo, exec_lo, s8
	s_and_saveexec_b32 s8, s1
	s_cbranch_execz .LBB81_86
.LBB81_104:
	s_lshl_b32 s9, s10, 8
	s_wait_alu 0xfffe
	v_add_co_u32 v9, vcc_lo, v0, s9
	s_wait_alu 0xfffd
	v_add_co_ci_u32_e64 v10, null, 0, v1, vcc_lo
	s_wait_dscnt 0x6
	global_store_b8 v[9:10], v8, off
	s_or_b32 exec_lo, exec_lo, s8
	s_and_saveexec_b32 s8, s2
	s_cbranch_execz .LBB81_87
.LBB81_105:
	s_lshl_b32 s9, s10, 9
	s_wait_dscnt 0x6
	s_wait_alu 0xfffe
	v_add_co_u32 v8, vcc_lo, v0, s9
	s_wait_alu 0xfffd
	v_add_co_ci_u32_e64 v9, null, 0, v1, vcc_lo
	s_wait_dscnt 0x5
	global_store_b8 v[8:9], v7, off
	s_or_b32 exec_lo, exec_lo, s8
	s_and_saveexec_b32 s8, s3
	s_cbranch_execz .LBB81_88
.LBB81_106:
	s_mul_i32 s9, s10, 0x300
	s_wait_dscnt 0x5
	s_wait_alu 0xfffe
	v_add_co_u32 v7, vcc_lo, v0, s9
	s_wait_alu 0xfffd
	v_add_co_ci_u32_e64 v8, null, 0, v1, vcc_lo
	s_wait_dscnt 0x4
	global_store_b8 v[7:8], v6, off
	s_or_b32 exec_lo, exec_lo, s8
	s_and_saveexec_b32 s8, s4
	s_cbranch_execz .LBB81_89
.LBB81_107:
	s_lshl_b32 s9, s10, 10
	s_wait_dscnt 0x4
	s_wait_alu 0xfffe
	v_add_co_u32 v6, vcc_lo, v0, s9
	s_wait_alu 0xfffd
	v_add_co_ci_u32_e64 v7, null, 0, v1, vcc_lo
	s_wait_dscnt 0x3
	global_store_b8 v[6:7], v5, off
	s_or_b32 exec_lo, exec_lo, s8
	s_and_saveexec_b32 s8, s5
	s_cbranch_execz .LBB81_90
.LBB81_108:
	s_mul_i32 s9, s10, 0x500
	s_wait_dscnt 0x3
	s_wait_alu 0xfffe
	v_add_co_u32 v5, vcc_lo, v0, s9
	s_wait_alu 0xfffd
	v_add_co_ci_u32_e64 v6, null, 0, v1, vcc_lo
	s_wait_dscnt 0x2
	global_store_b8 v[5:6], v4, off
	s_or_b32 exec_lo, exec_lo, s8
	s_and_saveexec_b32 s8, s6
	s_cbranch_execz .LBB81_91
.LBB81_109:
	s_mul_i32 s9, s10, 0x600
	s_wait_dscnt 0x2
	s_wait_alu 0xfffe
	v_add_co_u32 v4, vcc_lo, v0, s9
	s_wait_alu 0xfffd
	v_add_co_ci_u32_e64 v5, null, 0, v1, vcc_lo
	s_wait_dscnt 0x1
	global_store_b8 v[4:5], v3, off
	s_or_b32 exec_lo, exec_lo, s8
	s_and_saveexec_b32 s8, s7
	s_cbranch_execnz .LBB81_92
	s_branch .LBB81_93
.LBB81_110:
	ds_load_b64 v[16:17], v58
	s_wait_dscnt 0x0
	global_store_b64 v[2:3], v[16:17], off
	s_wait_alu 0xfffe
	s_or_b32 exec_lo, exec_lo, s8
	s_and_saveexec_b32 s0, s1
	s_cbranch_execz .LBB81_95
.LBB81_111:
	s_lshl_b32 s8, s12, 8
	s_mov_b32 s9, 0
	s_wait_alu 0xfffe
	s_lshl_b64 s[8:9], s[8:9], 3
	s_wait_alu 0xfffe
	v_add_co_u32 v16, vcc_lo, v2, s8
	s_wait_alu 0xfffd
	v_add_co_ci_u32_e64 v17, null, s9, v3, vcc_lo
	s_wait_dscnt 0x6
	global_store_b64 v[16:17], v[14:15], off
	s_or_b32 exec_lo, exec_lo, s0
	s_and_saveexec_b32 s0, s2
	s_cbranch_execz .LBB81_96
.LBB81_112:
	s_lshl_b32 s8, s12, 9
	s_mov_b32 s9, 0
	s_wait_alu 0xfffe
	s_lshl_b64 s[8:9], s[8:9], 3
	s_wait_dscnt 0x6
	s_wait_alu 0xfffe
	v_add_co_u32 v14, vcc_lo, v2, s8
	s_wait_alu 0xfffd
	v_add_co_ci_u32_e64 v15, null, s9, v3, vcc_lo
	s_wait_dscnt 0x5
	global_store_b64 v[14:15], v[12:13], off
	s_or_b32 exec_lo, exec_lo, s0
	s_and_saveexec_b32 s0, s3
	s_cbranch_execz .LBB81_97
.LBB81_113:
	s_mul_i32 s2, s12, 0x300
	s_mov_b32 s3, 0
	s_delay_alu instid0(SALU_CYCLE_1)
	s_lshl_b64 s[2:3], s[2:3], 3
	s_wait_dscnt 0x5
	v_add_co_u32 v12, vcc_lo, v2, s2
	s_wait_alu 0xfffd
	v_add_co_ci_u32_e64 v13, null, s3, v3, vcc_lo
	s_wait_dscnt 0x4
	global_store_b64 v[12:13], v[10:11], off
	s_or_b32 exec_lo, exec_lo, s0
	s_and_saveexec_b32 s0, s4
	s_cbranch_execz .LBB81_98
.LBB81_114:
	s_lshl_b32 s2, s12, 10
	s_mov_b32 s3, 0
	s_wait_alu 0xfffe
	s_lshl_b64 s[2:3], s[2:3], 3
	s_wait_dscnt 0x4
	s_wait_alu 0xfffe
	v_add_co_u32 v10, vcc_lo, v2, s2
	s_wait_alu 0xfffd
	v_add_co_ci_u32_e64 v11, null, s3, v3, vcc_lo
	s_wait_dscnt 0x3
	global_store_b64 v[10:11], v[8:9], off
	s_or_b32 exec_lo, exec_lo, s0
	s_and_saveexec_b32 s0, s5
	s_cbranch_execz .LBB81_99
.LBB81_115:
	s_mul_i32 s2, s12, 0x500
	s_mov_b32 s3, 0
	s_wait_alu 0xfffe
	s_lshl_b64 s[2:3], s[2:3], 3
	s_wait_dscnt 0x3
	s_wait_alu 0xfffe
	v_add_co_u32 v8, vcc_lo, v2, s2
	s_wait_alu 0xfffd
	v_add_co_ci_u32_e64 v9, null, s3, v3, vcc_lo
	s_wait_dscnt 0x2
	global_store_b64 v[8:9], v[6:7], off
	s_or_b32 exec_lo, exec_lo, s0
	s_and_saveexec_b32 s0, s6
	s_cbranch_execz .LBB81_100
.LBB81_116:
	s_mul_i32 s2, s12, 0x600
	s_mov_b32 s3, 0
	s_wait_alu 0xfffe
	s_lshl_b64 s[2:3], s[2:3], 3
	s_wait_dscnt 0x2
	s_wait_alu 0xfffe
	v_add_co_u32 v6, vcc_lo, v2, s2
	s_wait_alu 0xfffd
	v_add_co_ci_u32_e64 v7, null, s3, v3, vcc_lo
	s_wait_dscnt 0x1
	global_store_b64 v[6:7], v[4:5], off
	s_or_b32 exec_lo, exec_lo, s0
	s_and_saveexec_b32 s0, s7
	s_cbranch_execnz .LBB81_101
	s_branch .LBB81_102
	.section	.rodata,"a",@progbits
	.p2align	6, 0x0
	.amdhsa_kernel _ZN2at6native18radixSortKVInPlaceILin2ELin1ELi256ELi8EhljEEvNS_4cuda6detail10TensorInfoIT3_T5_EES6_S6_S6_NS4_IT4_S6_EES6_b
		.amdhsa_group_segment_fixed_size 16896
		.amdhsa_private_segment_fixed_size 0
		.amdhsa_kernarg_size 712
		.amdhsa_user_sgpr_count 2
		.amdhsa_user_sgpr_dispatch_ptr 0
		.amdhsa_user_sgpr_queue_ptr 0
		.amdhsa_user_sgpr_kernarg_segment_ptr 1
		.amdhsa_user_sgpr_dispatch_id 0
		.amdhsa_user_sgpr_private_segment_size 0
		.amdhsa_wavefront_size32 1
		.amdhsa_uses_dynamic_stack 0
		.amdhsa_enable_private_segment 0
		.amdhsa_system_sgpr_workgroup_id_x 1
		.amdhsa_system_sgpr_workgroup_id_y 1
		.amdhsa_system_sgpr_workgroup_id_z 1
		.amdhsa_system_sgpr_workgroup_info 0
		.amdhsa_system_vgpr_workitem_id 2
		.amdhsa_next_free_vgpr 105
		.amdhsa_next_free_sgpr 24
		.amdhsa_reserve_vcc 1
		.amdhsa_float_round_mode_32 0
		.amdhsa_float_round_mode_16_64 0
		.amdhsa_float_denorm_mode_32 3
		.amdhsa_float_denorm_mode_16_64 3
		.amdhsa_fp16_overflow 0
		.amdhsa_workgroup_processor_mode 1
		.amdhsa_memory_ordered 1
		.amdhsa_forward_progress 1
		.amdhsa_inst_pref_size 100
		.amdhsa_round_robin_scheduling 0
		.amdhsa_exception_fp_ieee_invalid_op 0
		.amdhsa_exception_fp_denorm_src 0
		.amdhsa_exception_fp_ieee_div_zero 0
		.amdhsa_exception_fp_ieee_overflow 0
		.amdhsa_exception_fp_ieee_underflow 0
		.amdhsa_exception_fp_ieee_inexact 0
		.amdhsa_exception_int_div_zero 0
	.end_amdhsa_kernel
	.section	.text._ZN2at6native18radixSortKVInPlaceILin2ELin1ELi256ELi8EhljEEvNS_4cuda6detail10TensorInfoIT3_T5_EES6_S6_S6_NS4_IT4_S6_EES6_b,"axG",@progbits,_ZN2at6native18radixSortKVInPlaceILin2ELin1ELi256ELi8EhljEEvNS_4cuda6detail10TensorInfoIT3_T5_EES6_S6_S6_NS4_IT4_S6_EES6_b,comdat
.Lfunc_end81:
	.size	_ZN2at6native18radixSortKVInPlaceILin2ELin1ELi256ELi8EhljEEvNS_4cuda6detail10TensorInfoIT3_T5_EES6_S6_S6_NS4_IT4_S6_EES6_b, .Lfunc_end81-_ZN2at6native18radixSortKVInPlaceILin2ELin1ELi256ELi8EhljEEvNS_4cuda6detail10TensorInfoIT3_T5_EES6_S6_S6_NS4_IT4_S6_EES6_b
                                        ; -- End function
	.set _ZN2at6native18radixSortKVInPlaceILin2ELin1ELi256ELi8EhljEEvNS_4cuda6detail10TensorInfoIT3_T5_EES6_S6_S6_NS4_IT4_S6_EES6_b.num_vgpr, 105
	.set _ZN2at6native18radixSortKVInPlaceILin2ELin1ELi256ELi8EhljEEvNS_4cuda6detail10TensorInfoIT3_T5_EES6_S6_S6_NS4_IT4_S6_EES6_b.num_agpr, 0
	.set _ZN2at6native18radixSortKVInPlaceILin2ELin1ELi256ELi8EhljEEvNS_4cuda6detail10TensorInfoIT3_T5_EES6_S6_S6_NS4_IT4_S6_EES6_b.numbered_sgpr, 24
	.set _ZN2at6native18radixSortKVInPlaceILin2ELin1ELi256ELi8EhljEEvNS_4cuda6detail10TensorInfoIT3_T5_EES6_S6_S6_NS4_IT4_S6_EES6_b.num_named_barrier, 0
	.set _ZN2at6native18radixSortKVInPlaceILin2ELin1ELi256ELi8EhljEEvNS_4cuda6detail10TensorInfoIT3_T5_EES6_S6_S6_NS4_IT4_S6_EES6_b.private_seg_size, 0
	.set _ZN2at6native18radixSortKVInPlaceILin2ELin1ELi256ELi8EhljEEvNS_4cuda6detail10TensorInfoIT3_T5_EES6_S6_S6_NS4_IT4_S6_EES6_b.uses_vcc, 1
	.set _ZN2at6native18radixSortKVInPlaceILin2ELin1ELi256ELi8EhljEEvNS_4cuda6detail10TensorInfoIT3_T5_EES6_S6_S6_NS4_IT4_S6_EES6_b.uses_flat_scratch, 0
	.set _ZN2at6native18radixSortKVInPlaceILin2ELin1ELi256ELi8EhljEEvNS_4cuda6detail10TensorInfoIT3_T5_EES6_S6_S6_NS4_IT4_S6_EES6_b.has_dyn_sized_stack, 0
	.set _ZN2at6native18radixSortKVInPlaceILin2ELin1ELi256ELi8EhljEEvNS_4cuda6detail10TensorInfoIT3_T5_EES6_S6_S6_NS4_IT4_S6_EES6_b.has_recursion, 0
	.set _ZN2at6native18radixSortKVInPlaceILin2ELin1ELi256ELi8EhljEEvNS_4cuda6detail10TensorInfoIT3_T5_EES6_S6_S6_NS4_IT4_S6_EES6_b.has_indirect_call, 0
	.section	.AMDGPU.csdata,"",@progbits
; Kernel info:
; codeLenInByte = 12700
; TotalNumSgprs: 26
; NumVgprs: 105
; ScratchSize: 0
; MemoryBound: 0
; FloatMode: 240
; IeeeMode: 1
; LDSByteSize: 16896 bytes/workgroup (compile time only)
; SGPRBlocks: 0
; VGPRBlocks: 13
; NumSGPRsForWavesPerEU: 26
; NumVGPRsForWavesPerEU: 105
; Occupancy: 12
; WaveLimiterHint : 1
; COMPUTE_PGM_RSRC2:SCRATCH_EN: 0
; COMPUTE_PGM_RSRC2:USER_SGPR: 2
; COMPUTE_PGM_RSRC2:TRAP_HANDLER: 0
; COMPUTE_PGM_RSRC2:TGID_X_EN: 1
; COMPUTE_PGM_RSRC2:TGID_Y_EN: 1
; COMPUTE_PGM_RSRC2:TGID_Z_EN: 1
; COMPUTE_PGM_RSRC2:TIDIG_COMP_CNT: 2
	.section	.text._ZN2at6native18radixSortKVInPlaceILin2ELin1ELi128ELi8EhljEEvNS_4cuda6detail10TensorInfoIT3_T5_EES6_S6_S6_NS4_IT4_S6_EES6_b,"axG",@progbits,_ZN2at6native18radixSortKVInPlaceILin2ELin1ELi128ELi8EhljEEvNS_4cuda6detail10TensorInfoIT3_T5_EES6_S6_S6_NS4_IT4_S6_EES6_b,comdat
	.protected	_ZN2at6native18radixSortKVInPlaceILin2ELin1ELi128ELi8EhljEEvNS_4cuda6detail10TensorInfoIT3_T5_EES6_S6_S6_NS4_IT4_S6_EES6_b ; -- Begin function _ZN2at6native18radixSortKVInPlaceILin2ELin1ELi128ELi8EhljEEvNS_4cuda6detail10TensorInfoIT3_T5_EES6_S6_S6_NS4_IT4_S6_EES6_b
	.globl	_ZN2at6native18radixSortKVInPlaceILin2ELin1ELi128ELi8EhljEEvNS_4cuda6detail10TensorInfoIT3_T5_EES6_S6_S6_NS4_IT4_S6_EES6_b
	.p2align	8
	.type	_ZN2at6native18radixSortKVInPlaceILin2ELin1ELi128ELi8EhljEEvNS_4cuda6detail10TensorInfoIT3_T5_EES6_S6_S6_NS4_IT4_S6_EES6_b,@function
_ZN2at6native18radixSortKVInPlaceILin2ELin1ELi128ELi8EhljEEvNS_4cuda6detail10TensorInfoIT3_T5_EES6_S6_S6_NS4_IT4_S6_EES6_b: ; @_ZN2at6native18radixSortKVInPlaceILin2ELin1ELi128ELi8EhljEEvNS_4cuda6detail10TensorInfoIT3_T5_EES6_S6_S6_NS4_IT4_S6_EES6_b
; %bb.0:
	s_clause 0x1
	s_load_b64 s[2:3], s[0:1], 0x1c8
	s_load_b96 s[8:10], s[0:1], 0xd8
	s_lshr_b32 s4, ttmp7, 16
	s_wait_kmcnt 0x0
	s_mul_i32 s3, s3, s4
	s_and_b32 s4, ttmp7, 0xffff
	s_delay_alu instid0(SALU_CYCLE_1) | instskip(NEXT) | instid1(SALU_CYCLE_1)
	s_add_co_i32 s3, s3, s4
	s_mul_i32 s4, s3, s2
	s_delay_alu instid0(SALU_CYCLE_1) | instskip(NEXT) | instid1(SALU_CYCLE_1)
	s_add_co_i32 s4, s4, ttmp9
	s_cmp_ge_u32 s4, s8
	s_cbranch_scc1 .LBB82_102
; %bb.1:
	s_load_b32 s2, s[0:1], 0x1b8
	s_add_nc_u64 s[20:21], s[0:1], 0xe8
	s_mov_b32 s17, 0
	s_mov_b32 s11, s4
	s_wait_kmcnt 0x0
	s_cmp_lt_i32 s2, 2
	s_cbranch_scc1 .LBB82_4
; %bb.2:
	s_add_co_i32 s16, s2, -1
	s_add_co_i32 s5, s2, 1
	s_lshl_b64 s[6:7], s[16:17], 2
	s_mov_b32 s11, s4
	s_add_nc_u64 s[6:7], s[20:21], s[6:7]
	s_delay_alu instid0(SALU_CYCLE_1)
	s_add_nc_u64 s[2:3], s[6:7], 8
.LBB82_3:                               ; =>This Inner Loop Header: Depth=1
	s_clause 0x1
	s_load_b32 s6, s[2:3], 0x0
	s_load_b32 s7, s[2:3], 0x64
	s_mov_b32 s13, s11
	s_add_nc_u64 s[2:3], s[2:3], -4
	s_wait_kmcnt 0x0
	s_cvt_f32_u32 s8, s6
	s_sub_co_i32 s12, 0, s6
	s_wait_alu 0xfffe
	s_delay_alu instid0(SALU_CYCLE_1) | instskip(NEXT) | instid1(TRANS32_DEP_1)
	v_rcp_iflag_f32_e32 v1, s8
	v_readfirstlane_b32 s8, v1
	s_mul_f32 s8, s8, 0x4f7ffffe
	s_wait_alu 0xfffe
	s_delay_alu instid0(SALU_CYCLE_2) | instskip(SKIP_1) | instid1(SALU_CYCLE_2)
	s_cvt_u32_f32 s8, s8
	s_wait_alu 0xfffe
	s_mul_i32 s12, s12, s8
	s_delay_alu instid0(SALU_CYCLE_1) | instskip(NEXT) | instid1(SALU_CYCLE_1)
	s_mul_hi_u32 s12, s8, s12
	s_add_co_i32 s8, s8, s12
	s_wait_alu 0xfffe
	s_mul_hi_u32 s8, s11, s8
	s_wait_alu 0xfffe
	s_mul_i32 s11, s8, s6
	s_add_co_i32 s12, s8, 1
	s_sub_co_i32 s11, s13, s11
	s_delay_alu instid0(SALU_CYCLE_1)
	s_sub_co_i32 s14, s11, s6
	s_cmp_ge_u32 s11, s6
	s_cselect_b32 s8, s12, s8
	s_cselect_b32 s11, s14, s11
	s_wait_alu 0xfffe
	s_add_co_i32 s12, s8, 1
	s_cmp_ge_u32 s11, s6
	s_cselect_b32 s11, s12, s8
	s_add_co_i32 s5, s5, -1
	s_mul_i32 s6, s11, s6
	s_delay_alu instid0(SALU_CYCLE_1) | instskip(NEXT) | instid1(SALU_CYCLE_1)
	s_sub_co_i32 s6, s13, s6
	s_mul_i32 s6, s7, s6
	s_delay_alu instid0(SALU_CYCLE_1)
	s_add_co_i32 s17, s6, s17
	s_cmp_gt_u32 s5, 2
	s_cbranch_scc1 .LBB82_3
.LBB82_4:
	s_clause 0x2
	s_load_b64 s[12:13], s[0:1], 0x1c0
	s_load_b64 s[2:3], s[0:1], 0x0
	s_load_b32 s5, s[0:1], 0x6c
	s_add_nc_u64 s[18:19], s[0:1], 0x1c8
	v_and_b32_e32 v44, 0x3ff, v0
	s_delay_alu instid0(VALU_DEP_1)
	v_mul_lo_u32 v47, s10, v44
	s_wait_kmcnt 0x0
	s_bitcmp1_b32 s13, 0
	s_mul_i32 s4, s5, s4
	s_cselect_b32 s0, -1, 0
	s_mov_b32 s5, 0
	s_xor_b32 s8, s0, -1
	v_cmp_gt_u32_e64 s0, s9, v44
	s_wait_alu 0xfffe
	v_cndmask_b32_e64 v1, 0, -1, s8
	v_cndmask_b32_e64 v3, 0, -1, s8
	s_add_nc_u64 s[14:15], s[2:3], s[4:5]
	s_delay_alu instid0(VALU_DEP_2) | instskip(SKIP_1) | instid1(VALU_DEP_1)
	v_lshlrev_b32_e32 v2, 8, v1
	v_and_b32_e32 v1, 0xff, v1
	v_or_b32_e32 v1, v1, v2
	s_delay_alu instid0(VALU_DEP_1) | instskip(SKIP_1) | instid1(VALU_DEP_1)
	v_and_b32_e32 v2, 0xffff, v1
	v_lshlrev_b32_e32 v1, 16, v1
	v_or_b32_e32 v1, v2, v1
	s_delay_alu instid0(VALU_DEP_1)
	v_mov_b32_e32 v2, v1
	s_and_saveexec_b32 s1, s0
	s_cbranch_execz .LBB82_6
; %bb.5:
	global_load_u8 v3, v47, s[14:15]
	v_mov_b32_e32 v5, v1
	s_wait_loadcnt 0x0
	v_perm_b32 v4, v3, v1, 0x3020104
	s_delay_alu instid0(VALU_DEP_1)
	v_dual_mov_b32 v1, v4 :: v_dual_mov_b32 v2, v5
.LBB82_6:
	s_or_b32 exec_lo, exec_lo, s1
	v_add_nc_u32_e32 v28, 0x80, v44
	s_delay_alu instid0(VALU_DEP_1)
	v_cmp_gt_u32_e64 s1, s9, v28
	s_and_saveexec_b32 s2, s1
	s_cbranch_execz .LBB82_8
; %bb.7:
	v_mul_lo_u32 v4, s10, v28
	global_load_u8 v4, v4, s[14:15]
	s_wait_loadcnt 0x0
	v_perm_b32 v1, v1, v4, 0x7060004
.LBB82_8:
	s_or_b32 exec_lo, exec_lo, s2
	v_add_nc_u32_e32 v24, 0x100, v44
	s_delay_alu instid0(VALU_DEP_1)
	v_cmp_gt_u32_e64 s2, s9, v24
	s_and_saveexec_b32 s3, s2
	s_cbranch_execz .LBB82_10
; %bb.9:
	v_mul_lo_u32 v4, s10, v24
	global_load_u8 v4, v4, s[14:15]
	s_wait_loadcnt 0x0
	v_perm_b32 v4, v4, v1, 0xc0c0304
	s_delay_alu instid0(VALU_DEP_1) | instskip(NEXT) | instid1(VALU_DEP_1)
	v_lshlrev_b32_e32 v4, 16, v4
	v_and_or_b32 v1, 0xffff, v1, v4
.LBB82_10:
	s_or_b32 exec_lo, exec_lo, s3
	v_add_nc_u32_e32 v21, 0x180, v44
	s_delay_alu instid0(VALU_DEP_1)
	v_cmp_gt_u32_e64 s3, s9, v21
	s_and_saveexec_b32 s4, s3
	s_cbranch_execz .LBB82_12
; %bb.11:
	v_mul_lo_u32 v4, s10, v21
	global_load_u8 v4, v4, s[14:15]
	s_wait_loadcnt 0x0
	v_perm_b32 v4, v1, v4, 0xc0c0006
	s_delay_alu instid0(VALU_DEP_1) | instskip(NEXT) | instid1(VALU_DEP_1)
	v_lshlrev_b32_e32 v4, 16, v4
	v_and_or_b32 v1, 0xffff, v1, v4
.LBB82_12:
	s_or_b32 exec_lo, exec_lo, s4
	v_add_nc_u32_e32 v19, 0x200, v44
	s_delay_alu instid0(VALU_DEP_1)
	v_cmp_gt_u32_e64 s4, s9, v19
	s_and_saveexec_b32 s5, s4
	s_cbranch_execz .LBB82_14
; %bb.13:
	v_mul_lo_u32 v4, s10, v19
	global_load_u8 v4, v4, s[14:15]
	s_wait_loadcnt 0x0
	v_perm_b32 v2, v4, v2, 0x3020104
.LBB82_14:
	s_or_b32 exec_lo, exec_lo, s5
	v_add_nc_u32_e32 v17, 0x280, v44
	s_delay_alu instid0(VALU_DEP_1)
	v_cmp_gt_u32_e64 s5, s9, v17
	s_and_saveexec_b32 s6, s5
	s_cbranch_execz .LBB82_16
; %bb.15:
	v_mul_lo_u32 v4, s10, v17
	global_load_u8 v4, v4, s[14:15]
	s_wait_loadcnt 0x0
	v_perm_b32 v2, v2, v4, 0x7060004
.LBB82_16:
	s_or_b32 exec_lo, exec_lo, s6
	v_add_nc_u32_e32 v16, 0x300, v44
	s_delay_alu instid0(VALU_DEP_1)
	v_cmp_gt_u32_e64 s6, s9, v16
	s_and_saveexec_b32 s7, s6
	s_cbranch_execz .LBB82_18
; %bb.17:
	v_mul_lo_u32 v4, s10, v16
	global_load_u8 v4, v4, s[14:15]
	s_wait_loadcnt 0x0
	v_perm_b32 v2, v2, v4, 0x7000504
.LBB82_18:
	s_or_b32 exec_lo, exec_lo, s7
	s_clause 0x1
	s_load_b32 s13, s[20:21], 0x6c
	s_load_b64 s[20:21], s[20:21], 0x0
	v_add_nc_u32_e32 v15, 0x380, v44
	s_delay_alu instid0(VALU_DEP_1)
	v_cmp_gt_u32_e64 s7, s9, v15
	s_and_saveexec_b32 s9, s7
	s_cbranch_execz .LBB82_20
; %bb.19:
	v_mul_lo_u32 v4, s10, v15
	global_load_u8 v4, v4, s[14:15]
	s_wait_loadcnt 0x0
	v_perm_b32 v2, v2, v4, 0x60504
.LBB82_20:
	s_wait_alu 0xfffe
	s_or_b32 exec_lo, exec_lo, s9
	v_lshrrev_b32_e32 v62, 5, v44
	v_lshrrev_b32_e32 v18, 5, v28
	;; [unrolled: 1-line block ×5, first 2 shown]
	s_delay_alu instid0(VALU_DEP_4) | instskip(SKIP_4) | instid1(VALU_DEP_4)
	v_dual_mov_b32 v42, 0 :: v_dual_and_b32 v5, 60, v18
	v_and_b32_e32 v4, 28, v62
	v_and_b32_e32 v7, 60, v23
	v_lshrrev_b32_e32 v22, 5, v21
	v_lshrrev_b32_e32 v29, 2, v44
	v_dual_mov_b32 v43, v42 :: v_dual_add_nc_u32 v48, v4, v44
	v_dual_mov_b32 v11, v42 :: v_dual_and_b32 v4, 60, v20
	v_mov_b32_e32 v12, v42
	v_add_nc_u32_e32 v52, v7, v44
	v_and_b32_e32 v7, 60, v26
	s_delay_alu instid0(VALU_DEP_4)
	v_add_nc_u32_e32 v50, v4, v44
	v_and_b32_e32 v4, 60, v22
	v_lshrrev_b32_e32 v25, 5, v17
	v_lshrrev_b32_e32 v27, 5, v15
	v_dual_mov_b32 v13, 0 :: v_dual_add_nc_u32 v54, v7, v44
	v_lshlrev_b32_e32 v57, 3, v44
	v_and_b32_e32 v7, 0xfc, v29
	v_add_nc_u32_e32 v51, v4, v44
	v_and_b32_e32 v4, 60, v25
	v_and_b32_e32 v9, 60, v27
	v_lshrrev_b32_e32 v6, 8, v1
	v_add_nc_u32_e32 v56, v7, v57
	v_dual_mov_b32 v10, v42 :: v_dual_add_nc_u32 v49, v5, v44
	v_lshrrev_b32_e32 v5, 24, v1
	v_lshrrev_b32_e32 v8, 8, v2
	v_dual_mov_b32 v14, 0 :: v_dual_add_nc_u32 v53, v4, v44
	v_lshrrev_b32_e32 v4, 24, v2
	v_add_nc_u32_e32 v55, v9, v44
	v_mov_b32_e32 v9, v42
	v_mov_b32_e32 v7, v42
	ds_store_b8 v48, v3
	ds_store_b8 v49, v6 offset:128
	ds_store_b8_d16_hi v50, v1 offset:256
	ds_store_b8 v51, v5 offset:384
	ds_store_b8 v52, v2 offset:512
	;; [unrolled: 1-line block ×3, first 2 shown]
	ds_store_b8_d16_hi v54, v2 offset:768
	ds_store_b8 v55, v4 offset:896
	s_wait_dscnt 0x0
	s_barrier_signal -1
	s_barrier_wait -1
	global_inv scope:SCOPE_SE
	ds_load_2addr_b32 v[45:46], v56 offset1:1
	s_wait_kmcnt 0x0
	s_mul_i32 s9, s13, s11
	v_mul_lo_u32 v41, s12, v44
	s_mov_b32 s23, 0
	s_wait_alu 0xfffe
	s_add_co_i32 s22, s9, s17
	v_dual_mov_b32 v1, v42 :: v_dual_mov_b32 v2, v42
	v_dual_mov_b32 v3, v42 :: v_dual_mov_b32 v4, v42
	;; [unrolled: 1-line block ×3, first 2 shown]
	v_mov_b32_e32 v8, v42
	s_lshl_b64 s[16:17], s[22:23], 3
	s_wait_loadcnt_dscnt 0x0
	s_add_nc_u64 s[16:17], s[20:21], s[16:17]
	s_barrier_signal -1
	s_barrier_wait -1
	global_inv scope:SCOPE_SE
	s_and_saveexec_b32 s9, s0
	s_cbranch_execnz .LBB82_53
; %bb.21:
	s_wait_alu 0xfffe
	s_or_b32 exec_lo, exec_lo, s9
	s_and_saveexec_b32 s9, s1
	s_cbranch_execnz .LBB82_54
.LBB82_22:
	s_wait_alu 0xfffe
	s_or_b32 exec_lo, exec_lo, s9
	s_and_saveexec_b32 s9, s2
	s_cbranch_execnz .LBB82_55
.LBB82_23:
	s_wait_alu 0xfffe
	s_or_b32 exec_lo, exec_lo, s9
	s_and_saveexec_b32 s9, s3
	s_cbranch_execnz .LBB82_56
.LBB82_24:
	s_wait_alu 0xfffe
	s_or_b32 exec_lo, exec_lo, s9
	s_and_saveexec_b32 s9, s4
	s_cbranch_execnz .LBB82_57
.LBB82_25:
	s_wait_alu 0xfffe
	s_or_b32 exec_lo, exec_lo, s9
	s_and_saveexec_b32 s9, s5
	s_cbranch_execnz .LBB82_58
.LBB82_26:
	s_wait_alu 0xfffe
	s_or_b32 exec_lo, exec_lo, s9
	s_and_saveexec_b32 s9, s6
	s_cbranch_execnz .LBB82_59
.LBB82_27:
	s_wait_alu 0xfffe
	s_or_b32 exec_lo, exec_lo, s9
	s_and_saveexec_b32 s9, s7
	s_cbranch_execz .LBB82_29
.LBB82_28:
	v_mul_lo_u32 v7, s12, v15
	v_mov_b32_e32 v8, 0
	s_delay_alu instid0(VALU_DEP_1) | instskip(NEXT) | instid1(VALU_DEP_1)
	v_lshlrev_b64_e32 v[7:8], 3, v[7:8]
	v_add_co_u32 v7, vcc_lo, s16, v7
	s_wait_alu 0xfffd
	s_delay_alu instid0(VALU_DEP_2)
	v_add_co_ci_u32_e64 v8, null, s17, v8, vcc_lo
	global_load_b64 v[7:8], v[7:8], off
.LBB82_29:
	s_wait_alu 0xfffe
	s_or_b32 exec_lo, exec_lo, s9
	v_lshl_add_u32 v58, v62, 3, v57
	v_lshl_add_u32 v59, v18, 3, v57
	;; [unrolled: 1-line block ×5, first 2 shown]
	s_wait_loadcnt 0x0
	ds_store_b64 v58, v[13:14]
	ds_store_b64 v59, v[42:43] offset:1024
	ds_store_b64 v60, v[9:10] offset:2048
	;; [unrolled: 1-line block ×3, first 2 shown]
	v_lshlrev_b32_e32 v9, 3, v57
	v_lshl_add_u32 v42, v23, 3, v57
	v_lshl_add_u32 v43, v25, 3, v57
	;; [unrolled: 1-line block ×3, first 2 shown]
	ds_store_b64 v42, v[1:2] offset:4096
	ds_store_b64 v43, v[3:4] offset:5120
	;; [unrolled: 1-line block ×4, first 2 shown]
	v_lshl_add_u32 v65, v29, 3, v9
	s_wait_dscnt 0x0
	s_barrier_signal -1
	s_barrier_wait -1
	global_inv scope:SCOPE_SE
	ds_load_2addr_b64 v[13:16], v65 offset1:1
	ds_load_2addr_b64 v[9:12], v65 offset0:2 offset1:3
	ds_load_2addr_b64 v[5:8], v65 offset0:4 offset1:5
	ds_load_2addr_b64 v[1:4], v65 offset0:6 offset1:7
	v_bfe_u32 v69, v0, 10, 10
	v_bfe_u32 v70, v0, 20, 10
	v_mbcnt_lo_u32_b32 v67, -1, 0
	v_and_b32_e32 v68, 0x3e0, v44
	v_lshlrev_b32_e32 v66, 2, v57
	s_and_b32 vcc_lo, exec_lo, s8
	s_wait_loadcnt_dscnt 0x0
	s_barrier_signal -1
	s_barrier_wait -1
	global_inv scope:SCOPE_SE
	s_wait_alu 0xfffe
	s_cbranch_vccz .LBB82_60
; %bb.30:
	s_getpc_b64 s[8:9]
	s_wait_alu 0xfffe
	s_sext_i32_i16 s9, s9
	s_add_co_u32 s8, s8, _ZN7rocprim17ROCPRIM_400000_NS16block_radix_sortIhLj128ELj8ElLj1ELj1ELj0ELNS0_26block_radix_rank_algorithmE1ELNS0_18block_padding_hintE2ELNS0_4arch9wavefront6targetE0EE19radix_bits_per_passE@rel32@lo+12
	s_wait_alu 0xfffe
	s_add_co_ci_u32 s9, s9, _ZN7rocprim17ROCPRIM_400000_NS16block_radix_sortIhLj128ELj8ElLj1ELj1ELj0ELNS0_26block_radix_rank_algorithmE1ELNS0_18block_padding_hintE2ELNS0_4arch9wavefront6targetE0EE19radix_bits_per_passE@rel32@hi+24
	v_or_b32_e32 v17, v67, v68
	s_load_b32 s8, s[8:9], 0x0
	s_mov_b32 s20, 0
	v_and_or_b32 v18, 0x1f00, v57, v67
	s_mov_b32 s21, s20
	s_mov_b32 s22, s20
	;; [unrolled: 1-line block ×3, first 2 shown]
	v_lshlrev_b32_e32 v19, 3, v17
	v_mad_u32_u24 v29, v18, 7, v18
	ds_store_b64 v19, v[45:46]
	; wave barrier
	ds_load_u8 v0, v18
	ds_load_u8 v71, v18 offset:32
	ds_load_u8 v72, v18 offset:64
	;; [unrolled: 1-line block ×7, first 2 shown]
	v_mad_u32_u24 v17, v17, 56, v19
	s_wait_loadcnt_dscnt 0x0
	s_barrier_signal -1
	s_barrier_wait -1
	global_inv scope:SCOPE_SE
	s_wait_kmcnt 0x0
	s_min_u32 s8, s8, 8
	ds_store_b128 v17, v[13:16]
	ds_store_b128 v17, v[9:12] offset:16
	s_wait_alu 0xfffe
	s_lshl_b32 s8, -1, s8
	ds_store_b128 v17, v[5:8] offset:32
	ds_store_b128 v17, v[1:4] offset:48
	s_wait_alu 0xfffe
	s_not_b32 s9, s8
	; wave barrier
	s_wait_alu 0xfffe
	v_and_b32_e32 v39, s9, v0
	ds_load_2addr_b64 v[25:28], v29 offset1:32
	ds_load_2addr_b64 v[21:24], v29 offset0:64 offset1:96
	ds_load_2addr_b64 v[17:20], v29 offset0:128 offset1:160
	ds_load_2addr_b64 v[29:32], v29 offset0:192 offset1:224
	s_wait_loadcnt_dscnt 0x0
	s_barrier_signal -1
	v_and_b32_e32 v33, 1, v39
	v_lshlrev_b32_e32 v34, 30, v39
	v_lshlrev_b32_e32 v36, 29, v39
	;; [unrolled: 1-line block ×3, first 2 shown]
	s_barrier_wait -1
	v_add_co_u32 v33, s8, v33, -1
	s_wait_alu 0xf1ff
	v_cndmask_b32_e64 v35, 0, 1, s8
	v_not_b32_e32 v37, v34
	v_cmp_gt_i32_e64 s8, 0, v34
	v_not_b32_e32 v34, v36
	global_inv scope:SCOPE_SE
	v_cmp_ne_u32_e32 vcc_lo, 0, v35
	v_ashrrev_i32_e32 v35, 31, v37
	v_lshlrev_b32_e32 v37, 28, v39
	v_ashrrev_i32_e32 v34, 31, v34
	s_wait_alu 0xfffd
	v_xor_b32_e32 v33, vcc_lo, v33
	v_cmp_gt_i32_e32 vcc_lo, 0, v36
	s_wait_alu 0xf1ff
	v_xor_b32_e32 v35, s8, v35
	v_not_b32_e32 v36, v37
	s_load_b32 s8, s[18:19], 0xc
	v_and_b32_e32 v33, exec_lo, v33
	v_xor_b32_e32 v34, vcc_lo, v34
	v_cmp_gt_i32_e32 vcc_lo, 0, v37
	v_lshlrev_b32_e32 v37, 26, v39
	s_delay_alu instid0(VALU_DEP_4) | instskip(SKIP_2) | instid1(VALU_DEP_3)
	v_and_b32_e32 v33, v33, v35
	v_ashrrev_i32_e32 v35, 31, v36
	v_not_b32_e32 v36, v38
	v_and_b32_e32 v33, v33, v34
	s_wait_alu 0xfffd
	s_delay_alu instid0(VALU_DEP_3) | instskip(SKIP_3) | instid1(VALU_DEP_4)
	v_xor_b32_e32 v34, vcc_lo, v35
	v_cmp_gt_i32_e32 vcc_lo, 0, v38
	v_ashrrev_i32_e32 v35, 31, v36
	v_not_b32_e32 v36, v37
	v_and_b32_e32 v33, v33, v34
	v_lshlrev_b32_e32 v34, 25, v39
	s_wait_alu 0xfffd
	v_xor_b32_e32 v35, vcc_lo, v35
	v_cmp_gt_i32_e32 vcc_lo, 0, v37
	v_ashrrev_i32_e32 v36, 31, v36
	s_wait_kmcnt 0x0
	s_lshr_b32 s11, s8, 16
	v_not_b32_e32 v37, v34
	v_and_b32_e32 v33, v33, v35
	v_lshlrev_b32_e32 v35, 24, v39
	s_wait_alu 0xfffd
	v_xor_b32_e32 v36, vcc_lo, v36
	v_cmp_gt_i32_e32 vcc_lo, 0, v34
	v_ashrrev_i32_e32 v34, 31, v37
	s_wait_alu 0xfffe
	v_mad_u32_u24 v38, v70, s11, v69
	v_not_b32_e32 v37, v35
	v_and_b32_e32 v36, v33, v36
	s_and_b32 s8, s8, 0xffff
	s_wait_alu 0xfffd
	v_xor_b32_e32 v40, vcc_lo, v34
	v_cmp_gt_i32_e32 vcc_lo, 0, v35
	v_ashrrev_i32_e32 v35, 31, v37
	s_wait_alu 0xfffe
	v_mad_co_u64_u32 v[33:34], null, v38, s8, v[44:45]
	v_and_b32_e32 v34, v36, v40
	s_wait_alu 0xfffd
	v_xor_b32_e32 v40, vcc_lo, v35
	v_dual_mov_b32 v38, s23 :: v_dual_mov_b32 v37, s22
	v_dual_mov_b32 v36, s21 :: v_dual_mov_b32 v35, s20
	s_delay_alu instid0(VALU_DEP_3)
	v_and_b32_e32 v34, v34, v40
	v_and_b32_e32 v39, 0xff, v39
	v_lshrrev_b32_e32 v33, 3, v33
	ds_store_b128 v66, v[35:38] offset:16
	ds_store_b128 v66, v[35:38] offset:32
	v_mbcnt_lo_u32_b32 v78, v34, 0
	v_lshlrev_b32_e32 v35, 4, v39
	v_and_b32_e32 v33, 0x1ffffffc, v33
	v_cmp_ne_u32_e64 s8, 0, v34
	s_wait_loadcnt_dscnt 0x0
	v_cmp_eq_u32_e32 vcc_lo, 0, v78
	s_barrier_signal -1
	v_add_nc_u32_e32 v79, v33, v35
	s_barrier_wait -1
	global_inv scope:SCOPE_SE
	s_and_b32 s11, s8, vcc_lo
	; wave barrier
	s_wait_alu 0xfffe
	s_and_saveexec_b32 s8, s11
; %bb.31:
	v_bcnt_u32_b32 v34, v34, 0
	ds_store_b32 v79, v34 offset:16
; %bb.32:
	s_wait_alu 0xfffe
	s_or_b32 exec_lo, exec_lo, s8
	v_and_b32_e32 v34, s9, v71
	; wave barrier
	s_delay_alu instid0(VALU_DEP_1)
	v_and_b32_e32 v36, 1, v34
	v_lshlrev_b32_e32 v37, 30, v34
	v_lshlrev_b32_e32 v38, 29, v34
	;; [unrolled: 1-line block ×4, first 2 shown]
	v_add_co_u32 v36, s8, v36, -1
	s_wait_alu 0xf1ff
	v_cndmask_b32_e64 v40, 0, 1, s8
	v_not_b32_e32 v83, v37
	v_cmp_gt_i32_e64 s8, 0, v37
	v_not_b32_e32 v37, v38
	v_lshlrev_b32_e32 v81, 26, v34
	v_cmp_ne_u32_e32 vcc_lo, 0, v40
	v_ashrrev_i32_e32 v40, 31, v83
	v_lshlrev_b32_e32 v82, 25, v34
	v_ashrrev_i32_e32 v37, 31, v37
	v_and_b32_e32 v35, 0xff, v34
	s_wait_alu 0xfffd
	v_xor_b32_e32 v36, vcc_lo, v36
	v_cmp_gt_i32_e32 vcc_lo, 0, v38
	v_not_b32_e32 v38, v39
	s_wait_alu 0xf1ff
	v_xor_b32_e32 v40, s8, v40
	v_cmp_gt_i32_e64 s8, 0, v39
	v_and_b32_e32 v36, exec_lo, v36
	v_not_b32_e32 v39, v80
	v_ashrrev_i32_e32 v38, 31, v38
	s_wait_alu 0xfffd
	v_xor_b32_e32 v37, vcc_lo, v37
	v_cmp_gt_i32_e32 vcc_lo, 0, v80
	v_and_b32_e32 v36, v36, v40
	v_not_b32_e32 v40, v81
	v_ashrrev_i32_e32 v39, 31, v39
	s_wait_alu 0xf1ff
	v_xor_b32_e32 v38, s8, v38
	v_lshlrev_b32_e32 v34, 24, v34
	v_and_b32_e32 v36, v36, v37
	v_cmp_gt_i32_e64 s8, 0, v81
	v_not_b32_e32 v37, v82
	v_ashrrev_i32_e32 v40, 31, v40
	s_wait_alu 0xfffd
	v_xor_b32_e32 v39, vcc_lo, v39
	v_and_b32_e32 v36, v36, v38
	v_cmp_gt_i32_e32 vcc_lo, 0, v82
	v_not_b32_e32 v38, v34
	v_ashrrev_i32_e32 v37, 31, v37
	s_wait_alu 0xf1ff
	v_xor_b32_e32 v40, s8, v40
	v_and_b32_e32 v36, v36, v39
	v_lshlrev_b32_e32 v35, 4, v35
	v_cmp_gt_i32_e64 s8, 0, v34
	v_ashrrev_i32_e32 v34, 31, v38
	s_wait_alu 0xfffd
	v_xor_b32_e32 v37, vcc_lo, v37
	v_and_b32_e32 v36, v36, v40
	v_add_nc_u32_e32 v82, v33, v35
	s_wait_alu 0xf1ff
	v_xor_b32_e32 v34, s8, v34
	s_delay_alu instid0(VALU_DEP_3) | instskip(SKIP_2) | instid1(VALU_DEP_1)
	v_and_b32_e32 v35, v36, v37
	ds_load_b32 v80, v82 offset:16
	; wave barrier
	v_and_b32_e32 v34, v35, v34
	v_mbcnt_lo_u32_b32 v81, v34, 0
	v_cmp_ne_u32_e64 s8, 0, v34
	s_delay_alu instid0(VALU_DEP_2)
	v_cmp_eq_u32_e32 vcc_lo, 0, v81
	s_and_b32 s11, s8, vcc_lo
	s_wait_alu 0xfffe
	s_and_saveexec_b32 s8, s11
	s_cbranch_execz .LBB82_34
; %bb.33:
	s_wait_dscnt 0x0
	v_bcnt_u32_b32 v34, v34, v80
	ds_store_b32 v82, v34 offset:16
.LBB82_34:
	s_wait_alu 0xfffe
	s_or_b32 exec_lo, exec_lo, s8
	v_and_b32_e32 v34, s9, v72
	; wave barrier
	s_delay_alu instid0(VALU_DEP_1)
	v_and_b32_e32 v36, 1, v34
	v_lshlrev_b32_e32 v37, 30, v34
	v_lshlrev_b32_e32 v38, 29, v34
	;; [unrolled: 1-line block ×4, first 2 shown]
	v_add_co_u32 v36, s8, v36, -1
	s_wait_alu 0xf1ff
	v_cndmask_b32_e64 v40, 0, 1, s8
	v_not_b32_e32 v86, v37
	v_cmp_gt_i32_e64 s8, 0, v37
	v_not_b32_e32 v37, v38
	v_lshlrev_b32_e32 v84, 26, v34
	v_cmp_ne_u32_e32 vcc_lo, 0, v40
	v_ashrrev_i32_e32 v40, 31, v86
	v_lshlrev_b32_e32 v85, 25, v34
	v_ashrrev_i32_e32 v37, 31, v37
	v_and_b32_e32 v35, 0xff, v34
	s_wait_alu 0xfffd
	v_xor_b32_e32 v36, vcc_lo, v36
	v_cmp_gt_i32_e32 vcc_lo, 0, v38
	v_not_b32_e32 v38, v39
	s_wait_alu 0xf1ff
	v_xor_b32_e32 v40, s8, v40
	v_cmp_gt_i32_e64 s8, 0, v39
	v_and_b32_e32 v36, exec_lo, v36
	v_not_b32_e32 v39, v83
	v_ashrrev_i32_e32 v38, 31, v38
	s_wait_alu 0xfffd
	v_xor_b32_e32 v37, vcc_lo, v37
	v_cmp_gt_i32_e32 vcc_lo, 0, v83
	v_and_b32_e32 v36, v36, v40
	v_not_b32_e32 v40, v84
	v_ashrrev_i32_e32 v39, 31, v39
	s_wait_alu 0xf1ff
	v_xor_b32_e32 v38, s8, v38
	v_lshlrev_b32_e32 v34, 24, v34
	v_and_b32_e32 v36, v36, v37
	v_cmp_gt_i32_e64 s8, 0, v84
	v_not_b32_e32 v37, v85
	v_ashrrev_i32_e32 v40, 31, v40
	s_wait_alu 0xfffd
	v_xor_b32_e32 v39, vcc_lo, v39
	v_and_b32_e32 v36, v36, v38
	v_cmp_gt_i32_e32 vcc_lo, 0, v85
	v_not_b32_e32 v38, v34
	v_ashrrev_i32_e32 v37, 31, v37
	s_wait_alu 0xf1ff
	v_xor_b32_e32 v40, s8, v40
	v_and_b32_e32 v36, v36, v39
	v_lshlrev_b32_e32 v35, 4, v35
	v_cmp_gt_i32_e64 s8, 0, v34
	v_ashrrev_i32_e32 v34, 31, v38
	s_wait_alu 0xfffd
	v_xor_b32_e32 v37, vcc_lo, v37
	v_and_b32_e32 v36, v36, v40
	v_add_nc_u32_e32 v85, v33, v35
	s_wait_alu 0xf1ff
	v_xor_b32_e32 v34, s8, v34
	s_delay_alu instid0(VALU_DEP_3) | instskip(SKIP_2) | instid1(VALU_DEP_1)
	v_and_b32_e32 v35, v36, v37
	ds_load_b32 v83, v85 offset:16
	; wave barrier
	v_and_b32_e32 v34, v35, v34
	v_mbcnt_lo_u32_b32 v84, v34, 0
	v_cmp_ne_u32_e64 s8, 0, v34
	s_delay_alu instid0(VALU_DEP_2)
	v_cmp_eq_u32_e32 vcc_lo, 0, v84
	s_and_b32 s11, s8, vcc_lo
	s_wait_alu 0xfffe
	s_and_saveexec_b32 s8, s11
	s_cbranch_execz .LBB82_36
; %bb.35:
	s_wait_dscnt 0x0
	v_bcnt_u32_b32 v34, v34, v83
	ds_store_b32 v85, v34 offset:16
.LBB82_36:
	s_wait_alu 0xfffe
	s_or_b32 exec_lo, exec_lo, s8
	v_and_b32_e32 v34, s9, v73
	; wave barrier
	s_delay_alu instid0(VALU_DEP_1)
	v_and_b32_e32 v36, 1, v34
	v_lshlrev_b32_e32 v37, 30, v34
	v_lshlrev_b32_e32 v38, 29, v34
	;; [unrolled: 1-line block ×4, first 2 shown]
	v_add_co_u32 v36, s8, v36, -1
	s_wait_alu 0xf1ff
	v_cndmask_b32_e64 v40, 0, 1, s8
	v_not_b32_e32 v89, v37
	v_cmp_gt_i32_e64 s8, 0, v37
	v_not_b32_e32 v37, v38
	v_lshlrev_b32_e32 v87, 26, v34
	v_cmp_ne_u32_e32 vcc_lo, 0, v40
	v_ashrrev_i32_e32 v40, 31, v89
	v_lshlrev_b32_e32 v88, 25, v34
	v_ashrrev_i32_e32 v37, 31, v37
	v_and_b32_e32 v35, 0xff, v34
	s_wait_alu 0xfffd
	v_xor_b32_e32 v36, vcc_lo, v36
	v_cmp_gt_i32_e32 vcc_lo, 0, v38
	v_not_b32_e32 v38, v39
	s_wait_alu 0xf1ff
	v_xor_b32_e32 v40, s8, v40
	v_cmp_gt_i32_e64 s8, 0, v39
	v_and_b32_e32 v36, exec_lo, v36
	v_not_b32_e32 v39, v86
	v_ashrrev_i32_e32 v38, 31, v38
	s_wait_alu 0xfffd
	v_xor_b32_e32 v37, vcc_lo, v37
	v_cmp_gt_i32_e32 vcc_lo, 0, v86
	v_and_b32_e32 v36, v36, v40
	v_not_b32_e32 v40, v87
	v_ashrrev_i32_e32 v39, 31, v39
	s_wait_alu 0xf1ff
	v_xor_b32_e32 v38, s8, v38
	v_lshlrev_b32_e32 v34, 24, v34
	v_and_b32_e32 v36, v36, v37
	v_cmp_gt_i32_e64 s8, 0, v87
	v_not_b32_e32 v37, v88
	v_ashrrev_i32_e32 v40, 31, v40
	s_wait_alu 0xfffd
	v_xor_b32_e32 v39, vcc_lo, v39
	v_and_b32_e32 v36, v36, v38
	v_cmp_gt_i32_e32 vcc_lo, 0, v88
	v_not_b32_e32 v38, v34
	v_ashrrev_i32_e32 v37, 31, v37
	s_wait_alu 0xf1ff
	v_xor_b32_e32 v40, s8, v40
	v_and_b32_e32 v36, v36, v39
	v_lshlrev_b32_e32 v35, 4, v35
	v_cmp_gt_i32_e64 s8, 0, v34
	v_ashrrev_i32_e32 v34, 31, v38
	s_wait_alu 0xfffd
	v_xor_b32_e32 v37, vcc_lo, v37
	v_and_b32_e32 v36, v36, v40
	v_add_nc_u32_e32 v88, v33, v35
	s_wait_alu 0xf1ff
	v_xor_b32_e32 v34, s8, v34
	s_delay_alu instid0(VALU_DEP_3) | instskip(SKIP_2) | instid1(VALU_DEP_1)
	v_and_b32_e32 v35, v36, v37
	ds_load_b32 v86, v88 offset:16
	; wave barrier
	v_and_b32_e32 v34, v35, v34
	v_mbcnt_lo_u32_b32 v87, v34, 0
	v_cmp_ne_u32_e64 s8, 0, v34
	s_delay_alu instid0(VALU_DEP_2)
	v_cmp_eq_u32_e32 vcc_lo, 0, v87
	s_and_b32 s11, s8, vcc_lo
	s_wait_alu 0xfffe
	s_and_saveexec_b32 s8, s11
	s_cbranch_execz .LBB82_38
; %bb.37:
	s_wait_dscnt 0x0
	v_bcnt_u32_b32 v34, v34, v86
	ds_store_b32 v88, v34 offset:16
.LBB82_38:
	s_wait_alu 0xfffe
	s_or_b32 exec_lo, exec_lo, s8
	v_and_b32_e32 v34, s9, v74
	; wave barrier
	s_delay_alu instid0(VALU_DEP_1)
	v_and_b32_e32 v36, 1, v34
	v_lshlrev_b32_e32 v37, 30, v34
	v_lshlrev_b32_e32 v38, 29, v34
	;; [unrolled: 1-line block ×4, first 2 shown]
	v_add_co_u32 v36, s8, v36, -1
	s_wait_alu 0xf1ff
	v_cndmask_b32_e64 v40, 0, 1, s8
	v_not_b32_e32 v92, v37
	v_cmp_gt_i32_e64 s8, 0, v37
	v_not_b32_e32 v37, v38
	v_lshlrev_b32_e32 v90, 26, v34
	v_cmp_ne_u32_e32 vcc_lo, 0, v40
	v_ashrrev_i32_e32 v40, 31, v92
	v_lshlrev_b32_e32 v91, 25, v34
	v_ashrrev_i32_e32 v37, 31, v37
	v_and_b32_e32 v35, 0xff, v34
	s_wait_alu 0xfffd
	v_xor_b32_e32 v36, vcc_lo, v36
	v_cmp_gt_i32_e32 vcc_lo, 0, v38
	v_not_b32_e32 v38, v39
	s_wait_alu 0xf1ff
	v_xor_b32_e32 v40, s8, v40
	v_cmp_gt_i32_e64 s8, 0, v39
	v_and_b32_e32 v36, exec_lo, v36
	v_not_b32_e32 v39, v89
	v_ashrrev_i32_e32 v38, 31, v38
	s_wait_alu 0xfffd
	v_xor_b32_e32 v37, vcc_lo, v37
	v_cmp_gt_i32_e32 vcc_lo, 0, v89
	v_and_b32_e32 v36, v36, v40
	v_not_b32_e32 v40, v90
	v_ashrrev_i32_e32 v39, 31, v39
	s_wait_alu 0xf1ff
	v_xor_b32_e32 v38, s8, v38
	v_lshlrev_b32_e32 v34, 24, v34
	v_and_b32_e32 v36, v36, v37
	v_cmp_gt_i32_e64 s8, 0, v90
	v_not_b32_e32 v37, v91
	v_ashrrev_i32_e32 v40, 31, v40
	s_wait_alu 0xfffd
	v_xor_b32_e32 v39, vcc_lo, v39
	v_and_b32_e32 v36, v36, v38
	v_cmp_gt_i32_e32 vcc_lo, 0, v91
	v_not_b32_e32 v38, v34
	v_ashrrev_i32_e32 v37, 31, v37
	s_wait_alu 0xf1ff
	v_xor_b32_e32 v40, s8, v40
	v_and_b32_e32 v36, v36, v39
	v_lshlrev_b32_e32 v35, 4, v35
	v_cmp_gt_i32_e64 s8, 0, v34
	v_ashrrev_i32_e32 v34, 31, v38
	s_wait_alu 0xfffd
	v_xor_b32_e32 v37, vcc_lo, v37
	v_and_b32_e32 v36, v36, v40
	v_add_nc_u32_e32 v91, v33, v35
	s_wait_alu 0xf1ff
	v_xor_b32_e32 v34, s8, v34
	s_delay_alu instid0(VALU_DEP_3) | instskip(SKIP_2) | instid1(VALU_DEP_1)
	v_and_b32_e32 v35, v36, v37
	ds_load_b32 v89, v91 offset:16
	; wave barrier
	v_and_b32_e32 v34, v35, v34
	v_mbcnt_lo_u32_b32 v90, v34, 0
	v_cmp_ne_u32_e64 s8, 0, v34
	s_delay_alu instid0(VALU_DEP_2)
	v_cmp_eq_u32_e32 vcc_lo, 0, v90
	s_and_b32 s11, s8, vcc_lo
	s_wait_alu 0xfffe
	s_and_saveexec_b32 s8, s11
	s_cbranch_execz .LBB82_40
; %bb.39:
	s_wait_dscnt 0x0
	v_bcnt_u32_b32 v34, v34, v89
	ds_store_b32 v91, v34 offset:16
.LBB82_40:
	s_wait_alu 0xfffe
	s_or_b32 exec_lo, exec_lo, s8
	v_and_b32_e32 v34, s9, v75
	; wave barrier
	s_delay_alu instid0(VALU_DEP_1)
	v_and_b32_e32 v36, 1, v34
	v_lshlrev_b32_e32 v37, 30, v34
	v_lshlrev_b32_e32 v38, 29, v34
	v_lshlrev_b32_e32 v39, 28, v34
	v_lshlrev_b32_e32 v92, 27, v34
	v_add_co_u32 v36, s8, v36, -1
	s_wait_alu 0xf1ff
	v_cndmask_b32_e64 v40, 0, 1, s8
	v_not_b32_e32 v95, v37
	v_cmp_gt_i32_e64 s8, 0, v37
	v_not_b32_e32 v37, v38
	v_lshlrev_b32_e32 v93, 26, v34
	v_cmp_ne_u32_e32 vcc_lo, 0, v40
	v_ashrrev_i32_e32 v40, 31, v95
	v_lshlrev_b32_e32 v94, 25, v34
	v_ashrrev_i32_e32 v37, 31, v37
	v_and_b32_e32 v35, 0xff, v34
	s_wait_alu 0xfffd
	v_xor_b32_e32 v36, vcc_lo, v36
	v_cmp_gt_i32_e32 vcc_lo, 0, v38
	v_not_b32_e32 v38, v39
	s_wait_alu 0xf1ff
	v_xor_b32_e32 v40, s8, v40
	v_cmp_gt_i32_e64 s8, 0, v39
	v_and_b32_e32 v36, exec_lo, v36
	v_not_b32_e32 v39, v92
	v_ashrrev_i32_e32 v38, 31, v38
	s_wait_alu 0xfffd
	v_xor_b32_e32 v37, vcc_lo, v37
	v_cmp_gt_i32_e32 vcc_lo, 0, v92
	v_and_b32_e32 v36, v36, v40
	v_not_b32_e32 v40, v93
	v_ashrrev_i32_e32 v39, 31, v39
	s_wait_alu 0xf1ff
	v_xor_b32_e32 v38, s8, v38
	v_lshlrev_b32_e32 v34, 24, v34
	v_and_b32_e32 v36, v36, v37
	v_cmp_gt_i32_e64 s8, 0, v93
	v_not_b32_e32 v37, v94
	v_ashrrev_i32_e32 v40, 31, v40
	s_wait_alu 0xfffd
	v_xor_b32_e32 v39, vcc_lo, v39
	v_and_b32_e32 v36, v36, v38
	v_cmp_gt_i32_e32 vcc_lo, 0, v94
	v_not_b32_e32 v38, v34
	v_ashrrev_i32_e32 v37, 31, v37
	s_wait_alu 0xf1ff
	v_xor_b32_e32 v40, s8, v40
	v_and_b32_e32 v36, v36, v39
	v_lshlrev_b32_e32 v35, 4, v35
	v_cmp_gt_i32_e64 s8, 0, v34
	v_ashrrev_i32_e32 v34, 31, v38
	s_wait_alu 0xfffd
	v_xor_b32_e32 v37, vcc_lo, v37
	v_and_b32_e32 v36, v36, v40
	v_add_nc_u32_e32 v94, v33, v35
	s_wait_alu 0xf1ff
	v_xor_b32_e32 v34, s8, v34
	s_delay_alu instid0(VALU_DEP_3) | instskip(SKIP_2) | instid1(VALU_DEP_1)
	v_and_b32_e32 v35, v36, v37
	ds_load_b32 v92, v94 offset:16
	; wave barrier
	v_and_b32_e32 v34, v35, v34
	v_mbcnt_lo_u32_b32 v93, v34, 0
	v_cmp_ne_u32_e64 s8, 0, v34
	s_delay_alu instid0(VALU_DEP_2)
	v_cmp_eq_u32_e32 vcc_lo, 0, v93
	s_and_b32 s11, s8, vcc_lo
	s_wait_alu 0xfffe
	s_and_saveexec_b32 s8, s11
	s_cbranch_execz .LBB82_42
; %bb.41:
	s_wait_dscnt 0x0
	v_bcnt_u32_b32 v34, v34, v92
	ds_store_b32 v94, v34 offset:16
.LBB82_42:
	s_wait_alu 0xfffe
	s_or_b32 exec_lo, exec_lo, s8
	v_and_b32_e32 v34, s9, v76
	; wave barrier
	s_delay_alu instid0(VALU_DEP_1)
	v_and_b32_e32 v36, 1, v34
	v_lshlrev_b32_e32 v37, 30, v34
	v_lshlrev_b32_e32 v38, 29, v34
	;; [unrolled: 1-line block ×4, first 2 shown]
	v_add_co_u32 v36, s8, v36, -1
	s_wait_alu 0xf1ff
	v_cndmask_b32_e64 v40, 0, 1, s8
	v_not_b32_e32 v98, v37
	v_cmp_gt_i32_e64 s8, 0, v37
	v_not_b32_e32 v37, v38
	v_lshlrev_b32_e32 v96, 26, v34
	v_cmp_ne_u32_e32 vcc_lo, 0, v40
	v_ashrrev_i32_e32 v40, 31, v98
	v_lshlrev_b32_e32 v97, 25, v34
	v_ashrrev_i32_e32 v37, 31, v37
	v_and_b32_e32 v35, 0xff, v34
	s_wait_alu 0xfffd
	v_xor_b32_e32 v36, vcc_lo, v36
	v_cmp_gt_i32_e32 vcc_lo, 0, v38
	v_not_b32_e32 v38, v39
	s_wait_alu 0xf1ff
	v_xor_b32_e32 v40, s8, v40
	v_cmp_gt_i32_e64 s8, 0, v39
	v_and_b32_e32 v36, exec_lo, v36
	v_not_b32_e32 v39, v95
	v_ashrrev_i32_e32 v38, 31, v38
	s_wait_alu 0xfffd
	v_xor_b32_e32 v37, vcc_lo, v37
	v_cmp_gt_i32_e32 vcc_lo, 0, v95
	v_and_b32_e32 v36, v36, v40
	v_not_b32_e32 v40, v96
	v_ashrrev_i32_e32 v39, 31, v39
	s_wait_alu 0xf1ff
	v_xor_b32_e32 v38, s8, v38
	v_lshlrev_b32_e32 v34, 24, v34
	v_and_b32_e32 v36, v36, v37
	v_cmp_gt_i32_e64 s8, 0, v96
	v_not_b32_e32 v37, v97
	v_ashrrev_i32_e32 v40, 31, v40
	s_wait_alu 0xfffd
	v_xor_b32_e32 v39, vcc_lo, v39
	v_and_b32_e32 v36, v36, v38
	v_cmp_gt_i32_e32 vcc_lo, 0, v97
	v_not_b32_e32 v38, v34
	v_ashrrev_i32_e32 v37, 31, v37
	s_wait_alu 0xf1ff
	v_xor_b32_e32 v40, s8, v40
	v_and_b32_e32 v36, v36, v39
	v_lshlrev_b32_e32 v35, 4, v35
	v_cmp_gt_i32_e64 s8, 0, v34
	v_ashrrev_i32_e32 v34, 31, v38
	s_wait_alu 0xfffd
	v_xor_b32_e32 v37, vcc_lo, v37
	v_and_b32_e32 v36, v36, v40
	v_add_nc_u32_e32 v97, v33, v35
	s_wait_alu 0xf1ff
	v_xor_b32_e32 v34, s8, v34
	s_delay_alu instid0(VALU_DEP_3) | instskip(SKIP_2) | instid1(VALU_DEP_1)
	v_and_b32_e32 v35, v36, v37
	ds_load_b32 v95, v97 offset:16
	; wave barrier
	v_and_b32_e32 v34, v35, v34
	v_mbcnt_lo_u32_b32 v96, v34, 0
	v_cmp_ne_u32_e64 s8, 0, v34
	s_delay_alu instid0(VALU_DEP_2)
	v_cmp_eq_u32_e32 vcc_lo, 0, v96
	s_and_b32 s11, s8, vcc_lo
	s_wait_alu 0xfffe
	s_and_saveexec_b32 s8, s11
	s_cbranch_execz .LBB82_44
; %bb.43:
	s_wait_dscnt 0x0
	v_bcnt_u32_b32 v34, v34, v95
	ds_store_b32 v97, v34 offset:16
.LBB82_44:
	s_wait_alu 0xfffe
	s_or_b32 exec_lo, exec_lo, s8
	v_and_b32_e32 v34, s9, v77
	; wave barrier
	s_delay_alu instid0(VALU_DEP_1)
	v_and_b32_e32 v36, 1, v34
	v_lshlrev_b32_e32 v37, 30, v34
	v_lshlrev_b32_e32 v38, 29, v34
	;; [unrolled: 1-line block ×4, first 2 shown]
	v_add_co_u32 v36, s8, v36, -1
	s_wait_alu 0xf1ff
	v_cndmask_b32_e64 v40, 0, 1, s8
	v_not_b32_e32 v101, v37
	v_cmp_gt_i32_e64 s8, 0, v37
	v_not_b32_e32 v37, v38
	v_lshlrev_b32_e32 v99, 26, v34
	v_cmp_ne_u32_e32 vcc_lo, 0, v40
	v_ashrrev_i32_e32 v40, 31, v101
	v_lshlrev_b32_e32 v100, 25, v34
	v_ashrrev_i32_e32 v37, 31, v37
	v_and_b32_e32 v35, 0xff, v34
	s_wait_alu 0xfffd
	v_xor_b32_e32 v36, vcc_lo, v36
	v_cmp_gt_i32_e32 vcc_lo, 0, v38
	v_not_b32_e32 v38, v39
	s_wait_alu 0xf1ff
	v_xor_b32_e32 v40, s8, v40
	v_cmp_gt_i32_e64 s8, 0, v39
	v_and_b32_e32 v36, exec_lo, v36
	v_not_b32_e32 v39, v98
	v_ashrrev_i32_e32 v38, 31, v38
	s_wait_alu 0xfffd
	v_xor_b32_e32 v37, vcc_lo, v37
	v_cmp_gt_i32_e32 vcc_lo, 0, v98
	v_and_b32_e32 v36, v36, v40
	v_not_b32_e32 v40, v99
	v_ashrrev_i32_e32 v39, 31, v39
	s_wait_alu 0xf1ff
	v_xor_b32_e32 v38, s8, v38
	v_lshlrev_b32_e32 v34, 24, v34
	v_and_b32_e32 v36, v36, v37
	v_cmp_gt_i32_e64 s8, 0, v99
	v_not_b32_e32 v37, v100
	v_ashrrev_i32_e32 v40, 31, v40
	s_wait_alu 0xfffd
	v_xor_b32_e32 v39, vcc_lo, v39
	v_and_b32_e32 v36, v36, v38
	v_cmp_gt_i32_e32 vcc_lo, 0, v100
	v_not_b32_e32 v38, v34
	v_ashrrev_i32_e32 v37, 31, v37
	s_wait_alu 0xf1ff
	v_xor_b32_e32 v40, s8, v40
	v_and_b32_e32 v36, v36, v39
	v_lshlrev_b32_e32 v35, 4, v35
	v_cmp_gt_i32_e64 s8, 0, v34
	v_ashrrev_i32_e32 v34, 31, v38
	s_wait_alu 0xfffd
	v_xor_b32_e32 v37, vcc_lo, v37
	v_and_b32_e32 v36, v36, v40
	v_add_nc_u32_e32 v100, v33, v35
	s_wait_alu 0xf1ff
	v_xor_b32_e32 v33, s8, v34
	s_delay_alu instid0(VALU_DEP_3) | instskip(SKIP_2) | instid1(VALU_DEP_1)
	v_and_b32_e32 v34, v36, v37
	ds_load_b32 v98, v100 offset:16
	; wave barrier
	v_and_b32_e32 v33, v34, v33
	v_mbcnt_lo_u32_b32 v99, v33, 0
	v_cmp_ne_u32_e64 s8, 0, v33
	s_delay_alu instid0(VALU_DEP_2)
	v_cmp_eq_u32_e32 vcc_lo, 0, v99
	s_and_b32 s9, s8, vcc_lo
	s_wait_alu 0xfffe
	s_and_saveexec_b32 s8, s9
	s_cbranch_execz .LBB82_46
; %bb.45:
	s_wait_dscnt 0x0
	v_bcnt_u32_b32 v33, v33, v98
	ds_store_b32 v100, v33 offset:16
.LBB82_46:
	s_wait_alu 0xfffe
	s_or_b32 exec_lo, exec_lo, s8
	; wave barrier
	s_wait_loadcnt_dscnt 0x0
	s_barrier_signal -1
	s_barrier_wait -1
	global_inv scope:SCOPE_SE
	ds_load_b128 v[37:40], v66 offset:16
	ds_load_b128 v[33:36], v66 offset:32
	v_min_u32_e32 v103, 0x60, v68
	s_mov_b32 s8, exec_lo
	s_wait_dscnt 0x1
	v_add_nc_u32_e32 v101, v38, v37
	s_delay_alu instid0(VALU_DEP_1) | instskip(SKIP_1) | instid1(VALU_DEP_1)
	v_add3_u32 v101, v101, v39, v40
	s_wait_dscnt 0x0
	v_add3_u32 v101, v101, v33, v34
	s_delay_alu instid0(VALU_DEP_1) | instskip(SKIP_1) | instid1(VALU_DEP_2)
	v_add3_u32 v36, v101, v35, v36
	v_and_b32_e32 v101, 15, v67
	v_mov_b32_dpp v102, v36 row_shr:1 row_mask:0xf bank_mask:0xf
	s_delay_alu instid0(VALU_DEP_2) | instskip(SKIP_1) | instid1(VALU_DEP_2)
	v_cmp_ne_u32_e32 vcc_lo, 0, v101
	s_wait_alu 0xfffd
	v_cndmask_b32_e32 v102, 0, v102, vcc_lo
	v_cmp_lt_u32_e32 vcc_lo, 1, v101
	s_delay_alu instid0(VALU_DEP_2) | instskip(NEXT) | instid1(VALU_DEP_1)
	v_add_nc_u32_e32 v36, v102, v36
	v_mov_b32_dpp v102, v36 row_shr:2 row_mask:0xf bank_mask:0xf
	s_wait_alu 0xfffd
	s_delay_alu instid0(VALU_DEP_1) | instskip(SKIP_1) | instid1(VALU_DEP_2)
	v_cndmask_b32_e32 v102, 0, v102, vcc_lo
	v_cmp_lt_u32_e32 vcc_lo, 3, v101
	v_add_nc_u32_e32 v36, v36, v102
	s_delay_alu instid0(VALU_DEP_1) | instskip(SKIP_1) | instid1(VALU_DEP_1)
	v_mov_b32_dpp v102, v36 row_shr:4 row_mask:0xf bank_mask:0xf
	s_wait_alu 0xfffd
	v_cndmask_b32_e32 v102, 0, v102, vcc_lo
	v_cmp_lt_u32_e32 vcc_lo, 7, v101
	s_delay_alu instid0(VALU_DEP_2) | instskip(NEXT) | instid1(VALU_DEP_1)
	v_add_nc_u32_e32 v36, v36, v102
	v_mov_b32_dpp v102, v36 row_shr:8 row_mask:0xf bank_mask:0xf
	s_wait_alu 0xfffd
	s_delay_alu instid0(VALU_DEP_1) | instskip(SKIP_1) | instid1(VALU_DEP_2)
	v_cndmask_b32_e32 v101, 0, v102, vcc_lo
	v_bfe_i32 v102, v67, 4, 1
	v_add_nc_u32_e32 v36, v36, v101
	ds_swizzle_b32 v101, v36 offset:swizzle(BROADCAST,32,15)
	s_wait_dscnt 0x0
	v_and_b32_e32 v101, v102, v101
	v_or_b32_e32 v102, 31, v103
	s_delay_alu instid0(VALU_DEP_2) | instskip(NEXT) | instid1(VALU_DEP_2)
	v_add_nc_u32_e32 v36, v36, v101
	v_cmpx_eq_u32_e64 v44, v102
; %bb.47:
	v_lshlrev_b32_e32 v101, 2, v62
	ds_store_b32 v101, v36
; %bb.48:
	s_wait_alu 0xfffe
	s_or_b32 exec_lo, exec_lo, s8
	s_delay_alu instid0(SALU_CYCLE_1)
	s_mov_b32 s8, exec_lo
	s_wait_loadcnt_dscnt 0x0
	s_barrier_signal -1
	s_barrier_wait -1
	global_inv scope:SCOPE_SE
	v_cmpx_gt_u32_e32 4, v44
	s_cbranch_execz .LBB82_50
; %bb.49:
	v_lshlrev_b32_e32 v101, 2, v44
	ds_load_b32 v102, v101
	s_wait_dscnt 0x0
	v_mov_b32_dpp v104, v102 row_shr:1 row_mask:0xf bank_mask:0xf
	v_and_b32_e32 v103, 3, v67
	s_delay_alu instid0(VALU_DEP_1) | instskip(SKIP_1) | instid1(VALU_DEP_3)
	v_cmp_ne_u32_e32 vcc_lo, 0, v103
	s_wait_alu 0xfffd
	v_cndmask_b32_e32 v104, 0, v104, vcc_lo
	v_cmp_lt_u32_e32 vcc_lo, 1, v103
	s_delay_alu instid0(VALU_DEP_2) | instskip(NEXT) | instid1(VALU_DEP_1)
	v_add_nc_u32_e32 v102, v104, v102
	v_mov_b32_dpp v104, v102 row_shr:2 row_mask:0xf bank_mask:0xf
	s_wait_alu 0xfffd
	s_delay_alu instid0(VALU_DEP_1) | instskip(NEXT) | instid1(VALU_DEP_1)
	v_cndmask_b32_e32 v103, 0, v104, vcc_lo
	v_add_nc_u32_e32 v102, v102, v103
	ds_store_b32 v101, v102
.LBB82_50:
	s_wait_alu 0xfffe
	s_or_b32 exec_lo, exec_lo, s8
	v_mov_b32_e32 v101, 0
	s_mov_b32 s8, exec_lo
	s_wait_loadcnt_dscnt 0x0
	s_barrier_signal -1
	s_barrier_wait -1
	global_inv scope:SCOPE_SE
	v_cmpx_lt_u32_e32 31, v44
; %bb.51:
	v_lshl_add_u32 v101, v62, 2, -4
	ds_load_b32 v101, v101
; %bb.52:
	s_wait_alu 0xfffe
	s_or_b32 exec_lo, exec_lo, s8
	v_sub_co_u32 v102, vcc_lo, v67, 1
	s_wait_dscnt 0x0
	v_add_nc_u32_e32 v36, v101, v36
	s_delay_alu instid0(VALU_DEP_2) | instskip(SKIP_1) | instid1(VALU_DEP_1)
	v_cmp_gt_i32_e64 s8, 0, v102
	s_wait_alu 0xf1ff
	v_cndmask_b32_e64 v102, v102, v67, s8
	s_delay_alu instid0(VALU_DEP_1)
	v_lshlrev_b32_e32 v102, 2, v102
	ds_bpermute_b32 v36, v102, v36
	s_wait_dscnt 0x0
	s_wait_alu 0xfffd
	v_cndmask_b32_e32 v36, v36, v101, vcc_lo
	v_cmp_ne_u32_e32 vcc_lo, 0, v44
	s_wait_alu 0xfffd
	s_delay_alu instid0(VALU_DEP_2) | instskip(NEXT) | instid1(VALU_DEP_1)
	v_cndmask_b32_e32 v36, 0, v36, vcc_lo
	v_add_nc_u32_e32 v37, v36, v37
	s_delay_alu instid0(VALU_DEP_1) | instskip(NEXT) | instid1(VALU_DEP_1)
	v_add_nc_u32_e32 v38, v37, v38
	v_add_nc_u32_e32 v39, v38, v39
	s_delay_alu instid0(VALU_DEP_1) | instskip(NEXT) | instid1(VALU_DEP_1)
	v_add_nc_u32_e32 v101, v39, v40
	;; [unrolled: 3-line block ×3, first 2 shown]
	v_add_nc_u32_e32 v104, v103, v35
	ds_store_b128 v66, v[36:39] offset:16
	ds_store_b128 v66, v[101:104] offset:32
	s_wait_loadcnt_dscnt 0x0
	s_barrier_signal -1
	s_barrier_wait -1
	global_inv scope:SCOPE_SE
	ds_load_b32 v33, v79 offset:16
	ds_load_b32 v34, v82 offset:16
	;; [unrolled: 1-line block ×8, first 2 shown]
	v_mad_u32_u24 v79, v44, 56, v57
	s_wait_loadcnt_dscnt 0x0
	s_barrier_signal -1
	s_barrier_wait -1
	global_inv scope:SCOPE_SE
	v_add_nc_u32_e32 v78, v33, v78
	v_add3_u32 v80, v81, v80, v34
	v_add3_u32 v35, v84, v83, v35
	;; [unrolled: 1-line block ×7, first 2 shown]
	ds_store_b8 v78, v0
	ds_store_b8 v80, v71
	;; [unrolled: 1-line block ×8, first 2 shown]
	v_lshlrev_b32_e32 v0, 3, v78
	v_lshlrev_b32_e32 v71, 3, v80
	;; [unrolled: 1-line block ×5, first 2 shown]
	s_wait_loadcnt_dscnt 0x0
	s_barrier_signal -1
	s_barrier_wait -1
	global_inv scope:SCOPE_SE
	ds_load_b64 v[33:34], v57
	s_wait_loadcnt_dscnt 0x0
	s_barrier_signal -1
	s_barrier_wait -1
	global_inv scope:SCOPE_SE
	v_lshlrev_b32_e32 v38, 3, v38
	v_lshlrev_b32_e32 v39, 3, v39
	;; [unrolled: 1-line block ×3, first 2 shown]
	ds_store_b64 v0, v[25:26]
	ds_store_b64 v71, v[27:28]
	;; [unrolled: 1-line block ×8, first 2 shown]
	s_wait_loadcnt_dscnt 0x0
	s_barrier_signal -1
	s_barrier_wait -1
	global_inv scope:SCOPE_SE
	ds_load_b128 v[29:32], v79
	ds_load_b128 v[25:28], v79 offset:16
	ds_load_b128 v[21:24], v79 offset:32
	;; [unrolled: 1-line block ×3, first 2 shown]
	s_branch .LBB82_84
.LBB82_53:
	v_lshlrev_b64_e32 v[1:2], 3, v[41:42]
	v_dual_mov_b32 v43, v42 :: v_dual_mov_b32 v10, v42
	v_dual_mov_b32 v9, v42 :: v_dual_mov_b32 v12, v42
	v_mov_b32_e32 v11, v42
	s_delay_alu instid0(VALU_DEP_4) | instskip(NEXT) | instid1(VALU_DEP_1)
	v_add_co_u32 v1, vcc_lo, s16, v1
	v_add_co_ci_u32_e64 v2, null, s17, v2, vcc_lo
	v_dual_mov_b32 v3, v42 :: v_dual_mov_b32 v6, v42
	v_dual_mov_b32 v5, v42 :: v_dual_mov_b32 v8, v42
	global_load_b64 v[13:14], v[1:2], off
	v_dual_mov_b32 v1, v42 :: v_dual_mov_b32 v4, v42
	v_dual_mov_b32 v2, v42 :: v_dual_mov_b32 v7, v42
	s_wait_alu 0xfffe
	s_or_b32 exec_lo, exec_lo, s9
	s_and_saveexec_b32 s9, s1
	s_cbranch_execz .LBB82_22
.LBB82_54:
	v_mul_lo_u32 v30, s12, v28
	v_mov_b32_e32 v31, 0
	s_delay_alu instid0(VALU_DEP_1) | instskip(NEXT) | instid1(VALU_DEP_1)
	v_lshlrev_b64_e32 v[30:31], 3, v[30:31]
	v_add_co_u32 v30, vcc_lo, s16, v30
	s_wait_alu 0xfffd
	s_delay_alu instid0(VALU_DEP_2)
	v_add_co_ci_u32_e64 v31, null, s17, v31, vcc_lo
	global_load_b64 v[42:43], v[30:31], off
	s_wait_alu 0xfffe
	s_or_b32 exec_lo, exec_lo, s9
	s_and_saveexec_b32 s9, s2
	s_cbranch_execz .LBB82_23
.LBB82_55:
	v_mul_lo_u32 v9, s12, v24
	v_mov_b32_e32 v10, 0
	s_delay_alu instid0(VALU_DEP_1) | instskip(NEXT) | instid1(VALU_DEP_1)
	v_lshlrev_b64_e32 v[9:10], 3, v[9:10]
	v_add_co_u32 v9, vcc_lo, s16, v9
	s_wait_alu 0xfffd
	s_delay_alu instid0(VALU_DEP_2)
	v_add_co_ci_u32_e64 v10, null, s17, v10, vcc_lo
	global_load_b64 v[9:10], v[9:10], off
	s_wait_alu 0xfffe
	s_or_b32 exec_lo, exec_lo, s9
	s_and_saveexec_b32 s9, s3
	s_cbranch_execz .LBB82_24
.LBB82_56:
	v_mul_lo_u32 v11, s12, v21
	v_mov_b32_e32 v12, 0
	s_delay_alu instid0(VALU_DEP_1) | instskip(NEXT) | instid1(VALU_DEP_1)
	v_lshlrev_b64_e32 v[11:12], 3, v[11:12]
	v_add_co_u32 v11, vcc_lo, s16, v11
	s_wait_alu 0xfffd
	s_delay_alu instid0(VALU_DEP_2)
	v_add_co_ci_u32_e64 v12, null, s17, v12, vcc_lo
	global_load_b64 v[11:12], v[11:12], off
	s_wait_alu 0xfffe
	s_or_b32 exec_lo, exec_lo, s9
	s_and_saveexec_b32 s9, s4
	s_cbranch_execz .LBB82_25
.LBB82_57:
	v_mul_lo_u32 v1, s12, v19
	v_mov_b32_e32 v2, 0
	s_delay_alu instid0(VALU_DEP_1) | instskip(NEXT) | instid1(VALU_DEP_1)
	v_lshlrev_b64_e32 v[1:2], 3, v[1:2]
	v_add_co_u32 v1, vcc_lo, s16, v1
	s_wait_alu 0xfffd
	s_delay_alu instid0(VALU_DEP_2)
	v_add_co_ci_u32_e64 v2, null, s17, v2, vcc_lo
	global_load_b64 v[1:2], v[1:2], off
	s_wait_alu 0xfffe
	s_or_b32 exec_lo, exec_lo, s9
	s_and_saveexec_b32 s9, s5
	s_cbranch_execz .LBB82_26
.LBB82_58:
	v_mul_lo_u32 v3, s12, v17
	v_mov_b32_e32 v4, 0
	s_delay_alu instid0(VALU_DEP_1) | instskip(NEXT) | instid1(VALU_DEP_1)
	v_lshlrev_b64_e32 v[3:4], 3, v[3:4]
	v_add_co_u32 v3, vcc_lo, s16, v3
	s_wait_alu 0xfffd
	s_delay_alu instid0(VALU_DEP_2)
	v_add_co_ci_u32_e64 v4, null, s17, v4, vcc_lo
	global_load_b64 v[3:4], v[3:4], off
	s_wait_alu 0xfffe
	s_or_b32 exec_lo, exec_lo, s9
	s_and_saveexec_b32 s9, s6
	s_cbranch_execz .LBB82_27
.LBB82_59:
	v_mul_lo_u32 v5, s12, v16
	v_mov_b32_e32 v6, 0
	s_delay_alu instid0(VALU_DEP_1) | instskip(NEXT) | instid1(VALU_DEP_1)
	v_lshlrev_b64_e32 v[5:6], 3, v[5:6]
	v_add_co_u32 v5, vcc_lo, s16, v5
	s_wait_alu 0xfffd
	s_delay_alu instid0(VALU_DEP_2)
	v_add_co_ci_u32_e64 v6, null, s17, v6, vcc_lo
	global_load_b64 v[5:6], v[5:6], off
	s_wait_alu 0xfffe
	s_or_b32 exec_lo, exec_lo, s9
	s_and_saveexec_b32 s9, s7
	s_cbranch_execnz .LBB82_28
	s_branch .LBB82_29
.LBB82_60:
                                        ; implicit-def: $vgpr19_vgpr20
                                        ; implicit-def: $vgpr23_vgpr24
                                        ; implicit-def: $vgpr27_vgpr28
                                        ; implicit-def: $vgpr31_vgpr32
                                        ; implicit-def: $vgpr34
	s_cbranch_execz .LBB82_84
; %bb.61:
	v_or_b32_e32 v0, v67, v68
	s_getpc_b64 s[8:9]
	s_wait_alu 0xfffe
	s_sext_i32_i16 s9, s9
	s_add_co_u32 s8, s8, _ZN7rocprim17ROCPRIM_400000_NS16block_radix_sortIhLj128ELj8ElLj1ELj1ELj0ELNS0_26block_radix_rank_algorithmE1ELNS0_18block_padding_hintE2ELNS0_4arch9wavefront6targetE0EE19radix_bits_per_passE@rel32@lo+12
	s_wait_alu 0xfffe
	s_add_co_ci_u32 s9, s9, _ZN7rocprim17ROCPRIM_400000_NS16block_radix_sortIhLj128ELj8ElLj1ELj1ELj0ELNS0_26block_radix_rank_algorithmE1ELNS0_18block_padding_hintE2ELNS0_4arch9wavefront6targetE0EE19radix_bits_per_passE@rel32@hi+24
	s_mov_b32 s20, 0
	s_load_b32 s8, s[8:9], 0x0
	s_wait_dscnt 0x0
	v_not_b32_e32 v18, v46
	v_not_b32_e32 v17, v45
	v_and_or_b32 v20, 0x1f00, v57, v67
	s_mov_b32 s21, s20
	s_mov_b32 s22, s20
	;; [unrolled: 1-line block ×3, first 2 shown]
	v_lshlrev_b32_e32 v19, 3, v0
	ds_store_b64 v19, v[17:18]
	; wave barrier
	ds_load_u8 v24, v20
	v_mad_u32_u24 v0, v0, 56, v19
	ds_load_u8 v25, v20 offset:32
	ds_load_u8 v26, v20 offset:64
	;; [unrolled: 1-line block ×7, first 2 shown]
	s_wait_loadcnt_dscnt 0x0
	s_barrier_signal -1
	s_wait_kmcnt 0x0
	s_min_u32 s8, s8, 8
	s_barrier_wait -1
	s_wait_alu 0xfffe
	s_lshl_b32 s8, -1, s8
	global_inv scope:SCOPE_SE
	s_wait_alu 0xfffe
	s_not_b32 s9, s8
	ds_store_b128 v0, v[13:16]
	ds_store_b128 v0, v[9:12] offset:16
	v_mad_u32_u24 v17, v20, 7, v20
	ds_store_b128 v0, v[5:8] offset:32
	ds_store_b128 v0, v[1:4] offset:48
	; wave barrier
	ds_load_2addr_b64 v[0:3], v17 offset1:32
	ds_load_2addr_b64 v[8:11], v17 offset0:64 offset1:96
	ds_load_2addr_b64 v[4:7], v17 offset0:128 offset1:160
	s_wait_alu 0xfffe
	v_and_b32_e32 v22, s9, v24
	s_delay_alu instid0(VALU_DEP_1) | instskip(SKIP_2) | instid1(VALU_DEP_3)
	v_and_b32_e32 v12, 1, v22
	v_lshlrev_b32_e32 v16, 30, v22
	v_lshlrev_b32_e32 v20, 28, v22
	v_add_co_u32 v18, s8, v12, -1
	s_wait_alu 0xf1ff
	v_cndmask_b32_e64 v19, 0, 1, s8
	ds_load_2addr_b64 v[12:15], v17 offset0:192 offset1:224
	v_not_b32_e32 v17, v16
	v_cmp_gt_i32_e64 s8, 0, v16
	s_wait_loadcnt_dscnt 0x0
	v_cmp_ne_u32_e32 vcc_lo, 0, v19
	v_lshlrev_b32_e32 v19, 29, v22
	v_ashrrev_i32_e32 v16, 31, v17
	s_barrier_signal -1
	s_barrier_wait -1
	s_wait_alu 0xfffd
	v_xor_b32_e32 v17, vcc_lo, v18
	v_not_b32_e32 v18, v19
	s_wait_alu 0xf1ff
	v_xor_b32_e32 v16, s8, v16
	v_cmp_gt_i32_e32 vcc_lo, 0, v19
	v_not_b32_e32 v19, v20
	v_and_b32_e32 v17, exec_lo, v17
	v_ashrrev_i32_e32 v18, 31, v18
	global_inv scope:SCOPE_SE
	s_load_b32 s8, s[18:19], 0xc
	v_ashrrev_i32_e32 v19, 31, v19
	v_and_b32_e32 v16, v17, v16
	v_lshlrev_b32_e32 v17, 27, v22
	v_xor_b32_e32 v18, vcc_lo, v18
	v_cmp_gt_i32_e32 vcc_lo, 0, v20
	s_delay_alu instid0(VALU_DEP_3) | instskip(NEXT) | instid1(VALU_DEP_3)
	v_not_b32_e32 v20, v17
	v_and_b32_e32 v16, v16, v18
	v_lshlrev_b32_e32 v18, 26, v22
	s_wait_alu 0xfffd
	v_xor_b32_e32 v19, vcc_lo, v19
	v_cmp_gt_i32_e32 vcc_lo, 0, v17
	v_ashrrev_i32_e32 v17, 31, v20
	v_not_b32_e32 v20, v18
	s_delay_alu instid0(VALU_DEP_4)
	v_and_b32_e32 v16, v16, v19
	v_lshlrev_b32_e32 v19, 25, v22
	s_wait_alu 0xfffd
	v_xor_b32_e32 v17, vcc_lo, v17
	v_cmp_gt_i32_e32 vcc_lo, 0, v18
	v_ashrrev_i32_e32 v18, 31, v20
	s_wait_kmcnt 0x0
	s_lshr_b32 s11, s8, 16
	v_not_b32_e32 v20, v19
	v_and_b32_e32 v16, v16, v17
	v_lshlrev_b32_e32 v17, 24, v22
	s_wait_alu 0xfffd
	v_xor_b32_e32 v18, vcc_lo, v18
	v_cmp_gt_i32_e32 vcc_lo, 0, v19
	v_ashrrev_i32_e32 v19, 31, v20
	s_wait_alu 0xfffe
	v_mad_u32_u24 v21, v70, s11, v69
	v_not_b32_e32 v20, v17
	v_and_b32_e32 v18, v16, v18
	s_and_b32 s8, s8, 0xffff
	s_wait_alu 0xfffd
	v_xor_b32_e32 v19, vcc_lo, v19
	v_cmp_gt_i32_e32 vcc_lo, 0, v17
	v_ashrrev_i32_e32 v20, 31, v20
	s_wait_alu 0xfffe
	v_mad_co_u64_u32 v[16:17], null, v21, s8, v[44:45]
	v_and_b32_e32 v17, v18, v19
	s_wait_alu 0xfffd
	v_xor_b32_e32 v23, vcc_lo, v20
	v_dual_mov_b32 v18, s20 :: v_dual_mov_b32 v19, s21
	v_dual_mov_b32 v20, s22 :: v_dual_mov_b32 v21, s23
	s_delay_alu instid0(VALU_DEP_3)
	v_and_b32_e32 v17, v17, v23
	v_and_b32_e32 v22, 0xff, v22
	v_lshrrev_b32_e32 v16, 3, v16
	ds_store_b128 v66, v[18:21] offset:16
	ds_store_b128 v66, v[18:21] offset:32
	v_mbcnt_lo_u32_b32 v32, v17, 0
	v_lshlrev_b32_e32 v18, 4, v22
	v_and_b32_e32 v16, 0x1ffffffc, v16
	v_cmp_ne_u32_e64 s8, 0, v17
	s_wait_loadcnt_dscnt 0x0
	v_cmp_eq_u32_e32 vcc_lo, 0, v32
	s_barrier_signal -1
	v_add_nc_u32_e32 v33, v16, v18
	s_barrier_wait -1
	global_inv scope:SCOPE_SE
	s_and_b32 s11, s8, vcc_lo
	; wave barrier
	s_wait_alu 0xfffe
	s_and_saveexec_b32 s8, s11
; %bb.62:
	v_bcnt_u32_b32 v17, v17, 0
	ds_store_b32 v33, v17 offset:16
; %bb.63:
	s_wait_alu 0xfffe
	s_or_b32 exec_lo, exec_lo, s8
	v_and_b32_e32 v17, s9, v25
	; wave barrier
	s_delay_alu instid0(VALU_DEP_1)
	v_and_b32_e32 v19, 1, v17
	v_lshlrev_b32_e32 v20, 30, v17
	v_lshlrev_b32_e32 v21, 29, v17
	;; [unrolled: 1-line block ×4, first 2 shown]
	v_add_co_u32 v19, s8, v19, -1
	s_wait_alu 0xf1ff
	v_cndmask_b32_e64 v23, 0, 1, s8
	v_not_b32_e32 v37, v20
	v_cmp_gt_i32_e64 s8, 0, v20
	v_not_b32_e32 v20, v21
	v_lshlrev_b32_e32 v35, 26, v17
	v_cmp_ne_u32_e32 vcc_lo, 0, v23
	v_ashrrev_i32_e32 v23, 31, v37
	v_lshlrev_b32_e32 v36, 25, v17
	v_ashrrev_i32_e32 v20, 31, v20
	v_and_b32_e32 v18, 0xff, v17
	s_wait_alu 0xfffd
	v_xor_b32_e32 v19, vcc_lo, v19
	v_cmp_gt_i32_e32 vcc_lo, 0, v21
	v_not_b32_e32 v21, v22
	s_wait_alu 0xf1ff
	v_xor_b32_e32 v23, s8, v23
	v_cmp_gt_i32_e64 s8, 0, v22
	v_and_b32_e32 v19, exec_lo, v19
	v_not_b32_e32 v22, v34
	v_ashrrev_i32_e32 v21, 31, v21
	s_wait_alu 0xfffd
	v_xor_b32_e32 v20, vcc_lo, v20
	v_cmp_gt_i32_e32 vcc_lo, 0, v34
	v_and_b32_e32 v19, v19, v23
	v_not_b32_e32 v23, v35
	v_ashrrev_i32_e32 v22, 31, v22
	s_wait_alu 0xf1ff
	v_xor_b32_e32 v21, s8, v21
	v_lshlrev_b32_e32 v17, 24, v17
	v_and_b32_e32 v19, v19, v20
	v_cmp_gt_i32_e64 s8, 0, v35
	v_not_b32_e32 v20, v36
	v_ashrrev_i32_e32 v23, 31, v23
	s_wait_alu 0xfffd
	v_xor_b32_e32 v22, vcc_lo, v22
	v_and_b32_e32 v19, v19, v21
	v_cmp_gt_i32_e32 vcc_lo, 0, v36
	v_not_b32_e32 v21, v17
	v_ashrrev_i32_e32 v20, 31, v20
	s_wait_alu 0xf1ff
	v_xor_b32_e32 v23, s8, v23
	v_and_b32_e32 v19, v19, v22
	v_lshlrev_b32_e32 v18, 4, v18
	v_cmp_gt_i32_e64 s8, 0, v17
	v_ashrrev_i32_e32 v17, 31, v21
	s_wait_alu 0xfffd
	v_xor_b32_e32 v20, vcc_lo, v20
	v_and_b32_e32 v19, v19, v23
	v_add_nc_u32_e32 v36, v16, v18
	s_wait_alu 0xf1ff
	v_xor_b32_e32 v17, s8, v17
	s_delay_alu instid0(VALU_DEP_3) | instskip(SKIP_2) | instid1(VALU_DEP_1)
	v_and_b32_e32 v18, v19, v20
	ds_load_b32 v34, v36 offset:16
	; wave barrier
	v_and_b32_e32 v17, v18, v17
	v_mbcnt_lo_u32_b32 v35, v17, 0
	v_cmp_ne_u32_e64 s8, 0, v17
	s_delay_alu instid0(VALU_DEP_2)
	v_cmp_eq_u32_e32 vcc_lo, 0, v35
	s_and_b32 s11, s8, vcc_lo
	s_wait_alu 0xfffe
	s_and_saveexec_b32 s8, s11
	s_cbranch_execz .LBB82_65
; %bb.64:
	s_wait_dscnt 0x0
	v_bcnt_u32_b32 v17, v17, v34
	ds_store_b32 v36, v17 offset:16
.LBB82_65:
	s_wait_alu 0xfffe
	s_or_b32 exec_lo, exec_lo, s8
	v_and_b32_e32 v17, s9, v26
	; wave barrier
	s_delay_alu instid0(VALU_DEP_1)
	v_and_b32_e32 v19, 1, v17
	v_lshlrev_b32_e32 v20, 30, v17
	v_lshlrev_b32_e32 v21, 29, v17
	;; [unrolled: 1-line block ×4, first 2 shown]
	v_add_co_u32 v19, s8, v19, -1
	s_wait_alu 0xf1ff
	v_cndmask_b32_e64 v23, 0, 1, s8
	v_not_b32_e32 v40, v20
	v_cmp_gt_i32_e64 s8, 0, v20
	v_not_b32_e32 v20, v21
	v_lshlrev_b32_e32 v38, 26, v17
	v_cmp_ne_u32_e32 vcc_lo, 0, v23
	v_ashrrev_i32_e32 v23, 31, v40
	v_lshlrev_b32_e32 v39, 25, v17
	v_ashrrev_i32_e32 v20, 31, v20
	v_and_b32_e32 v18, 0xff, v17
	s_wait_alu 0xfffd
	v_xor_b32_e32 v19, vcc_lo, v19
	v_cmp_gt_i32_e32 vcc_lo, 0, v21
	v_not_b32_e32 v21, v22
	s_wait_alu 0xf1ff
	v_xor_b32_e32 v23, s8, v23
	v_cmp_gt_i32_e64 s8, 0, v22
	v_and_b32_e32 v19, exec_lo, v19
	v_not_b32_e32 v22, v37
	v_ashrrev_i32_e32 v21, 31, v21
	s_wait_alu 0xfffd
	v_xor_b32_e32 v20, vcc_lo, v20
	v_cmp_gt_i32_e32 vcc_lo, 0, v37
	v_and_b32_e32 v19, v19, v23
	v_not_b32_e32 v23, v38
	v_ashrrev_i32_e32 v22, 31, v22
	s_wait_alu 0xf1ff
	v_xor_b32_e32 v21, s8, v21
	v_lshlrev_b32_e32 v17, 24, v17
	v_and_b32_e32 v19, v19, v20
	v_cmp_gt_i32_e64 s8, 0, v38
	v_not_b32_e32 v20, v39
	v_ashrrev_i32_e32 v23, 31, v23
	s_wait_alu 0xfffd
	v_xor_b32_e32 v22, vcc_lo, v22
	v_and_b32_e32 v19, v19, v21
	v_cmp_gt_i32_e32 vcc_lo, 0, v39
	v_not_b32_e32 v21, v17
	v_ashrrev_i32_e32 v20, 31, v20
	s_wait_alu 0xf1ff
	v_xor_b32_e32 v23, s8, v23
	v_and_b32_e32 v19, v19, v22
	v_lshlrev_b32_e32 v18, 4, v18
	v_cmp_gt_i32_e64 s8, 0, v17
	v_ashrrev_i32_e32 v17, 31, v21
	s_wait_alu 0xfffd
	v_xor_b32_e32 v20, vcc_lo, v20
	v_and_b32_e32 v19, v19, v23
	v_add_nc_u32_e32 v39, v16, v18
	s_wait_alu 0xf1ff
	v_xor_b32_e32 v17, s8, v17
	s_delay_alu instid0(VALU_DEP_3) | instskip(SKIP_2) | instid1(VALU_DEP_1)
	v_and_b32_e32 v18, v19, v20
	ds_load_b32 v37, v39 offset:16
	; wave barrier
	v_and_b32_e32 v17, v18, v17
	v_mbcnt_lo_u32_b32 v38, v17, 0
	v_cmp_ne_u32_e64 s8, 0, v17
	s_delay_alu instid0(VALU_DEP_2)
	v_cmp_eq_u32_e32 vcc_lo, 0, v38
	s_and_b32 s11, s8, vcc_lo
	s_wait_alu 0xfffe
	s_and_saveexec_b32 s8, s11
	s_cbranch_execz .LBB82_67
; %bb.66:
	s_wait_dscnt 0x0
	v_bcnt_u32_b32 v17, v17, v37
	ds_store_b32 v39, v17 offset:16
.LBB82_67:
	s_wait_alu 0xfffe
	s_or_b32 exec_lo, exec_lo, s8
	v_and_b32_e32 v17, s9, v27
	; wave barrier
	s_delay_alu instid0(VALU_DEP_1)
	v_and_b32_e32 v19, 1, v17
	v_lshlrev_b32_e32 v20, 30, v17
	v_lshlrev_b32_e32 v21, 29, v17
	;; [unrolled: 1-line block ×4, first 2 shown]
	v_add_co_u32 v19, s8, v19, -1
	s_wait_alu 0xf1ff
	v_cndmask_b32_e64 v23, 0, 1, s8
	v_not_b32_e32 v69, v20
	v_cmp_gt_i32_e64 s8, 0, v20
	v_not_b32_e32 v20, v21
	v_lshlrev_b32_e32 v45, 26, v17
	v_cmp_ne_u32_e32 vcc_lo, 0, v23
	v_ashrrev_i32_e32 v23, 31, v69
	v_lshlrev_b32_e32 v46, 25, v17
	v_ashrrev_i32_e32 v20, 31, v20
	v_and_b32_e32 v18, 0xff, v17
	s_wait_alu 0xfffd
	v_xor_b32_e32 v19, vcc_lo, v19
	v_cmp_gt_i32_e32 vcc_lo, 0, v21
	v_not_b32_e32 v21, v22
	s_wait_alu 0xf1ff
	v_xor_b32_e32 v23, s8, v23
	v_cmp_gt_i32_e64 s8, 0, v22
	v_and_b32_e32 v19, exec_lo, v19
	v_not_b32_e32 v22, v40
	v_ashrrev_i32_e32 v21, 31, v21
	s_wait_alu 0xfffd
	v_xor_b32_e32 v20, vcc_lo, v20
	v_cmp_gt_i32_e32 vcc_lo, 0, v40
	v_and_b32_e32 v19, v19, v23
	v_not_b32_e32 v23, v45
	v_ashrrev_i32_e32 v22, 31, v22
	s_wait_alu 0xf1ff
	v_xor_b32_e32 v21, s8, v21
	v_lshlrev_b32_e32 v17, 24, v17
	v_and_b32_e32 v19, v19, v20
	v_cmp_gt_i32_e64 s8, 0, v45
	v_not_b32_e32 v20, v46
	v_ashrrev_i32_e32 v23, 31, v23
	s_wait_alu 0xfffd
	v_xor_b32_e32 v22, vcc_lo, v22
	v_and_b32_e32 v19, v19, v21
	v_cmp_gt_i32_e32 vcc_lo, 0, v46
	v_not_b32_e32 v21, v17
	v_ashrrev_i32_e32 v20, 31, v20
	s_wait_alu 0xf1ff
	v_xor_b32_e32 v23, s8, v23
	v_and_b32_e32 v19, v19, v22
	v_lshlrev_b32_e32 v18, 4, v18
	v_cmp_gt_i32_e64 s8, 0, v17
	v_ashrrev_i32_e32 v17, 31, v21
	s_wait_alu 0xfffd
	v_xor_b32_e32 v20, vcc_lo, v20
	v_and_b32_e32 v19, v19, v23
	v_add_nc_u32_e32 v46, v16, v18
	s_wait_alu 0xf1ff
	v_xor_b32_e32 v17, s8, v17
	s_delay_alu instid0(VALU_DEP_3) | instskip(SKIP_2) | instid1(VALU_DEP_1)
	v_and_b32_e32 v18, v19, v20
	ds_load_b32 v40, v46 offset:16
	; wave barrier
	v_and_b32_e32 v17, v18, v17
	v_mbcnt_lo_u32_b32 v45, v17, 0
	v_cmp_ne_u32_e64 s8, 0, v17
	s_delay_alu instid0(VALU_DEP_2)
	v_cmp_eq_u32_e32 vcc_lo, 0, v45
	s_and_b32 s11, s8, vcc_lo
	s_wait_alu 0xfffe
	s_and_saveexec_b32 s8, s11
	s_cbranch_execz .LBB82_69
; %bb.68:
	s_wait_dscnt 0x0
	v_bcnt_u32_b32 v17, v17, v40
	ds_store_b32 v46, v17 offset:16
.LBB82_69:
	s_wait_alu 0xfffe
	s_or_b32 exec_lo, exec_lo, s8
	v_and_b32_e32 v17, s9, v28
	; wave barrier
	s_delay_alu instid0(VALU_DEP_1)
	v_and_b32_e32 v19, 1, v17
	v_lshlrev_b32_e32 v20, 30, v17
	v_lshlrev_b32_e32 v21, 29, v17
	;; [unrolled: 1-line block ×4, first 2 shown]
	v_add_co_u32 v19, s8, v19, -1
	s_wait_alu 0xf1ff
	v_cndmask_b32_e64 v23, 0, 1, s8
	v_not_b32_e32 v72, v20
	v_cmp_gt_i32_e64 s8, 0, v20
	v_not_b32_e32 v20, v21
	v_lshlrev_b32_e32 v70, 26, v17
	v_cmp_ne_u32_e32 vcc_lo, 0, v23
	v_ashrrev_i32_e32 v23, 31, v72
	v_lshlrev_b32_e32 v71, 25, v17
	v_ashrrev_i32_e32 v20, 31, v20
	v_and_b32_e32 v18, 0xff, v17
	s_wait_alu 0xfffd
	v_xor_b32_e32 v19, vcc_lo, v19
	v_cmp_gt_i32_e32 vcc_lo, 0, v21
	v_not_b32_e32 v21, v22
	s_wait_alu 0xf1ff
	v_xor_b32_e32 v23, s8, v23
	v_cmp_gt_i32_e64 s8, 0, v22
	v_and_b32_e32 v19, exec_lo, v19
	v_not_b32_e32 v22, v69
	v_ashrrev_i32_e32 v21, 31, v21
	s_wait_alu 0xfffd
	v_xor_b32_e32 v20, vcc_lo, v20
	v_cmp_gt_i32_e32 vcc_lo, 0, v69
	v_and_b32_e32 v19, v19, v23
	v_not_b32_e32 v23, v70
	v_ashrrev_i32_e32 v22, 31, v22
	s_wait_alu 0xf1ff
	v_xor_b32_e32 v21, s8, v21
	v_lshlrev_b32_e32 v17, 24, v17
	v_and_b32_e32 v19, v19, v20
	v_cmp_gt_i32_e64 s8, 0, v70
	v_not_b32_e32 v20, v71
	v_ashrrev_i32_e32 v23, 31, v23
	s_wait_alu 0xfffd
	v_xor_b32_e32 v22, vcc_lo, v22
	v_and_b32_e32 v19, v19, v21
	v_cmp_gt_i32_e32 vcc_lo, 0, v71
	v_not_b32_e32 v21, v17
	v_ashrrev_i32_e32 v20, 31, v20
	s_wait_alu 0xf1ff
	v_xor_b32_e32 v23, s8, v23
	v_and_b32_e32 v19, v19, v22
	v_lshlrev_b32_e32 v18, 4, v18
	v_cmp_gt_i32_e64 s8, 0, v17
	v_ashrrev_i32_e32 v17, 31, v21
	s_wait_alu 0xfffd
	v_xor_b32_e32 v20, vcc_lo, v20
	v_and_b32_e32 v19, v19, v23
	v_add_nc_u32_e32 v71, v16, v18
	s_wait_alu 0xf1ff
	v_xor_b32_e32 v17, s8, v17
	s_delay_alu instid0(VALU_DEP_3) | instskip(SKIP_2) | instid1(VALU_DEP_1)
	v_and_b32_e32 v18, v19, v20
	ds_load_b32 v69, v71 offset:16
	; wave barrier
	v_and_b32_e32 v17, v18, v17
	v_mbcnt_lo_u32_b32 v70, v17, 0
	v_cmp_ne_u32_e64 s8, 0, v17
	s_delay_alu instid0(VALU_DEP_2)
	v_cmp_eq_u32_e32 vcc_lo, 0, v70
	s_and_b32 s11, s8, vcc_lo
	s_wait_alu 0xfffe
	s_and_saveexec_b32 s8, s11
	s_cbranch_execz .LBB82_71
; %bb.70:
	s_wait_dscnt 0x0
	v_bcnt_u32_b32 v17, v17, v69
	ds_store_b32 v71, v17 offset:16
.LBB82_71:
	s_wait_alu 0xfffe
	s_or_b32 exec_lo, exec_lo, s8
	v_and_b32_e32 v17, s9, v29
	; wave barrier
	s_delay_alu instid0(VALU_DEP_1)
	v_and_b32_e32 v19, 1, v17
	v_lshlrev_b32_e32 v20, 30, v17
	v_lshlrev_b32_e32 v21, 29, v17
	;; [unrolled: 1-line block ×4, first 2 shown]
	v_add_co_u32 v19, s8, v19, -1
	s_wait_alu 0xf1ff
	v_cndmask_b32_e64 v23, 0, 1, s8
	v_not_b32_e32 v75, v20
	v_cmp_gt_i32_e64 s8, 0, v20
	v_not_b32_e32 v20, v21
	v_lshlrev_b32_e32 v73, 26, v17
	v_cmp_ne_u32_e32 vcc_lo, 0, v23
	v_ashrrev_i32_e32 v23, 31, v75
	v_lshlrev_b32_e32 v74, 25, v17
	v_ashrrev_i32_e32 v20, 31, v20
	v_and_b32_e32 v18, 0xff, v17
	s_wait_alu 0xfffd
	v_xor_b32_e32 v19, vcc_lo, v19
	v_cmp_gt_i32_e32 vcc_lo, 0, v21
	v_not_b32_e32 v21, v22
	s_wait_alu 0xf1ff
	v_xor_b32_e32 v23, s8, v23
	v_cmp_gt_i32_e64 s8, 0, v22
	v_and_b32_e32 v19, exec_lo, v19
	v_not_b32_e32 v22, v72
	v_ashrrev_i32_e32 v21, 31, v21
	s_wait_alu 0xfffd
	v_xor_b32_e32 v20, vcc_lo, v20
	v_cmp_gt_i32_e32 vcc_lo, 0, v72
	v_and_b32_e32 v19, v19, v23
	v_not_b32_e32 v23, v73
	v_ashrrev_i32_e32 v22, 31, v22
	s_wait_alu 0xf1ff
	v_xor_b32_e32 v21, s8, v21
	v_lshlrev_b32_e32 v17, 24, v17
	v_and_b32_e32 v19, v19, v20
	v_cmp_gt_i32_e64 s8, 0, v73
	v_not_b32_e32 v20, v74
	v_ashrrev_i32_e32 v23, 31, v23
	s_wait_alu 0xfffd
	v_xor_b32_e32 v22, vcc_lo, v22
	v_and_b32_e32 v19, v19, v21
	v_cmp_gt_i32_e32 vcc_lo, 0, v74
	v_not_b32_e32 v21, v17
	v_ashrrev_i32_e32 v20, 31, v20
	s_wait_alu 0xf1ff
	v_xor_b32_e32 v23, s8, v23
	v_and_b32_e32 v19, v19, v22
	v_lshlrev_b32_e32 v18, 4, v18
	v_cmp_gt_i32_e64 s8, 0, v17
	v_ashrrev_i32_e32 v17, 31, v21
	s_wait_alu 0xfffd
	v_xor_b32_e32 v20, vcc_lo, v20
	v_and_b32_e32 v19, v19, v23
	v_add_nc_u32_e32 v74, v16, v18
	s_wait_alu 0xf1ff
	v_xor_b32_e32 v17, s8, v17
	s_delay_alu instid0(VALU_DEP_3) | instskip(SKIP_2) | instid1(VALU_DEP_1)
	v_and_b32_e32 v18, v19, v20
	ds_load_b32 v72, v74 offset:16
	; wave barrier
	v_and_b32_e32 v17, v18, v17
	v_mbcnt_lo_u32_b32 v73, v17, 0
	v_cmp_ne_u32_e64 s8, 0, v17
	s_delay_alu instid0(VALU_DEP_2)
	v_cmp_eq_u32_e32 vcc_lo, 0, v73
	s_and_b32 s11, s8, vcc_lo
	s_wait_alu 0xfffe
	s_and_saveexec_b32 s8, s11
	s_cbranch_execz .LBB82_73
; %bb.72:
	s_wait_dscnt 0x0
	v_bcnt_u32_b32 v17, v17, v72
	ds_store_b32 v74, v17 offset:16
.LBB82_73:
	s_wait_alu 0xfffe
	s_or_b32 exec_lo, exec_lo, s8
	v_and_b32_e32 v17, s9, v30
	; wave barrier
	s_delay_alu instid0(VALU_DEP_1)
	v_and_b32_e32 v19, 1, v17
	v_lshlrev_b32_e32 v20, 30, v17
	v_lshlrev_b32_e32 v21, 29, v17
	;; [unrolled: 1-line block ×4, first 2 shown]
	v_add_co_u32 v19, s8, v19, -1
	s_wait_alu 0xf1ff
	v_cndmask_b32_e64 v23, 0, 1, s8
	v_not_b32_e32 v78, v20
	v_cmp_gt_i32_e64 s8, 0, v20
	v_not_b32_e32 v20, v21
	v_lshlrev_b32_e32 v76, 26, v17
	v_cmp_ne_u32_e32 vcc_lo, 0, v23
	v_ashrrev_i32_e32 v23, 31, v78
	v_lshlrev_b32_e32 v77, 25, v17
	v_ashrrev_i32_e32 v20, 31, v20
	v_and_b32_e32 v18, 0xff, v17
	s_wait_alu 0xfffd
	v_xor_b32_e32 v19, vcc_lo, v19
	v_cmp_gt_i32_e32 vcc_lo, 0, v21
	v_not_b32_e32 v21, v22
	s_wait_alu 0xf1ff
	v_xor_b32_e32 v23, s8, v23
	v_cmp_gt_i32_e64 s8, 0, v22
	v_and_b32_e32 v19, exec_lo, v19
	v_not_b32_e32 v22, v75
	v_ashrrev_i32_e32 v21, 31, v21
	s_wait_alu 0xfffd
	v_xor_b32_e32 v20, vcc_lo, v20
	v_cmp_gt_i32_e32 vcc_lo, 0, v75
	v_and_b32_e32 v19, v19, v23
	v_not_b32_e32 v23, v76
	v_ashrrev_i32_e32 v22, 31, v22
	s_wait_alu 0xf1ff
	v_xor_b32_e32 v21, s8, v21
	v_lshlrev_b32_e32 v17, 24, v17
	v_and_b32_e32 v19, v19, v20
	v_cmp_gt_i32_e64 s8, 0, v76
	v_not_b32_e32 v20, v77
	v_ashrrev_i32_e32 v23, 31, v23
	s_wait_alu 0xfffd
	v_xor_b32_e32 v22, vcc_lo, v22
	v_and_b32_e32 v19, v19, v21
	v_cmp_gt_i32_e32 vcc_lo, 0, v77
	v_not_b32_e32 v21, v17
	v_ashrrev_i32_e32 v20, 31, v20
	s_wait_alu 0xf1ff
	v_xor_b32_e32 v23, s8, v23
	v_and_b32_e32 v19, v19, v22
	v_lshlrev_b32_e32 v18, 4, v18
	v_cmp_gt_i32_e64 s8, 0, v17
	v_ashrrev_i32_e32 v17, 31, v21
	s_wait_alu 0xfffd
	v_xor_b32_e32 v20, vcc_lo, v20
	v_and_b32_e32 v19, v19, v23
	v_add_nc_u32_e32 v77, v16, v18
	s_wait_alu 0xf1ff
	v_xor_b32_e32 v17, s8, v17
	s_delay_alu instid0(VALU_DEP_3) | instskip(SKIP_2) | instid1(VALU_DEP_1)
	v_and_b32_e32 v18, v19, v20
	ds_load_b32 v75, v77 offset:16
	; wave barrier
	v_and_b32_e32 v17, v18, v17
	v_mbcnt_lo_u32_b32 v76, v17, 0
	v_cmp_ne_u32_e64 s8, 0, v17
	s_delay_alu instid0(VALU_DEP_2)
	v_cmp_eq_u32_e32 vcc_lo, 0, v76
	s_and_b32 s11, s8, vcc_lo
	s_wait_alu 0xfffe
	s_and_saveexec_b32 s8, s11
	s_cbranch_execz .LBB82_75
; %bb.74:
	s_wait_dscnt 0x0
	v_bcnt_u32_b32 v17, v17, v75
	ds_store_b32 v77, v17 offset:16
.LBB82_75:
	s_wait_alu 0xfffe
	s_or_b32 exec_lo, exec_lo, s8
	v_and_b32_e32 v17, s9, v31
	; wave barrier
	s_delay_alu instid0(VALU_DEP_1)
	v_and_b32_e32 v19, 1, v17
	v_lshlrev_b32_e32 v20, 30, v17
	v_lshlrev_b32_e32 v21, 29, v17
	;; [unrolled: 1-line block ×4, first 2 shown]
	v_add_co_u32 v19, s8, v19, -1
	s_wait_alu 0xf1ff
	v_cndmask_b32_e64 v23, 0, 1, s8
	v_not_b32_e32 v81, v20
	v_cmp_gt_i32_e64 s8, 0, v20
	v_not_b32_e32 v20, v21
	v_lshlrev_b32_e32 v79, 26, v17
	v_cmp_ne_u32_e32 vcc_lo, 0, v23
	v_ashrrev_i32_e32 v23, 31, v81
	v_lshlrev_b32_e32 v80, 25, v17
	v_ashrrev_i32_e32 v20, 31, v20
	v_and_b32_e32 v18, 0xff, v17
	s_wait_alu 0xfffd
	v_xor_b32_e32 v19, vcc_lo, v19
	v_cmp_gt_i32_e32 vcc_lo, 0, v21
	v_not_b32_e32 v21, v22
	s_wait_alu 0xf1ff
	v_xor_b32_e32 v23, s8, v23
	v_cmp_gt_i32_e64 s8, 0, v22
	v_and_b32_e32 v19, exec_lo, v19
	v_not_b32_e32 v22, v78
	v_ashrrev_i32_e32 v21, 31, v21
	s_wait_alu 0xfffd
	v_xor_b32_e32 v20, vcc_lo, v20
	v_cmp_gt_i32_e32 vcc_lo, 0, v78
	v_and_b32_e32 v19, v19, v23
	v_not_b32_e32 v23, v79
	v_ashrrev_i32_e32 v22, 31, v22
	s_wait_alu 0xf1ff
	v_xor_b32_e32 v21, s8, v21
	v_lshlrev_b32_e32 v17, 24, v17
	v_and_b32_e32 v19, v19, v20
	v_cmp_gt_i32_e64 s8, 0, v79
	v_not_b32_e32 v20, v80
	v_ashrrev_i32_e32 v23, 31, v23
	s_wait_alu 0xfffd
	v_xor_b32_e32 v22, vcc_lo, v22
	v_and_b32_e32 v19, v19, v21
	v_cmp_gt_i32_e32 vcc_lo, 0, v80
	v_not_b32_e32 v21, v17
	v_ashrrev_i32_e32 v20, 31, v20
	s_wait_alu 0xf1ff
	v_xor_b32_e32 v23, s8, v23
	v_and_b32_e32 v19, v19, v22
	v_lshlrev_b32_e32 v18, 4, v18
	v_cmp_gt_i32_e64 s8, 0, v17
	v_ashrrev_i32_e32 v17, 31, v21
	s_wait_alu 0xfffd
	v_xor_b32_e32 v20, vcc_lo, v20
	v_and_b32_e32 v19, v19, v23
	v_add_nc_u32_e32 v80, v16, v18
	s_wait_alu 0xf1ff
	v_xor_b32_e32 v16, s8, v17
	s_delay_alu instid0(VALU_DEP_3) | instskip(SKIP_2) | instid1(VALU_DEP_1)
	v_and_b32_e32 v17, v19, v20
	ds_load_b32 v78, v80 offset:16
	; wave barrier
	v_and_b32_e32 v16, v17, v16
	v_mbcnt_lo_u32_b32 v79, v16, 0
	v_cmp_ne_u32_e64 s8, 0, v16
	s_delay_alu instid0(VALU_DEP_2)
	v_cmp_eq_u32_e32 vcc_lo, 0, v79
	s_and_b32 s9, s8, vcc_lo
	s_wait_alu 0xfffe
	s_and_saveexec_b32 s8, s9
	s_cbranch_execz .LBB82_77
; %bb.76:
	s_wait_dscnt 0x0
	v_bcnt_u32_b32 v16, v16, v78
	ds_store_b32 v80, v16 offset:16
.LBB82_77:
	s_wait_alu 0xfffe
	s_or_b32 exec_lo, exec_lo, s8
	; wave barrier
	s_wait_loadcnt_dscnt 0x0
	s_barrier_signal -1
	s_barrier_wait -1
	global_inv scope:SCOPE_SE
	ds_load_b128 v[20:23], v66 offset:16
	ds_load_b128 v[16:19], v66 offset:32
	v_min_u32_e32 v68, 0x60, v68
	s_mov_b32 s8, exec_lo
	s_delay_alu instid0(VALU_DEP_1) | instskip(SKIP_2) | instid1(VALU_DEP_1)
	v_or_b32_e32 v68, 31, v68
	s_wait_dscnt 0x1
	v_add_nc_u32_e32 v81, v21, v20
	v_add3_u32 v81, v81, v22, v23
	s_wait_dscnt 0x0
	s_delay_alu instid0(VALU_DEP_1) | instskip(NEXT) | instid1(VALU_DEP_1)
	v_add3_u32 v81, v81, v16, v17
	v_add3_u32 v19, v81, v18, v19
	v_and_b32_e32 v81, 15, v67
	s_delay_alu instid0(VALU_DEP_2) | instskip(NEXT) | instid1(VALU_DEP_2)
	v_mov_b32_dpp v82, v19 row_shr:1 row_mask:0xf bank_mask:0xf
	v_cmp_ne_u32_e32 vcc_lo, 0, v81
	s_wait_alu 0xfffd
	s_delay_alu instid0(VALU_DEP_2) | instskip(SKIP_1) | instid1(VALU_DEP_2)
	v_cndmask_b32_e32 v82, 0, v82, vcc_lo
	v_cmp_lt_u32_e32 vcc_lo, 1, v81
	v_add_nc_u32_e32 v19, v82, v19
	s_delay_alu instid0(VALU_DEP_1) | instskip(SKIP_1) | instid1(VALU_DEP_1)
	v_mov_b32_dpp v82, v19 row_shr:2 row_mask:0xf bank_mask:0xf
	s_wait_alu 0xfffd
	v_cndmask_b32_e32 v82, 0, v82, vcc_lo
	v_cmp_lt_u32_e32 vcc_lo, 3, v81
	s_delay_alu instid0(VALU_DEP_2) | instskip(NEXT) | instid1(VALU_DEP_1)
	v_add_nc_u32_e32 v19, v19, v82
	v_mov_b32_dpp v82, v19 row_shr:4 row_mask:0xf bank_mask:0xf
	s_wait_alu 0xfffd
	s_delay_alu instid0(VALU_DEP_1) | instskip(SKIP_1) | instid1(VALU_DEP_2)
	v_cndmask_b32_e32 v82, 0, v82, vcc_lo
	v_cmp_lt_u32_e32 vcc_lo, 7, v81
	v_add_nc_u32_e32 v19, v19, v82
	s_delay_alu instid0(VALU_DEP_1) | instskip(SKIP_1) | instid1(VALU_DEP_1)
	v_mov_b32_dpp v82, v19 row_shr:8 row_mask:0xf bank_mask:0xf
	s_wait_alu 0xfffd
	v_cndmask_b32_e32 v81, 0, v82, vcc_lo
	v_bfe_i32 v82, v67, 4, 1
	s_delay_alu instid0(VALU_DEP_2) | instskip(SKIP_3) | instid1(VALU_DEP_1)
	v_add_nc_u32_e32 v19, v19, v81
	ds_swizzle_b32 v81, v19 offset:swizzle(BROADCAST,32,15)
	s_wait_dscnt 0x0
	v_and_b32_e32 v81, v82, v81
	v_add_nc_u32_e32 v19, v19, v81
	v_cmpx_eq_u32_e64 v44, v68
; %bb.78:
	v_lshlrev_b32_e32 v68, 2, v62
	ds_store_b32 v68, v19
; %bb.79:
	s_wait_alu 0xfffe
	s_or_b32 exec_lo, exec_lo, s8
	s_delay_alu instid0(SALU_CYCLE_1)
	s_mov_b32 s8, exec_lo
	s_wait_loadcnt_dscnt 0x0
	s_barrier_signal -1
	s_barrier_wait -1
	global_inv scope:SCOPE_SE
	v_cmpx_gt_u32_e32 4, v44
	s_cbranch_execz .LBB82_81
; %bb.80:
	v_and_b32_e32 v82, 3, v67
	s_delay_alu instid0(VALU_DEP_1)
	v_cmp_ne_u32_e32 vcc_lo, 0, v82
	v_lshlrev_b32_e32 v68, 2, v44
	ds_load_b32 v81, v68
	s_wait_dscnt 0x0
	v_mov_b32_dpp v83, v81 row_shr:1 row_mask:0xf bank_mask:0xf
	s_wait_alu 0xfffd
	s_delay_alu instid0(VALU_DEP_1) | instskip(SKIP_1) | instid1(VALU_DEP_2)
	v_cndmask_b32_e32 v83, 0, v83, vcc_lo
	v_cmp_lt_u32_e32 vcc_lo, 1, v82
	v_add_nc_u32_e32 v81, v83, v81
	s_delay_alu instid0(VALU_DEP_1) | instskip(SKIP_1) | instid1(VALU_DEP_1)
	v_mov_b32_dpp v83, v81 row_shr:2 row_mask:0xf bank_mask:0xf
	s_wait_alu 0xfffd
	v_cndmask_b32_e32 v82, 0, v83, vcc_lo
	s_delay_alu instid0(VALU_DEP_1)
	v_add_nc_u32_e32 v81, v81, v82
	ds_store_b32 v68, v81
.LBB82_81:
	s_wait_alu 0xfffe
	s_or_b32 exec_lo, exec_lo, s8
	v_mov_b32_e32 v68, 0
	s_mov_b32 s8, exec_lo
	s_wait_loadcnt_dscnt 0x0
	s_barrier_signal -1
	s_barrier_wait -1
	global_inv scope:SCOPE_SE
	v_cmpx_lt_u32_e32 31, v44
; %bb.82:
	v_lshl_add_u32 v62, v62, 2, -4
	ds_load_b32 v68, v62
; %bb.83:
	s_wait_alu 0xfffe
	s_or_b32 exec_lo, exec_lo, s8
	v_sub_co_u32 v62, vcc_lo, v67, 1
	s_wait_dscnt 0x0
	v_add_nc_u32_e32 v19, v68, v19
	s_delay_alu instid0(VALU_DEP_2) | instskip(SKIP_1) | instid1(VALU_DEP_1)
	v_cmp_gt_i32_e64 s8, 0, v62
	s_wait_alu 0xf1ff
	v_cndmask_b32_e64 v62, v62, v67, s8
	s_delay_alu instid0(VALU_DEP_1)
	v_lshlrev_b32_e32 v62, 2, v62
	ds_bpermute_b32 v19, v62, v19
	s_wait_dscnt 0x0
	s_wait_alu 0xfffd
	v_cndmask_b32_e32 v19, v19, v68, vcc_lo
	v_cmp_ne_u32_e32 vcc_lo, 0, v44
	s_wait_alu 0xfffd
	s_delay_alu instid0(VALU_DEP_2) | instskip(NEXT) | instid1(VALU_DEP_1)
	v_cndmask_b32_e32 v19, 0, v19, vcc_lo
	v_add_nc_u32_e32 v20, v19, v20
	s_delay_alu instid0(VALU_DEP_1) | instskip(NEXT) | instid1(VALU_DEP_1)
	v_add_nc_u32_e32 v21, v20, v21
	v_add_nc_u32_e32 v22, v21, v22
	s_delay_alu instid0(VALU_DEP_1) | instskip(NEXT) | instid1(VALU_DEP_1)
	v_add_nc_u32_e32 v81, v22, v23
	;; [unrolled: 3-line block ×3, first 2 shown]
	v_add_nc_u32_e32 v84, v83, v18
	ds_store_b128 v66, v[19:22] offset:16
	ds_store_b128 v66, v[81:84] offset:32
	s_wait_loadcnt_dscnt 0x0
	s_barrier_signal -1
	s_barrier_wait -1
	global_inv scope:SCOPE_SE
	ds_load_b32 v16, v33 offset:16
	ds_load_b32 v17, v36 offset:16
	ds_load_b32 v18, v39 offset:16
	ds_load_b32 v19, v46 offset:16
	ds_load_b32 v20, v71 offset:16
	ds_load_b32 v21, v74 offset:16
	ds_load_b32 v22, v77 offset:16
	ds_load_b32 v23, v80 offset:16
	v_mad_u32_u24 v36, v44, 56, v57
	s_wait_loadcnt_dscnt 0x0
	s_barrier_signal -1
	s_barrier_wait -1
	global_inv scope:SCOPE_SE
	v_add_nc_u32_e32 v16, v16, v32
	v_add3_u32 v17, v35, v34, v17
	v_add3_u32 v18, v38, v37, v18
	;; [unrolled: 1-line block ×7, first 2 shown]
	ds_store_b8 v16, v24
	ds_store_b8 v17, v25
	;; [unrolled: 1-line block ×8, first 2 shown]
	v_lshlrev_b32_e32 v16, 3, v16
	v_lshlrev_b32_e32 v17, 3, v17
	;; [unrolled: 1-line block ×8, first 2 shown]
	s_wait_loadcnt_dscnt 0x0
	s_barrier_signal -1
	s_barrier_wait -1
	global_inv scope:SCOPE_SE
	ds_load_b64 v[33:34], v57
	s_wait_loadcnt_dscnt 0x0
	s_barrier_signal -1
	s_barrier_wait -1
	global_inv scope:SCOPE_SE
	ds_store_b64 v16, v[0:1]
	ds_store_b64 v17, v[2:3]
	;; [unrolled: 1-line block ×8, first 2 shown]
	s_wait_loadcnt_dscnt 0x0
	s_barrier_signal -1
	s_barrier_wait -1
	global_inv scope:SCOPE_SE
	ds_load_b128 v[29:32], v36
	ds_load_b128 v[25:28], v36 offset:16
	ds_load_b128 v[21:24], v36 offset:32
	;; [unrolled: 1-line block ×3, first 2 shown]
	v_not_b32_e32 v33, v33
	v_not_b32_e32 v34, v34
.LBB82_84:
	s_wait_loadcnt_dscnt 0x0
	s_barrier_signal -1
	s_barrier_wait -1
	global_inv scope:SCOPE_SE
	ds_store_2addr_b32 v56, v33, v34 offset1:1
	s_wait_loadcnt_dscnt 0x0
	s_barrier_signal -1
	s_barrier_wait -1
	global_inv scope:SCOPE_SE
	ds_load_u8 v8, v49 offset:128
	ds_load_u8 v7, v50 offset:256
	;; [unrolled: 1-line block ×7, first 2 shown]
	v_add_co_u32 v0, s8, s14, v47
	s_wait_alu 0xf1ff
	v_add_co_ci_u32_e64 v1, null, s15, 0, s8
	s_and_saveexec_b32 s8, s0
	s_cbranch_execnz .LBB82_103
; %bb.85:
	s_wait_alu 0xfffe
	s_or_b32 exec_lo, exec_lo, s8
	s_and_saveexec_b32 s8, s1
	s_cbranch_execnz .LBB82_104
.LBB82_86:
	s_wait_alu 0xfffe
	s_or_b32 exec_lo, exec_lo, s8
	s_and_saveexec_b32 s8, s2
	s_cbranch_execnz .LBB82_105
.LBB82_87:
	s_wait_alu 0xfffe
	s_or_b32 exec_lo, exec_lo, s8
	s_and_saveexec_b32 s8, s3
	s_cbranch_execnz .LBB82_106
.LBB82_88:
	s_wait_alu 0xfffe
	s_or_b32 exec_lo, exec_lo, s8
	s_and_saveexec_b32 s8, s4
	s_cbranch_execnz .LBB82_107
.LBB82_89:
	s_wait_alu 0xfffe
	s_or_b32 exec_lo, exec_lo, s8
	s_and_saveexec_b32 s8, s5
	s_cbranch_execnz .LBB82_108
.LBB82_90:
	s_wait_alu 0xfffe
	s_or_b32 exec_lo, exec_lo, s8
	s_and_saveexec_b32 s8, s6
	s_cbranch_execnz .LBB82_109
.LBB82_91:
	s_wait_alu 0xfffe
	s_or_b32 exec_lo, exec_lo, s8
	s_and_saveexec_b32 s8, s7
	s_cbranch_execz .LBB82_93
.LBB82_92:
	s_mul_i32 s9, s10, 0x380
	s_wait_alu 0xfffe
	v_add_co_u32 v0, vcc_lo, v0, s9
	s_wait_alu 0xfffd
	v_add_co_ci_u32_e64 v1, null, 0, v1, vcc_lo
	s_wait_dscnt 0x0
	global_store_b8 v[0:1], v2, off
.LBB82_93:
	s_wait_alu 0xfffe
	s_or_b32 exec_lo, exec_lo, s8
	s_wait_storecnt 0x0
	s_wait_loadcnt_dscnt 0x0
	s_barrier_signal -1
	s_barrier_wait -1
	global_inv scope:SCOPE_SE
	ds_store_2addr_b64 v65, v[29:30], v[31:32] offset1:1
	ds_store_2addr_b64 v65, v[25:26], v[27:28] offset0:2 offset1:3
	ds_store_2addr_b64 v65, v[21:22], v[23:24] offset0:4 offset1:5
	;; [unrolled: 1-line block ×3, first 2 shown]
	s_wait_loadcnt_dscnt 0x0
	s_barrier_signal -1
	s_barrier_wait -1
	global_inv scope:SCOPE_SE
	ds_load_b64 v[14:15], v59 offset:1024
	ds_load_b64 v[12:13], v60 offset:2048
	;; [unrolled: 1-line block ×7, first 2 shown]
	v_mov_b32_e32 v42, 0
	s_delay_alu instid0(VALU_DEP_1) | instskip(NEXT) | instid1(VALU_DEP_1)
	v_lshlrev_b64_e32 v[2:3], 3, v[41:42]
	v_add_co_u32 v2, vcc_lo, s16, v2
	s_wait_alu 0xfffd
	s_delay_alu instid0(VALU_DEP_2)
	v_add_co_ci_u32_e64 v3, null, s17, v3, vcc_lo
	s_and_saveexec_b32 s8, s0
	s_cbranch_execnz .LBB82_110
; %bb.94:
	s_wait_alu 0xfffe
	s_or_b32 exec_lo, exec_lo, s8
	s_and_saveexec_b32 s0, s1
	s_cbranch_execnz .LBB82_111
.LBB82_95:
	s_or_b32 exec_lo, exec_lo, s0
	s_and_saveexec_b32 s0, s2
	s_cbranch_execnz .LBB82_112
.LBB82_96:
	s_or_b32 exec_lo, exec_lo, s0
	s_and_saveexec_b32 s0, s3
	s_cbranch_execnz .LBB82_113
.LBB82_97:
	s_or_b32 exec_lo, exec_lo, s0
	s_and_saveexec_b32 s0, s4
	s_cbranch_execnz .LBB82_114
.LBB82_98:
	s_or_b32 exec_lo, exec_lo, s0
	s_and_saveexec_b32 s0, s5
	s_cbranch_execnz .LBB82_115
.LBB82_99:
	s_or_b32 exec_lo, exec_lo, s0
	s_and_saveexec_b32 s0, s6
	s_cbranch_execnz .LBB82_116
.LBB82_100:
	s_or_b32 exec_lo, exec_lo, s0
	s_and_saveexec_b32 s0, s7
	s_cbranch_execz .LBB82_102
.LBB82_101:
	s_mul_i32 s0, s12, 0x380
	s_mov_b32 s1, 0
	s_delay_alu instid0(SALU_CYCLE_1) | instskip(NEXT) | instid1(SALU_CYCLE_1)
	s_lshl_b64 s[0:1], s[0:1], 3
	v_add_co_u32 v2, vcc_lo, v2, s0
	s_wait_alu 0xfffd
	v_add_co_ci_u32_e64 v3, null, s1, v3, vcc_lo
	s_wait_dscnt 0x0
	global_store_b64 v[2:3], v[0:1], off
.LBB82_102:
	s_nop 0
	s_sendmsg sendmsg(MSG_DEALLOC_VGPRS)
	s_endpgm
.LBB82_103:
	ds_load_u8 v9, v48
	s_wait_dscnt 0x0
	global_store_b8 v[0:1], v9, off
	s_wait_alu 0xfffe
	s_or_b32 exec_lo, exec_lo, s8
	s_and_saveexec_b32 s8, s1
	s_cbranch_execz .LBB82_86
.LBB82_104:
	s_lshl_b32 s9, s10, 7
	s_wait_alu 0xfffe
	v_add_co_u32 v9, vcc_lo, v0, s9
	s_wait_alu 0xfffd
	v_add_co_ci_u32_e64 v10, null, 0, v1, vcc_lo
	s_wait_dscnt 0x6
	global_store_b8 v[9:10], v8, off
	s_or_b32 exec_lo, exec_lo, s8
	s_and_saveexec_b32 s8, s2
	s_cbranch_execz .LBB82_87
.LBB82_105:
	s_lshl_b32 s9, s10, 8
	s_wait_dscnt 0x6
	s_wait_alu 0xfffe
	v_add_co_u32 v8, vcc_lo, v0, s9
	s_wait_alu 0xfffd
	v_add_co_ci_u32_e64 v9, null, 0, v1, vcc_lo
	s_wait_dscnt 0x5
	global_store_b8 v[8:9], v7, off
	s_or_b32 exec_lo, exec_lo, s8
	s_and_saveexec_b32 s8, s3
	s_cbranch_execz .LBB82_88
.LBB82_106:
	s_mul_i32 s9, s10, 0x180
	s_wait_dscnt 0x5
	s_wait_alu 0xfffe
	v_add_co_u32 v7, vcc_lo, v0, s9
	s_wait_alu 0xfffd
	v_add_co_ci_u32_e64 v8, null, 0, v1, vcc_lo
	s_wait_dscnt 0x4
	global_store_b8 v[7:8], v6, off
	s_or_b32 exec_lo, exec_lo, s8
	s_and_saveexec_b32 s8, s4
	s_cbranch_execz .LBB82_89
.LBB82_107:
	s_lshl_b32 s9, s10, 9
	s_wait_dscnt 0x4
	s_wait_alu 0xfffe
	v_add_co_u32 v6, vcc_lo, v0, s9
	s_wait_alu 0xfffd
	v_add_co_ci_u32_e64 v7, null, 0, v1, vcc_lo
	s_wait_dscnt 0x3
	global_store_b8 v[6:7], v5, off
	s_or_b32 exec_lo, exec_lo, s8
	s_and_saveexec_b32 s8, s5
	s_cbranch_execz .LBB82_90
.LBB82_108:
	s_mul_i32 s9, s10, 0x280
	s_wait_dscnt 0x3
	s_wait_alu 0xfffe
	v_add_co_u32 v5, vcc_lo, v0, s9
	s_wait_alu 0xfffd
	v_add_co_ci_u32_e64 v6, null, 0, v1, vcc_lo
	s_wait_dscnt 0x2
	global_store_b8 v[5:6], v4, off
	s_or_b32 exec_lo, exec_lo, s8
	s_and_saveexec_b32 s8, s6
	s_cbranch_execz .LBB82_91
.LBB82_109:
	s_mul_i32 s9, s10, 0x300
	s_wait_dscnt 0x2
	s_wait_alu 0xfffe
	v_add_co_u32 v4, vcc_lo, v0, s9
	s_wait_alu 0xfffd
	v_add_co_ci_u32_e64 v5, null, 0, v1, vcc_lo
	s_wait_dscnt 0x1
	global_store_b8 v[4:5], v3, off
	s_or_b32 exec_lo, exec_lo, s8
	s_and_saveexec_b32 s8, s7
	s_cbranch_execnz .LBB82_92
	s_branch .LBB82_93
.LBB82_110:
	ds_load_b64 v[16:17], v58
	s_wait_dscnt 0x0
	global_store_b64 v[2:3], v[16:17], off
	s_wait_alu 0xfffe
	s_or_b32 exec_lo, exec_lo, s8
	s_and_saveexec_b32 s0, s1
	s_cbranch_execz .LBB82_95
.LBB82_111:
	s_lshl_b32 s8, s12, 7
	s_mov_b32 s9, 0
	s_wait_alu 0xfffe
	s_lshl_b64 s[8:9], s[8:9], 3
	s_wait_alu 0xfffe
	v_add_co_u32 v16, vcc_lo, v2, s8
	s_wait_alu 0xfffd
	v_add_co_ci_u32_e64 v17, null, s9, v3, vcc_lo
	s_wait_dscnt 0x6
	global_store_b64 v[16:17], v[14:15], off
	s_or_b32 exec_lo, exec_lo, s0
	s_and_saveexec_b32 s0, s2
	s_cbranch_execz .LBB82_96
.LBB82_112:
	s_lshl_b32 s8, s12, 8
	s_mov_b32 s9, 0
	s_wait_alu 0xfffe
	s_lshl_b64 s[8:9], s[8:9], 3
	s_wait_dscnt 0x6
	s_wait_alu 0xfffe
	v_add_co_u32 v14, vcc_lo, v2, s8
	s_wait_alu 0xfffd
	v_add_co_ci_u32_e64 v15, null, s9, v3, vcc_lo
	s_wait_dscnt 0x5
	global_store_b64 v[14:15], v[12:13], off
	s_or_b32 exec_lo, exec_lo, s0
	s_and_saveexec_b32 s0, s3
	s_cbranch_execz .LBB82_97
.LBB82_113:
	s_mul_i32 s2, s12, 0x180
	s_mov_b32 s3, 0
	s_delay_alu instid0(SALU_CYCLE_1)
	s_lshl_b64 s[2:3], s[2:3], 3
	s_wait_dscnt 0x5
	v_add_co_u32 v12, vcc_lo, v2, s2
	s_wait_alu 0xfffd
	v_add_co_ci_u32_e64 v13, null, s3, v3, vcc_lo
	s_wait_dscnt 0x4
	global_store_b64 v[12:13], v[10:11], off
	s_or_b32 exec_lo, exec_lo, s0
	s_and_saveexec_b32 s0, s4
	s_cbranch_execz .LBB82_98
.LBB82_114:
	s_lshl_b32 s2, s12, 9
	s_mov_b32 s3, 0
	s_wait_alu 0xfffe
	s_lshl_b64 s[2:3], s[2:3], 3
	s_wait_dscnt 0x4
	s_wait_alu 0xfffe
	v_add_co_u32 v10, vcc_lo, v2, s2
	s_wait_alu 0xfffd
	v_add_co_ci_u32_e64 v11, null, s3, v3, vcc_lo
	s_wait_dscnt 0x3
	global_store_b64 v[10:11], v[8:9], off
	s_or_b32 exec_lo, exec_lo, s0
	s_and_saveexec_b32 s0, s5
	s_cbranch_execz .LBB82_99
.LBB82_115:
	s_mul_i32 s2, s12, 0x280
	s_mov_b32 s3, 0
	s_wait_alu 0xfffe
	s_lshl_b64 s[2:3], s[2:3], 3
	s_wait_dscnt 0x3
	s_wait_alu 0xfffe
	v_add_co_u32 v8, vcc_lo, v2, s2
	s_wait_alu 0xfffd
	v_add_co_ci_u32_e64 v9, null, s3, v3, vcc_lo
	s_wait_dscnt 0x2
	global_store_b64 v[8:9], v[6:7], off
	s_or_b32 exec_lo, exec_lo, s0
	s_and_saveexec_b32 s0, s6
	s_cbranch_execz .LBB82_100
.LBB82_116:
	s_mul_i32 s2, s12, 0x300
	s_mov_b32 s3, 0
	s_wait_alu 0xfffe
	s_lshl_b64 s[2:3], s[2:3], 3
	s_wait_dscnt 0x2
	s_wait_alu 0xfffe
	v_add_co_u32 v6, vcc_lo, v2, s2
	s_wait_alu 0xfffd
	v_add_co_ci_u32_e64 v7, null, s3, v3, vcc_lo
	s_wait_dscnt 0x1
	global_store_b64 v[6:7], v[4:5], off
	s_or_b32 exec_lo, exec_lo, s0
	s_and_saveexec_b32 s0, s7
	s_cbranch_execnz .LBB82_101
	s_branch .LBB82_102
	.section	.rodata,"a",@progbits
	.p2align	6, 0x0
	.amdhsa_kernel _ZN2at6native18radixSortKVInPlaceILin2ELin1ELi128ELi8EhljEEvNS_4cuda6detail10TensorInfoIT3_T5_EES6_S6_S6_NS4_IT4_S6_EES6_b
		.amdhsa_group_segment_fixed_size 8448
		.amdhsa_private_segment_fixed_size 0
		.amdhsa_kernarg_size 712
		.amdhsa_user_sgpr_count 2
		.amdhsa_user_sgpr_dispatch_ptr 0
		.amdhsa_user_sgpr_queue_ptr 0
		.amdhsa_user_sgpr_kernarg_segment_ptr 1
		.amdhsa_user_sgpr_dispatch_id 0
		.amdhsa_user_sgpr_private_segment_size 0
		.amdhsa_wavefront_size32 1
		.amdhsa_uses_dynamic_stack 0
		.amdhsa_enable_private_segment 0
		.amdhsa_system_sgpr_workgroup_id_x 1
		.amdhsa_system_sgpr_workgroup_id_y 1
		.amdhsa_system_sgpr_workgroup_id_z 1
		.amdhsa_system_sgpr_workgroup_info 0
		.amdhsa_system_vgpr_workitem_id 2
		.amdhsa_next_free_vgpr 105
		.amdhsa_next_free_sgpr 24
		.amdhsa_reserve_vcc 1
		.amdhsa_float_round_mode_32 0
		.amdhsa_float_round_mode_16_64 0
		.amdhsa_float_denorm_mode_32 3
		.amdhsa_float_denorm_mode_16_64 3
		.amdhsa_fp16_overflow 0
		.amdhsa_workgroup_processor_mode 1
		.amdhsa_memory_ordered 1
		.amdhsa_forward_progress 1
		.amdhsa_inst_pref_size 99
		.amdhsa_round_robin_scheduling 0
		.amdhsa_exception_fp_ieee_invalid_op 0
		.amdhsa_exception_fp_denorm_src 0
		.amdhsa_exception_fp_ieee_div_zero 0
		.amdhsa_exception_fp_ieee_overflow 0
		.amdhsa_exception_fp_ieee_underflow 0
		.amdhsa_exception_fp_ieee_inexact 0
		.amdhsa_exception_int_div_zero 0
	.end_amdhsa_kernel
	.section	.text._ZN2at6native18radixSortKVInPlaceILin2ELin1ELi128ELi8EhljEEvNS_4cuda6detail10TensorInfoIT3_T5_EES6_S6_S6_NS4_IT4_S6_EES6_b,"axG",@progbits,_ZN2at6native18radixSortKVInPlaceILin2ELin1ELi128ELi8EhljEEvNS_4cuda6detail10TensorInfoIT3_T5_EES6_S6_S6_NS4_IT4_S6_EES6_b,comdat
.Lfunc_end82:
	.size	_ZN2at6native18radixSortKVInPlaceILin2ELin1ELi128ELi8EhljEEvNS_4cuda6detail10TensorInfoIT3_T5_EES6_S6_S6_NS4_IT4_S6_EES6_b, .Lfunc_end82-_ZN2at6native18radixSortKVInPlaceILin2ELin1ELi128ELi8EhljEEvNS_4cuda6detail10TensorInfoIT3_T5_EES6_S6_S6_NS4_IT4_S6_EES6_b
                                        ; -- End function
	.set _ZN2at6native18radixSortKVInPlaceILin2ELin1ELi128ELi8EhljEEvNS_4cuda6detail10TensorInfoIT3_T5_EES6_S6_S6_NS4_IT4_S6_EES6_b.num_vgpr, 105
	.set _ZN2at6native18radixSortKVInPlaceILin2ELin1ELi128ELi8EhljEEvNS_4cuda6detail10TensorInfoIT3_T5_EES6_S6_S6_NS4_IT4_S6_EES6_b.num_agpr, 0
	.set _ZN2at6native18radixSortKVInPlaceILin2ELin1ELi128ELi8EhljEEvNS_4cuda6detail10TensorInfoIT3_T5_EES6_S6_S6_NS4_IT4_S6_EES6_b.numbered_sgpr, 24
	.set _ZN2at6native18radixSortKVInPlaceILin2ELin1ELi128ELi8EhljEEvNS_4cuda6detail10TensorInfoIT3_T5_EES6_S6_S6_NS4_IT4_S6_EES6_b.num_named_barrier, 0
	.set _ZN2at6native18radixSortKVInPlaceILin2ELin1ELi128ELi8EhljEEvNS_4cuda6detail10TensorInfoIT3_T5_EES6_S6_S6_NS4_IT4_S6_EES6_b.private_seg_size, 0
	.set _ZN2at6native18radixSortKVInPlaceILin2ELin1ELi128ELi8EhljEEvNS_4cuda6detail10TensorInfoIT3_T5_EES6_S6_S6_NS4_IT4_S6_EES6_b.uses_vcc, 1
	.set _ZN2at6native18radixSortKVInPlaceILin2ELin1ELi128ELi8EhljEEvNS_4cuda6detail10TensorInfoIT3_T5_EES6_S6_S6_NS4_IT4_S6_EES6_b.uses_flat_scratch, 0
	.set _ZN2at6native18radixSortKVInPlaceILin2ELin1ELi128ELi8EhljEEvNS_4cuda6detail10TensorInfoIT3_T5_EES6_S6_S6_NS4_IT4_S6_EES6_b.has_dyn_sized_stack, 0
	.set _ZN2at6native18radixSortKVInPlaceILin2ELin1ELi128ELi8EhljEEvNS_4cuda6detail10TensorInfoIT3_T5_EES6_S6_S6_NS4_IT4_S6_EES6_b.has_recursion, 0
	.set _ZN2at6native18radixSortKVInPlaceILin2ELin1ELi128ELi8EhljEEvNS_4cuda6detail10TensorInfoIT3_T5_EES6_S6_S6_NS4_IT4_S6_EES6_b.has_indirect_call, 0
	.section	.AMDGPU.csdata,"",@progbits
; Kernel info:
; codeLenInByte = 12628
; TotalNumSgprs: 26
; NumVgprs: 105
; ScratchSize: 0
; MemoryBound: 0
; FloatMode: 240
; IeeeMode: 1
; LDSByteSize: 8448 bytes/workgroup (compile time only)
; SGPRBlocks: 0
; VGPRBlocks: 13
; NumSGPRsForWavesPerEU: 26
; NumVGPRsForWavesPerEU: 105
; Occupancy: 12
; WaveLimiterHint : 1
; COMPUTE_PGM_RSRC2:SCRATCH_EN: 0
; COMPUTE_PGM_RSRC2:USER_SGPR: 2
; COMPUTE_PGM_RSRC2:TRAP_HANDLER: 0
; COMPUTE_PGM_RSRC2:TGID_X_EN: 1
; COMPUTE_PGM_RSRC2:TGID_Y_EN: 1
; COMPUTE_PGM_RSRC2:TGID_Z_EN: 1
; COMPUTE_PGM_RSRC2:TIDIG_COMP_CNT: 2
	.section	.text._ZN2at6native18radixSortKVInPlaceILin2ELin1ELi32ELi4EhljEEvNS_4cuda6detail10TensorInfoIT3_T5_EES6_S6_S6_NS4_IT4_S6_EES6_b,"axG",@progbits,_ZN2at6native18radixSortKVInPlaceILin2ELin1ELi32ELi4EhljEEvNS_4cuda6detail10TensorInfoIT3_T5_EES6_S6_S6_NS4_IT4_S6_EES6_b,comdat
	.protected	_ZN2at6native18radixSortKVInPlaceILin2ELin1ELi32ELi4EhljEEvNS_4cuda6detail10TensorInfoIT3_T5_EES6_S6_S6_NS4_IT4_S6_EES6_b ; -- Begin function _ZN2at6native18radixSortKVInPlaceILin2ELin1ELi32ELi4EhljEEvNS_4cuda6detail10TensorInfoIT3_T5_EES6_S6_S6_NS4_IT4_S6_EES6_b
	.globl	_ZN2at6native18radixSortKVInPlaceILin2ELin1ELi32ELi4EhljEEvNS_4cuda6detail10TensorInfoIT3_T5_EES6_S6_S6_NS4_IT4_S6_EES6_b
	.p2align	8
	.type	_ZN2at6native18radixSortKVInPlaceILin2ELin1ELi32ELi4EhljEEvNS_4cuda6detail10TensorInfoIT3_T5_EES6_S6_S6_NS4_IT4_S6_EES6_b,@function
_ZN2at6native18radixSortKVInPlaceILin2ELin1ELi32ELi4EhljEEvNS_4cuda6detail10TensorInfoIT3_T5_EES6_S6_S6_NS4_IT4_S6_EES6_b: ; @_ZN2at6native18radixSortKVInPlaceILin2ELin1ELi32ELi4EhljEEvNS_4cuda6detail10TensorInfoIT3_T5_EES6_S6_S6_NS4_IT4_S6_EES6_b
; %bb.0:
	s_clause 0x1
	s_load_b64 s[2:3], s[0:1], 0x1c8
	s_load_b96 s[8:10], s[0:1], 0xd8
	s_lshr_b32 s4, ttmp7, 16
	s_wait_kmcnt 0x0
	s_mul_i32 s3, s3, s4
	s_and_b32 s4, ttmp7, 0xffff
	s_delay_alu instid0(SALU_CYCLE_1) | instskip(NEXT) | instid1(SALU_CYCLE_1)
	s_add_co_i32 s3, s3, s4
	s_mul_i32 s11, s3, s2
	s_delay_alu instid0(SALU_CYCLE_1) | instskip(NEXT) | instid1(SALU_CYCLE_1)
	s_add_co_i32 s11, s11, ttmp9
	s_cmp_ge_u32 s11, s8
	s_cbranch_scc1 .LBB83_54
; %bb.1:
	s_load_b32 s2, s[0:1], 0x1b8
	s_add_nc_u64 s[6:7], s[0:1], 0xe8
	s_mov_b32 s5, 0
	s_mov_b32 s8, s11
	s_wait_kmcnt 0x0
	s_cmp_lt_i32 s2, 2
	s_cbranch_scc1 .LBB83_4
; %bb.2:
	s_add_co_i32 s4, s2, -1
	s_mov_b32 s8, s11
	s_lshl_b64 s[12:13], s[4:5], 2
	s_add_co_i32 s4, s2, 1
	s_add_nc_u64 s[12:13], s[6:7], s[12:13]
	s_delay_alu instid0(SALU_CYCLE_1)
	s_add_nc_u64 s[2:3], s[12:13], 8
.LBB83_3:                               ; =>This Inner Loop Header: Depth=1
	s_clause 0x1
	s_load_b32 s12, s[2:3], 0x0
	s_load_b32 s13, s[2:3], 0x64
	s_mov_b32 s16, s8
	s_add_nc_u64 s[2:3], s[2:3], -4
	s_wait_kmcnt 0x0
	s_cvt_f32_u32 s14, s12
	s_sub_co_i32 s15, 0, s12
	s_wait_alu 0xfffe
	s_delay_alu instid0(SALU_CYCLE_1) | instskip(NEXT) | instid1(TRANS32_DEP_1)
	v_rcp_iflag_f32_e32 v1, s14
	v_readfirstlane_b32 s14, v1
	s_mul_f32 s14, s14, 0x4f7ffffe
	s_wait_alu 0xfffe
	s_delay_alu instid0(SALU_CYCLE_2) | instskip(SKIP_1) | instid1(SALU_CYCLE_2)
	s_cvt_u32_f32 s14, s14
	s_wait_alu 0xfffe
	s_mul_i32 s15, s15, s14
	s_wait_alu 0xfffe
	s_mul_hi_u32 s15, s14, s15
	s_wait_alu 0xfffe
	s_add_co_i32 s14, s14, s15
	s_wait_alu 0xfffe
	s_mul_hi_u32 s8, s8, s14
	s_delay_alu instid0(SALU_CYCLE_1)
	s_mul_i32 s14, s8, s12
	s_add_co_i32 s15, s8, 1
	s_wait_alu 0xfffe
	s_sub_co_i32 s14, s16, s14
	s_wait_alu 0xfffe
	s_sub_co_i32 s17, s14, s12
	s_cmp_ge_u32 s14, s12
	s_cselect_b32 s8, s15, s8
	s_cselect_b32 s14, s17, s14
	s_add_co_i32 s15, s8, 1
	s_wait_alu 0xfffe
	s_cmp_ge_u32 s14, s12
	s_cselect_b32 s8, s15, s8
	s_add_co_i32 s4, s4, -1
	s_mul_i32 s12, s8, s12
	s_delay_alu instid0(SALU_CYCLE_1) | instskip(NEXT) | instid1(SALU_CYCLE_1)
	s_sub_co_i32 s12, s16, s12
	s_mul_i32 s12, s13, s12
	s_delay_alu instid0(SALU_CYCLE_1)
	s_add_co_i32 s5, s12, s5
	s_cmp_gt_u32 s4, 2
	s_cbranch_scc1 .LBB83_3
.LBB83_4:
	s_clause 0x2
	s_load_b64 s[12:13], s[0:1], 0x1c0
	s_load_b64 s[2:3], s[0:1], 0x0
	s_load_b32 s14, s[0:1], 0x6c
	s_add_nc_u64 s[18:19], s[0:1], 0x1c8
	s_mov_b32 s15, 0
	s_wait_kmcnt 0x0
	s_bitcmp1_b32 s13, 0
	s_mul_i32 s14, s14, s11
	s_cselect_b32 s0, -1, 0
	s_wait_alu 0xfffe
	s_add_nc_u64 s[14:15], s[2:3], s[14:15]
	s_xor_b32 s4, s0, -1
	s_delay_alu instid0(SALU_CYCLE_1) | instskip(SKIP_1) | instid1(VALU_DEP_2)
	v_cndmask_b32_e64 v2, 0, -1, s4
	v_cndmask_b32_e64 v1, 0, -1, s4
	v_readfirstlane_b32 s0, v2
	s_lshl_b32 s1, s0, 8
	s_and_b32 s0, s0, 0xff
	s_delay_alu instid0(SALU_CYCLE_1) | instskip(NEXT) | instid1(SALU_CYCLE_1)
	s_or_b32 s0, s0, s1
	s_and_b32 s1, s0, 0xffff
	s_lshl_b32 s0, s0, 16
	s_delay_alu instid0(SALU_CYCLE_1) | instskip(NEXT) | instid1(SALU_CYCLE_1)
	s_or_b32 s1, s1, s0
	v_dual_mov_b32 v2, s1 :: v_dual_and_b32 v11, 0x3ff, v0
	s_delay_alu instid0(VALU_DEP_1)
	v_mul_lo_u32 v20, s10, v11
	v_cmp_gt_u32_e64 s0, s9, v11
	s_and_saveexec_b32 s2, s0
	s_cbranch_execz .LBB83_6
; %bb.5:
	global_load_u8 v1, v20, s[14:15]
	s_wait_loadcnt 0x0
	v_perm_b32 v2, v1, s1, 0x3020104
.LBB83_6:
	s_or_b32 exec_lo, exec_lo, s2
	v_add_nc_u32_e32 v5, 32, v11
	s_delay_alu instid0(VALU_DEP_1)
	v_cmp_gt_u32_e64 s3, s9, v5
	s_and_saveexec_b32 s1, s3
	s_cbranch_execz .LBB83_8
; %bb.7:
	v_mul_lo_u32 v3, s10, v5
	global_load_u8 v3, v3, s[14:15]
	s_wait_loadcnt 0x0
	v_perm_b32 v2, v2, v3, 0x7060004
.LBB83_8:
	s_wait_alu 0xfffe
	s_or_b32 exec_lo, exec_lo, s1
	v_add_nc_u32_e32 v16, 64, v11
	s_delay_alu instid0(VALU_DEP_1)
	v_cmp_gt_u32_e64 s1, s9, v16
	s_and_saveexec_b32 s2, s1
	s_cbranch_execz .LBB83_10
; %bb.9:
	v_mul_lo_u32 v3, s10, v16
	global_load_u8 v3, v3, s[14:15]
	s_wait_loadcnt 0x0
	v_perm_b32 v2, v2, v3, 0x7000504
.LBB83_10:
	s_or_b32 exec_lo, exec_lo, s2
	s_clause 0x1
	s_load_b32 s11, s[6:7], 0x6c
	s_load_b64 s[6:7], s[6:7], 0x0
	v_add_nc_u32_e32 v14, 0x60, v11
	s_delay_alu instid0(VALU_DEP_1)
	v_cmp_gt_u32_e64 s2, s9, v14
	s_and_saveexec_b32 s9, s2
	s_cbranch_execz .LBB83_12
; %bb.11:
	v_mul_lo_u32 v3, s10, v14
	global_load_u8 v3, v3, s[14:15]
	s_wait_loadcnt 0x0
	v_perm_b32 v2, v2, v3, 0x60504
.LBB83_12:
	s_wait_alu 0xfffe
	s_or_b32 exec_lo, exec_lo, s9
	v_lshrrev_b32_e32 v13, 5, v5
	v_lshrrev_b32_e32 v12, 5, v11
	;; [unrolled: 1-line block ×5, first 2 shown]
	v_and_b32_e32 v6, 60, v13
	v_and_b32_e32 v4, 28, v12
	;; [unrolled: 1-line block ×3, first 2 shown]
	v_lshlrev_b32_e32 v27, 2, v11
	v_lshrrev_b32_e32 v3, 8, v2
	v_add_nc_u32_e32 v22, v6, v11
	v_and_b32_e32 v6, 0x7c, v18
	v_add_nc_u32_e32 v21, v4, v11
	v_and_b32_e32 v4, 60, v17
	v_add_nc_u32_e32 v23, v7, v11
	v_lshrrev_b32_e32 v7, 24, v2
	v_add_nc_u32_e32 v25, v6, v27
	ds_store_b8 v21, v1
	ds_store_b8 v22, v3 offset:32
	v_add_nc_u32_e32 v24, v4, v11
	ds_store_b8_d16_hi v23, v2 offset:64
	ds_store_b8 v24, v7 offset:96
	s_wait_dscnt 0x0
	; wave barrier
	global_inv scope:SCOPE_SE
	ds_load_b32 v35, v25
	s_wait_kmcnt 0x0
	s_mul_i32 s8, s11, s8
	v_mul_lo_u32 v9, s12, v11
	s_wait_alu 0xfffe
	s_add_co_i32 s8, s8, s5
	s_mov_b32 s9, 0
	v_mov_b32_e32 v1, 0
	v_dual_mov_b32 v3, 0 :: v_dual_mov_b32 v2, 0
	v_mov_b32_e32 v4, 0
	s_wait_alu 0xfffe
	s_lshl_b64 s[8:9], s[8:9], 3
	s_wait_loadcnt_dscnt 0x0
	s_wait_alu 0xfffe
	s_add_nc_u64 s[16:17], s[6:7], s[8:9]
	; wave barrier
	global_inv scope:SCOPE_SE
	s_and_saveexec_b32 s5, s0
	s_cbranch_execz .LBB83_14
; %bb.13:
	v_mov_b32_e32 v10, 0
	s_delay_alu instid0(VALU_DEP_1) | instskip(NEXT) | instid1(VALU_DEP_1)
	v_lshlrev_b64_e32 v[3:4], 3, v[9:10]
	v_add_co_u32 v3, vcc_lo, s16, v3
	s_delay_alu instid0(VALU_DEP_1)
	v_add_co_ci_u32_e64 v4, null, s17, v4, vcc_lo
	global_load_b64 v[3:4], v[3:4], off
.LBB83_14:
	s_wait_alu 0xfffe
	s_or_b32 exec_lo, exec_lo, s5
	s_and_saveexec_b32 s5, s3
	s_cbranch_execz .LBB83_16
; %bb.15:
	v_mul_lo_u32 v1, s12, v5
	v_mov_b32_e32 v2, 0
	s_delay_alu instid0(VALU_DEP_1) | instskip(NEXT) | instid1(VALU_DEP_1)
	v_lshlrev_b64_e32 v[1:2], 3, v[1:2]
	v_add_co_u32 v1, vcc_lo, s16, v1
	s_wait_alu 0xfffd
	s_delay_alu instid0(VALU_DEP_2)
	v_add_co_ci_u32_e64 v2, null, s17, v2, vcc_lo
	global_load_b64 v[1:2], v[1:2], off
.LBB83_16:
	s_wait_alu 0xfffe
	s_or_b32 exec_lo, exec_lo, s5
	v_mov_b32_e32 v5, 0
	v_dual_mov_b32 v6, 0 :: v_dual_mov_b32 v7, 0
	v_mov_b32_e32 v8, 0
	s_and_saveexec_b32 s5, s1
	s_cbranch_execz .LBB83_18
; %bb.17:
	v_mul_lo_u32 v7, s12, v16
	v_mov_b32_e32 v8, 0
	s_delay_alu instid0(VALU_DEP_1) | instskip(NEXT) | instid1(VALU_DEP_1)
	v_lshlrev_b64_e32 v[7:8], 3, v[7:8]
	v_add_co_u32 v7, vcc_lo, s16, v7
	s_wait_alu 0xfffd
	s_delay_alu instid0(VALU_DEP_2)
	v_add_co_ci_u32_e64 v8, null, s17, v8, vcc_lo
	global_load_b64 v[7:8], v[7:8], off
.LBB83_18:
	s_wait_alu 0xfffe
	s_or_b32 exec_lo, exec_lo, s5
	s_and_saveexec_b32 s5, s2
	s_cbranch_execz .LBB83_20
; %bb.19:
	v_mul_lo_u32 v5, s12, v14
	v_mov_b32_e32 v6, 0
	s_delay_alu instid0(VALU_DEP_1) | instskip(NEXT) | instid1(VALU_DEP_1)
	v_lshlrev_b64_e32 v[5:6], 3, v[5:6]
	v_add_co_u32 v5, vcc_lo, s16, v5
	s_wait_alu 0xfffd
	s_delay_alu instid0(VALU_DEP_2)
	v_add_co_ci_u32_e64 v6, null, s17, v6, vcc_lo
	global_load_b64 v[5:6], v[5:6], off
.LBB83_20:
	s_wait_alu 0xfffe
	s_or_b32 exec_lo, exec_lo, s5
	v_lshlrev_b32_e32 v14, 3, v11
	v_lshlrev_b32_e32 v10, 3, v27
	v_lshrrev_b32_e32 v37, 16, v35
	v_lshrrev_b32_e32 v38, 8, v35
	;; [unrolled: 1-line block ×3, first 2 shown]
	v_lshl_add_u32 v26, v12, 3, v14
	v_lshl_add_u32 v31, v18, 3, v10
	v_lshl_add_u32 v28, v13, 3, v14
	v_lshl_add_u32 v29, v15, 3, v14
	v_lshl_add_u32 v30, v17, 3, v14
	s_wait_loadcnt 0x0
	ds_store_b64 v26, v[3:4]
	ds_store_b64 v28, v[1:2] offset:256
	ds_store_b64 v29, v[7:8] offset:512
	;; [unrolled: 1-line block ×3, first 2 shown]
	s_wait_dscnt 0x0
	; wave barrier
	global_inv scope:SCOPE_SE
	ds_load_2addr_b64 v[5:8], v31 offset1:1
	ds_load_2addr_b64 v[1:4], v31 offset0:2 offset1:3
	v_bfe_u32 v34, v0, 10, 10
	v_bfe_u32 v0, v0, 20, 10
	v_mbcnt_lo_u32_b32 v33, -1, 0
	v_lshlrev_b32_e32 v32, 5, v11
	s_and_b32 vcc_lo, exec_lo, s4
	; wave barrier
	s_wait_loadcnt_dscnt 0x0
	global_inv scope:SCOPE_SE
	s_wait_alu 0xfffe
	s_cbranch_vccz .LBB83_32
; %bb.21:
	v_and_b32_e32 v39, 3, v33
	v_and_b32_e32 v14, 28, v33
	;; [unrolled: 1-line block ×4, first 2 shown]
	s_getpc_b64 s[8:9]
	s_wait_alu 0xfffe
	s_sext_i32_i16 s9, s9
	s_add_co_u32 s8, s8, _ZN7rocprim17ROCPRIM_400000_NS16block_radix_sortIhLj32ELj4ElLj1ELj1ELj0ELNS0_26block_radix_rank_algorithmE1ELNS0_18block_padding_hintE2ELNS0_4arch9wavefront6targetE0EE19radix_bits_per_passE@rel32@lo+12
	s_wait_alu 0xfffe
	s_add_co_ci_u32 s9, s9, _ZN7rocprim17ROCPRIM_400000_NS16block_radix_sortIhLj32ELj4ElLj1ELj1ELj0ELNS0_26block_radix_rank_algorithmE1ELNS0_18block_padding_hintE2ELNS0_4arch9wavefront6targetE0EE19radix_bits_per_passE@rel32@hi+24
	v_cmp_eq_u32_e32 vcc_lo, 3, v39
	v_and_b32_e32 v12, 0xff, v35
	ds_bpermute_b32 v17, v14, v13
	ds_bpermute_b32 v18, v14, v16
	v_and_b32_e32 v19, 0xffff, v36
	v_cmp_eq_u32_e64 s6, 0, v39
	ds_bpermute_b32 v15, v14, v12
	v_cmp_eq_u32_e64 s5, 1, v39
	v_cmp_eq_u32_e64 s4, 2, v39
	ds_bpermute_b32 v40, v14, v19
	s_load_b32 s8, s[8:9], 0x0
	; wave barrier
	s_wait_loadcnt_dscnt 0x0
	global_inv scope:SCOPE_SE
	s_load_b32 s7, s[18:19], 0xc
	ds_bpermute_b32 v58, v14, v5
	ds_bpermute_b32 v59, v14, v6
	;; [unrolled: 1-line block ×7, first 2 shown]
	ds_bpermute_b32 v60, v14, v5 offset:32
	v_and_b32_e32 v17, 0xff, v17
	v_and_b32_e32 v18, 0xff, v18
	ds_bpermute_b32 v61, v14, v6 offset:32
	ds_bpermute_b32 v50, v14, v7 offset:32
	v_and_b32_e32 v15, 0xff, v15
	ds_bpermute_b32 v51, v14, v8 offset:32
	ds_bpermute_b32 v47, v14, v1 offset:32
	;; [unrolled: 1-line block ×3, first 2 shown]
	s_wait_kmcnt 0x0
	s_min_u32 s8, s8, 8
	v_cndmask_b32_e64 v15, 0, v15, s6
	s_wait_alu 0xfffe
	s_lshl_b32 s8, -1, s8
	s_and_b32 s11, s7, 0xffff
	s_wait_alu 0xfffe
	s_not_b32 s9, s8
	s_lshr_b32 s8, s7, 16
	v_cndmask_b32_e64 v15, v15, v17, s5
	ds_bpermute_b32 v46, v14, v4 offset:32
	ds_bpermute_b32 v62, v14, v5 offset:64
	;; [unrolled: 1-line block ×4, first 2 shown]
	v_cndmask_b32_e64 v15, v15, v18, s4
	ds_bpermute_b32 v57, v14, v8 offset:64
	ds_bpermute_b32 v53, v14, v1 offset:64
	;; [unrolled: 1-line block ×4, first 2 shown]
	v_perm_b32 v17, v40, v15, 0x3020104
	ds_bpermute_b32 v40, v14, v3
	ds_bpermute_b32 v65, v14, v5 offset:96
	ds_bpermute_b32 v66, v14, v6 offset:96
	;; [unrolled: 1-line block ×3, first 2 shown]
	v_cndmask_b32_e32 v15, v15, v17, vcc_lo
	ds_bpermute_b32 v41, v14, v12 offset:32
	ds_bpermute_b32 v17, v14, v13 offset:32
	;; [unrolled: 1-line block ×3, first 2 shown]
	v_and_b32_e32 v39, 0xff, v15
	s_wait_dscnt 0x2
	v_lshlrev_b16 v18, 8, v41
	s_wait_dscnt 0x1
	v_lshlrev_b16 v17, 8, v17
	ds_bpermute_b32 v41, v14, v3 offset:64
	v_or_b32_e32 v18, v39, v18
	ds_bpermute_b32 v39, v14, v16 offset:32
	v_and_b32_e32 v18, 0xffff, v18
	s_delay_alu instid0(VALU_DEP_1) | instskip(NEXT) | instid1(VALU_DEP_1)
	v_cndmask_b32_e64 v15, v15, v18, s6
	v_and_b32_e32 v18, 0xff, v15
	s_delay_alu instid0(VALU_DEP_1) | instskip(NEXT) | instid1(VALU_DEP_1)
	v_or_b32_e32 v17, v18, v17
	v_and_b32_e32 v17, 0xffff, v17
	s_delay_alu instid0(VALU_DEP_1) | instskip(NEXT) | instid1(VALU_DEP_1)
	v_and_or_b32 v17, 0xffff0000, v15, v17
	v_cndmask_b32_e64 v15, v15, v17, s5
	s_wait_dscnt 0x0
	v_lshlrev_b16 v17, 8, v39
	ds_bpermute_b32 v39, v14, v19 offset:32
	v_and_b32_e32 v18, 0xff, v15
	s_delay_alu instid0(VALU_DEP_1) | instskip(NEXT) | instid1(VALU_DEP_1)
	v_or_b32_e32 v17, v18, v17
	v_and_b32_e32 v17, 0xffff, v17
	s_delay_alu instid0(VALU_DEP_1) | instskip(NEXT) | instid1(VALU_DEP_1)
	v_and_or_b32 v17, 0xffff0000, v15, v17
	v_cndmask_b32_e64 v15, v15, v17, s4
	s_wait_dscnt 0x0
	v_lshlrev_b16 v17, 8, v39
	ds_bpermute_b32 v39, v14, v12 offset:64
	ds_bpermute_b32 v12, v14, v12 offset:96
	v_and_b32_e32 v18, 0xff, v15
	s_delay_alu instid0(VALU_DEP_1) | instskip(NEXT) | instid1(VALU_DEP_1)
	v_or_b32_e32 v17, v18, v17
	v_and_b32_e32 v17, 0xffff, v17
	s_delay_alu instid0(VALU_DEP_1) | instskip(SKIP_2) | instid1(VALU_DEP_2)
	v_and_or_b32 v17, 0xffff0000, v15, v17
	s_wait_dscnt 0x0
	v_lshlrev_b16 v12, 8, v12
	v_cndmask_b32_e32 v15, v15, v17, vcc_lo
	ds_bpermute_b32 v17, v14, v13 offset:64
	ds_bpermute_b32 v13, v14, v13 offset:96
	v_perm_b32 v18, v39, v15, 0xc0c0304
	ds_bpermute_b32 v39, v14, v3 offset:32
	v_lshlrev_b32_e32 v18, 16, v18
	s_delay_alu instid0(VALU_DEP_1) | instskip(NEXT) | instid1(VALU_DEP_1)
	v_and_or_b32 v18, 0xffff, v15, v18
	v_cndmask_b32_e64 v15, v15, v18, s6
	ds_bpermute_b32 v18, v14, v16 offset:64
	s_wait_dscnt 0x2
	v_lshlrev_b16 v13, 8, v13
	v_perm_b32 v17, v17, v15, 0xc0c0304
	s_delay_alu instid0(VALU_DEP_1) | instskip(NEXT) | instid1(VALU_DEP_1)
	v_lshlrev_b32_e32 v17, 16, v17
	v_and_or_b32 v17, 0xffff, v15, v17
	s_delay_alu instid0(VALU_DEP_1) | instskip(SKIP_3) | instid1(VALU_DEP_1)
	v_cndmask_b32_e64 v15, v15, v17, s5
	ds_bpermute_b32 v17, v14, v19 offset:64
	s_wait_dscnt 0x1
	v_perm_b32 v18, v18, v15, 0xc0c0304
	v_lshlrev_b32_e32 v18, 16, v18
	s_delay_alu instid0(VALU_DEP_1) | instskip(NEXT) | instid1(VALU_DEP_1)
	v_and_or_b32 v18, 0xffff, v15, v18
	v_cndmask_b32_e64 v15, v15, v18, s4
	s_wait_dscnt 0x0
	s_delay_alu instid0(VALU_DEP_1) | instskip(NEXT) | instid1(VALU_DEP_1)
	v_perm_b32 v17, v17, v15, 0xc0c0304
	v_lshlrev_b32_e32 v17, 16, v17
	s_delay_alu instid0(VALU_DEP_1) | instskip(NEXT) | instid1(VALU_DEP_1)
	v_and_or_b32 v17, 0xffff, v15, v17
	v_cndmask_b32_e32 v15, v15, v17, vcc_lo
	s_delay_alu instid0(VALU_DEP_1) | instskip(NEXT) | instid1(VALU_DEP_1)
	v_lshrrev_b32_e32 v17, 16, v15
	v_and_b32_e32 v17, 0xff, v17
	s_delay_alu instid0(VALU_DEP_1) | instskip(NEXT) | instid1(VALU_DEP_1)
	v_or_b32_e32 v12, v17, v12
	v_lshlrev_b32_e32 v12, 16, v12
	s_delay_alu instid0(VALU_DEP_1) | instskip(NEXT) | instid1(VALU_DEP_1)
	v_and_or_b32 v12, 0xffff, v15, v12
	v_cndmask_b32_e64 v12, v15, v12, s6
	s_delay_alu instid0(VALU_DEP_1) | instskip(NEXT) | instid1(VALU_DEP_1)
	v_lshrrev_b32_e32 v15, 16, v12
	v_and_b32_e32 v15, 0xff, v15
	s_delay_alu instid0(VALU_DEP_1) | instskip(SKIP_2) | instid1(VALU_DEP_1)
	v_or_b32_e32 v13, v15, v13
	ds_bpermute_b32 v15, v14, v16 offset:96
	v_lshlrev_b32_e32 v13, 16, v13
	v_and_or_b32 v13, 0xffff, v12, v13
	s_delay_alu instid0(VALU_DEP_1) | instskip(NEXT) | instid1(VALU_DEP_1)
	v_cndmask_b32_e64 v12, v12, v13, s5
	v_lshrrev_b32_e32 v13, 16, v12
	s_wait_dscnt 0x0
	v_lshlrev_b16 v15, 8, v15
	s_delay_alu instid0(VALU_DEP_2) | instskip(NEXT) | instid1(VALU_DEP_1)
	v_and_b32_e32 v13, 0xff, v13
	v_or_b32_e32 v13, v13, v15
	ds_bpermute_b32 v15, v14, v19 offset:96
	v_lshlrev_b32_e32 v13, 16, v13
	s_delay_alu instid0(VALU_DEP_1) | instskip(NEXT) | instid1(VALU_DEP_1)
	v_and_or_b32 v13, 0xffff, v12, v13
	v_cndmask_b32_e64 v12, v12, v13, s4
	s_delay_alu instid0(VALU_DEP_1) | instskip(SKIP_2) | instid1(VALU_DEP_2)
	v_lshrrev_b32_e32 v13, 16, v12
	s_wait_dscnt 0x0
	v_lshlrev_b16 v15, 8, v15
	v_and_b32_e32 v13, 0xff, v13
	s_delay_alu instid0(VALU_DEP_1) | instskip(NEXT) | instid1(VALU_DEP_1)
	v_or_b32_e32 v13, v13, v15
	v_lshlrev_b32_e32 v13, 16, v13
	s_delay_alu instid0(VALU_DEP_1) | instskip(NEXT) | instid1(VALU_DEP_1)
	v_and_or_b32 v13, 0xffff, v12, v13
	v_cndmask_b32_e32 v48, v12, v13, vcc_lo
	s_wait_alu 0xfffe
	v_mad_u32_u24 v12, v0, s8, v34
	s_delay_alu instid0(VALU_DEP_2) | instskip(NEXT) | instid1(VALU_DEP_1)
	v_and_b32_e32 v15, s9, v48
	v_and_b32_e32 v13, 1, v15
	v_lshlrev_b32_e32 v16, 30, v15
	v_lshlrev_b32_e32 v17, 29, v15
	;; [unrolled: 1-line block ×4, first 2 shown]
	v_add_co_u32 v13, s7, v13, -1
	s_wait_alu 0xf1ff
	v_cndmask_b32_e64 v19, 0, 1, s7
	v_not_b32_e32 v70, v16
	v_cmp_gt_i32_e64 s8, 0, v16
	v_not_b32_e32 v16, v17
	v_lshlrev_b32_e32 v68, 26, v15
	v_cmp_ne_u32_e64 s7, 0, v19
	v_ashrrev_i32_e32 v70, 31, v70
	v_lshlrev_b32_e32 v69, 25, v15
	v_ashrrev_i32_e32 v16, 31, v16
	v_lshlrev_b32_e32 v19, 24, v15
	s_wait_alu 0xf1ff
	v_xor_b32_e32 v13, s7, v13
	v_cmp_gt_i32_e64 s7, 0, v17
	v_not_b32_e32 v17, v18
	v_xor_b32_e32 v70, s8, v70
	v_cmp_gt_i32_e64 s8, 0, v18
	v_and_b32_e32 v13, exec_lo, v13
	v_not_b32_e32 v18, v67
	v_ashrrev_i32_e32 v17, 31, v17
	s_wait_alu 0xf1ff
	v_xor_b32_e32 v16, s7, v16
	v_cmp_gt_i32_e64 s7, 0, v67
	v_and_b32_e32 v13, v13, v70
	v_not_b32_e32 v67, v68
	v_ashrrev_i32_e32 v18, 31, v18
	v_xor_b32_e32 v17, s8, v17
	v_cmp_gt_i32_e64 s8, 0, v68
	v_and_b32_e32 v13, v13, v16
	v_not_b32_e32 v16, v69
	v_ashrrev_i32_e32 v67, 31, v67
	s_wait_alu 0xf1ff
	v_xor_b32_e32 v18, s7, v18
	v_cmp_gt_i32_e64 s7, 0, v69
	v_and_b32_e32 v13, v13, v17
	v_not_b32_e32 v17, v19
	v_ashrrev_i32_e32 v16, 31, v16
	v_xor_b32_e32 v67, s8, v67
	v_cmp_gt_i32_e64 s8, 0, v19
	v_and_b32_e32 v18, v13, v18
	v_mad_co_u64_u32 v[12:13], null, v12, s11, v[11:12]
	v_ashrrev_i32_e32 v13, 31, v17
	s_wait_alu 0xf1ff
	v_xor_b32_e32 v16, s7, v16
	v_and_b32_e32 v17, v18, v67
	ds_bpermute_b32 v68, v14, v1 offset:96
	ds_bpermute_b32 v70, v14, v2 offset:96
	v_xor_b32_e32 v13, s8, v13
	ds_bpermute_b32 v67, v14, v3 offset:96
	v_and_b32_e32 v16, v17, v16
	ds_bpermute_b32 v69, v14, v4 offset:96
	v_lshrrev_b32_e32 v12, 3, v12
	v_dual_mov_b32 v14, 0 :: v_dual_and_b32 v15, 0xff, v15
	v_and_b32_e32 v13, v16, v13
	ds_store_2addr_b32 v32, v14, v14 offset0:1 offset1:2
	ds_store_2addr_b32 v32, v14, v14 offset0:3 offset1:4
	ds_store_2addr_b32 v32, v14, v14 offset0:5 offset1:6
	ds_store_2addr_b32 v32, v14, v14 offset0:7 offset1:8
	v_mbcnt_lo_u32_b32 v72, v13, 0
	v_and_b32_e32 v12, 0x1ffffffc, v12
	v_cmp_ne_u32_e64 s8, 0, v13
	; wave barrier
	s_wait_loadcnt_dscnt 0x0
	global_inv scope:SCOPE_SE
	v_cmp_eq_u32_e64 s7, 0, v72
	v_lshl_add_u32 v74, v15, 2, v12
	; wave barrier
	s_and_b32 s8, s8, s7
	s_wait_alu 0xfffe
	s_and_saveexec_b32 s7, s8
; %bb.22:
	v_bcnt_u32_b32 v13, v13, 0
	ds_store_b32 v74, v13 offset:4
; %bb.23:
	s_wait_alu 0xfffe
	s_or_b32 exec_lo, exec_lo, s7
	v_lshrrev_b32_e32 v73, 8, v48
	; wave barrier
	s_delay_alu instid0(VALU_DEP_1) | instskip(NEXT) | instid1(VALU_DEP_1)
	v_and_b32_e32 v13, s9, v73
	v_and_b32_e32 v14, 1, v13
	v_lshlrev_b32_e32 v15, 30, v13
	v_lshlrev_b32_e32 v16, 29, v13
	;; [unrolled: 1-line block ×4, first 2 shown]
	v_add_co_u32 v14, s7, v14, -1
	s_wait_alu 0xf1ff
	v_cndmask_b32_e64 v18, 0, 1, s7
	v_not_b32_e32 v77, v15
	v_cmp_gt_i32_e64 s8, 0, v15
	v_not_b32_e32 v15, v16
	v_lshlrev_b32_e32 v75, 26, v13
	v_cmp_ne_u32_e64 s7, 0, v18
	v_ashrrev_i32_e32 v77, 31, v77
	v_lshlrev_b32_e32 v76, 25, v13
	v_ashrrev_i32_e32 v15, 31, v15
	v_lshlrev_b32_e32 v18, 24, v13
	s_wait_alu 0xf1ff
	v_xor_b32_e32 v14, s7, v14
	v_cmp_gt_i32_e64 s7, 0, v16
	v_not_b32_e32 v16, v17
	v_xor_b32_e32 v77, s8, v77
	v_cmp_gt_i32_e64 s8, 0, v17
	v_and_b32_e32 v14, exec_lo, v14
	v_not_b32_e32 v17, v19
	v_ashrrev_i32_e32 v16, 31, v16
	s_wait_alu 0xf1ff
	v_xor_b32_e32 v15, s7, v15
	v_cmp_gt_i32_e64 s7, 0, v19
	v_and_b32_e32 v14, v14, v77
	v_not_b32_e32 v19, v75
	v_ashrrev_i32_e32 v17, 31, v17
	v_xor_b32_e32 v16, s8, v16
	v_cmp_gt_i32_e64 s8, 0, v75
	v_and_b32_e32 v14, v14, v15
	v_not_b32_e32 v15, v76
	v_ashrrev_i32_e32 v19, 31, v19
	s_wait_alu 0xf1ff
	v_xor_b32_e32 v17, s7, v17
	v_cmp_gt_i32_e64 s7, 0, v76
	v_and_b32_e32 v14, v14, v16
	v_not_b32_e32 v16, v18
	v_ashrrev_i32_e32 v15, 31, v15
	v_xor_b32_e32 v19, s8, v19
	v_and_b32_e32 v13, 0xff, v13
	v_and_b32_e32 v14, v14, v17
	v_cmp_gt_i32_e64 s8, 0, v18
	v_ashrrev_i32_e32 v16, 31, v16
	s_wait_alu 0xf1ff
	v_xor_b32_e32 v15, s7, v15
	v_lshl_add_u32 v78, v13, 2, v12
	v_and_b32_e32 v14, v14, v19
	v_xor_b32_e32 v13, s8, v16
	ds_load_b32 v75, v78 offset:4
	v_and_b32_e32 v14, v14, v15
	; wave barrier
	s_delay_alu instid0(VALU_DEP_1) | instskip(NEXT) | instid1(VALU_DEP_1)
	v_and_b32_e32 v13, v14, v13
	v_mbcnt_lo_u32_b32 v76, v13, 0
	v_cmp_ne_u32_e64 s8, 0, v13
	s_delay_alu instid0(VALU_DEP_2)
	v_cmp_eq_u32_e64 s7, 0, v76
	s_and_b32 s8, s8, s7
	s_wait_alu 0xfffe
	s_and_saveexec_b32 s7, s8
	s_cbranch_execz .LBB83_25
; %bb.24:
	s_wait_dscnt 0x0
	v_bcnt_u32_b32 v13, v13, v75
	ds_store_b32 v78, v13 offset:4
.LBB83_25:
	s_wait_alu 0xfffe
	s_or_b32 exec_lo, exec_lo, s7
	v_lshrrev_b32_e32 v77, 16, v48
	; wave barrier
	s_delay_alu instid0(VALU_DEP_1) | instskip(NEXT) | instid1(VALU_DEP_1)
	v_and_b32_e32 v13, s9, v77
	v_and_b32_e32 v14, 1, v13
	v_lshlrev_b32_e32 v15, 30, v13
	v_lshlrev_b32_e32 v16, 29, v13
	;; [unrolled: 1-line block ×4, first 2 shown]
	v_add_co_u32 v14, s7, v14, -1
	s_wait_alu 0xf1ff
	v_cndmask_b32_e64 v18, 0, 1, s7
	v_not_b32_e32 v81, v15
	v_cmp_gt_i32_e64 s8, 0, v15
	v_not_b32_e32 v15, v16
	v_lshlrev_b32_e32 v79, 26, v13
	v_cmp_ne_u32_e64 s7, 0, v18
	v_ashrrev_i32_e32 v81, 31, v81
	v_lshlrev_b32_e32 v80, 25, v13
	v_ashrrev_i32_e32 v15, 31, v15
	v_lshlrev_b32_e32 v18, 24, v13
	s_wait_alu 0xf1ff
	v_xor_b32_e32 v14, s7, v14
	v_cmp_gt_i32_e64 s7, 0, v16
	v_not_b32_e32 v16, v17
	v_xor_b32_e32 v81, s8, v81
	v_cmp_gt_i32_e64 s8, 0, v17
	v_and_b32_e32 v14, exec_lo, v14
	v_not_b32_e32 v17, v19
	v_ashrrev_i32_e32 v16, 31, v16
	s_wait_alu 0xf1ff
	v_xor_b32_e32 v15, s7, v15
	v_cmp_gt_i32_e64 s7, 0, v19
	v_and_b32_e32 v14, v14, v81
	v_not_b32_e32 v19, v79
	v_ashrrev_i32_e32 v17, 31, v17
	v_xor_b32_e32 v16, s8, v16
	v_cmp_gt_i32_e64 s8, 0, v79
	v_and_b32_e32 v14, v14, v15
	v_not_b32_e32 v15, v80
	v_ashrrev_i32_e32 v19, 31, v19
	s_wait_alu 0xf1ff
	v_xor_b32_e32 v17, s7, v17
	v_cmp_gt_i32_e64 s7, 0, v80
	v_and_b32_e32 v14, v14, v16
	v_not_b32_e32 v16, v18
	v_ashrrev_i32_e32 v15, 31, v15
	v_xor_b32_e32 v19, s8, v19
	v_and_b32_e32 v13, 0xff, v13
	v_and_b32_e32 v14, v14, v17
	v_cmp_gt_i32_e64 s8, 0, v18
	v_ashrrev_i32_e32 v16, 31, v16
	s_wait_alu 0xf1ff
	v_xor_b32_e32 v15, s7, v15
	v_lshl_add_u32 v82, v13, 2, v12
	v_and_b32_e32 v14, v14, v19
	v_xor_b32_e32 v13, s8, v16
	ds_load_b32 v79, v82 offset:4
	v_and_b32_e32 v14, v14, v15
	; wave barrier
	s_delay_alu instid0(VALU_DEP_1) | instskip(NEXT) | instid1(VALU_DEP_1)
	v_and_b32_e32 v13, v14, v13
	v_mbcnt_lo_u32_b32 v80, v13, 0
	v_cmp_ne_u32_e64 s8, 0, v13
	s_delay_alu instid0(VALU_DEP_2)
	v_cmp_eq_u32_e64 s7, 0, v80
	s_and_b32 s8, s8, s7
	s_wait_alu 0xfffe
	s_and_saveexec_b32 s7, s8
	s_cbranch_execz .LBB83_27
; %bb.26:
	s_wait_dscnt 0x0
	v_bcnt_u32_b32 v13, v13, v79
	ds_store_b32 v82, v13 offset:4
.LBB83_27:
	s_wait_alu 0xfffe
	s_or_b32 exec_lo, exec_lo, s7
	v_lshrrev_b32_e32 v81, 24, v48
	; wave barrier
	s_delay_alu instid0(VALU_DEP_1) | instskip(NEXT) | instid1(VALU_DEP_1)
	v_and_b32_e32 v13, s9, v81
	v_and_b32_e32 v14, 1, v13
	v_lshlrev_b32_e32 v15, 30, v13
	v_lshlrev_b32_e32 v16, 29, v13
	;; [unrolled: 1-line block ×4, first 2 shown]
	v_add_co_u32 v14, s7, v14, -1
	s_wait_alu 0xf1ff
	v_cndmask_b32_e64 v18, 0, 1, s7
	v_not_b32_e32 v85, v15
	v_cmp_gt_i32_e64 s8, 0, v15
	v_not_b32_e32 v15, v16
	v_lshlrev_b32_e32 v83, 26, v13
	v_cmp_ne_u32_e64 s7, 0, v18
	v_ashrrev_i32_e32 v85, 31, v85
	v_lshlrev_b32_e32 v84, 25, v13
	v_ashrrev_i32_e32 v15, 31, v15
	v_lshlrev_b32_e32 v18, 24, v13
	s_wait_alu 0xf1ff
	v_xor_b32_e32 v14, s7, v14
	v_cmp_gt_i32_e64 s7, 0, v16
	v_not_b32_e32 v16, v17
	v_xor_b32_e32 v85, s8, v85
	v_cmp_gt_i32_e64 s8, 0, v17
	v_and_b32_e32 v14, exec_lo, v14
	v_not_b32_e32 v17, v19
	v_ashrrev_i32_e32 v16, 31, v16
	s_wait_alu 0xf1ff
	v_xor_b32_e32 v15, s7, v15
	v_cmp_gt_i32_e64 s7, 0, v19
	v_and_b32_e32 v14, v14, v85
	v_not_b32_e32 v19, v83
	v_ashrrev_i32_e32 v17, 31, v17
	v_xor_b32_e32 v16, s8, v16
	v_cmp_gt_i32_e64 s8, 0, v83
	v_and_b32_e32 v14, v14, v15
	v_not_b32_e32 v15, v84
	v_ashrrev_i32_e32 v19, 31, v19
	s_wait_alu 0xf1ff
	v_xor_b32_e32 v17, s7, v17
	v_cmp_gt_i32_e64 s7, 0, v84
	v_and_b32_e32 v14, v14, v16
	v_not_b32_e32 v16, v18
	v_ashrrev_i32_e32 v15, 31, v15
	v_xor_b32_e32 v19, s8, v19
	v_cmp_gt_i32_e64 s8, 0, v18
	v_and_b32_e32 v14, v14, v17
	v_ashrrev_i32_e32 v16, 31, v16
	s_wait_alu 0xf1ff
	v_xor_b32_e32 v15, s7, v15
	v_lshl_add_u32 v85, v13, 2, v12
	v_and_b32_e32 v14, v14, v19
	v_xor_b32_e32 v12, s8, v16
	ds_load_b32 v83, v85 offset:4
	v_and_b32_e32 v13, v14, v15
	; wave barrier
	s_delay_alu instid0(VALU_DEP_1) | instskip(NEXT) | instid1(VALU_DEP_1)
	v_and_b32_e32 v12, v13, v12
	v_mbcnt_lo_u32_b32 v84, v12, 0
	v_cmp_ne_u32_e64 s8, 0, v12
	s_delay_alu instid0(VALU_DEP_2)
	v_cmp_eq_u32_e64 s7, 0, v84
	s_and_b32 s8, s8, s7
	s_wait_alu 0xfffe
	s_and_saveexec_b32 s7, s8
	s_cbranch_execz .LBB83_29
; %bb.28:
	s_wait_dscnt 0x0
	v_bcnt_u32_b32 v12, v12, v83
	ds_store_b32 v85, v12 offset:4
.LBB83_29:
	s_wait_alu 0xfffe
	s_or_b32 exec_lo, exec_lo, s7
	; wave barrier
	; wave barrier
	s_wait_loadcnt_dscnt 0x0
	global_inv scope:SCOPE_SE
	ds_load_2addr_b32 v[18:19], v32 offset0:1 offset1:2
	ds_load_2addr_b32 v[16:17], v32 offset0:3 offset1:4
	;; [unrolled: 1-line block ×4, first 2 shown]
	s_mov_b32 s8, 0
	s_mov_b32 s9, exec_lo
	s_wait_dscnt 0x3
	v_add_nc_u32_e32 v86, v19, v18
	s_wait_dscnt 0x2
	s_delay_alu instid0(VALU_DEP_1) | instskip(SKIP_1) | instid1(VALU_DEP_1)
	v_add3_u32 v86, v86, v16, v17
	s_wait_dscnt 0x1
	v_add3_u32 v86, v86, v14, v15
	s_wait_dscnt 0x0
	s_delay_alu instid0(VALU_DEP_1) | instskip(SKIP_1) | instid1(VALU_DEP_2)
	v_add3_u32 v13, v86, v12, v13
	v_and_b32_e32 v86, 15, v33
	v_mov_b32_dpp v87, v13 row_shr:1 row_mask:0xf bank_mask:0xf
	s_delay_alu instid0(VALU_DEP_2) | instskip(SKIP_1) | instid1(VALU_DEP_1)
	v_cmp_ne_u32_e64 s7, 0, v86
	s_wait_alu 0xf1ff
	v_cndmask_b32_e64 v87, 0, v87, s7
	v_cmp_lt_u32_e64 s7, 1, v86
	s_delay_alu instid0(VALU_DEP_2) | instskip(NEXT) | instid1(VALU_DEP_1)
	v_add_nc_u32_e32 v13, v87, v13
	v_mov_b32_dpp v87, v13 row_shr:2 row_mask:0xf bank_mask:0xf
	s_wait_alu 0xf1ff
	s_delay_alu instid0(VALU_DEP_1) | instskip(SKIP_1) | instid1(VALU_DEP_2)
	v_cndmask_b32_e64 v87, 0, v87, s7
	v_cmp_lt_u32_e64 s7, 3, v86
	v_add_nc_u32_e32 v13, v13, v87
	s_delay_alu instid0(VALU_DEP_1) | instskip(SKIP_1) | instid1(VALU_DEP_1)
	v_mov_b32_dpp v87, v13 row_shr:4 row_mask:0xf bank_mask:0xf
	s_wait_alu 0xf1ff
	v_cndmask_b32_e64 v87, 0, v87, s7
	v_cmp_lt_u32_e64 s7, 7, v86
	s_delay_alu instid0(VALU_DEP_2) | instskip(NEXT) | instid1(VALU_DEP_1)
	v_add_nc_u32_e32 v13, v13, v87
	v_mov_b32_dpp v87, v13 row_shr:8 row_mask:0xf bank_mask:0xf
	s_wait_alu 0xf1ff
	s_delay_alu instid0(VALU_DEP_1) | instskip(SKIP_1) | instid1(VALU_DEP_2)
	v_cndmask_b32_e64 v86, 0, v87, s7
	v_bfe_i32 v87, v33, 4, 1
	v_add_nc_u32_e32 v13, v13, v86
	ds_swizzle_b32 v86, v13 offset:swizzle(BROADCAST,32,15)
	s_wait_dscnt 0x0
	v_and_b32_e32 v86, v87, v86
	s_delay_alu instid0(VALU_DEP_1)
	v_add_nc_u32_e32 v13, v13, v86
	v_cmpx_eq_u32_e32 31, v11
; %bb.30:
	v_mov_b32_e32 v86, 0
	ds_store_b32 v86, v13
; %bb.31:
	s_wait_alu 0xfffe
	s_or_b32 exec_lo, exec_lo, s9
	v_sub_co_u32 v86, s9, v33, 1
	v_cndmask_b32_e64 v58, 0, v58, s6
	v_cndmask_b32_e64 v59, 0, v59, s6
	s_wait_loadcnt_dscnt 0x0
	s_delay_alu instid0(VALU_DEP_3)
	v_cmp_gt_i32_e64 s7, 0, v86
	; wave barrier
	global_inv scope:SCOPE_SE
	v_cndmask_b32_e64 v52, v58, v52, s5
	v_cndmask_b32_e64 v55, v59, v55, s5
	;; [unrolled: 1-line block ×3, first 2 shown]
	s_wait_alu 0xf1ff
	v_cndmask_b32_e64 v86, v86, v33, s7
	v_cmp_eq_u32_e64 s7, 0, v11
	v_cndmask_b32_e64 v44, v52, v44, s4
	v_cndmask_b32_e64 v45, v55, v45, s4
	;; [unrolled: 1-line block ×3, first 2 shown]
	v_lshlrev_b32_e32 v86, 2, v86
	s_or_b32 s7, s7, s9
	v_cndmask_b32_e64 v64, 0, v64, s6
	v_cndmask_b32_e64 v62, 0, v62, s6
	;; [unrolled: 1-line block ×3, first 2 shown]
	ds_bpermute_b32 v13, v86, v13
	v_cndmask_b32_e64 v66, 0, v66, s6
	s_wait_dscnt 0x0
	s_wait_alu 0xfffe
	v_cndmask_b32_e64 v13, v13, 0, s7
	s_delay_alu instid0(VALU_DEP_1) | instskip(NEXT) | instid1(VALU_DEP_1)
	v_add_nc_u32_e32 v18, v13, v18
	v_add_nc_u32_e32 v19, v18, v19
	s_delay_alu instid0(VALU_DEP_1) | instskip(NEXT) | instid1(VALU_DEP_1)
	v_add_nc_u32_e32 v16, v19, v16
	v_add_nc_u32_e32 v17, v16, v17
	;; [unrolled: 3-line block ×3, first 2 shown]
	s_delay_alu instid0(VALU_DEP_1)
	v_add_nc_u32_e32 v12, v15, v12
	ds_store_2addr_b32 v32, v13, v18 offset0:1 offset1:2
	ds_store_2addr_b32 v32, v19, v16 offset0:3 offset1:4
	;; [unrolled: 1-line block ×4, first 2 shown]
	; wave barrier
	s_wait_loadcnt_dscnt 0x0
	global_inv scope:SCOPE_SE
	ds_load_b32 v12, v74 offset:4
	ds_load_b32 v15, v78 offset:4
	ds_load_b32 v17, v82 offset:4
	ds_load_b32 v18, v85 offset:4
	v_cndmask_b32_e64 v13, v61, v51, s5
	v_cndmask_b32_e64 v14, v60, v50, s5
	;; [unrolled: 1-line block ×3, first 2 shown]
	; wave barrier
	s_wait_loadcnt_dscnt 0x0
	global_inv scope:SCOPE_SE
	v_cndmask_b32_e64 v49, v13, v49, s4
	v_cndmask_b32_e64 v47, v14, v47, s4
	v_dual_cndmask_b32 v14, v45, v42 :: v_dual_cndmask_b32 v13, v44, v40
	v_cndmask_b32_e64 v52, v16, v54, s4
	s_delay_alu instid0(VALU_DEP_4)
	v_cndmask_b32_e32 v16, v49, v46, vcc_lo
	v_cndmask_b32_e64 v19, v62, v56, s5
	v_cndmask_b32_e64 v50, v66, v71, s5
	;; [unrolled: 1-line block ×3, first 2 shown]
	v_add_nc_u32_e32 v42, v12, v72
	v_add3_u32 v44, v76, v75, v15
	v_add3_u32 v45, v80, v79, v17
	;; [unrolled: 1-line block ×3, first 2 shown]
	ds_store_b8 v42, v48
	ds_store_b8 v44, v73
	;; [unrolled: 1-line block ×4, first 2 shown]
	; wave barrier
	s_wait_loadcnt_dscnt 0x0
	global_inv scope:SCOPE_SE
	ds_load_b32 v12, v27
	v_cndmask_b32_e64 v19, v19, v53, s4
	v_cndmask_b32_e64 v40, v50, v70, s4
	;; [unrolled: 1-line block ×3, first 2 shown]
	v_cndmask_b32_e32 v18, v52, v43, vcc_lo
	v_cndmask_b32_e32 v15, v47, v39, vcc_lo
	;; [unrolled: 1-line block ×3, first 2 shown]
	v_lshlrev_b32_e32 v19, 3, v42
	v_lshlrev_b32_e32 v41, 3, v44
	;; [unrolled: 1-line block ×3, first 2 shown]
	v_cndmask_b32_e32 v40, v40, v69, vcc_lo
	v_cndmask_b32_e32 v39, v48, v67, vcc_lo
	v_lshlrev_b32_e32 v43, 3, v46
	; wave barrier
	s_wait_loadcnt_dscnt 0x0
	global_inv scope:SCOPE_SE
	ds_store_b64 v19, v[13:14]
	ds_store_b64 v41, v[15:16]
	ds_store_b64 v42, v[17:18]
	ds_store_b64 v43, v[39:40]
	; wave barrier
	s_wait_loadcnt_dscnt 0x0
	global_inv scope:SCOPE_SE
	s_and_b32 vcc_lo, exec_lo, s8
	s_wait_alu 0xfffe
	s_cbranch_vccnz .LBB83_33
	s_branch .LBB83_44
.LBB83_32:
                                        ; implicit-def: $vgpr12
	s_cbranch_execz .LBB83_44
.LBB83_33:
	v_xor_b32_e32 v12, -1, v35
	v_xor_b32_e32 v13, -1, v38
	v_and_b32_e32 v55, 28, v33
	v_xor_b32_e32 v14, -1, v37
	v_and_b32_e32 v19, 3, v33
	v_and_b32_e32 v12, 0xff, v12
	;; [unrolled: 1-line block ×3, first 2 shown]
	v_xor_b32_e32 v18, -1, v36
	s_getpc_b64 s[8:9]
	s_wait_alu 0xfffe
	s_sext_i32_i16 s9, s9
	s_add_co_u32 s8, s8, _ZN7rocprim17ROCPRIM_400000_NS16block_radix_sortIhLj32ELj4ElLj1ELj1ELj0ELNS0_26block_radix_rank_algorithmE1ELNS0_18block_padding_hintE2ELNS0_4arch9wavefront6targetE0EE19radix_bits_per_passE@rel32@lo+12
	s_wait_alu 0xfffe
	s_add_co_ci_u32 s9, s9, _ZN7rocprim17ROCPRIM_400000_NS16block_radix_sortIhLj32ELj4ElLj1ELj1ELj0ELNS0_26block_radix_rank_algorithmE1ELNS0_18block_padding_hintE2ELNS0_4arch9wavefront6targetE0EE19radix_bits_per_passE@rel32@hi+24
	v_cmp_eq_u32_e32 vcc_lo, 3, v19
	ds_bpermute_b32 v15, v55, v12
	v_and_b32_e32 v14, 0xff, v14
	ds_bpermute_b32 v16, v55, v13
	v_and_b32_e32 v18, 0xff, v18
	v_cmp_eq_u32_e64 s6, 0, v19
	v_cmp_eq_u32_e64 s5, 1, v19
	ds_bpermute_b32 v17, v55, v14
	ds_bpermute_b32 v36, v55, v12 offset:32
	ds_bpermute_b32 v35, v55, v18
	v_cmp_eq_u32_e64 s4, 2, v19
	s_load_b32 s8, s[8:9], 0x0
	; wave barrier
	s_wait_loadcnt_dscnt 0x0
	global_inv scope:SCOPE_SE
	s_load_b32 s7, s[18:19], 0xc
	ds_bpermute_b32 v47, v55, v5
	ds_bpermute_b32 v49, v55, v5 offset:32
	ds_bpermute_b32 v51, v55, v5 offset:64
	;; [unrolled: 1-line block ×3, first 2 shown]
	ds_bpermute_b32 v48, v55, v6
	ds_bpermute_b32 v50, v55, v6 offset:32
	v_and_b32_e32 v15, 0xff, v15
	ds_bpermute_b32 v52, v55, v6 offset:64
	v_and_b32_e32 v16, 0xff, v16
	ds_bpermute_b32 v54, v55, v6 offset:96
	ds_bpermute_b32 v37, v55, v7
	v_cndmask_b32_e64 v15, 0, v15, s6
	v_and_b32_e32 v17, 0xff, v17
	ds_bpermute_b32 v42, v55, v7 offset:32
	ds_bpermute_b32 v45, v55, v7 offset:64
	;; [unrolled: 1-line block ×3, first 2 shown]
	v_cndmask_b32_e64 v15, v15, v16, s5
	s_wait_kmcnt 0x0
	s_min_u32 s8, s8, 8
	ds_bpermute_b32 v38, v55, v8
	s_wait_alu 0xfffe
	s_lshl_b32 s8, -1, s8
	s_and_b32 s11, s7, 0xffff
	v_cndmask_b32_e64 v15, v15, v17, s4
	v_lshlrev_b16 v17, 8, v36
	s_wait_alu 0xfffe
	s_not_b32 s9, s8
	s_lshr_b32 s8, s7, 16
	ds_bpermute_b32 v36, v55, v2
	v_perm_b32 v16, v35, v15, 0x3020104
	s_wait_alu 0xfffe
	v_mad_u32_u24 v0, v0, s8, v34
	ds_bpermute_b32 v35, v55, v4
	ds_bpermute_b32 v43, v55, v8 offset:32
	ds_bpermute_b32 v40, v55, v2 offset:32
	v_cndmask_b32_e32 v15, v15, v16, vcc_lo
	ds_bpermute_b32 v16, v55, v13 offset:32
	ds_bpermute_b32 v46, v55, v8 offset:64
	v_and_b32_e32 v19, 0xff, v15
	s_delay_alu instid0(VALU_DEP_1) | instskip(SKIP_2) | instid1(VALU_DEP_1)
	v_or_b32_e32 v17, v19, v17
	ds_bpermute_b32 v19, v55, v14 offset:32
	v_and_b32_e32 v17, 0xffff, v17
	v_cndmask_b32_e64 v15, v15, v17, s6
	s_wait_dscnt 0x2
	v_lshlrev_b16 v16, 8, v16
	s_delay_alu instid0(VALU_DEP_2) | instskip(NEXT) | instid1(VALU_DEP_1)
	v_and_b32_e32 v17, 0xff, v15
	v_or_b32_e32 v16, v17, v16
	s_delay_alu instid0(VALU_DEP_1) | instskip(NEXT) | instid1(VALU_DEP_1)
	v_and_b32_e32 v16, 0xffff, v16
	v_and_or_b32 v16, 0xffff0000, v15, v16
	s_delay_alu instid0(VALU_DEP_1) | instskip(SKIP_4) | instid1(VALU_DEP_1)
	v_cndmask_b32_e64 v15, v15, v16, s5
	s_wait_dscnt 0x0
	v_lshlrev_b16 v16, 8, v19
	ds_bpermute_b32 v19, v55, v18 offset:32
	v_and_b32_e32 v17, 0xff, v15
	v_or_b32_e32 v16, v17, v16
	s_delay_alu instid0(VALU_DEP_1) | instskip(NEXT) | instid1(VALU_DEP_1)
	v_and_b32_e32 v16, 0xffff, v16
	v_and_or_b32 v16, 0xffff0000, v15, v16
	s_delay_alu instid0(VALU_DEP_1)
	v_cndmask_b32_e64 v15, v15, v16, s4
	s_wait_dscnt 0x0
	v_lshlrev_b16 v16, 8, v19
	ds_bpermute_b32 v19, v55, v12 offset:64
	ds_bpermute_b32 v12, v55, v12 offset:96
	v_and_b32_e32 v17, 0xff, v15
	s_delay_alu instid0(VALU_DEP_1) | instskip(NEXT) | instid1(VALU_DEP_1)
	v_or_b32_e32 v16, v17, v16
	v_and_b32_e32 v16, 0xffff, v16
	s_delay_alu instid0(VALU_DEP_1) | instskip(SKIP_2) | instid1(VALU_DEP_2)
	v_and_or_b32 v16, 0xffff0000, v15, v16
	s_wait_dscnt 0x0
	v_lshlrev_b16 v12, 8, v12
	v_cndmask_b32_e32 v15, v15, v16, vcc_lo
	ds_bpermute_b32 v16, v55, v13 offset:64
	ds_bpermute_b32 v13, v55, v13 offset:96
	v_perm_b32 v17, v19, v15, 0xc0c0304
	ds_bpermute_b32 v19, v55, v1
	v_lshlrev_b32_e32 v17, 16, v17
	s_delay_alu instid0(VALU_DEP_1) | instskip(NEXT) | instid1(VALU_DEP_1)
	v_and_or_b32 v17, 0xffff, v15, v17
	v_cndmask_b32_e64 v15, v15, v17, s6
	ds_bpermute_b32 v17, v55, v14 offset:64
	s_wait_dscnt 0x2
	v_lshlrev_b16 v13, 8, v13
	ds_bpermute_b32 v14, v55, v14 offset:96
	v_perm_b32 v16, v16, v15, 0xc0c0304
	s_delay_alu instid0(VALU_DEP_1) | instskip(NEXT) | instid1(VALU_DEP_1)
	v_lshlrev_b32_e32 v16, 16, v16
	v_and_or_b32 v16, 0xffff, v15, v16
	s_delay_alu instid0(VALU_DEP_1) | instskip(SKIP_4) | instid1(VALU_DEP_1)
	v_cndmask_b32_e64 v15, v15, v16, s5
	ds_bpermute_b32 v16, v55, v18 offset:64
	s_wait_dscnt 0x1
	v_lshlrev_b16 v14, 8, v14
	v_perm_b32 v17, v17, v15, 0xc0c0304
	v_lshlrev_b32_e32 v17, 16, v17
	s_delay_alu instid0(VALU_DEP_1) | instskip(NEXT) | instid1(VALU_DEP_1)
	v_and_or_b32 v17, 0xffff, v15, v17
	v_cndmask_b32_e64 v15, v15, v17, s4
	ds_bpermute_b32 v17, v55, v2 offset:64
	s_wait_dscnt 0x1
	v_perm_b32 v16, v16, v15, 0xc0c0304
	s_delay_alu instid0(VALU_DEP_1) | instskip(NEXT) | instid1(VALU_DEP_1)
	v_lshlrev_b32_e32 v16, 16, v16
	v_and_or_b32 v16, 0xffff, v15, v16
	s_delay_alu instid0(VALU_DEP_1) | instskip(NEXT) | instid1(VALU_DEP_1)
	v_cndmask_b32_e32 v15, v15, v16, vcc_lo
	v_lshrrev_b32_e32 v16, 16, v15
	s_delay_alu instid0(VALU_DEP_1) | instskip(NEXT) | instid1(VALU_DEP_1)
	v_and_b32_e32 v16, 0xff, v16
	v_or_b32_e32 v12, v16, v12
	ds_bpermute_b32 v16, v55, v4 offset:64
	v_lshlrev_b32_e32 v12, 16, v12
	s_delay_alu instid0(VALU_DEP_1) | instskip(NEXT) | instid1(VALU_DEP_1)
	v_and_or_b32 v12, 0xffff, v15, v12
	v_cndmask_b32_e64 v12, v15, v12, s6
	s_delay_alu instid0(VALU_DEP_1) | instskip(NEXT) | instid1(VALU_DEP_1)
	v_lshrrev_b32_e32 v15, 16, v12
	v_and_b32_e32 v15, 0xff, v15
	s_delay_alu instid0(VALU_DEP_1) | instskip(SKIP_2) | instid1(VALU_DEP_1)
	v_or_b32_e32 v13, v15, v13
	ds_bpermute_b32 v15, v55, v1 offset:64
	v_lshlrev_b32_e32 v13, 16, v13
	v_and_or_b32 v13, 0xffff, v12, v13
	s_delay_alu instid0(VALU_DEP_1) | instskip(NEXT) | instid1(VALU_DEP_1)
	v_cndmask_b32_e64 v12, v12, v13, s5
	v_lshrrev_b32_e32 v13, 16, v12
	s_delay_alu instid0(VALU_DEP_1) | instskip(NEXT) | instid1(VALU_DEP_1)
	v_and_b32_e32 v13, 0xff, v13
	v_or_b32_e32 v13, v13, v14
	ds_bpermute_b32 v14, v55, v18 offset:96
	ds_bpermute_b32 v18, v55, v3
	v_lshlrev_b32_e32 v13, 16, v13
	s_delay_alu instid0(VALU_DEP_1) | instskip(NEXT) | instid1(VALU_DEP_1)
	v_and_or_b32 v13, 0xffff, v12, v13
	v_cndmask_b32_e64 v41, v12, v13, s4
	s_delay_alu instid0(VALU_DEP_1) | instskip(SKIP_2) | instid1(VALU_DEP_2)
	v_lshrrev_b32_e32 v12, 16, v41
	s_wait_dscnt 0x1
	v_lshlrev_b16 v13, 8, v14
	v_and_b32_e32 v12, 0xff, v12
	s_delay_alu instid0(VALU_DEP_1) | instskip(SKIP_3) | instid1(VALU_DEP_1)
	v_or_b32_e32 v14, v12, v13
	ds_bpermute_b32 v12, v55, v3 offset:32
	ds_bpermute_b32 v13, v55, v4 offset:32
	v_lshlrev_b32_e32 v14, 16, v14
	v_and_or_b32 v44, 0xffff, v41, v14
	ds_bpermute_b32 v14, v55, v3 offset:64
	v_cndmask_b32_e32 v41, v41, v44, vcc_lo
	ds_bpermute_b32 v44, v55, v7 offset:96
	v_and_b32_e32 v58, s9, v41
	s_delay_alu instid0(VALU_DEP_1)
	v_and_b32_e32 v5, 1, v58
	v_lshlrev_b32_e32 v6, 30, v58
	v_lshlrev_b32_e32 v7, 29, v58
	;; [unrolled: 1-line block ×4, first 2 shown]
	v_add_co_u32 v5, s7, v5, -1
	s_wait_alu 0xf1ff
	v_cndmask_b32_e64 v56, 0, 1, s7
	v_not_b32_e32 v61, v6
	v_cmp_gt_i32_e64 s8, 0, v6
	v_not_b32_e32 v6, v7
	v_lshlrev_b32_e32 v59, 26, v58
	v_cmp_ne_u32_e64 s7, 0, v56
	v_ashrrev_i32_e32 v61, 31, v61
	v_lshlrev_b32_e32 v60, 25, v58
	v_ashrrev_i32_e32 v6, 31, v6
	v_lshlrev_b32_e32 v56, 24, v58
	s_wait_alu 0xf1ff
	v_xor_b32_e32 v5, s7, v5
	v_cmp_gt_i32_e64 s7, 0, v7
	v_not_b32_e32 v7, v34
	v_xor_b32_e32 v61, s8, v61
	v_cmp_gt_i32_e64 s8, 0, v34
	v_and_b32_e32 v5, exec_lo, v5
	v_not_b32_e32 v34, v57
	v_ashrrev_i32_e32 v7, 31, v7
	s_wait_alu 0xf1ff
	v_xor_b32_e32 v6, s7, v6
	v_cmp_gt_i32_e64 s7, 0, v57
	v_and_b32_e32 v5, v5, v61
	v_not_b32_e32 v57, v59
	v_ashrrev_i32_e32 v34, 31, v34
	v_xor_b32_e32 v7, s8, v7
	v_cmp_gt_i32_e64 s8, 0, v59
	v_and_b32_e32 v5, v5, v6
	v_not_b32_e32 v6, v60
	v_ashrrev_i32_e32 v57, 31, v57
	s_wait_alu 0xf1ff
	v_xor_b32_e32 v34, s7, v34
	v_cmp_gt_i32_e64 s7, 0, v60
	v_and_b32_e32 v5, v5, v7
	v_not_b32_e32 v7, v56
	v_ashrrev_i32_e32 v59, 31, v6
	v_xor_b32_e32 v57, s8, v57
	v_cmp_gt_i32_e64 s8, 0, v56
	v_and_b32_e32 v34, v5, v34
	s_wait_dscnt 0x3
	v_mad_co_u64_u32 v[5:6], null, v0, s11, v[11:12]
	v_ashrrev_i32_e32 v0, 31, v7
	s_wait_alu 0xf1ff
	v_xor_b32_e32 v6, s7, v59
	v_and_b32_e32 v7, v34, v57
	ds_bpermute_b32 v34, v55, v1 offset:96
	ds_bpermute_b32 v57, v55, v8 offset:96
	v_xor_b32_e32 v0, s8, v0
	ds_bpermute_b32 v56, v55, v2 offset:96
	v_and_b32_e32 v1, v7, v6
	ds_bpermute_b32 v8, v55, v3 offset:96
	ds_bpermute_b32 v55, v55, v4 offset:96
	v_lshrrev_b32_e32 v2, 3, v5
	v_mov_b32_e32 v3, 0
	v_and_b32_e32 v1, v1, v0
	ds_store_2addr_b32 v32, v3, v3 offset0:1 offset1:2
	ds_store_2addr_b32 v32, v3, v3 offset0:3 offset1:4
	;; [unrolled: 1-line block ×4, first 2 shown]
	v_and_b32_e32 v0, 0x1ffffffc, v2
	v_and_b32_e32 v2, 0xff, v58
	v_mbcnt_lo_u32_b32 v58, v1, 0
	v_cmp_ne_u32_e64 s8, 0, v1
	; wave barrier
	s_wait_loadcnt_dscnt 0x0
	global_inv scope:SCOPE_SE
	v_lshl_add_u32 v60, v2, 2, v0
	v_cmp_eq_u32_e64 s7, 0, v58
	; wave barrier
	s_and_b32 s8, s8, s7
	s_wait_alu 0xfffe
	s_and_saveexec_b32 s7, s8
; %bb.34:
	v_bcnt_u32_b32 v1, v1, 0
	ds_store_b32 v60, v1 offset:4
; %bb.35:
	s_wait_alu 0xfffe
	s_or_b32 exec_lo, exec_lo, s7
	v_lshrrev_b32_e32 v59, 8, v41
	; wave barrier
	s_delay_alu instid0(VALU_DEP_1) | instskip(NEXT) | instid1(VALU_DEP_1)
	v_and_b32_e32 v1, s9, v59
	v_and_b32_e32 v2, 1, v1
	v_lshlrev_b32_e32 v3, 30, v1
	v_lshlrev_b32_e32 v4, 29, v1
	;; [unrolled: 1-line block ×4, first 2 shown]
	v_add_co_u32 v2, s7, v2, -1
	s_wait_alu 0xf1ff
	v_cndmask_b32_e64 v6, 0, 1, s7
	v_not_b32_e32 v63, v3
	v_cmp_gt_i32_e64 s8, 0, v3
	v_not_b32_e32 v3, v4
	v_lshlrev_b32_e32 v61, 26, v1
	v_cmp_ne_u32_e64 s7, 0, v6
	v_ashrrev_i32_e32 v63, 31, v63
	v_lshlrev_b32_e32 v62, 25, v1
	v_ashrrev_i32_e32 v3, 31, v3
	v_lshlrev_b32_e32 v6, 24, v1
	s_wait_alu 0xf1ff
	v_xor_b32_e32 v2, s7, v2
	v_cmp_gt_i32_e64 s7, 0, v4
	v_not_b32_e32 v4, v5
	v_xor_b32_e32 v63, s8, v63
	v_cmp_gt_i32_e64 s8, 0, v5
	v_and_b32_e32 v2, exec_lo, v2
	v_not_b32_e32 v5, v7
	v_ashrrev_i32_e32 v4, 31, v4
	s_wait_alu 0xf1ff
	v_xor_b32_e32 v3, s7, v3
	v_cmp_gt_i32_e64 s7, 0, v7
	v_and_b32_e32 v2, v2, v63
	v_not_b32_e32 v7, v61
	v_ashrrev_i32_e32 v5, 31, v5
	v_xor_b32_e32 v4, s8, v4
	v_cmp_gt_i32_e64 s8, 0, v61
	v_and_b32_e32 v2, v2, v3
	v_not_b32_e32 v3, v62
	v_ashrrev_i32_e32 v7, 31, v7
	s_wait_alu 0xf1ff
	v_xor_b32_e32 v5, s7, v5
	v_cmp_gt_i32_e64 s7, 0, v62
	v_and_b32_e32 v2, v2, v4
	v_not_b32_e32 v4, v6
	v_ashrrev_i32_e32 v3, 31, v3
	v_xor_b32_e32 v7, s8, v7
	v_and_b32_e32 v1, 0xff, v1
	v_and_b32_e32 v2, v2, v5
	v_cmp_gt_i32_e64 s8, 0, v6
	v_ashrrev_i32_e32 v4, 31, v4
	s_wait_alu 0xf1ff
	v_xor_b32_e32 v3, s7, v3
	v_lshl_add_u32 v64, v1, 2, v0
	v_and_b32_e32 v2, v2, v7
	v_xor_b32_e32 v1, s8, v4
	ds_load_b32 v61, v64 offset:4
	v_and_b32_e32 v2, v2, v3
	; wave barrier
	s_delay_alu instid0(VALU_DEP_1) | instskip(NEXT) | instid1(VALU_DEP_1)
	v_and_b32_e32 v1, v2, v1
	v_mbcnt_lo_u32_b32 v62, v1, 0
	v_cmp_ne_u32_e64 s8, 0, v1
	s_delay_alu instid0(VALU_DEP_2)
	v_cmp_eq_u32_e64 s7, 0, v62
	s_and_b32 s8, s8, s7
	s_wait_alu 0xfffe
	s_and_saveexec_b32 s7, s8
	s_cbranch_execz .LBB83_37
; %bb.36:
	s_wait_dscnt 0x0
	v_bcnt_u32_b32 v1, v1, v61
	ds_store_b32 v64, v1 offset:4
.LBB83_37:
	s_wait_alu 0xfffe
	s_or_b32 exec_lo, exec_lo, s7
	v_lshrrev_b32_e32 v63, 16, v41
	; wave barrier
	s_delay_alu instid0(VALU_DEP_1) | instskip(NEXT) | instid1(VALU_DEP_1)
	v_and_b32_e32 v1, s9, v63
	v_and_b32_e32 v2, 1, v1
	v_lshlrev_b32_e32 v3, 30, v1
	v_lshlrev_b32_e32 v4, 29, v1
	v_lshlrev_b32_e32 v5, 28, v1
	v_lshlrev_b32_e32 v7, 27, v1
	v_add_co_u32 v2, s7, v2, -1
	s_wait_alu 0xf1ff
	v_cndmask_b32_e64 v6, 0, 1, s7
	v_not_b32_e32 v67, v3
	v_cmp_gt_i32_e64 s8, 0, v3
	v_not_b32_e32 v3, v4
	v_lshlrev_b32_e32 v65, 26, v1
	v_cmp_ne_u32_e64 s7, 0, v6
	v_ashrrev_i32_e32 v67, 31, v67
	v_lshlrev_b32_e32 v66, 25, v1
	v_ashrrev_i32_e32 v3, 31, v3
	v_lshlrev_b32_e32 v6, 24, v1
	s_wait_alu 0xf1ff
	v_xor_b32_e32 v2, s7, v2
	v_cmp_gt_i32_e64 s7, 0, v4
	v_not_b32_e32 v4, v5
	v_xor_b32_e32 v67, s8, v67
	v_cmp_gt_i32_e64 s8, 0, v5
	v_and_b32_e32 v2, exec_lo, v2
	v_not_b32_e32 v5, v7
	v_ashrrev_i32_e32 v4, 31, v4
	s_wait_alu 0xf1ff
	v_xor_b32_e32 v3, s7, v3
	v_cmp_gt_i32_e64 s7, 0, v7
	v_and_b32_e32 v2, v2, v67
	v_not_b32_e32 v7, v65
	v_ashrrev_i32_e32 v5, 31, v5
	v_xor_b32_e32 v4, s8, v4
	v_cmp_gt_i32_e64 s8, 0, v65
	v_and_b32_e32 v2, v2, v3
	v_not_b32_e32 v3, v66
	v_ashrrev_i32_e32 v7, 31, v7
	s_wait_alu 0xf1ff
	v_xor_b32_e32 v5, s7, v5
	v_cmp_gt_i32_e64 s7, 0, v66
	v_and_b32_e32 v2, v2, v4
	v_not_b32_e32 v4, v6
	v_ashrrev_i32_e32 v3, 31, v3
	v_xor_b32_e32 v7, s8, v7
	v_and_b32_e32 v1, 0xff, v1
	v_and_b32_e32 v2, v2, v5
	v_cmp_gt_i32_e64 s8, 0, v6
	v_ashrrev_i32_e32 v4, 31, v4
	s_wait_alu 0xf1ff
	v_xor_b32_e32 v3, s7, v3
	v_lshl_add_u32 v68, v1, 2, v0
	v_and_b32_e32 v2, v2, v7
	v_xor_b32_e32 v1, s8, v4
	ds_load_b32 v65, v68 offset:4
	v_and_b32_e32 v2, v2, v3
	; wave barrier
	s_delay_alu instid0(VALU_DEP_1) | instskip(NEXT) | instid1(VALU_DEP_1)
	v_and_b32_e32 v1, v2, v1
	v_mbcnt_lo_u32_b32 v66, v1, 0
	v_cmp_ne_u32_e64 s8, 0, v1
	s_delay_alu instid0(VALU_DEP_2)
	v_cmp_eq_u32_e64 s7, 0, v66
	s_and_b32 s8, s8, s7
	s_wait_alu 0xfffe
	s_and_saveexec_b32 s7, s8
	s_cbranch_execz .LBB83_39
; %bb.38:
	s_wait_dscnt 0x0
	v_bcnt_u32_b32 v1, v1, v65
	ds_store_b32 v68, v1 offset:4
.LBB83_39:
	s_wait_alu 0xfffe
	s_or_b32 exec_lo, exec_lo, s7
	v_lshrrev_b32_e32 v67, 24, v41
	; wave barrier
	s_delay_alu instid0(VALU_DEP_1) | instskip(NEXT) | instid1(VALU_DEP_1)
	v_and_b32_e32 v1, s9, v67
	v_and_b32_e32 v2, 1, v1
	v_lshlrev_b32_e32 v3, 30, v1
	v_lshlrev_b32_e32 v4, 29, v1
	;; [unrolled: 1-line block ×4, first 2 shown]
	v_add_co_u32 v2, s7, v2, -1
	s_wait_alu 0xf1ff
	v_cndmask_b32_e64 v6, 0, 1, s7
	v_not_b32_e32 v71, v3
	v_cmp_gt_i32_e64 s8, 0, v3
	v_not_b32_e32 v3, v4
	v_lshlrev_b32_e32 v69, 26, v1
	v_cmp_ne_u32_e64 s7, 0, v6
	v_ashrrev_i32_e32 v71, 31, v71
	v_lshlrev_b32_e32 v70, 25, v1
	v_ashrrev_i32_e32 v3, 31, v3
	v_lshlrev_b32_e32 v6, 24, v1
	s_wait_alu 0xf1ff
	v_xor_b32_e32 v2, s7, v2
	v_cmp_gt_i32_e64 s7, 0, v4
	v_not_b32_e32 v4, v5
	v_xor_b32_e32 v71, s8, v71
	v_cmp_gt_i32_e64 s8, 0, v5
	v_and_b32_e32 v2, exec_lo, v2
	v_not_b32_e32 v5, v7
	v_ashrrev_i32_e32 v4, 31, v4
	s_wait_alu 0xf1ff
	v_xor_b32_e32 v3, s7, v3
	v_cmp_gt_i32_e64 s7, 0, v7
	v_and_b32_e32 v2, v2, v71
	v_not_b32_e32 v7, v69
	v_ashrrev_i32_e32 v5, 31, v5
	v_xor_b32_e32 v4, s8, v4
	v_cmp_gt_i32_e64 s8, 0, v69
	v_and_b32_e32 v2, v2, v3
	v_not_b32_e32 v3, v70
	v_ashrrev_i32_e32 v7, 31, v7
	s_wait_alu 0xf1ff
	v_xor_b32_e32 v5, s7, v5
	v_cmp_gt_i32_e64 s7, 0, v70
	v_and_b32_e32 v2, v2, v4
	v_not_b32_e32 v4, v6
	v_ashrrev_i32_e32 v3, 31, v3
	v_xor_b32_e32 v7, s8, v7
	v_cmp_gt_i32_e64 s8, 0, v6
	v_and_b32_e32 v2, v2, v5
	v_ashrrev_i32_e32 v4, 31, v4
	s_wait_alu 0xf1ff
	v_xor_b32_e32 v3, s7, v3
	v_lshl_add_u32 v71, v1, 2, v0
	v_and_b32_e32 v2, v2, v7
	v_xor_b32_e32 v0, s8, v4
	ds_load_b32 v69, v71 offset:4
	v_and_b32_e32 v1, v2, v3
	; wave barrier
	s_delay_alu instid0(VALU_DEP_1) | instskip(NEXT) | instid1(VALU_DEP_1)
	v_and_b32_e32 v0, v1, v0
	v_mbcnt_lo_u32_b32 v70, v0, 0
	v_cmp_ne_u32_e64 s8, 0, v0
	s_delay_alu instid0(VALU_DEP_2)
	v_cmp_eq_u32_e64 s7, 0, v70
	s_and_b32 s8, s8, s7
	s_wait_alu 0xfffe
	s_and_saveexec_b32 s7, s8
	s_cbranch_execz .LBB83_41
; %bb.40:
	s_wait_dscnt 0x0
	v_bcnt_u32_b32 v0, v0, v69
	ds_store_b32 v71, v0 offset:4
.LBB83_41:
	s_wait_alu 0xfffe
	s_or_b32 exec_lo, exec_lo, s7
	; wave barrier
	; wave barrier
	s_wait_loadcnt_dscnt 0x0
	global_inv scope:SCOPE_SE
	ds_load_2addr_b32 v[6:7], v32 offset0:1 offset1:2
	ds_load_2addr_b32 v[4:5], v32 offset0:3 offset1:4
	;; [unrolled: 1-line block ×4, first 2 shown]
	s_mov_b32 s8, exec_lo
	s_wait_dscnt 0x3
	v_add_nc_u32_e32 v72, v7, v6
	s_wait_dscnt 0x2
	s_delay_alu instid0(VALU_DEP_1) | instskip(SKIP_1) | instid1(VALU_DEP_1)
	v_add3_u32 v72, v72, v4, v5
	s_wait_dscnt 0x1
	v_add3_u32 v72, v72, v2, v3
	s_wait_dscnt 0x0
	s_delay_alu instid0(VALU_DEP_1) | instskip(SKIP_1) | instid1(VALU_DEP_2)
	v_add3_u32 v1, v72, v0, v1
	v_and_b32_e32 v72, 15, v33
	v_mov_b32_dpp v73, v1 row_shr:1 row_mask:0xf bank_mask:0xf
	s_delay_alu instid0(VALU_DEP_2) | instskip(SKIP_1) | instid1(VALU_DEP_1)
	v_cmp_ne_u32_e64 s7, 0, v72
	s_wait_alu 0xf1ff
	v_cndmask_b32_e64 v73, 0, v73, s7
	v_cmp_lt_u32_e64 s7, 1, v72
	s_delay_alu instid0(VALU_DEP_2) | instskip(NEXT) | instid1(VALU_DEP_1)
	v_add_nc_u32_e32 v1, v73, v1
	v_mov_b32_dpp v73, v1 row_shr:2 row_mask:0xf bank_mask:0xf
	s_wait_alu 0xf1ff
	s_delay_alu instid0(VALU_DEP_1) | instskip(SKIP_1) | instid1(VALU_DEP_2)
	v_cndmask_b32_e64 v73, 0, v73, s7
	v_cmp_lt_u32_e64 s7, 3, v72
	v_add_nc_u32_e32 v1, v1, v73
	s_delay_alu instid0(VALU_DEP_1) | instskip(SKIP_1) | instid1(VALU_DEP_1)
	v_mov_b32_dpp v73, v1 row_shr:4 row_mask:0xf bank_mask:0xf
	s_wait_alu 0xf1ff
	v_cndmask_b32_e64 v73, 0, v73, s7
	v_cmp_lt_u32_e64 s7, 7, v72
	s_delay_alu instid0(VALU_DEP_2) | instskip(NEXT) | instid1(VALU_DEP_1)
	v_add_nc_u32_e32 v1, v1, v73
	v_mov_b32_dpp v73, v1 row_shr:8 row_mask:0xf bank_mask:0xf
	s_wait_alu 0xf1ff
	s_delay_alu instid0(VALU_DEP_1) | instskip(SKIP_1) | instid1(VALU_DEP_2)
	v_cndmask_b32_e64 v72, 0, v73, s7
	v_bfe_i32 v73, v33, 4, 1
	v_add_nc_u32_e32 v1, v1, v72
	ds_swizzle_b32 v72, v1 offset:swizzle(BROADCAST,32,15)
	s_wait_dscnt 0x0
	v_and_b32_e32 v72, v73, v72
	s_delay_alu instid0(VALU_DEP_1)
	v_add_nc_u32_e32 v1, v1, v72
	v_cmpx_eq_u32_e32 31, v11
; %bb.42:
	v_mov_b32_e32 v72, 0
	ds_store_b32 v72, v1
; %bb.43:
	s_wait_alu 0xfffe
	s_or_b32 exec_lo, exec_lo, s8
	v_sub_co_u32 v72, s8, v33, 1
	; wave barrier
	s_wait_loadcnt_dscnt 0x0
	global_inv scope:SCOPE_SE
	v_cmp_gt_i32_e64 s7, 0, v72
	s_wait_alu 0xf1ff
	s_delay_alu instid0(VALU_DEP_1)
	v_cndmask_b32_e64 v33, v72, v33, s7
	v_cmp_eq_u32_e64 s7, 0, v11
	v_cndmask_b32_e64 v11, 0, v47, s6
	v_cndmask_b32_e64 v47, 0, v49, s6
	;; [unrolled: 1-line block ×3, first 2 shown]
	v_lshlrev_b32_e32 v33, 2, v33
	s_or_b32 s7, s7, s8
	ds_bpermute_b32 v1, v33, v1
	v_cndmask_b32_e64 v33, 0, v48, s6
	v_cndmask_b32_e64 v48, 0, v50, s6
	;; [unrolled: 1-line block ×3, first 2 shown]
	s_wait_dscnt 0x0
	s_wait_alu 0xfffe
	v_cndmask_b32_e64 v1, v1, 0, s7
	s_delay_alu instid0(VALU_DEP_1) | instskip(NEXT) | instid1(VALU_DEP_1)
	v_add_nc_u32_e32 v6, v1, v6
	v_add_nc_u32_e32 v7, v6, v7
	s_delay_alu instid0(VALU_DEP_1) | instskip(NEXT) | instid1(VALU_DEP_1)
	v_add_nc_u32_e32 v4, v7, v4
	v_add_nc_u32_e32 v5, v4, v5
	;; [unrolled: 3-line block ×3, first 2 shown]
	s_delay_alu instid0(VALU_DEP_1)
	v_add_nc_u32_e32 v0, v3, v0
	ds_store_2addr_b32 v32, v1, v6 offset0:1 offset1:2
	ds_store_2addr_b32 v32, v7, v4 offset0:3 offset1:4
	;; [unrolled: 1-line block ×4, first 2 shown]
	; wave barrier
	s_wait_loadcnt_dscnt 0x0
	global_inv scope:SCOPE_SE
	ds_load_b32 v2, v60 offset:4
	ds_load_b32 v3, v64 offset:4
	ds_load_b32 v4, v68 offset:4
	ds_load_b32 v5, v71 offset:4
	v_cndmask_b32_e64 v0, 0, v54, s6
	v_cndmask_b32_e64 v7, v11, v37, s5
	v_cndmask_b32_e64 v1, v33, v38, s5
	v_cndmask_b32_e64 v6, 0, v53, s6
	v_cndmask_b32_e64 v11, v48, v43, s5
	s_wait_loadcnt_dscnt 0x0
	v_cndmask_b32_e64 v7, v7, v19, s4
	v_cndmask_b32_e64 v19, v0, v57, s5
	;; [unrolled: 1-line block ×3, first 2 shown]
	; wave barrier
	global_inv scope:SCOPE_SE
	v_cndmask_b32_e64 v33, v50, v46, s5
	v_cndmask_b32_e32 v0, v7, v18, vcc_lo
	v_cndmask_b32_e64 v7, v19, v56, s4
	v_cndmask_b32_e32 v1, v1, v35, vcc_lo
	v_cndmask_b32_e64 v37, v49, v45, s5
	v_cndmask_b32_e64 v11, v11, v40, s4
	s_delay_alu instid0(VALU_DEP_4)
	v_dual_cndmask_b32 v7, v7, v55 :: v_dual_add_nc_u32 v18, v2, v58
	v_add3_u32 v35, v62, v61, v3
	v_add3_u32 v36, v66, v65, v4
	;; [unrolled: 1-line block ×3, first 2 shown]
	ds_store_b8 v18, v41
	ds_store_b8 v35, v59
	;; [unrolled: 1-line block ×4, first 2 shown]
	; wave barrier
	s_wait_loadcnt_dscnt 0x0
	global_inv scope:SCOPE_SE
	ds_load_b32 v27, v27
	v_cndmask_b32_e64 v2, v6, v44, s5
	v_cndmask_b32_e64 v32, v47, v42, s5
	v_cndmask_b32_e32 v3, v11, v13, vcc_lo
	v_cndmask_b32_e64 v4, v33, v17, s4
	v_cndmask_b32_e64 v6, v37, v15, s4
	;; [unrolled: 1-line block ×4, first 2 shown]
	v_lshlrev_b32_e32 v13, 3, v36
	s_delay_alu instid0(VALU_DEP_4) | instskip(NEXT) | instid1(VALU_DEP_4)
	v_dual_cndmask_b32 v5, v4, v16 :: v_dual_cndmask_b32 v4, v6, v14
	v_cndmask_b32_e32 v6, v11, v8, vcc_lo
	v_lshlrev_b32_e32 v8, 3, v18
	v_dual_cndmask_b32 v2, v32, v12 :: v_dual_lshlrev_b32 v11, 3, v35
	v_lshlrev_b32_e32 v14, 3, v38
	; wave barrier
	s_wait_loadcnt_dscnt 0x0
	global_inv scope:SCOPE_SE
	ds_store_b64 v8, v[0:1]
	ds_store_b64 v11, v[2:3]
	;; [unrolled: 1-line block ×4, first 2 shown]
	v_not_b32_e32 v12, v27
	; wave barrier
	s_wait_loadcnt_dscnt 0x0
	global_inv scope:SCOPE_SE
.LBB83_44:
	ds_load_b128 v[0:3], v10
	ds_load_b128 v[4:7], v10 offset:16
	; wave barrier
	s_wait_loadcnt_dscnt 0x0
	global_inv scope:SCOPE_SE
	ds_store_b32 v25, v12
	; wave barrier
	s_wait_loadcnt_dscnt 0x0
	global_inv scope:SCOPE_SE
	ds_load_u8 v13, v22 offset:32
	ds_load_u8 v12, v23 offset:64
	;; [unrolled: 1-line block ×3, first 2 shown]
	v_add_co_u32 v10, s4, s14, v20
	s_wait_alu 0xf1ff
	v_add_co_ci_u32_e64 v11, null, s15, 0, s4
	s_and_saveexec_b32 s4, s0
	s_cbranch_execnz .LBB83_55
; %bb.45:
	s_wait_alu 0xfffe
	s_or_b32 exec_lo, exec_lo, s4
	s_and_saveexec_b32 s4, s3
	s_cbranch_execnz .LBB83_56
.LBB83_46:
	s_wait_alu 0xfffe
	s_or_b32 exec_lo, exec_lo, s4
	s_and_saveexec_b32 s4, s1
	s_cbranch_execnz .LBB83_57
.LBB83_47:
	s_wait_alu 0xfffe
	s_or_b32 exec_lo, exec_lo, s4
	s_and_saveexec_b32 s4, s2
	s_cbranch_execz .LBB83_49
.LBB83_48:
	s_mul_i32 s5, s10, 0x60
	s_wait_alu 0xfffe
	v_add_co_u32 v10, vcc_lo, v10, s5
	s_wait_alu 0xfffd
	v_add_co_ci_u32_e64 v11, null, 0, v11, vcc_lo
	s_wait_dscnt 0x0
	global_store_b8 v[10:11], v8, off
.LBB83_49:
	s_wait_alu 0xfffe
	s_or_b32 exec_lo, exec_lo, s4
	s_wait_storecnt 0x0
	; wave barrier
	s_wait_loadcnt_dscnt 0x0
	global_inv scope:SCOPE_SE
	ds_store_2addr_b64 v31, v[0:1], v[2:3] offset1:1
	ds_store_2addr_b64 v31, v[4:5], v[6:7] offset0:2 offset1:3
	; wave barrier
	s_wait_loadcnt_dscnt 0x0
	global_inv scope:SCOPE_SE
	ds_load_b64 v[6:7], v28 offset:256
	ds_load_b64 v[4:5], v29 offset:512
	;; [unrolled: 1-line block ×3, first 2 shown]
	v_mov_b32_e32 v10, 0
	s_delay_alu instid0(VALU_DEP_1) | instskip(NEXT) | instid1(VALU_DEP_1)
	v_lshlrev_b64_e32 v[2:3], 3, v[9:10]
	v_add_co_u32 v2, vcc_lo, s16, v2
	s_wait_alu 0xfffd
	s_delay_alu instid0(VALU_DEP_2)
	v_add_co_ci_u32_e64 v3, null, s17, v3, vcc_lo
	s_and_saveexec_b32 s4, s0
	s_cbranch_execnz .LBB83_58
; %bb.50:
	s_wait_alu 0xfffe
	s_or_b32 exec_lo, exec_lo, s4
	s_and_saveexec_b32 s0, s3
	s_cbranch_execnz .LBB83_59
.LBB83_51:
	s_wait_alu 0xfffe
	s_or_b32 exec_lo, exec_lo, s0
	s_and_saveexec_b32 s0, s1
	s_cbranch_execnz .LBB83_60
.LBB83_52:
	s_wait_alu 0xfffe
	s_or_b32 exec_lo, exec_lo, s0
	s_and_saveexec_b32 s0, s2
	s_cbranch_execz .LBB83_54
.LBB83_53:
	s_mul_i32 s0, s12, 0x60
	s_mov_b32 s1, 0
	s_wait_alu 0xfffe
	s_lshl_b64 s[0:1], s[0:1], 3
	s_wait_alu 0xfffe
	v_add_co_u32 v2, vcc_lo, v2, s0
	s_wait_alu 0xfffd
	v_add_co_ci_u32_e64 v3, null, s1, v3, vcc_lo
	s_wait_dscnt 0x0
	global_store_b64 v[2:3], v[0:1], off
.LBB83_54:
	s_endpgm
.LBB83_55:
	ds_load_u8 v14, v21
	s_wait_dscnt 0x0
	global_store_b8 v[10:11], v14, off
	s_wait_alu 0xfffe
	s_or_b32 exec_lo, exec_lo, s4
	s_and_saveexec_b32 s4, s3
	s_cbranch_execz .LBB83_46
.LBB83_56:
	s_lshl_b32 s5, s10, 5
	s_wait_alu 0xfffe
	v_add_co_u32 v14, vcc_lo, v10, s5
	s_wait_alu 0xfffd
	v_add_co_ci_u32_e64 v15, null, 0, v11, vcc_lo
	s_wait_dscnt 0x2
	global_store_b8 v[14:15], v13, off
	s_or_b32 exec_lo, exec_lo, s4
	s_and_saveexec_b32 s4, s1
	s_cbranch_execz .LBB83_47
.LBB83_57:
	s_lshl_b32 s5, s10, 6
	s_wait_dscnt 0x2
	s_wait_alu 0xfffe
	v_add_co_u32 v13, vcc_lo, v10, s5
	s_wait_alu 0xfffd
	v_add_co_ci_u32_e64 v14, null, 0, v11, vcc_lo
	s_wait_dscnt 0x1
	global_store_b8 v[13:14], v12, off
	s_or_b32 exec_lo, exec_lo, s4
	s_and_saveexec_b32 s4, s2
	s_cbranch_execnz .LBB83_48
	s_branch .LBB83_49
.LBB83_58:
	ds_load_b64 v[8:9], v26
	s_wait_dscnt 0x0
	global_store_b64 v[2:3], v[8:9], off
	s_wait_alu 0xfffe
	s_or_b32 exec_lo, exec_lo, s4
	s_and_saveexec_b32 s0, s3
	s_cbranch_execz .LBB83_51
.LBB83_59:
	s_lshl_b32 s4, s12, 5
	s_mov_b32 s5, 0
	s_wait_alu 0xfffe
	s_lshl_b64 s[4:5], s[4:5], 3
	s_wait_alu 0xfffe
	v_add_co_u32 v8, vcc_lo, v2, s4
	s_wait_alu 0xfffd
	v_add_co_ci_u32_e64 v9, null, s5, v3, vcc_lo
	s_wait_dscnt 0x2
	global_store_b64 v[8:9], v[6:7], off
	s_or_b32 exec_lo, exec_lo, s0
	s_and_saveexec_b32 s0, s1
	s_cbranch_execz .LBB83_52
.LBB83_60:
	s_lshl_b32 s4, s12, 6
	s_mov_b32 s5, 0
	s_wait_alu 0xfffe
	s_lshl_b64 s[4:5], s[4:5], 3
	s_wait_dscnt 0x2
	s_wait_alu 0xfffe
	v_add_co_u32 v6, vcc_lo, v2, s4
	s_wait_alu 0xfffd
	v_add_co_ci_u32_e64 v7, null, s5, v3, vcc_lo
	s_wait_dscnt 0x1
	global_store_b64 v[6:7], v[4:5], off
	s_or_b32 exec_lo, exec_lo, s0
	s_and_saveexec_b32 s0, s2
	s_cbranch_execnz .LBB83_53
	s_branch .LBB83_54
	.section	.rodata,"a",@progbits
	.p2align	6, 0x0
	.amdhsa_kernel _ZN2at6native18radixSortKVInPlaceILin2ELin1ELi32ELi4EhljEEvNS_4cuda6detail10TensorInfoIT3_T5_EES6_S6_S6_NS4_IT4_S6_EES6_b
		.amdhsa_group_segment_fixed_size 1056
		.amdhsa_private_segment_fixed_size 0
		.amdhsa_kernarg_size 712
		.amdhsa_user_sgpr_count 2
		.amdhsa_user_sgpr_dispatch_ptr 0
		.amdhsa_user_sgpr_queue_ptr 0
		.amdhsa_user_sgpr_kernarg_segment_ptr 1
		.amdhsa_user_sgpr_dispatch_id 0
		.amdhsa_user_sgpr_private_segment_size 0
		.amdhsa_wavefront_size32 1
		.amdhsa_uses_dynamic_stack 0
		.amdhsa_enable_private_segment 0
		.amdhsa_system_sgpr_workgroup_id_x 1
		.amdhsa_system_sgpr_workgroup_id_y 1
		.amdhsa_system_sgpr_workgroup_id_z 1
		.amdhsa_system_sgpr_workgroup_info 0
		.amdhsa_system_vgpr_workitem_id 2
		.amdhsa_next_free_vgpr 88
		.amdhsa_next_free_sgpr 20
		.amdhsa_reserve_vcc 1
		.amdhsa_float_round_mode_32 0
		.amdhsa_float_round_mode_16_64 0
		.amdhsa_float_denorm_mode_32 3
		.amdhsa_float_denorm_mode_16_64 3
		.amdhsa_fp16_overflow 0
		.amdhsa_workgroup_processor_mode 1
		.amdhsa_memory_ordered 1
		.amdhsa_forward_progress 1
		.amdhsa_inst_pref_size 76
		.amdhsa_round_robin_scheduling 0
		.amdhsa_exception_fp_ieee_invalid_op 0
		.amdhsa_exception_fp_denorm_src 0
		.amdhsa_exception_fp_ieee_div_zero 0
		.amdhsa_exception_fp_ieee_overflow 0
		.amdhsa_exception_fp_ieee_underflow 0
		.amdhsa_exception_fp_ieee_inexact 0
		.amdhsa_exception_int_div_zero 0
	.end_amdhsa_kernel
	.section	.text._ZN2at6native18radixSortKVInPlaceILin2ELin1ELi32ELi4EhljEEvNS_4cuda6detail10TensorInfoIT3_T5_EES6_S6_S6_NS4_IT4_S6_EES6_b,"axG",@progbits,_ZN2at6native18radixSortKVInPlaceILin2ELin1ELi32ELi4EhljEEvNS_4cuda6detail10TensorInfoIT3_T5_EES6_S6_S6_NS4_IT4_S6_EES6_b,comdat
.Lfunc_end83:
	.size	_ZN2at6native18radixSortKVInPlaceILin2ELin1ELi32ELi4EhljEEvNS_4cuda6detail10TensorInfoIT3_T5_EES6_S6_S6_NS4_IT4_S6_EES6_b, .Lfunc_end83-_ZN2at6native18radixSortKVInPlaceILin2ELin1ELi32ELi4EhljEEvNS_4cuda6detail10TensorInfoIT3_T5_EES6_S6_S6_NS4_IT4_S6_EES6_b
                                        ; -- End function
	.set _ZN2at6native18radixSortKVInPlaceILin2ELin1ELi32ELi4EhljEEvNS_4cuda6detail10TensorInfoIT3_T5_EES6_S6_S6_NS4_IT4_S6_EES6_b.num_vgpr, 88
	.set _ZN2at6native18radixSortKVInPlaceILin2ELin1ELi32ELi4EhljEEvNS_4cuda6detail10TensorInfoIT3_T5_EES6_S6_S6_NS4_IT4_S6_EES6_b.num_agpr, 0
	.set _ZN2at6native18radixSortKVInPlaceILin2ELin1ELi32ELi4EhljEEvNS_4cuda6detail10TensorInfoIT3_T5_EES6_S6_S6_NS4_IT4_S6_EES6_b.numbered_sgpr, 20
	.set _ZN2at6native18radixSortKVInPlaceILin2ELin1ELi32ELi4EhljEEvNS_4cuda6detail10TensorInfoIT3_T5_EES6_S6_S6_NS4_IT4_S6_EES6_b.num_named_barrier, 0
	.set _ZN2at6native18radixSortKVInPlaceILin2ELin1ELi32ELi4EhljEEvNS_4cuda6detail10TensorInfoIT3_T5_EES6_S6_S6_NS4_IT4_S6_EES6_b.private_seg_size, 0
	.set _ZN2at6native18radixSortKVInPlaceILin2ELin1ELi32ELi4EhljEEvNS_4cuda6detail10TensorInfoIT3_T5_EES6_S6_S6_NS4_IT4_S6_EES6_b.uses_vcc, 1
	.set _ZN2at6native18radixSortKVInPlaceILin2ELin1ELi32ELi4EhljEEvNS_4cuda6detail10TensorInfoIT3_T5_EES6_S6_S6_NS4_IT4_S6_EES6_b.uses_flat_scratch, 0
	.set _ZN2at6native18radixSortKVInPlaceILin2ELin1ELi32ELi4EhljEEvNS_4cuda6detail10TensorInfoIT3_T5_EES6_S6_S6_NS4_IT4_S6_EES6_b.has_dyn_sized_stack, 0
	.set _ZN2at6native18radixSortKVInPlaceILin2ELin1ELi32ELi4EhljEEvNS_4cuda6detail10TensorInfoIT3_T5_EES6_S6_S6_NS4_IT4_S6_EES6_b.has_recursion, 0
	.set _ZN2at6native18radixSortKVInPlaceILin2ELin1ELi32ELi4EhljEEvNS_4cuda6detail10TensorInfoIT3_T5_EES6_S6_S6_NS4_IT4_S6_EES6_b.has_indirect_call, 0
	.section	.AMDGPU.csdata,"",@progbits
; Kernel info:
; codeLenInByte = 9664
; TotalNumSgprs: 22
; NumVgprs: 88
; ScratchSize: 0
; MemoryBound: 0
; FloatMode: 240
; IeeeMode: 1
; LDSByteSize: 1056 bytes/workgroup (compile time only)
; SGPRBlocks: 0
; VGPRBlocks: 10
; NumSGPRsForWavesPerEU: 22
; NumVGPRsForWavesPerEU: 88
; Occupancy: 16
; WaveLimiterHint : 1
; COMPUTE_PGM_RSRC2:SCRATCH_EN: 0
; COMPUTE_PGM_RSRC2:USER_SGPR: 2
; COMPUTE_PGM_RSRC2:TRAP_HANDLER: 0
; COMPUTE_PGM_RSRC2:TGID_X_EN: 1
; COMPUTE_PGM_RSRC2:TGID_Y_EN: 1
; COMPUTE_PGM_RSRC2:TGID_Z_EN: 1
; COMPUTE_PGM_RSRC2:TIDIG_COMP_CNT: 2
	.section	.text._ZN2at6native18radixSortKVInPlaceILin2ELin1ELi16ELi2EhljEEvNS_4cuda6detail10TensorInfoIT3_T5_EES6_S6_S6_NS4_IT4_S6_EES6_b,"axG",@progbits,_ZN2at6native18radixSortKVInPlaceILin2ELin1ELi16ELi2EhljEEvNS_4cuda6detail10TensorInfoIT3_T5_EES6_S6_S6_NS4_IT4_S6_EES6_b,comdat
	.protected	_ZN2at6native18radixSortKVInPlaceILin2ELin1ELi16ELi2EhljEEvNS_4cuda6detail10TensorInfoIT3_T5_EES6_S6_S6_NS4_IT4_S6_EES6_b ; -- Begin function _ZN2at6native18radixSortKVInPlaceILin2ELin1ELi16ELi2EhljEEvNS_4cuda6detail10TensorInfoIT3_T5_EES6_S6_S6_NS4_IT4_S6_EES6_b
	.globl	_ZN2at6native18radixSortKVInPlaceILin2ELin1ELi16ELi2EhljEEvNS_4cuda6detail10TensorInfoIT3_T5_EES6_S6_S6_NS4_IT4_S6_EES6_b
	.p2align	8
	.type	_ZN2at6native18radixSortKVInPlaceILin2ELin1ELi16ELi2EhljEEvNS_4cuda6detail10TensorInfoIT3_T5_EES6_S6_S6_NS4_IT4_S6_EES6_b,@function
_ZN2at6native18radixSortKVInPlaceILin2ELin1ELi16ELi2EhljEEvNS_4cuda6detail10TensorInfoIT3_T5_EES6_S6_S6_NS4_IT4_S6_EES6_b: ; @_ZN2at6native18radixSortKVInPlaceILin2ELin1ELi16ELi2EhljEEvNS_4cuda6detail10TensorInfoIT3_T5_EES6_S6_S6_NS4_IT4_S6_EES6_b
; %bb.0:
	s_clause 0x1
	s_load_b64 s[2:3], s[0:1], 0x1c8
	s_load_b96 s[8:10], s[0:1], 0xd8
	s_lshr_b32 s4, ttmp7, 16
	s_wait_kmcnt 0x0
	s_mul_i32 s3, s3, s4
	s_and_b32 s4, ttmp7, 0xffff
	s_delay_alu instid0(SALU_CYCLE_1) | instskip(NEXT) | instid1(SALU_CYCLE_1)
	s_add_co_i32 s3, s3, s4
	s_mul_i32 s11, s3, s2
	s_delay_alu instid0(SALU_CYCLE_1) | instskip(NEXT) | instid1(SALU_CYCLE_1)
	s_add_co_i32 s11, s11, ttmp9
	s_cmp_ge_u32 s11, s8
	s_cbranch_scc1 .LBB84_68
; %bb.1:
	s_load_b32 s6, s[0:1], 0x1b8
	s_add_nc_u64 s[4:5], s[0:1], 0xe8
	s_mov_b32 s3, 0
	s_mov_b32 s8, s11
	s_wait_kmcnt 0x0
	s_cmp_lt_i32 s6, 2
	s_cbranch_scc1 .LBB84_4
; %bb.2:
	s_add_co_i32 s2, s6, -1
	s_mov_b32 s8, s11
	s_lshl_b64 s[12:13], s[2:3], 2
	s_add_co_i32 s2, s6, 1
	s_add_nc_u64 s[12:13], s[4:5], s[12:13]
	s_delay_alu instid0(SALU_CYCLE_1)
	s_add_nc_u64 s[6:7], s[12:13], 8
.LBB84_3:                               ; =>This Inner Loop Header: Depth=1
	s_clause 0x1
	s_load_b32 s12, s[6:7], 0x0
	s_load_b32 s13, s[6:7], 0x64
	s_mov_b32 s16, s8
	s_add_nc_u64 s[6:7], s[6:7], -4
	s_wait_kmcnt 0x0
	s_cvt_f32_u32 s14, s12
	s_sub_co_i32 s15, 0, s12
	s_wait_alu 0xfffe
	s_delay_alu instid0(SALU_CYCLE_1) | instskip(NEXT) | instid1(TRANS32_DEP_1)
	v_rcp_iflag_f32_e32 v1, s14
	v_readfirstlane_b32 s14, v1
	s_mul_f32 s14, s14, 0x4f7ffffe
	s_wait_alu 0xfffe
	s_delay_alu instid0(SALU_CYCLE_2) | instskip(SKIP_1) | instid1(SALU_CYCLE_2)
	s_cvt_u32_f32 s14, s14
	s_wait_alu 0xfffe
	s_mul_i32 s15, s15, s14
	s_wait_alu 0xfffe
	s_mul_hi_u32 s15, s14, s15
	s_wait_alu 0xfffe
	s_add_co_i32 s14, s14, s15
	s_wait_alu 0xfffe
	s_mul_hi_u32 s8, s8, s14
	s_delay_alu instid0(SALU_CYCLE_1)
	s_mul_i32 s14, s8, s12
	s_add_co_i32 s15, s8, 1
	s_wait_alu 0xfffe
	s_sub_co_i32 s14, s16, s14
	s_wait_alu 0xfffe
	s_sub_co_i32 s17, s14, s12
	s_cmp_ge_u32 s14, s12
	s_cselect_b32 s8, s15, s8
	s_cselect_b32 s14, s17, s14
	s_add_co_i32 s15, s8, 1
	s_wait_alu 0xfffe
	s_cmp_ge_u32 s14, s12
	s_cselect_b32 s8, s15, s8
	s_add_co_i32 s2, s2, -1
	s_mul_i32 s12, s8, s12
	s_delay_alu instid0(SALU_CYCLE_1) | instskip(NEXT) | instid1(SALU_CYCLE_1)
	s_sub_co_i32 s12, s16, s12
	s_mul_i32 s12, s13, s12
	s_delay_alu instid0(SALU_CYCLE_1)
	s_add_co_i32 s3, s12, s3
	s_cmp_gt_u32 s2, 2
	s_cbranch_scc1 .LBB84_3
.LBB84_4:
	s_clause 0x2
	s_load_b64 s[6:7], s[0:1], 0x0
	s_load_b32 s14, s[0:1], 0x6c
	s_load_b64 s[12:13], s[0:1], 0x1c0
	v_mul_lo_u32 v20, s10, v0
	s_mov_b32 s15, 0
	s_wait_kmcnt 0x0
	s_mul_i32 s14, s14, s11
	s_bitcmp1_b32 s13, 0
	s_wait_alu 0xfffe
	s_add_nc_u64 s[14:15], s[6:7], s[14:15]
	s_cselect_b32 s0, -1, 0
	s_delay_alu instid0(SALU_CYCLE_1) | instskip(SKIP_3) | instid1(VALU_DEP_2)
	s_xor_b32 s2, s0, -1
	v_cmp_gt_u32_e64 s0, s9, v0
	v_cndmask_b32_e64 v2, 0, -1, s2
	v_cndmask_b32_e64 v1, 0, -1, s2
	v_lshlrev_b32_e32 v3, 8, v2
	v_and_b32_e32 v2, 0xff, v2
	s_delay_alu instid0(VALU_DEP_1) | instskip(NEXT) | instid1(VALU_DEP_1)
	v_or_b32_e32 v2, v2, v3
	v_and_b32_e32 v2, 0xffff, v2
	s_and_saveexec_b32 s1, s0
	s_cbranch_execz .LBB84_6
; %bb.5:
	global_load_u8 v1, v20, s[14:15]
	s_wait_loadcnt 0x0
	v_perm_b32 v2, v1, v2, 0xc0c0104
.LBB84_6:
	s_or_b32 exec_lo, exec_lo, s1
	s_clause 0x1
	s_load_b32 s6, s[4:5], 0x6c
	s_load_b64 s[4:5], s[4:5], 0x0
	v_or_b32_e32 v3, 16, v0
	s_delay_alu instid0(VALU_DEP_1)
	v_cmp_gt_u32_e64 s1, s9, v3
	s_and_saveexec_b32 s7, s1
	s_cbranch_execz .LBB84_8
; %bb.7:
	v_mul_lo_u32 v4, s10, v3
	global_load_u8 v4, v4, s[14:15]
	s_wait_loadcnt 0x0
	v_perm_b32 v2, v2, v4, 0xc0c0004
.LBB84_8:
	s_or_b32 exec_lo, exec_lo, s7
	v_dual_mov_b32 v18, 0 :: v_dual_lshlrev_b32 v21, 1, v0
	s_delay_alu instid0(VALU_DEP_2)
	v_lshrrev_b16 v2, 8, v2
	s_wait_kmcnt 0x0
	s_mul_i32 s6, s6, s8
	ds_store_b8 v0, v1
	ds_store_b8 v0, v2 offset:16
	s_wait_dscnt 0x0
	; wave barrier
	global_inv scope:SCOPE_SE
	ds_load_u16 v24, v21
	v_mul_lo_u32 v17, s12, v0
	s_add_co_i32 s6, s6, s3
	s_mov_b32 s7, 0
	v_mov_b32_e32 v1, 0
	v_dual_mov_b32 v2, 0 :: v_dual_mov_b32 v19, v18
	s_lshl_b64 s[6:7], s[6:7], 3
	s_wait_loadcnt_dscnt 0x0
	s_add_nc_u64 s[8:9], s[4:5], s[6:7]
	; wave barrier
	global_inv scope:SCOPE_SE
	s_and_saveexec_b32 s3, s0
	s_cbranch_execz .LBB84_10
; %bb.9:
	v_lshlrev_b64_e32 v[1:2], 3, v[17:18]
	v_mov_b32_e32 v19, v18
	s_wait_alu 0xfffe
	s_delay_alu instid0(VALU_DEP_2) | instskip(NEXT) | instid1(VALU_DEP_1)
	v_add_co_u32 v1, vcc_lo, s8, v1
	v_add_co_ci_u32_e64 v2, null, s9, v2, vcc_lo
	global_load_b64 v[1:2], v[1:2], off
.LBB84_10:
	s_wait_alu 0xfffe
	s_or_b32 exec_lo, exec_lo, s3
	s_and_saveexec_b32 s3, s1
	s_cbranch_execz .LBB84_12
; %bb.11:
	v_mul_lo_u32 v3, s12, v3
	v_mov_b32_e32 v4, 0
	s_delay_alu instid0(VALU_DEP_1) | instskip(NEXT) | instid1(VALU_DEP_1)
	v_lshlrev_b64_e32 v[3:4], 3, v[3:4]
	v_add_co_u32 v3, vcc_lo, s8, v3
	s_wait_alu 0xfffd
	s_delay_alu instid0(VALU_DEP_2)
	v_add_co_ci_u32_e64 v4, null, s9, v4, vcc_lo
	global_load_b64 v[18:19], v[3:4], off
.LBB84_12:
	s_wait_alu 0xfffe
	s_or_b32 exec_lo, exec_lo, s3
	v_lshlrev_b32_e32 v22, 3, v0
	v_lshlrev_b32_e32 v23, 3, v21
	s_and_b32 vcc_lo, exec_lo, s2
	v_cmp_gt_u32_e64 s2, 0x80, v0
	s_wait_loadcnt 0x0
	ds_store_2addr_b64 v22, v[1:2], v[18:19] offset1:16
	s_wait_dscnt 0x0
	; wave barrier
	global_inv scope:SCOPE_SE
	ds_load_2addr_b64 v[1:4], v23 offset1:1
	v_lshrrev_b16 v19, 8, v24
	v_lshlrev_b32_e32 v18, 5, v0
	; wave barrier
	s_wait_loadcnt_dscnt 0x0
	global_inv scope:SCOPE_SE
	s_wait_alu 0xfffe
	s_cbranch_vccz .LBB84_36
; %bb.13:
	s_getpc_b64 s[4:5]
	s_sext_i32_i16 s5, s5
	s_add_co_u32 s4, s4, _ZN7rocprim17ROCPRIM_400000_NS16block_radix_sortIhLj16ELj2ElLj1ELj1ELj0ELNS0_26block_radix_rank_algorithmE1ELNS0_18block_padding_hintE2ELNS0_4arch9wavefront6targetE0EE19radix_bits_per_passE@rel32@lo+8
	s_add_co_ci_u32 s5, s5, _ZN7rocprim17ROCPRIM_400000_NS16block_radix_sortIhLj16ELj2ElLj1ELj1ELj0ELNS0_26block_radix_rank_algorithmE1ELNS0_18block_padding_hintE2ELNS0_4arch9wavefront6targetE0EE19radix_bits_per_passE@rel32@hi+16
	v_mad_i32_i24 v26, 0xffffffe2, v0, v18
	s_load_b32 s11, s[4:5], 0x0
	s_delay_alu instid0(VALU_DEP_1)
	v_mad_u32_u24 v25, v0, 14, v26
	s_and_saveexec_b32 s3, s2
	s_cbranch_execz .LBB84_22
; %bb.14:
	s_delay_alu instid0(VALU_DEP_1)
	v_mad_i32_i24 v5, v0, -12, v25
	v_mov_b32_e32 v6, 0
	v_cmp_gt_u32_e32 vcc_lo, 0x70, v0
	ds_store_b32 v5, v6
	s_and_b32 exec_lo, exec_lo, vcc_lo
	s_cbranch_execz .LBB84_22
; %bb.15:
	v_mul_i32_i24_e32 v5, -12, v0
	v_cmp_gt_u32_e32 vcc_lo, 0x60, v0
	s_delay_alu instid0(VALU_DEP_2)
	v_add_nc_u32_e32 v5, v25, v5
	ds_store_b32 v5, v6 offset:64
	s_and_b32 exec_lo, exec_lo, vcc_lo
	s_cbranch_execz .LBB84_22
; %bb.16:
	v_mov_b32_e32 v6, 0
	v_cmp_gt_u32_e32 vcc_lo, 0x50, v0
	ds_store_b32 v5, v6 offset:128
	s_and_b32 exec_lo, exec_lo, vcc_lo
	s_cbranch_execz .LBB84_22
; %bb.17:
	v_cmp_gt_u32_e32 vcc_lo, 64, v0
	ds_store_b32 v5, v6 offset:192
	s_and_b32 exec_lo, exec_lo, vcc_lo
	s_cbranch_execz .LBB84_22
; %bb.18:
	v_mov_b32_e32 v6, 0
	v_cmp_gt_u32_e32 vcc_lo, 48, v0
	ds_store_b32 v5, v6 offset:256
	s_and_b32 exec_lo, exec_lo, vcc_lo
	s_cbranch_execz .LBB84_22
; %bb.19:
	v_cmp_gt_u32_e32 vcc_lo, 32, v0
	ds_store_b32 v5, v6 offset:320
	s_and_b32 exec_lo, exec_lo, vcc_lo
	s_cbranch_execz .LBB84_22
; %bb.20:
	v_mov_b32_e32 v6, 0
	v_cmp_gt_u32_e32 vcc_lo, 16, v0
	ds_store_b32 v5, v6 offset:384
	s_and_b32 exec_lo, exec_lo, vcc_lo
; %bb.21:
	ds_store_b32 v5, v6 offset:448
.LBB84_22:
	s_wait_alu 0xfffe
	s_or_b32 exec_lo, exec_lo, s3
	s_wait_kmcnt 0x0
	s_min_u32 s3, s11, 8
	s_wait_alu 0xfffe
	s_lshl_b32 s3, -1, s3
	s_wait_alu 0xfffe
	s_not_b32 s3, s3
	s_wait_alu 0xfffe
	v_and_b32_e32 v5, s3, v24
	s_delay_alu instid0(VALU_DEP_1) | instskip(SKIP_1) | instid1(VALU_DEP_2)
	v_lshlrev_b32_e32 v6, 4, v5
	v_lshrrev_b32_e32 v5, 2, v5
	v_and_or_b32 v6, 0x70, v6, v0
	s_delay_alu instid0(VALU_DEP_2) | instskip(NEXT) | instid1(VALU_DEP_1)
	v_and_b32_e32 v5, 62, v5
	v_lshl_add_u32 v14, v6, 2, v5
	v_and_b32_e32 v5, 0xffff, v19
	ds_load_u16 v13, v14
	v_and_b32_e32 v5, s3, v5
	v_cmp_eq_u32_e64 s3, 15, v0
	s_delay_alu instid0(VALU_DEP_2) | instskip(SKIP_1) | instid1(VALU_DEP_2)
	v_lshlrev_b32_e32 v6, 4, v5
	v_lshrrev_b32_e32 v5, 2, v5
	v_and_or_b32 v6, 0x70, v6, v0
	s_delay_alu instid0(VALU_DEP_2) | instskip(NEXT) | instid1(VALU_DEP_1)
	v_and_b32_e32 v5, 62, v5
	v_lshl_add_u32 v15, v6, 2, v5
	s_wait_dscnt 0x0
	v_add_nc_u16 v7, v13, 1
	ds_store_b16 v14, v7
	ds_load_u16 v16, v15
	s_wait_dscnt 0x0
	v_add_nc_u16 v5, v16, 1
	ds_store_b16 v15, v5
	; wave barrier
	s_wait_loadcnt_dscnt 0x0
	global_inv scope:SCOPE_SE
	ds_load_b128 v[9:12], v18
	ds_load_b128 v[5:8], v18 offset:16
	s_wait_dscnt 0x1
	v_add_nc_u32_e32 v27, v10, v9
	s_delay_alu instid0(VALU_DEP_1) | instskip(SKIP_1) | instid1(VALU_DEP_1)
	v_add3_u32 v27, v27, v11, v12
	s_wait_dscnt 0x0
	v_add3_u32 v28, v27, v5, v6
	v_mbcnt_lo_u32_b32 v27, -1, 0
	s_delay_alu instid0(VALU_DEP_2) | instskip(NEXT) | instid1(VALU_DEP_2)
	v_add3_u32 v8, v28, v7, v8
	v_and_b32_e32 v28, 15, v27
	s_delay_alu instid0(VALU_DEP_2) | instskip(NEXT) | instid1(VALU_DEP_2)
	v_mov_b32_dpp v29, v8 row_shr:1 row_mask:0xf bank_mask:0xf
	v_cmp_eq_u32_e32 vcc_lo, 0, v28
	v_cmp_lt_u32_e64 s4, 1, v28
	v_cmp_lt_u32_e64 s5, 3, v28
	;; [unrolled: 1-line block ×3, first 2 shown]
	s_wait_alu 0xfffd
	v_cndmask_b32_e64 v29, v29, 0, vcc_lo
	s_delay_alu instid0(VALU_DEP_1) | instskip(NEXT) | instid1(VALU_DEP_1)
	v_add_nc_u32_e32 v8, v29, v8
	v_mov_b32_dpp v29, v8 row_shr:2 row_mask:0xf bank_mask:0xf
	s_delay_alu instid0(VALU_DEP_1) | instskip(NEXT) | instid1(VALU_DEP_1)
	v_cndmask_b32_e64 v29, 0, v29, s4
	v_add_nc_u32_e32 v8, v8, v29
	s_delay_alu instid0(VALU_DEP_1) | instskip(NEXT) | instid1(VALU_DEP_1)
	v_mov_b32_dpp v29, v8 row_shr:4 row_mask:0xf bank_mask:0xf
	v_cndmask_b32_e64 v29, 0, v29, s5
	s_delay_alu instid0(VALU_DEP_1) | instskip(NEXT) | instid1(VALU_DEP_1)
	v_add_nc_u32_e32 v8, v8, v29
	v_mov_b32_dpp v29, v8 row_shr:8 row_mask:0xf bank_mask:0xf
	s_delay_alu instid0(VALU_DEP_1) | instskip(NEXT) | instid1(VALU_DEP_1)
	v_cndmask_b32_e64 v28, 0, v29, s6
	v_add_nc_u32_e32 v8, v8, v28
	s_and_saveexec_b32 s7, s3
; %bb.23:
	v_mov_b32_e32 v28, 0
	ds_store_b32 v28, v8 offset:512
; %bb.24:
	s_wait_alu 0xfffe
	s_or_b32 exec_lo, exec_lo, s7
	v_sub_co_u32 v28, s13, v27, 1
	v_and_b32_e32 v29, 16, v27
	; wave barrier
	s_wait_loadcnt_dscnt 0x0
	global_inv scope:SCOPE_SE
	v_cmp_lt_i32_e64 s7, v28, v29
	v_mov_b32_e32 v29, 0
	s_wait_alu 0xf1ff
	s_delay_alu instid0(VALU_DEP_2)
	v_cndmask_b32_e64 v27, v28, v27, s7
	ds_load_b32 v28, v29 offset:512
	v_lshlrev_b32_e32 v27, 2, v27
	ds_bpermute_b32 v8, v27, v8
	s_wait_dscnt 0x0
	v_cndmask_b32_e64 v8, v8, 0, s13
	s_delay_alu instid0(VALU_DEP_1) | instskip(NEXT) | instid1(VALU_DEP_1)
	v_lshl_add_u32 v8, v28, 16, v8
	v_add_nc_u32_e32 v9, v8, v9
	s_delay_alu instid0(VALU_DEP_1) | instskip(NEXT) | instid1(VALU_DEP_1)
	v_add_nc_u32_e32 v10, v9, v10
	v_add_nc_u32_e32 v11, v10, v11
	s_delay_alu instid0(VALU_DEP_1) | instskip(NEXT) | instid1(VALU_DEP_1)
	v_add_nc_u32_e32 v30, v11, v12
	;; [unrolled: 3-line block ×3, first 2 shown]
	v_add_nc_u32_e32 v33, v32, v7
	v_and_b32_e32 v7, 0xffff, v13
	ds_store_b128 v18, v[8:11]
	ds_store_b128 v18, v[30:33] offset:16
	; wave barrier
	s_wait_loadcnt_dscnt 0x0
	global_inv scope:SCOPE_SE
	ds_load_u16 v5, v14
	ds_load_u16 v6, v15
	v_and_b32_e32 v8, 0xffff, v16
	; wave barrier
	s_wait_loadcnt_dscnt 0x0
	global_inv scope:SCOPE_SE
	v_add_nc_u32_e32 v5, v5, v7
	v_add_nc_u32_e32 v6, v6, v8
	ds_store_b8 v5, v24
	ds_store_b8 v6, v19
	v_lshlrev_b32_e32 v5, 3, v5
	v_lshlrev_b32_e32 v6, 3, v6
	; wave barrier
	s_wait_loadcnt_dscnt 0x0
	global_inv scope:SCOPE_SE
	ds_load_u16 v28, v26
	; wave barrier
	s_wait_loadcnt_dscnt 0x0
	global_inv scope:SCOPE_SE
	ds_store_b64 v5, v[1:2]
	ds_store_b64 v6, v[3:4]
	; wave barrier
	s_wait_loadcnt_dscnt 0x0
	global_inv scope:SCOPE_SE
	ds_load_b128 v[5:8], v25
	; wave barrier
	s_wait_loadcnt_dscnt 0x0
	global_inv scope:SCOPE_SE
	s_and_saveexec_b32 s7, s2
	s_cbranch_execz .LBB84_33
; %bb.25:
	v_lshlrev_b32_e32 v9, 2, v0
	v_cmp_gt_u32_e64 s2, 0x70, v0
	ds_store_b32 v9, v29
	s_and_b32 exec_lo, exec_lo, s2
	s_cbranch_execz .LBB84_33
; %bb.26:
	v_mov_b32_e32 v10, 0
	v_cmp_gt_u32_e64 s2, 0x60, v0
	ds_store_b32 v9, v10 offset:64
	s_and_b32 exec_lo, exec_lo, s2
	s_cbranch_execz .LBB84_33
; %bb.27:
	v_cmp_gt_u32_e64 s2, 0x50, v0
	ds_store_b32 v9, v10 offset:128
	s_and_b32 exec_lo, exec_lo, s2
	s_cbranch_execz .LBB84_33
; %bb.28:
	v_mov_b32_e32 v10, 0
	v_cmp_gt_u32_e64 s2, 64, v0
	ds_store_b32 v9, v10 offset:192
	s_and_b32 exec_lo, exec_lo, s2
	s_cbranch_execz .LBB84_33
; %bb.29:
	v_cmp_gt_u32_e64 s2, 48, v0
	ds_store_b32 v9, v10 offset:256
	;; [unrolled: 11-line block ×3, first 2 shown]
	s_and_b32 exec_lo, exec_lo, s2
; %bb.32:
	v_mov_b32_e32 v10, 0
	ds_store_b32 v9, v10 offset:448
.LBB84_33:
	s_wait_alu 0xfffe
	s_or_b32 exec_lo, exec_lo, s7
	v_lshrrev_b16 v9, 4, v28
	s_min_u32 s2, s11, 4
	s_wait_alu 0xfffe
	s_lshl_b32 s2, -1, s2
	s_wait_alu 0xfffe
	s_not_b32 s2, s2
	v_and_b32_e32 v9, 15, v9
	s_delay_alu instid0(VALU_DEP_1) | instskip(SKIP_1) | instid1(VALU_DEP_1)
	v_and_b32_e32 v9, 0xffff, v9
	s_wait_alu 0xfffe
	v_and_b32_e32 v9, s2, v9
	s_delay_alu instid0(VALU_DEP_1) | instskip(SKIP_1) | instid1(VALU_DEP_2)
	v_lshlrev_b32_e32 v10, 4, v9
	v_lshrrev_b32_e32 v9, 2, v9
	v_and_or_b32 v10, 0x70, v10, v0
	s_delay_alu instid0(VALU_DEP_2) | instskip(NEXT) | instid1(VALU_DEP_1)
	v_and_b32_e32 v9, 2, v9
	v_lshl_or_b32 v29, v10, 2, v9
	v_lshrrev_b16 v9, 12, v28
	ds_load_u16 v30, v29
	v_and_b32_e32 v9, 0xffff, v9
	s_delay_alu instid0(VALU_DEP_1) | instskip(SKIP_1) | instid1(VALU_DEP_1)
	v_and_b32_e32 v9, s2, v9
	s_mov_b32 s2, 0
	v_lshlrev_b32_e32 v10, 4, v9
	v_lshrrev_b32_e32 v9, 2, v9
	s_delay_alu instid0(VALU_DEP_2) | instskip(NEXT) | instid1(VALU_DEP_2)
	v_and_or_b32 v10, 0x70, v10, v0
	v_and_b32_e32 v9, 2, v9
	s_wait_dscnt 0x0
	v_add_nc_u16 v11, v30, 1
	s_delay_alu instid0(VALU_DEP_2)
	v_lshl_or_b32 v31, v10, 2, v9
	ds_store_b16 v29, v11
	ds_load_u16 v32, v31
	s_wait_dscnt 0x0
	v_add_nc_u16 v9, v32, 1
	ds_store_b16 v31, v9
	; wave barrier
	s_wait_loadcnt_dscnt 0x0
	global_inv scope:SCOPE_SE
	ds_load_b128 v[13:16], v18
	ds_load_b128 v[9:12], v18 offset:16
	s_wait_dscnt 0x1
	v_add_nc_u32_e32 v33, v14, v13
	s_delay_alu instid0(VALU_DEP_1) | instskip(SKIP_1) | instid1(VALU_DEP_1)
	v_add3_u32 v33, v33, v15, v16
	s_wait_dscnt 0x0
	v_add3_u32 v33, v33, v9, v10
	s_delay_alu instid0(VALU_DEP_1) | instskip(NEXT) | instid1(VALU_DEP_1)
	v_add3_u32 v12, v33, v11, v12
	v_mov_b32_dpp v33, v12 row_shr:1 row_mask:0xf bank_mask:0xf
	s_delay_alu instid0(VALU_DEP_1) | instskip(NEXT) | instid1(VALU_DEP_1)
	v_cndmask_b32_e64 v33, v33, 0, vcc_lo
	v_add_nc_u32_e32 v12, v33, v12
	s_delay_alu instid0(VALU_DEP_1) | instskip(NEXT) | instid1(VALU_DEP_1)
	v_mov_b32_dpp v33, v12 row_shr:2 row_mask:0xf bank_mask:0xf
	v_cndmask_b32_e64 v33, 0, v33, s4
	s_delay_alu instid0(VALU_DEP_1) | instskip(NEXT) | instid1(VALU_DEP_1)
	v_add_nc_u32_e32 v12, v12, v33
	v_mov_b32_dpp v33, v12 row_shr:4 row_mask:0xf bank_mask:0xf
	s_delay_alu instid0(VALU_DEP_1) | instskip(NEXT) | instid1(VALU_DEP_1)
	v_cndmask_b32_e64 v33, 0, v33, s5
	v_add_nc_u32_e32 v33, v12, v33
	s_delay_alu instid0(VALU_DEP_1) | instskip(NEXT) | instid1(VALU_DEP_1)
	v_mov_b32_dpp v12, v33 row_shr:8 row_mask:0xf bank_mask:0xf
	v_cndmask_b32_e64 v34, 0, v12, s6
	v_lshrrev_b16 v12, 8, v28
	s_delay_alu instid0(VALU_DEP_2)
	v_add_nc_u32_e32 v33, v33, v34
	s_and_saveexec_b32 s4, s3
; %bb.34:
	v_mov_b32_e32 v34, 0
	ds_store_b32 v34, v33 offset:512
; %bb.35:
	s_wait_alu 0xfffe
	s_or_b32 exec_lo, exec_lo, s4
	ds_bpermute_b32 v27, v27, v33
	v_mov_b32_e32 v33, 0
	; wave barrier
	s_wait_loadcnt_dscnt 0x0
	global_inv scope:SCOPE_SE
	ds_load_b32 v33, v33 offset:512
	v_cndmask_b32_e64 v27, v27, 0, s13
	s_wait_dscnt 0x0
	s_delay_alu instid0(VALU_DEP_1) | instskip(NEXT) | instid1(VALU_DEP_1)
	v_lshl_add_u32 v33, v33, 16, v27
	v_add_nc_u32_e32 v34, v33, v13
	s_delay_alu instid0(VALU_DEP_1) | instskip(NEXT) | instid1(VALU_DEP_1)
	v_add_nc_u32_e32 v35, v34, v14
	v_add_nc_u32_e32 v36, v35, v15
	s_delay_alu instid0(VALU_DEP_1) | instskip(NEXT) | instid1(VALU_DEP_1)
	v_add_nc_u32_e32 v13, v36, v16
	;; [unrolled: 3-line block ×3, first 2 shown]
	v_add_nc_u32_e32 v16, v15, v11
	v_and_b32_e32 v11, 0xffff, v30
	ds_store_b128 v18, v[33:36]
	ds_store_b128 v18, v[13:16] offset:16
	; wave barrier
	s_wait_loadcnt_dscnt 0x0
	global_inv scope:SCOPE_SE
	ds_load_u16 v9, v29
	ds_load_u16 v10, v31
	v_and_b32_e32 v13, 0xffff, v32
	; wave barrier
	s_wait_loadcnt_dscnt 0x0
	global_inv scope:SCOPE_SE
	v_add_nc_u32_e32 v9, v9, v11
	v_add_nc_u32_e32 v10, v10, v13
	ds_store_b8 v9, v28
	ds_store_b8 v10, v12
	v_lshlrev_b32_e32 v11, 3, v9
	v_lshlrev_b32_e32 v10, 3, v10
	; wave barrier
	s_wait_loadcnt_dscnt 0x0
	global_inv scope:SCOPE_SE
	ds_load_u16 v9, v26
	; wave barrier
	s_wait_loadcnt_dscnt 0x0
	global_inv scope:SCOPE_SE
	ds_store_b64 v11, v[5:6]
	ds_store_b64 v10, v[7:8]
	; wave barrier
	s_wait_loadcnt_dscnt 0x0
	global_inv scope:SCOPE_SE
	ds_load_b128 v[5:8], v25
	s_and_b32 vcc_lo, exec_lo, s2
	s_wait_alu 0xfffe
	s_cbranch_vccnz .LBB84_37
	s_branch .LBB84_60
.LBB84_36:
                                        ; implicit-def: $vgpr7_vgpr8
                                        ; implicit-def: $vgpr9
	s_cbranch_execz .LBB84_60
.LBB84_37:
	s_getpc_b64 s[2:3]
	s_wait_alu 0xfffe
	s_sext_i32_i16 s3, s3
	s_add_co_u32 s2, s2, _ZN7rocprim17ROCPRIM_400000_NS16block_radix_sortIhLj16ELj2ElLj1ELj1ELj0ELNS0_26block_radix_rank_algorithmE1ELNS0_18block_padding_hintE2ELNS0_4arch9wavefront6targetE0EE19radix_bits_per_passE@rel32@lo+12
	s_wait_alu 0xfffe
	s_add_co_ci_u32 s3, s3, _ZN7rocprim17ROCPRIM_400000_NS16block_radix_sortIhLj16ELj2ElLj1ELj1ELj0ELNS0_26block_radix_rank_algorithmE1ELNS0_18block_padding_hintE2ELNS0_4arch9wavefront6targetE0EE19radix_bits_per_passE@rel32@hi+24
	v_mad_i32_i24 v14, 0xffffffe2, v0, v18
	s_load_b32 s11, s[2:3], 0x0
	v_cmp_gt_u32_e32 vcc_lo, 0x80, v0
	s_delay_alu instid0(VALU_DEP_2)
	v_mad_u32_u24 v13, v0, 14, v14
	s_and_saveexec_b32 s3, vcc_lo
	s_cbranch_execz .LBB84_46
; %bb.38:
	s_wait_dscnt 0x0
	s_delay_alu instid0(VALU_DEP_1)
	v_mad_i32_i24 v5, v0, -12, v13
	v_mov_b32_e32 v6, 0
	v_cmp_gt_u32_e64 s2, 0x70, v0
	ds_store_b32 v5, v6
	s_and_b32 exec_lo, exec_lo, s2
	s_cbranch_execz .LBB84_46
; %bb.39:
	v_mul_i32_i24_e32 v5, -12, v0
	v_cmp_gt_u32_e64 s2, 0x60, v0
	s_delay_alu instid0(VALU_DEP_2)
	v_add_nc_u32_e32 v5, v13, v5
	ds_store_b32 v5, v6 offset:64
	s_and_b32 exec_lo, exec_lo, s2
	s_cbranch_execz .LBB84_46
; %bb.40:
	v_mov_b32_e32 v6, 0
	v_cmp_gt_u32_e64 s2, 0x50, v0
	ds_store_b32 v5, v6 offset:128
	s_and_b32 exec_lo, exec_lo, s2
	s_cbranch_execz .LBB84_46
; %bb.41:
	v_cmp_gt_u32_e64 s2, 64, v0
	ds_store_b32 v5, v6 offset:192
	s_and_b32 exec_lo, exec_lo, s2
	s_cbranch_execz .LBB84_46
; %bb.42:
	v_mov_b32_e32 v6, 0
	v_cmp_gt_u32_e64 s2, 48, v0
	ds_store_b32 v5, v6 offset:256
	s_and_b32 exec_lo, exec_lo, s2
	s_cbranch_execz .LBB84_46
; %bb.43:
	v_cmp_gt_u32_e64 s2, 32, v0
	ds_store_b32 v5, v6 offset:320
	s_and_b32 exec_lo, exec_lo, s2
	s_cbranch_execz .LBB84_46
; %bb.44:
	v_mov_b32_e32 v6, 0
	v_cmp_gt_u32_e64 s2, 16, v0
	ds_store_b32 v5, v6 offset:384
	s_and_b32 exec_lo, exec_lo, s2
; %bb.45:
	ds_store_b32 v5, v6 offset:448
.LBB84_46:
	s_wait_alu 0xfffe
	s_or_b32 exec_lo, exec_lo, s3
	s_wait_kmcnt 0x0
	s_min_u32 s2, s11, 8
	v_xor_b32_e32 v16, -1, v24
	s_wait_alu 0xfffe
	s_lshl_b32 s2, -1, s2
	v_xor_b32_e32 v19, -1, v19
	s_wait_alu 0xfffe
	s_not_b32 s2, s2
	v_cmp_eq_u32_e64 s4, 15, v0
	s_wait_dscnt 0x0
	s_wait_alu 0xfffe
	v_and_b32_e32 v5, s2, v16
	s_delay_alu instid0(VALU_DEP_1) | instskip(SKIP_1) | instid1(VALU_DEP_2)
	v_lshlrev_b32_e32 v6, 4, v5
	v_lshrrev_b32_e32 v5, 2, v5
	v_and_or_b32 v6, 0x70, v6, v0
	s_delay_alu instid0(VALU_DEP_2) | instskip(NEXT) | instid1(VALU_DEP_1)
	v_and_b32_e32 v5, 62, v5
	v_lshl_add_u32 v25, v6, 2, v5
	v_and_b32_e32 v5, s2, v19
	ds_load_u16 v24, v25
	v_lshlrev_b32_e32 v6, 4, v5
	v_lshrrev_b32_e32 v5, 2, v5
	s_delay_alu instid0(VALU_DEP_2) | instskip(NEXT) | instid1(VALU_DEP_2)
	v_and_or_b32 v6, 0x70, v6, v0
	v_and_b32_e32 v5, 62, v5
	s_delay_alu instid0(VALU_DEP_1)
	v_lshl_add_u32 v26, v6, 2, v5
	s_wait_dscnt 0x0
	v_add_nc_u16 v7, v24, 1
	ds_store_b16 v25, v7
	ds_load_u16 v27, v26
	s_wait_dscnt 0x0
	v_add_nc_u16 v5, v27, 1
	ds_store_b16 v26, v5
	; wave barrier
	s_wait_loadcnt_dscnt 0x0
	global_inv scope:SCOPE_SE
	ds_load_b128 v[9:12], v18
	ds_load_b128 v[5:8], v18 offset:16
	s_wait_dscnt 0x1
	v_add_nc_u32_e32 v15, v10, v9
	s_delay_alu instid0(VALU_DEP_1) | instskip(SKIP_1) | instid1(VALU_DEP_1)
	v_add3_u32 v15, v15, v11, v12
	s_wait_dscnt 0x0
	v_add3_u32 v28, v15, v5, v6
	v_mbcnt_lo_u32_b32 v15, -1, 0
	s_delay_alu instid0(VALU_DEP_2) | instskip(NEXT) | instid1(VALU_DEP_2)
	v_add3_u32 v8, v28, v7, v8
	v_and_b32_e32 v28, 15, v15
	s_delay_alu instid0(VALU_DEP_2) | instskip(NEXT) | instid1(VALU_DEP_2)
	v_mov_b32_dpp v29, v8 row_shr:1 row_mask:0xf bank_mask:0xf
	v_cmp_eq_u32_e64 s2, 0, v28
	v_cmp_lt_u32_e64 s3, 1, v28
	v_cmp_lt_u32_e64 s5, 3, v28
	;; [unrolled: 1-line block ×3, first 2 shown]
	s_wait_alu 0xf1ff
	v_cndmask_b32_e64 v29, v29, 0, s2
	s_delay_alu instid0(VALU_DEP_1) | instskip(NEXT) | instid1(VALU_DEP_1)
	v_add_nc_u32_e32 v8, v29, v8
	v_mov_b32_dpp v29, v8 row_shr:2 row_mask:0xf bank_mask:0xf
	s_delay_alu instid0(VALU_DEP_1) | instskip(NEXT) | instid1(VALU_DEP_1)
	v_cndmask_b32_e64 v29, 0, v29, s3
	v_add_nc_u32_e32 v8, v8, v29
	s_delay_alu instid0(VALU_DEP_1) | instskip(NEXT) | instid1(VALU_DEP_1)
	v_mov_b32_dpp v29, v8 row_shr:4 row_mask:0xf bank_mask:0xf
	v_cndmask_b32_e64 v29, 0, v29, s5
	s_delay_alu instid0(VALU_DEP_1) | instskip(NEXT) | instid1(VALU_DEP_1)
	v_add_nc_u32_e32 v8, v8, v29
	v_mov_b32_dpp v29, v8 row_shr:8 row_mask:0xf bank_mask:0xf
	s_delay_alu instid0(VALU_DEP_1) | instskip(NEXT) | instid1(VALU_DEP_1)
	v_cndmask_b32_e64 v28, 0, v29, s6
	v_add_nc_u32_e32 v28, v8, v28
	s_and_saveexec_b32 s7, s4
; %bb.47:
	v_mov_b32_e32 v8, 0
	ds_store_b32 v8, v28 offset:512
; %bb.48:
	s_wait_alu 0xfffe
	s_or_b32 exec_lo, exec_lo, s7
	v_sub_co_u32 v8, s13, v15, 1
	v_and_b32_e32 v29, 16, v15
	; wave barrier
	s_wait_loadcnt_dscnt 0x0
	global_inv scope:SCOPE_SE
	v_cmp_lt_i32_e64 s7, v8, v29
	s_wait_alu 0xf1ff
	s_delay_alu instid0(VALU_DEP_1) | instskip(NEXT) | instid1(VALU_DEP_1)
	v_cndmask_b32_e64 v8, v8, v15, s7
	v_dual_mov_b32 v8, 0 :: v_dual_lshlrev_b32 v15, 2, v8
	ds_bpermute_b32 v28, v15, v28
	ds_load_b32 v29, v8 offset:512
	s_wait_dscnt 0x1
	v_cndmask_b32_e64 v28, v28, 0, s13
	s_wait_dscnt 0x0
	s_delay_alu instid0(VALU_DEP_1) | instskip(NEXT) | instid1(VALU_DEP_1)
	v_lshl_add_u32 v28, v29, 16, v28
	v_add_nc_u32_e32 v29, v28, v9
	s_delay_alu instid0(VALU_DEP_1) | instskip(NEXT) | instid1(VALU_DEP_1)
	v_add_nc_u32_e32 v30, v29, v10
	v_add_nc_u32_e32 v31, v30, v11
	s_delay_alu instid0(VALU_DEP_1) | instskip(NEXT) | instid1(VALU_DEP_1)
	v_add_nc_u32_e32 v9, v31, v12
	;; [unrolled: 3-line block ×3, first 2 shown]
	v_add_nc_u32_e32 v12, v11, v7
	v_and_b32_e32 v7, 0xffff, v24
	ds_store_b128 v18, v[28:31]
	ds_store_b128 v18, v[9:12] offset:16
	; wave barrier
	s_wait_loadcnt_dscnt 0x0
	global_inv scope:SCOPE_SE
	ds_load_u16 v5, v25
	ds_load_u16 v6, v26
	v_and_b32_e32 v9, 0xffff, v27
	; wave barrier
	s_wait_loadcnt_dscnt 0x0
	global_inv scope:SCOPE_SE
	v_add_nc_u32_e32 v5, v5, v7
	v_add_nc_u32_e32 v6, v6, v9
	ds_store_b8 v5, v16
	ds_store_b8 v6, v19
	v_lshlrev_b32_e32 v5, 3, v5
	v_lshlrev_b32_e32 v6, 3, v6
	; wave barrier
	s_wait_loadcnt_dscnt 0x0
	global_inv scope:SCOPE_SE
	ds_load_u16 v16, v14
	; wave barrier
	s_wait_loadcnt_dscnt 0x0
	global_inv scope:SCOPE_SE
	ds_store_b64 v5, v[1:2]
	ds_store_b64 v6, v[3:4]
	; wave barrier
	s_wait_loadcnt_dscnt 0x0
	global_inv scope:SCOPE_SE
	ds_load_b128 v[1:4], v13
	; wave barrier
	s_wait_loadcnt_dscnt 0x0
	global_inv scope:SCOPE_SE
	s_and_saveexec_b32 s7, vcc_lo
	s_cbranch_execz .LBB84_57
; %bb.49:
	v_lshlrev_b32_e32 v5, 2, v0
	v_cmp_gt_u32_e32 vcc_lo, 0x70, v0
	ds_store_b32 v5, v8
	s_and_b32 exec_lo, exec_lo, vcc_lo
	s_cbranch_execz .LBB84_57
; %bb.50:
	v_mov_b32_e32 v6, 0
	v_cmp_gt_u32_e32 vcc_lo, 0x60, v0
	ds_store_b32 v5, v6 offset:64
	s_and_b32 exec_lo, exec_lo, vcc_lo
	s_cbranch_execz .LBB84_57
; %bb.51:
	v_cmp_gt_u32_e32 vcc_lo, 0x50, v0
	ds_store_b32 v5, v6 offset:128
	s_and_b32 exec_lo, exec_lo, vcc_lo
	s_cbranch_execz .LBB84_57
; %bb.52:
	v_mov_b32_e32 v6, 0
	v_cmp_gt_u32_e32 vcc_lo, 64, v0
	ds_store_b32 v5, v6 offset:192
	s_and_b32 exec_lo, exec_lo, vcc_lo
	s_cbranch_execz .LBB84_57
; %bb.53:
	v_cmp_gt_u32_e32 vcc_lo, 48, v0
	ds_store_b32 v5, v6 offset:256
	;; [unrolled: 11-line block ×3, first 2 shown]
	s_and_b32 exec_lo, exec_lo, vcc_lo
; %bb.56:
	v_mov_b32_e32 v6, 0
	ds_store_b32 v5, v6 offset:448
.LBB84_57:
	s_wait_alu 0xfffe
	s_or_b32 exec_lo, exec_lo, s7
	v_lshrrev_b16 v5, 4, v16
	s_min_u32 s7, s11, 4
	s_wait_alu 0xfffe
	s_lshl_b32 s7, -1, s7
	s_wait_alu 0xfffe
	s_not_b32 s7, s7
	v_and_b32_e32 v5, 15, v5
	s_delay_alu instid0(VALU_DEP_1) | instskip(SKIP_1) | instid1(VALU_DEP_1)
	v_and_b32_e32 v5, 0xffff, v5
	s_wait_alu 0xfffe
	v_and_b32_e32 v5, s7, v5
	s_delay_alu instid0(VALU_DEP_1) | instskip(SKIP_1) | instid1(VALU_DEP_2)
	v_lshlrev_b32_e32 v6, 4, v5
	v_lshrrev_b32_e32 v5, 2, v5
	v_and_or_b32 v6, 0x70, v6, v0
	s_delay_alu instid0(VALU_DEP_2) | instskip(NEXT) | instid1(VALU_DEP_1)
	v_and_b32_e32 v5, 2, v5
	v_lshl_or_b32 v19, v6, 2, v5
	v_lshrrev_b16 v5, 12, v16
	ds_load_u16 v24, v19
	v_and_b32_e32 v5, 0xffff, v5
	s_delay_alu instid0(VALU_DEP_1) | instskip(NEXT) | instid1(VALU_DEP_1)
	v_and_b32_e32 v5, s7, v5
	v_lshlrev_b32_e32 v6, 4, v5
	v_lshrrev_b32_e32 v5, 2, v5
	s_delay_alu instid0(VALU_DEP_2) | instskip(NEXT) | instid1(VALU_DEP_2)
	v_and_or_b32 v6, 0x70, v6, v0
	v_and_b32_e32 v5, 2, v5
	s_wait_dscnt 0x0
	v_add_nc_u16 v7, v24, 1
	s_delay_alu instid0(VALU_DEP_2)
	v_lshl_or_b32 v25, v6, 2, v5
	ds_store_b16 v19, v7
	ds_load_u16 v26, v25
	s_wait_dscnt 0x0
	v_add_nc_u16 v5, v26, 1
	ds_store_b16 v25, v5
	; wave barrier
	s_wait_loadcnt_dscnt 0x0
	global_inv scope:SCOPE_SE
	ds_load_b128 v[9:12], v18
	ds_load_b128 v[5:8], v18 offset:16
	s_wait_dscnt 0x1
	v_add_nc_u32_e32 v27, v10, v9
	s_delay_alu instid0(VALU_DEP_1) | instskip(SKIP_1) | instid1(VALU_DEP_1)
	v_add3_u32 v27, v27, v11, v12
	s_wait_dscnt 0x0
	v_add3_u32 v27, v27, v5, v6
	s_delay_alu instid0(VALU_DEP_1) | instskip(NEXT) | instid1(VALU_DEP_1)
	v_add3_u32 v8, v27, v7, v8
	v_mov_b32_dpp v27, v8 row_shr:1 row_mask:0xf bank_mask:0xf
	s_delay_alu instid0(VALU_DEP_1) | instskip(NEXT) | instid1(VALU_DEP_1)
	v_cndmask_b32_e64 v27, v27, 0, s2
	v_add_nc_u32_e32 v8, v27, v8
	s_delay_alu instid0(VALU_DEP_1) | instskip(NEXT) | instid1(VALU_DEP_1)
	v_mov_b32_dpp v27, v8 row_shr:2 row_mask:0xf bank_mask:0xf
	v_cndmask_b32_e64 v27, 0, v27, s3
	s_delay_alu instid0(VALU_DEP_1) | instskip(NEXT) | instid1(VALU_DEP_1)
	v_add_nc_u32_e32 v8, v8, v27
	v_mov_b32_dpp v27, v8 row_shr:4 row_mask:0xf bank_mask:0xf
	s_delay_alu instid0(VALU_DEP_1) | instskip(NEXT) | instid1(VALU_DEP_1)
	v_cndmask_b32_e64 v27, 0, v27, s5
	v_add_nc_u32_e32 v27, v8, v27
	s_delay_alu instid0(VALU_DEP_1) | instskip(NEXT) | instid1(VALU_DEP_1)
	v_mov_b32_dpp v8, v27 row_shr:8 row_mask:0xf bank_mask:0xf
	v_cndmask_b32_e64 v28, 0, v8, s6
	v_lshrrev_b16 v8, 8, v16
	s_delay_alu instid0(VALU_DEP_2)
	v_add_nc_u32_e32 v27, v27, v28
	s_and_saveexec_b32 s2, s4
; %bb.58:
	v_mov_b32_e32 v28, 0
	ds_store_b32 v28, v27 offset:512
; %bb.59:
	s_wait_alu 0xfffe
	s_or_b32 exec_lo, exec_lo, s2
	ds_bpermute_b32 v15, v15, v27
	v_mov_b32_e32 v27, 0
	; wave barrier
	s_wait_loadcnt_dscnt 0x0
	global_inv scope:SCOPE_SE
	ds_load_b32 v27, v27 offset:512
	v_cndmask_b32_e64 v15, v15, 0, s13
	s_wait_dscnt 0x0
	s_delay_alu instid0(VALU_DEP_1) | instskip(NEXT) | instid1(VALU_DEP_1)
	v_lshl_add_u32 v27, v27, 16, v15
	v_add_nc_u32_e32 v28, v27, v9
	s_delay_alu instid0(VALU_DEP_1) | instskip(NEXT) | instid1(VALU_DEP_1)
	v_add_nc_u32_e32 v29, v28, v10
	v_add_nc_u32_e32 v30, v29, v11
	s_delay_alu instid0(VALU_DEP_1) | instskip(NEXT) | instid1(VALU_DEP_1)
	v_add_nc_u32_e32 v9, v30, v12
	;; [unrolled: 3-line block ×3, first 2 shown]
	v_add_nc_u32_e32 v12, v11, v7
	v_and_b32_e32 v7, 0xffff, v24
	ds_store_b128 v18, v[27:30]
	ds_store_b128 v18, v[9:12] offset:16
	; wave barrier
	s_wait_loadcnt_dscnt 0x0
	global_inv scope:SCOPE_SE
	ds_load_u16 v5, v19
	ds_load_u16 v6, v25
	v_and_b32_e32 v9, 0xffff, v26
	; wave barrier
	s_wait_loadcnt_dscnt 0x0
	global_inv scope:SCOPE_SE
	v_add_nc_u32_e32 v5, v5, v7
	v_add_nc_u32_e32 v6, v6, v9
	ds_store_b8 v5, v16
	ds_store_b8 v6, v8
	; wave barrier
	s_wait_loadcnt_dscnt 0x0
	global_inv scope:SCOPE_SE
	ds_load_u16 v9, v14
	v_lshlrev_b32_e32 v5, 3, v5
	v_lshlrev_b32_e32 v6, 3, v6
	; wave barrier
	s_wait_loadcnt_dscnt 0x0
	global_inv scope:SCOPE_SE
	ds_store_b64 v5, v[1:2]
	ds_store_b64 v6, v[3:4]
	; wave barrier
	s_wait_loadcnt_dscnt 0x0
	global_inv scope:SCOPE_SE
	ds_load_b128 v[5:8], v13
	v_xor_b32_e32 v1, -1, v9
	s_delay_alu instid0(VALU_DEP_1)
	v_and_b32_e32 v9, 0xffff, v1
.LBB84_60:
	; wave barrier
	s_wait_loadcnt_dscnt 0x0
	global_inv scope:SCOPE_SE
	ds_store_b16 v21, v9
	; wave barrier
	s_wait_loadcnt_dscnt 0x0
	global_inv scope:SCOPE_SE
	ds_load_u8 v3, v0 offset:16
	v_add_co_u32 v1, s2, s14, v20
	s_wait_alu 0xf1ff
	v_add_co_ci_u32_e64 v2, null, s15, 0, s2
	s_and_saveexec_b32 s2, s0
	s_cbranch_execz .LBB84_62
; %bb.61:
	ds_load_u8 v0, v0
	s_wait_dscnt 0x0
	global_store_b8 v[1:2], v0, off
.LBB84_62:
	s_wait_alu 0xfffe
	s_or_b32 exec_lo, exec_lo, s2
	s_and_saveexec_b32 s2, s1
	s_cbranch_execz .LBB84_64
; %bb.63:
	s_lshl_b32 s3, s10, 4
	s_wait_alu 0xfffe
	v_add_co_u32 v0, vcc_lo, v1, s3
	s_wait_alu 0xfffd
	v_add_co_ci_u32_e64 v1, null, 0, v2, vcc_lo
	s_wait_dscnt 0x0
	global_store_b8 v[0:1], v3, off
.LBB84_64:
	s_wait_alu 0xfffe
	s_or_b32 exec_lo, exec_lo, s2
	s_wait_storecnt 0x0
	; wave barrier
	s_wait_loadcnt_dscnt 0x0
	global_inv scope:SCOPE_SE
	ds_store_2addr_b64 v23, v[5:6], v[7:8] offset1:1
	; wave barrier
	s_wait_loadcnt_dscnt 0x0
	global_inv scope:SCOPE_SE
	ds_load_b64 v[0:1], v22 offset:128
	v_mov_b32_e32 v18, 0
	s_delay_alu instid0(VALU_DEP_1) | instskip(NEXT) | instid1(VALU_DEP_1)
	v_lshlrev_b64_e32 v[2:3], 3, v[17:18]
	v_add_co_u32 v2, vcc_lo, s8, v2
	s_wait_alu 0xfffd
	s_delay_alu instid0(VALU_DEP_2)
	v_add_co_ci_u32_e64 v3, null, s9, v3, vcc_lo
	s_and_saveexec_b32 s2, s0
	s_cbranch_execz .LBB84_66
; %bb.65:
	ds_load_b64 v[4:5], v22
	s_wait_dscnt 0x0
	global_store_b64 v[2:3], v[4:5], off
.LBB84_66:
	s_wait_alu 0xfffe
	s_or_b32 exec_lo, exec_lo, s2
	s_and_saveexec_b32 s0, s1
	s_cbranch_execz .LBB84_68
; %bb.67:
	s_lshl_b32 s0, s12, 4
	s_mov_b32 s1, 0
	s_delay_alu instid0(SALU_CYCLE_1) | instskip(NEXT) | instid1(SALU_CYCLE_1)
	s_lshl_b64 s[0:1], s[0:1], 3
	v_add_co_u32 v2, vcc_lo, v2, s0
	s_wait_alu 0xfffd
	v_add_co_ci_u32_e64 v3, null, s1, v3, vcc_lo
	s_wait_dscnt 0x0
	global_store_b64 v[2:3], v[0:1], off
.LBB84_68:
	s_endpgm
	.section	.rodata,"a",@progbits
	.p2align	6, 0x0
	.amdhsa_kernel _ZN2at6native18radixSortKVInPlaceILin2ELin1ELi16ELi2EhljEEvNS_4cuda6detail10TensorInfoIT3_T5_EES6_S6_S6_NS4_IT4_S6_EES6_b
		.amdhsa_group_segment_fixed_size 528
		.amdhsa_private_segment_fixed_size 0
		.amdhsa_kernarg_size 712
		.amdhsa_user_sgpr_count 2
		.amdhsa_user_sgpr_dispatch_ptr 0
		.amdhsa_user_sgpr_queue_ptr 0
		.amdhsa_user_sgpr_kernarg_segment_ptr 1
		.amdhsa_user_sgpr_dispatch_id 0
		.amdhsa_user_sgpr_private_segment_size 0
		.amdhsa_wavefront_size32 1
		.amdhsa_uses_dynamic_stack 0
		.amdhsa_enable_private_segment 0
		.amdhsa_system_sgpr_workgroup_id_x 1
		.amdhsa_system_sgpr_workgroup_id_y 1
		.amdhsa_system_sgpr_workgroup_id_z 1
		.amdhsa_system_sgpr_workgroup_info 0
		.amdhsa_system_vgpr_workitem_id 0
		.amdhsa_next_free_vgpr 37
		.amdhsa_next_free_sgpr 18
		.amdhsa_reserve_vcc 1
		.amdhsa_float_round_mode_32 0
		.amdhsa_float_round_mode_16_64 0
		.amdhsa_float_denorm_mode_32 3
		.amdhsa_float_denorm_mode_16_64 3
		.amdhsa_fp16_overflow 0
		.amdhsa_workgroup_processor_mode 1
		.amdhsa_memory_ordered 1
		.amdhsa_forward_progress 1
		.amdhsa_inst_pref_size 42
		.amdhsa_round_robin_scheduling 0
		.amdhsa_exception_fp_ieee_invalid_op 0
		.amdhsa_exception_fp_denorm_src 0
		.amdhsa_exception_fp_ieee_div_zero 0
		.amdhsa_exception_fp_ieee_overflow 0
		.amdhsa_exception_fp_ieee_underflow 0
		.amdhsa_exception_fp_ieee_inexact 0
		.amdhsa_exception_int_div_zero 0
	.end_amdhsa_kernel
	.section	.text._ZN2at6native18radixSortKVInPlaceILin2ELin1ELi16ELi2EhljEEvNS_4cuda6detail10TensorInfoIT3_T5_EES6_S6_S6_NS4_IT4_S6_EES6_b,"axG",@progbits,_ZN2at6native18radixSortKVInPlaceILin2ELin1ELi16ELi2EhljEEvNS_4cuda6detail10TensorInfoIT3_T5_EES6_S6_S6_NS4_IT4_S6_EES6_b,comdat
.Lfunc_end84:
	.size	_ZN2at6native18radixSortKVInPlaceILin2ELin1ELi16ELi2EhljEEvNS_4cuda6detail10TensorInfoIT3_T5_EES6_S6_S6_NS4_IT4_S6_EES6_b, .Lfunc_end84-_ZN2at6native18radixSortKVInPlaceILin2ELin1ELi16ELi2EhljEEvNS_4cuda6detail10TensorInfoIT3_T5_EES6_S6_S6_NS4_IT4_S6_EES6_b
                                        ; -- End function
	.set _ZN2at6native18radixSortKVInPlaceILin2ELin1ELi16ELi2EhljEEvNS_4cuda6detail10TensorInfoIT3_T5_EES6_S6_S6_NS4_IT4_S6_EES6_b.num_vgpr, 37
	.set _ZN2at6native18radixSortKVInPlaceILin2ELin1ELi16ELi2EhljEEvNS_4cuda6detail10TensorInfoIT3_T5_EES6_S6_S6_NS4_IT4_S6_EES6_b.num_agpr, 0
	.set _ZN2at6native18radixSortKVInPlaceILin2ELin1ELi16ELi2EhljEEvNS_4cuda6detail10TensorInfoIT3_T5_EES6_S6_S6_NS4_IT4_S6_EES6_b.numbered_sgpr, 18
	.set _ZN2at6native18radixSortKVInPlaceILin2ELin1ELi16ELi2EhljEEvNS_4cuda6detail10TensorInfoIT3_T5_EES6_S6_S6_NS4_IT4_S6_EES6_b.num_named_barrier, 0
	.set _ZN2at6native18radixSortKVInPlaceILin2ELin1ELi16ELi2EhljEEvNS_4cuda6detail10TensorInfoIT3_T5_EES6_S6_S6_NS4_IT4_S6_EES6_b.private_seg_size, 0
	.set _ZN2at6native18radixSortKVInPlaceILin2ELin1ELi16ELi2EhljEEvNS_4cuda6detail10TensorInfoIT3_T5_EES6_S6_S6_NS4_IT4_S6_EES6_b.uses_vcc, 1
	.set _ZN2at6native18radixSortKVInPlaceILin2ELin1ELi16ELi2EhljEEvNS_4cuda6detail10TensorInfoIT3_T5_EES6_S6_S6_NS4_IT4_S6_EES6_b.uses_flat_scratch, 0
	.set _ZN2at6native18radixSortKVInPlaceILin2ELin1ELi16ELi2EhljEEvNS_4cuda6detail10TensorInfoIT3_T5_EES6_S6_S6_NS4_IT4_S6_EES6_b.has_dyn_sized_stack, 0
	.set _ZN2at6native18radixSortKVInPlaceILin2ELin1ELi16ELi2EhljEEvNS_4cuda6detail10TensorInfoIT3_T5_EES6_S6_S6_NS4_IT4_S6_EES6_b.has_recursion, 0
	.set _ZN2at6native18radixSortKVInPlaceILin2ELin1ELi16ELi2EhljEEvNS_4cuda6detail10TensorInfoIT3_T5_EES6_S6_S6_NS4_IT4_S6_EES6_b.has_indirect_call, 0
	.section	.AMDGPU.csdata,"",@progbits
; Kernel info:
; codeLenInByte = 5336
; TotalNumSgprs: 20
; NumVgprs: 37
; ScratchSize: 0
; MemoryBound: 0
; FloatMode: 240
; IeeeMode: 1
; LDSByteSize: 528 bytes/workgroup (compile time only)
; SGPRBlocks: 0
; VGPRBlocks: 4
; NumSGPRsForWavesPerEU: 20
; NumVGPRsForWavesPerEU: 37
; Occupancy: 16
; WaveLimiterHint : 1
; COMPUTE_PGM_RSRC2:SCRATCH_EN: 0
; COMPUTE_PGM_RSRC2:USER_SGPR: 2
; COMPUTE_PGM_RSRC2:TRAP_HANDLER: 0
; COMPUTE_PGM_RSRC2:TGID_X_EN: 1
; COMPUTE_PGM_RSRC2:TGID_Y_EN: 1
; COMPUTE_PGM_RSRC2:TGID_Z_EN: 1
; COMPUTE_PGM_RSRC2:TIDIG_COMP_CNT: 0
	.section	.text._ZN2at6native18radixSortKVInPlaceILi2ELin1ELi512ELi8EhljEEvNS_4cuda6detail10TensorInfoIT3_T5_EES6_S6_S6_NS4_IT4_S6_EES6_b,"axG",@progbits,_ZN2at6native18radixSortKVInPlaceILi2ELin1ELi512ELi8EhljEEvNS_4cuda6detail10TensorInfoIT3_T5_EES6_S6_S6_NS4_IT4_S6_EES6_b,comdat
	.protected	_ZN2at6native18radixSortKVInPlaceILi2ELin1ELi512ELi8EhljEEvNS_4cuda6detail10TensorInfoIT3_T5_EES6_S6_S6_NS4_IT4_S6_EES6_b ; -- Begin function _ZN2at6native18radixSortKVInPlaceILi2ELin1ELi512ELi8EhljEEvNS_4cuda6detail10TensorInfoIT3_T5_EES6_S6_S6_NS4_IT4_S6_EES6_b
	.globl	_ZN2at6native18radixSortKVInPlaceILi2ELin1ELi512ELi8EhljEEvNS_4cuda6detail10TensorInfoIT3_T5_EES6_S6_S6_NS4_IT4_S6_EES6_b
	.p2align	8
	.type	_ZN2at6native18radixSortKVInPlaceILi2ELin1ELi512ELi8EhljEEvNS_4cuda6detail10TensorInfoIT3_T5_EES6_S6_S6_NS4_IT4_S6_EES6_b,@function
_ZN2at6native18radixSortKVInPlaceILi2ELin1ELi512ELi8EhljEEvNS_4cuda6detail10TensorInfoIT3_T5_EES6_S6_S6_NS4_IT4_S6_EES6_b: ; @_ZN2at6native18radixSortKVInPlaceILi2ELin1ELi512ELi8EhljEEvNS_4cuda6detail10TensorInfoIT3_T5_EES6_S6_S6_NS4_IT4_S6_EES6_b
; %bb.0:
	s_clause 0x1
	s_load_b64 s[2:3], s[0:1], 0x1c8
	s_load_b96 s[12:14], s[0:1], 0xd8
	s_lshr_b32 s4, ttmp7, 16
	s_wait_kmcnt 0x0
	s_mul_i32 s3, s3, s4
	s_and_b32 s4, ttmp7, 0xffff
	s_delay_alu instid0(SALU_CYCLE_1) | instskip(NEXT) | instid1(SALU_CYCLE_1)
	s_add_co_i32 s3, s3, s4
	s_mul_i32 s2, s3, s2
	s_delay_alu instid0(SALU_CYCLE_1) | instskip(NEXT) | instid1(SALU_CYCLE_1)
	s_add_co_i32 s2, s2, ttmp9
	s_cmp_ge_u32 s2, s12
	s_cbranch_scc1 .LBB85_102
; %bb.1:
	s_clause 0x2
	s_load_b32 s15, s[0:1], 0xc
	s_load_b64 s[4:5], s[0:1], 0x6c
	s_load_b32 s16, s[0:1], 0x1b8
	s_add_nc_u64 s[10:11], s[0:1], 0xe8
	s_mov_b32 s12, s2
	s_wait_kmcnt 0x0
	s_cvt_f32_u32 s3, s15
	s_delay_alu instid0(SALU_CYCLE_3) | instskip(NEXT) | instid1(TRANS32_DEP_1)
	v_rcp_iflag_f32_e32 v1, s3
	v_readfirstlane_b32 s3, v1
	s_mul_f32 s3, s3, 0x4f7ffffe
	s_wait_alu 0xfffe
	s_delay_alu instid0(SALU_CYCLE_2) | instskip(SKIP_2) | instid1(SALU_CYCLE_1)
	s_cvt_u32_f32 s6, s3
	s_sub_co_i32 s3, 0, s15
	s_wait_alu 0xfffe
	s_mul_i32 s7, s3, s6
	s_mov_b32 s3, 0
	s_mul_hi_u32 s8, s6, s7
	s_wait_alu 0xfffe
	s_mov_b32 s7, s3
	s_add_co_i32 s6, s6, s8
	s_cmp_lt_i32 s16, 2
	s_mov_b32 s9, s3
	s_cbranch_scc1 .LBB85_4
; %bb.2:
	s_add_co_i32 s8, s16, -1
	s_mov_b32 s9, 0
	s_mov_b32 s12, s2
	s_lshl_b64 s[18:19], s[8:9], 2
	s_add_co_i32 s8, s16, 1
	s_add_nc_u64 s[18:19], s[10:11], s[18:19]
	s_delay_alu instid0(SALU_CYCLE_1)
	s_add_nc_u64 s[16:17], s[18:19], 8
.LBB85_3:                               ; =>This Inner Loop Header: Depth=1
	s_clause 0x1
	s_load_b32 s18, s[16:17], 0x0
	s_load_b32 s19, s[16:17], 0x64
	s_mov_b32 s22, s12
	s_add_nc_u64 s[16:17], s[16:17], -4
	s_wait_kmcnt 0x0
	s_cvt_f32_u32 s20, s18
	s_sub_co_i32 s21, 0, s18
	s_wait_alu 0xfffe
	s_delay_alu instid0(SALU_CYCLE_1) | instskip(NEXT) | instid1(TRANS32_DEP_1)
	v_rcp_iflag_f32_e32 v1, s20
	v_readfirstlane_b32 s20, v1
	s_mul_f32 s20, s20, 0x4f7ffffe
	s_wait_alu 0xfffe
	s_delay_alu instid0(SALU_CYCLE_2) | instskip(SKIP_1) | instid1(SALU_CYCLE_2)
	s_cvt_u32_f32 s20, s20
	s_wait_alu 0xfffe
	s_mul_i32 s21, s21, s20
	s_wait_alu 0xfffe
	s_mul_hi_u32 s21, s20, s21
	s_wait_alu 0xfffe
	s_add_co_i32 s20, s20, s21
	s_wait_alu 0xfffe
	s_mul_hi_u32 s12, s12, s20
	s_delay_alu instid0(SALU_CYCLE_1)
	s_mul_i32 s20, s12, s18
	s_add_co_i32 s21, s12, 1
	s_wait_alu 0xfffe
	s_sub_co_i32 s20, s22, s20
	s_wait_alu 0xfffe
	s_sub_co_i32 s23, s20, s18
	s_cmp_ge_u32 s20, s18
	s_cselect_b32 s12, s21, s12
	s_cselect_b32 s20, s23, s20
	s_add_co_i32 s21, s12, 1
	s_wait_alu 0xfffe
	s_cmp_ge_u32 s20, s18
	s_cselect_b32 s12, s21, s12
	s_add_co_i32 s8, s8, -1
	s_mul_i32 s18, s12, s18
	s_delay_alu instid0(SALU_CYCLE_1) | instskip(NEXT) | instid1(SALU_CYCLE_1)
	s_sub_co_i32 s18, s22, s18
	s_mul_i32 s18, s19, s18
	s_delay_alu instid0(SALU_CYCLE_1)
	s_add_co_i32 s9, s18, s9
	s_cmp_gt_u32 s8, 2
	s_cbranch_scc1 .LBB85_3
.LBB85_4:
	s_mul_u64 s[6:7], s[2:3], s[6:7]
	s_clause 0x1
	s_load_b64 s[18:19], s[0:1], 0x0
	s_load_b64 s[16:17], s[0:1], 0x1c0
	s_mul_i32 s3, s7, s15
	s_add_nc_u64 s[20:21], s[0:1], 0x1c8
	s_wait_alu 0xfffe
	s_sub_co_i32 s0, s2, s3
	s_add_co_i32 s1, s7, 1
	s_sub_co_i32 s3, s0, s15
	s_cmp_ge_u32 s0, s15
	v_and_b32_e32 v44, 0x3ff, v0
	s_cselect_b32 s1, s1, s7
	s_wait_alu 0xfffe
	s_cselect_b32 s0, s3, s0
	s_add_co_i32 s3, s1, 1
	s_cmp_ge_u32 s0, s15
	v_mul_lo_u32 v47, s14, v44
	s_wait_alu 0xfffe
	s_cselect_b32 s0, s3, s1
	s_mov_b32 s3, 0
	s_mul_i32 s1, s0, s15
	s_mul_i32 s0, s0, s4
	s_sub_co_i32 s1, s2, s1
	s_delay_alu instid0(SALU_CYCLE_1) | instskip(NEXT) | instid1(SALU_CYCLE_1)
	s_mul_i32 s1, s1, s5
	s_add_co_i32 s2, s0, s1
	s_wait_kmcnt 0x0
	s_bitcmp1_b32 s17, 0
	s_wait_alu 0xfffe
	s_add_nc_u64 s[18:19], s[18:19], s[2:3]
	s_cselect_b32 s0, -1, 0
	s_delay_alu instid0(SALU_CYCLE_1) | instskip(SKIP_3) | instid1(VALU_DEP_2)
	s_xor_b32 s8, s0, -1
	v_cmp_gt_u32_e64 s0, s13, v44
	v_cndmask_b32_e64 v1, 0, -1, s8
	v_cndmask_b32_e64 v3, 0, -1, s8
	v_lshlrev_b32_e32 v2, 8, v1
	v_and_b32_e32 v1, 0xff, v1
	s_delay_alu instid0(VALU_DEP_1) | instskip(NEXT) | instid1(VALU_DEP_1)
	v_or_b32_e32 v1, v1, v2
	v_and_b32_e32 v2, 0xffff, v1
	v_lshlrev_b32_e32 v1, 16, v1
	s_delay_alu instid0(VALU_DEP_1) | instskip(NEXT) | instid1(VALU_DEP_1)
	v_or_b32_e32 v1, v2, v1
	v_mov_b32_e32 v2, v1
	s_and_saveexec_b32 s1, s0
	s_cbranch_execz .LBB85_6
; %bb.5:
	global_load_u8 v3, v47, s[18:19]
	v_mov_b32_e32 v5, v1
	s_wait_loadcnt 0x0
	v_perm_b32 v4, v3, v1, 0x3020104
	s_delay_alu instid0(VALU_DEP_1)
	v_dual_mov_b32 v1, v4 :: v_dual_mov_b32 v2, v5
.LBB85_6:
	s_or_b32 exec_lo, exec_lo, s1
	v_add_nc_u32_e32 v28, 0x200, v44
	s_delay_alu instid0(VALU_DEP_1)
	v_cmp_gt_u32_e64 s1, s13, v28
	s_and_saveexec_b32 s2, s1
	s_cbranch_execz .LBB85_8
; %bb.7:
	v_mul_lo_u32 v4, s14, v28
	global_load_u8 v4, v4, s[18:19]
	s_wait_loadcnt 0x0
	v_perm_b32 v1, v1, v4, 0x7060004
.LBB85_8:
	s_wait_alu 0xfffe
	s_or_b32 exec_lo, exec_lo, s2
	v_or_b32_e32 v24, 0x400, v44
	s_delay_alu instid0(VALU_DEP_1)
	v_cmp_gt_u32_e64 s2, s13, v24
	s_and_saveexec_b32 s3, s2
	s_cbranch_execz .LBB85_10
; %bb.9:
	v_mul_lo_u32 v4, s14, v24
	global_load_u8 v4, v4, s[18:19]
	s_wait_loadcnt 0x0
	v_perm_b32 v4, v4, v1, 0xc0c0304
	s_delay_alu instid0(VALU_DEP_1) | instskip(NEXT) | instid1(VALU_DEP_1)
	v_lshlrev_b32_e32 v4, 16, v4
	v_and_or_b32 v1, 0xffff, v1, v4
.LBB85_10:
	s_wait_alu 0xfffe
	s_or_b32 exec_lo, exec_lo, s3
	v_add_nc_u32_e32 v21, 0x600, v44
	s_delay_alu instid0(VALU_DEP_1)
	v_cmp_gt_u32_e64 s3, s13, v21
	s_and_saveexec_b32 s4, s3
	s_cbranch_execz .LBB85_12
; %bb.11:
	v_mul_lo_u32 v4, s14, v21
	global_load_u8 v4, v4, s[18:19]
	s_wait_loadcnt 0x0
	v_perm_b32 v4, v1, v4, 0xc0c0006
	s_delay_alu instid0(VALU_DEP_1) | instskip(NEXT) | instid1(VALU_DEP_1)
	v_lshlrev_b32_e32 v4, 16, v4
	v_and_or_b32 v1, 0xffff, v1, v4
.LBB85_12:
	s_or_b32 exec_lo, exec_lo, s4
	v_or_b32_e32 v19, 0x800, v44
	s_delay_alu instid0(VALU_DEP_1)
	v_cmp_gt_u32_e64 s4, s13, v19
	s_and_saveexec_b32 s5, s4
	s_cbranch_execz .LBB85_14
; %bb.13:
	v_mul_lo_u32 v4, s14, v19
	global_load_u8 v4, v4, s[18:19]
	s_wait_loadcnt 0x0
	v_perm_b32 v2, v4, v2, 0x3020104
.LBB85_14:
	s_or_b32 exec_lo, exec_lo, s5
	v_add_nc_u32_e32 v17, 0xa00, v44
	s_delay_alu instid0(VALU_DEP_1)
	v_cmp_gt_u32_e64 s5, s13, v17
	s_and_saveexec_b32 s6, s5
	s_cbranch_execz .LBB85_16
; %bb.15:
	v_mul_lo_u32 v4, s14, v17
	global_load_u8 v4, v4, s[18:19]
	s_wait_loadcnt 0x0
	v_perm_b32 v2, v2, v4, 0x7060004
.LBB85_16:
	s_or_b32 exec_lo, exec_lo, s6
	v_or_b32_e32 v16, 0xc00, v44
	s_delay_alu instid0(VALU_DEP_1)
	v_cmp_gt_u32_e64 s6, s13, v16
	s_and_saveexec_b32 s7, s6
	s_cbranch_execz .LBB85_18
; %bb.17:
	v_mul_lo_u32 v4, s14, v16
	global_load_u8 v4, v4, s[18:19]
	s_wait_loadcnt 0x0
	v_perm_b32 v2, v2, v4, 0x7000504
.LBB85_18:
	s_or_b32 exec_lo, exec_lo, s7
	s_clause 0x1
	s_load_b32 s15, s[10:11], 0x6c
	s_load_b64 s[10:11], s[10:11], 0x0
	v_add_nc_u32_e32 v15, 0xe00, v44
	s_delay_alu instid0(VALU_DEP_1)
	v_cmp_gt_u32_e64 s7, s13, v15
	s_and_saveexec_b32 s13, s7
	s_cbranch_execz .LBB85_20
; %bb.19:
	v_mul_lo_u32 v4, s14, v15
	global_load_u8 v4, v4, s[18:19]
	s_wait_loadcnt 0x0
	v_perm_b32 v2, v2, v4, 0x60504
.LBB85_20:
	s_wait_alu 0xfffe
	s_or_b32 exec_lo, exec_lo, s13
	v_lshrrev_b32_e32 v62, 5, v44
	v_lshrrev_b32_e32 v18, 5, v28
	;; [unrolled: 1-line block ×5, first 2 shown]
	s_delay_alu instid0(VALU_DEP_4) | instskip(SKIP_4) | instid1(VALU_DEP_4)
	v_dual_mov_b32 v42, 0 :: v_dual_and_b32 v5, 60, v18
	v_and_b32_e32 v4, 28, v62
	v_and_b32_e32 v7, 0x5c, v23
	v_lshrrev_b32_e32 v22, 5, v21
	v_lshrrev_b32_e32 v29, 2, v44
	v_dual_mov_b32 v43, v42 :: v_dual_add_nc_u32 v48, v4, v44
	v_dual_mov_b32 v11, v42 :: v_dual_and_b32 v4, 60, v20
	v_mov_b32_e32 v12, v42
	v_add_nc_u32_e32 v52, v7, v44
	v_and_b32_e32 v7, 0x7c, v26
	s_delay_alu instid0(VALU_DEP_4)
	v_add_nc_u32_e32 v50, v4, v44
	v_and_b32_e32 v4, 0x7c, v22
	v_lshrrev_b32_e32 v25, 5, v17
	v_lshrrev_b32_e32 v27, 5, v15
	v_dual_mov_b32 v13, 0 :: v_dual_add_nc_u32 v54, v7, v44
	v_lshlrev_b32_e32 v57, 3, v44
	v_and_b32_e32 v7, 0xfc, v29
	v_add_nc_u32_e32 v51, v4, v44
	v_and_b32_e32 v4, 0x7c, v25
	v_and_b32_e32 v9, 0xfc, v27
	v_lshrrev_b32_e32 v6, 8, v1
	v_add_nc_u32_e32 v56, v7, v57
	v_dual_mov_b32 v10, v42 :: v_dual_add_nc_u32 v49, v5, v44
	v_lshrrev_b32_e32 v5, 24, v1
	v_lshrrev_b32_e32 v8, 8, v2
	v_dual_mov_b32 v14, 0 :: v_dual_add_nc_u32 v53, v4, v44
	v_lshrrev_b32_e32 v4, 24, v2
	v_add_nc_u32_e32 v55, v9, v44
	v_mov_b32_e32 v9, v42
	v_mov_b32_e32 v7, v42
	ds_store_b8 v48, v3
	ds_store_b8 v49, v6 offset:512
	ds_store_b8_d16_hi v50, v1 offset:1024
	ds_store_b8 v51, v5 offset:1536
	ds_store_b8 v52, v2 offset:2048
	;; [unrolled: 1-line block ×3, first 2 shown]
	ds_store_b8_d16_hi v54, v2 offset:3072
	ds_store_b8 v55, v4 offset:3584
	s_wait_dscnt 0x0
	s_barrier_signal -1
	s_barrier_wait -1
	global_inv scope:SCOPE_SE
	ds_load_2addr_b32 v[45:46], v56 offset1:1
	s_wait_kmcnt 0x0
	s_mul_i32 s12, s15, s12
	v_mul_lo_u32 v41, s16, v44
	s_mov_b32 s13, 0
	s_wait_alu 0xfffe
	s_add_co_i32 s12, s12, s9
	v_dual_mov_b32 v1, v42 :: v_dual_mov_b32 v2, v42
	v_dual_mov_b32 v3, v42 :: v_dual_mov_b32 v4, v42
	;; [unrolled: 1-line block ×3, first 2 shown]
	v_mov_b32_e32 v8, v42
	s_wait_alu 0xfffe
	s_lshl_b64 s[12:13], s[12:13], 3
	s_wait_loadcnt_dscnt 0x0
	s_wait_alu 0xfffe
	s_add_nc_u64 s[12:13], s[10:11], s[12:13]
	s_barrier_signal -1
	s_barrier_wait -1
	global_inv scope:SCOPE_SE
	s_and_saveexec_b32 s9, s0
	s_cbranch_execnz .LBB85_53
; %bb.21:
	s_wait_alu 0xfffe
	s_or_b32 exec_lo, exec_lo, s9
	s_and_saveexec_b32 s9, s1
	s_cbranch_execnz .LBB85_54
.LBB85_22:
	s_wait_alu 0xfffe
	s_or_b32 exec_lo, exec_lo, s9
	s_and_saveexec_b32 s9, s2
	s_cbranch_execnz .LBB85_55
.LBB85_23:
	s_wait_alu 0xfffe
	s_or_b32 exec_lo, exec_lo, s9
	s_and_saveexec_b32 s9, s3
	s_cbranch_execnz .LBB85_56
.LBB85_24:
	s_wait_alu 0xfffe
	s_or_b32 exec_lo, exec_lo, s9
	s_and_saveexec_b32 s9, s4
	s_cbranch_execnz .LBB85_57
.LBB85_25:
	s_wait_alu 0xfffe
	s_or_b32 exec_lo, exec_lo, s9
	s_and_saveexec_b32 s9, s5
	s_cbranch_execnz .LBB85_58
.LBB85_26:
	s_wait_alu 0xfffe
	s_or_b32 exec_lo, exec_lo, s9
	s_and_saveexec_b32 s9, s6
	s_cbranch_execnz .LBB85_59
.LBB85_27:
	s_wait_alu 0xfffe
	s_or_b32 exec_lo, exec_lo, s9
	s_and_saveexec_b32 s9, s7
	s_cbranch_execz .LBB85_29
.LBB85_28:
	v_mul_lo_u32 v7, s16, v15
	v_mov_b32_e32 v8, 0
	s_delay_alu instid0(VALU_DEP_1) | instskip(NEXT) | instid1(VALU_DEP_1)
	v_lshlrev_b64_e32 v[7:8], 3, v[7:8]
	v_add_co_u32 v7, vcc_lo, s12, v7
	s_wait_alu 0xfffd
	s_delay_alu instid0(VALU_DEP_2)
	v_add_co_ci_u32_e64 v8, null, s13, v8, vcc_lo
	global_load_b64 v[7:8], v[7:8], off
.LBB85_29:
	s_wait_alu 0xfffe
	s_or_b32 exec_lo, exec_lo, s9
	v_lshl_add_u32 v58, v62, 3, v57
	v_lshl_add_u32 v59, v18, 3, v57
	;; [unrolled: 1-line block ×5, first 2 shown]
	s_wait_loadcnt 0x0
	ds_store_b64 v58, v[13:14]
	ds_store_b64 v59, v[42:43] offset:4096
	ds_store_b64 v60, v[9:10] offset:8192
	;; [unrolled: 1-line block ×3, first 2 shown]
	v_lshlrev_b32_e32 v9, 3, v57
	v_lshl_add_u32 v42, v23, 3, v57
	v_lshl_add_u32 v43, v25, 3, v57
	;; [unrolled: 1-line block ×3, first 2 shown]
	ds_store_b64 v42, v[1:2] offset:16384
	ds_store_b64 v43, v[3:4] offset:20480
	;; [unrolled: 1-line block ×4, first 2 shown]
	v_lshl_add_u32 v65, v29, 3, v9
	s_wait_dscnt 0x0
	s_barrier_signal -1
	s_barrier_wait -1
	global_inv scope:SCOPE_SE
	ds_load_2addr_b64 v[13:16], v65 offset1:1
	ds_load_2addr_b64 v[9:12], v65 offset0:2 offset1:3
	ds_load_2addr_b64 v[5:8], v65 offset0:4 offset1:5
	;; [unrolled: 1-line block ×3, first 2 shown]
	v_bfe_u32 v69, v0, 10, 10
	v_bfe_u32 v70, v0, 20, 10
	v_mbcnt_lo_u32_b32 v67, -1, 0
	v_and_b32_e32 v68, 0x3e0, v44
	v_lshlrev_b32_e32 v66, 2, v57
	s_and_b32 vcc_lo, exec_lo, s8
	s_wait_loadcnt_dscnt 0x0
	s_barrier_signal -1
	s_barrier_wait -1
	global_inv scope:SCOPE_SE
	s_wait_alu 0xfffe
	s_cbranch_vccz .LBB85_60
; %bb.30:
	s_getpc_b64 s[8:9]
	s_wait_alu 0xfffe
	s_sext_i32_i16 s9, s9
	s_add_co_u32 s8, s8, _ZN7rocprim17ROCPRIM_400000_NS16block_radix_sortIhLj512ELj8ElLj1ELj1ELj0ELNS0_26block_radix_rank_algorithmE1ELNS0_18block_padding_hintE2ELNS0_4arch9wavefront6targetE0EE19radix_bits_per_passE@rel32@lo+12
	s_wait_alu 0xfffe
	s_add_co_ci_u32 s9, s9, _ZN7rocprim17ROCPRIM_400000_NS16block_radix_sortIhLj512ELj8ElLj1ELj1ELj0ELNS0_26block_radix_rank_algorithmE1ELNS0_18block_padding_hintE2ELNS0_4arch9wavefront6targetE0EE19radix_bits_per_passE@rel32@hi+24
	v_or_b32_e32 v17, v67, v68
	s_load_b32 s8, s[8:9], 0x0
	s_mov_b32 s24, 0
	v_and_or_b32 v18, 0x1f00, v57, v67
	s_mov_b32 s25, s24
	s_mov_b32 s26, s24
	;; [unrolled: 1-line block ×3, first 2 shown]
	v_lshlrev_b32_e32 v19, 3, v17
	v_mad_u32_u24 v29, v18, 7, v18
	ds_store_b64 v19, v[45:46]
	; wave barrier
	ds_load_u8 v0, v18
	ds_load_u8 v71, v18 offset:32
	ds_load_u8 v72, v18 offset:64
	ds_load_u8 v73, v18 offset:96
	ds_load_u8 v74, v18 offset:128
	ds_load_u8 v75, v18 offset:160
	ds_load_u8 v76, v18 offset:192
	ds_load_u8 v77, v18 offset:224
	v_mad_u32_u24 v17, v17, 56, v19
	s_wait_loadcnt_dscnt 0x0
	s_barrier_signal -1
	s_barrier_wait -1
	global_inv scope:SCOPE_SE
	s_wait_kmcnt 0x0
	s_min_u32 s8, s8, 8
	ds_store_b128 v17, v[13:16]
	ds_store_b128 v17, v[9:12] offset:16
	s_wait_alu 0xfffe
	s_lshl_b32 s8, -1, s8
	ds_store_b128 v17, v[5:8] offset:32
	ds_store_b128 v17, v[1:4] offset:48
	s_wait_alu 0xfffe
	s_not_b32 s9, s8
	; wave barrier
	s_wait_alu 0xfffe
	v_and_b32_e32 v39, s9, v0
	ds_load_2addr_b64 v[25:28], v29 offset1:32
	ds_load_2addr_b64 v[21:24], v29 offset0:64 offset1:96
	ds_load_2addr_b64 v[17:20], v29 offset0:128 offset1:160
	;; [unrolled: 1-line block ×3, first 2 shown]
	s_wait_loadcnt_dscnt 0x0
	s_barrier_signal -1
	v_and_b32_e32 v33, 1, v39
	v_lshlrev_b32_e32 v34, 30, v39
	v_lshlrev_b32_e32 v36, 29, v39
	;; [unrolled: 1-line block ×3, first 2 shown]
	s_barrier_wait -1
	v_add_co_u32 v33, s8, v33, -1
	s_wait_alu 0xf1ff
	v_cndmask_b32_e64 v35, 0, 1, s8
	v_not_b32_e32 v37, v34
	v_cmp_gt_i32_e64 s8, 0, v34
	v_not_b32_e32 v34, v36
	global_inv scope:SCOPE_SE
	v_cmp_ne_u32_e32 vcc_lo, 0, v35
	v_ashrrev_i32_e32 v35, 31, v37
	v_lshlrev_b32_e32 v37, 28, v39
	v_ashrrev_i32_e32 v34, 31, v34
	s_wait_alu 0xfffd
	v_xor_b32_e32 v33, vcc_lo, v33
	v_cmp_gt_i32_e32 vcc_lo, 0, v36
	s_wait_alu 0xf1ff
	v_xor_b32_e32 v35, s8, v35
	v_not_b32_e32 v36, v37
	s_load_b32 s8, s[20:21], 0xc
	v_and_b32_e32 v33, exec_lo, v33
	v_xor_b32_e32 v34, vcc_lo, v34
	v_cmp_gt_i32_e32 vcc_lo, 0, v37
	v_lshlrev_b32_e32 v37, 26, v39
	s_delay_alu instid0(VALU_DEP_4) | instskip(SKIP_2) | instid1(VALU_DEP_3)
	v_and_b32_e32 v33, v33, v35
	v_ashrrev_i32_e32 v35, 31, v36
	v_not_b32_e32 v36, v38
	v_and_b32_e32 v33, v33, v34
	s_wait_alu 0xfffd
	s_delay_alu instid0(VALU_DEP_3) | instskip(SKIP_3) | instid1(VALU_DEP_4)
	v_xor_b32_e32 v34, vcc_lo, v35
	v_cmp_gt_i32_e32 vcc_lo, 0, v38
	v_ashrrev_i32_e32 v35, 31, v36
	v_not_b32_e32 v36, v37
	v_and_b32_e32 v33, v33, v34
	v_lshlrev_b32_e32 v34, 25, v39
	s_wait_alu 0xfffd
	v_xor_b32_e32 v35, vcc_lo, v35
	v_cmp_gt_i32_e32 vcc_lo, 0, v37
	v_ashrrev_i32_e32 v36, 31, v36
	s_wait_kmcnt 0x0
	s_lshr_b32 s10, s8, 16
	v_not_b32_e32 v37, v34
	v_and_b32_e32 v33, v33, v35
	v_lshlrev_b32_e32 v35, 24, v39
	s_wait_alu 0xfffd
	v_xor_b32_e32 v36, vcc_lo, v36
	v_cmp_gt_i32_e32 vcc_lo, 0, v34
	v_ashrrev_i32_e32 v34, 31, v37
	v_mad_u32_u24 v38, v70, s10, v69
	v_not_b32_e32 v37, v35
	v_and_b32_e32 v36, v33, v36
	s_and_b32 s8, s8, 0xffff
	s_wait_alu 0xfffd
	v_xor_b32_e32 v40, vcc_lo, v34
	v_cmp_gt_i32_e32 vcc_lo, 0, v35
	v_ashrrev_i32_e32 v35, 31, v37
	s_wait_alu 0xfffe
	v_mad_co_u64_u32 v[33:34], null, v38, s8, v[44:45]
	v_and_b32_e32 v34, v36, v40
	s_wait_alu 0xfffd
	v_xor_b32_e32 v40, vcc_lo, v35
	v_dual_mov_b32 v38, s27 :: v_dual_mov_b32 v37, s26
	v_dual_mov_b32 v36, s25 :: v_dual_mov_b32 v35, s24
	s_delay_alu instid0(VALU_DEP_3)
	v_and_b32_e32 v34, v34, v40
	v_and_b32_e32 v39, 0xff, v39
	v_lshrrev_b32_e32 v33, 3, v33
	ds_store_b128 v66, v[35:38] offset:64
	ds_store_b128 v66, v[35:38] offset:80
	v_mbcnt_lo_u32_b32 v78, v34, 0
	v_lshlrev_b32_e32 v35, 6, v39
	v_and_b32_e32 v33, 0x1ffffffc, v33
	v_cmp_ne_u32_e64 s8, 0, v34
	s_wait_loadcnt_dscnt 0x0
	v_cmp_eq_u32_e32 vcc_lo, 0, v78
	s_barrier_signal -1
	v_add_nc_u32_e32 v79, v33, v35
	s_barrier_wait -1
	global_inv scope:SCOPE_SE
	s_and_b32 s10, s8, vcc_lo
	; wave barrier
	s_wait_alu 0xfffe
	s_and_saveexec_b32 s8, s10
; %bb.31:
	v_bcnt_u32_b32 v34, v34, 0
	ds_store_b32 v79, v34 offset:64
; %bb.32:
	s_wait_alu 0xfffe
	s_or_b32 exec_lo, exec_lo, s8
	v_and_b32_e32 v34, s9, v71
	; wave barrier
	s_delay_alu instid0(VALU_DEP_1)
	v_and_b32_e32 v36, 1, v34
	v_lshlrev_b32_e32 v37, 30, v34
	v_lshlrev_b32_e32 v38, 29, v34
	;; [unrolled: 1-line block ×4, first 2 shown]
	v_add_co_u32 v36, s8, v36, -1
	s_wait_alu 0xf1ff
	v_cndmask_b32_e64 v40, 0, 1, s8
	v_not_b32_e32 v83, v37
	v_cmp_gt_i32_e64 s8, 0, v37
	v_not_b32_e32 v37, v38
	v_lshlrev_b32_e32 v81, 26, v34
	v_cmp_ne_u32_e32 vcc_lo, 0, v40
	v_ashrrev_i32_e32 v40, 31, v83
	v_lshlrev_b32_e32 v82, 25, v34
	v_ashrrev_i32_e32 v37, 31, v37
	v_and_b32_e32 v35, 0xff, v34
	s_wait_alu 0xfffd
	v_xor_b32_e32 v36, vcc_lo, v36
	v_cmp_gt_i32_e32 vcc_lo, 0, v38
	v_not_b32_e32 v38, v39
	s_wait_alu 0xf1ff
	v_xor_b32_e32 v40, s8, v40
	v_cmp_gt_i32_e64 s8, 0, v39
	v_and_b32_e32 v36, exec_lo, v36
	v_not_b32_e32 v39, v80
	v_ashrrev_i32_e32 v38, 31, v38
	s_wait_alu 0xfffd
	v_xor_b32_e32 v37, vcc_lo, v37
	v_cmp_gt_i32_e32 vcc_lo, 0, v80
	v_and_b32_e32 v36, v36, v40
	v_not_b32_e32 v40, v81
	v_ashrrev_i32_e32 v39, 31, v39
	s_wait_alu 0xf1ff
	v_xor_b32_e32 v38, s8, v38
	v_lshlrev_b32_e32 v34, 24, v34
	v_and_b32_e32 v36, v36, v37
	v_cmp_gt_i32_e64 s8, 0, v81
	v_not_b32_e32 v37, v82
	v_ashrrev_i32_e32 v40, 31, v40
	s_wait_alu 0xfffd
	v_xor_b32_e32 v39, vcc_lo, v39
	v_and_b32_e32 v36, v36, v38
	v_cmp_gt_i32_e32 vcc_lo, 0, v82
	v_not_b32_e32 v38, v34
	v_ashrrev_i32_e32 v37, 31, v37
	s_wait_alu 0xf1ff
	v_xor_b32_e32 v40, s8, v40
	v_and_b32_e32 v36, v36, v39
	v_lshlrev_b32_e32 v35, 6, v35
	v_cmp_gt_i32_e64 s8, 0, v34
	v_ashrrev_i32_e32 v34, 31, v38
	s_wait_alu 0xfffd
	v_xor_b32_e32 v37, vcc_lo, v37
	v_and_b32_e32 v36, v36, v40
	v_add_nc_u32_e32 v82, v33, v35
	s_wait_alu 0xf1ff
	v_xor_b32_e32 v34, s8, v34
	s_delay_alu instid0(VALU_DEP_3) | instskip(SKIP_2) | instid1(VALU_DEP_1)
	v_and_b32_e32 v35, v36, v37
	ds_load_b32 v80, v82 offset:64
	; wave barrier
	v_and_b32_e32 v34, v35, v34
	v_mbcnt_lo_u32_b32 v81, v34, 0
	v_cmp_ne_u32_e64 s8, 0, v34
	s_delay_alu instid0(VALU_DEP_2)
	v_cmp_eq_u32_e32 vcc_lo, 0, v81
	s_and_b32 s10, s8, vcc_lo
	s_wait_alu 0xfffe
	s_and_saveexec_b32 s8, s10
	s_cbranch_execz .LBB85_34
; %bb.33:
	s_wait_dscnt 0x0
	v_bcnt_u32_b32 v34, v34, v80
	ds_store_b32 v82, v34 offset:64
.LBB85_34:
	s_wait_alu 0xfffe
	s_or_b32 exec_lo, exec_lo, s8
	v_and_b32_e32 v34, s9, v72
	; wave barrier
	s_delay_alu instid0(VALU_DEP_1)
	v_and_b32_e32 v36, 1, v34
	v_lshlrev_b32_e32 v37, 30, v34
	v_lshlrev_b32_e32 v38, 29, v34
	;; [unrolled: 1-line block ×4, first 2 shown]
	v_add_co_u32 v36, s8, v36, -1
	s_wait_alu 0xf1ff
	v_cndmask_b32_e64 v40, 0, 1, s8
	v_not_b32_e32 v86, v37
	v_cmp_gt_i32_e64 s8, 0, v37
	v_not_b32_e32 v37, v38
	v_lshlrev_b32_e32 v84, 26, v34
	v_cmp_ne_u32_e32 vcc_lo, 0, v40
	v_ashrrev_i32_e32 v40, 31, v86
	v_lshlrev_b32_e32 v85, 25, v34
	v_ashrrev_i32_e32 v37, 31, v37
	v_and_b32_e32 v35, 0xff, v34
	s_wait_alu 0xfffd
	v_xor_b32_e32 v36, vcc_lo, v36
	v_cmp_gt_i32_e32 vcc_lo, 0, v38
	v_not_b32_e32 v38, v39
	s_wait_alu 0xf1ff
	v_xor_b32_e32 v40, s8, v40
	v_cmp_gt_i32_e64 s8, 0, v39
	v_and_b32_e32 v36, exec_lo, v36
	v_not_b32_e32 v39, v83
	v_ashrrev_i32_e32 v38, 31, v38
	s_wait_alu 0xfffd
	v_xor_b32_e32 v37, vcc_lo, v37
	v_cmp_gt_i32_e32 vcc_lo, 0, v83
	v_and_b32_e32 v36, v36, v40
	v_not_b32_e32 v40, v84
	v_ashrrev_i32_e32 v39, 31, v39
	s_wait_alu 0xf1ff
	v_xor_b32_e32 v38, s8, v38
	v_lshlrev_b32_e32 v34, 24, v34
	v_and_b32_e32 v36, v36, v37
	v_cmp_gt_i32_e64 s8, 0, v84
	v_not_b32_e32 v37, v85
	v_ashrrev_i32_e32 v40, 31, v40
	s_wait_alu 0xfffd
	v_xor_b32_e32 v39, vcc_lo, v39
	v_and_b32_e32 v36, v36, v38
	v_cmp_gt_i32_e32 vcc_lo, 0, v85
	v_not_b32_e32 v38, v34
	v_ashrrev_i32_e32 v37, 31, v37
	s_wait_alu 0xf1ff
	v_xor_b32_e32 v40, s8, v40
	v_and_b32_e32 v36, v36, v39
	v_lshlrev_b32_e32 v35, 6, v35
	v_cmp_gt_i32_e64 s8, 0, v34
	v_ashrrev_i32_e32 v34, 31, v38
	s_wait_alu 0xfffd
	v_xor_b32_e32 v37, vcc_lo, v37
	v_and_b32_e32 v36, v36, v40
	v_add_nc_u32_e32 v85, v33, v35
	s_wait_alu 0xf1ff
	v_xor_b32_e32 v34, s8, v34
	s_delay_alu instid0(VALU_DEP_3) | instskip(SKIP_2) | instid1(VALU_DEP_1)
	v_and_b32_e32 v35, v36, v37
	ds_load_b32 v83, v85 offset:64
	; wave barrier
	v_and_b32_e32 v34, v35, v34
	v_mbcnt_lo_u32_b32 v84, v34, 0
	v_cmp_ne_u32_e64 s8, 0, v34
	s_delay_alu instid0(VALU_DEP_2)
	v_cmp_eq_u32_e32 vcc_lo, 0, v84
	s_and_b32 s10, s8, vcc_lo
	s_wait_alu 0xfffe
	s_and_saveexec_b32 s8, s10
	s_cbranch_execz .LBB85_36
; %bb.35:
	s_wait_dscnt 0x0
	v_bcnt_u32_b32 v34, v34, v83
	ds_store_b32 v85, v34 offset:64
.LBB85_36:
	s_wait_alu 0xfffe
	s_or_b32 exec_lo, exec_lo, s8
	v_and_b32_e32 v34, s9, v73
	; wave barrier
	s_delay_alu instid0(VALU_DEP_1)
	v_and_b32_e32 v36, 1, v34
	v_lshlrev_b32_e32 v37, 30, v34
	v_lshlrev_b32_e32 v38, 29, v34
	v_lshlrev_b32_e32 v39, 28, v34
	v_lshlrev_b32_e32 v86, 27, v34
	v_add_co_u32 v36, s8, v36, -1
	s_wait_alu 0xf1ff
	v_cndmask_b32_e64 v40, 0, 1, s8
	v_not_b32_e32 v89, v37
	v_cmp_gt_i32_e64 s8, 0, v37
	v_not_b32_e32 v37, v38
	v_lshlrev_b32_e32 v87, 26, v34
	v_cmp_ne_u32_e32 vcc_lo, 0, v40
	v_ashrrev_i32_e32 v40, 31, v89
	v_lshlrev_b32_e32 v88, 25, v34
	v_ashrrev_i32_e32 v37, 31, v37
	v_and_b32_e32 v35, 0xff, v34
	s_wait_alu 0xfffd
	v_xor_b32_e32 v36, vcc_lo, v36
	v_cmp_gt_i32_e32 vcc_lo, 0, v38
	v_not_b32_e32 v38, v39
	s_wait_alu 0xf1ff
	v_xor_b32_e32 v40, s8, v40
	v_cmp_gt_i32_e64 s8, 0, v39
	v_and_b32_e32 v36, exec_lo, v36
	v_not_b32_e32 v39, v86
	v_ashrrev_i32_e32 v38, 31, v38
	s_wait_alu 0xfffd
	v_xor_b32_e32 v37, vcc_lo, v37
	v_cmp_gt_i32_e32 vcc_lo, 0, v86
	v_and_b32_e32 v36, v36, v40
	v_not_b32_e32 v40, v87
	v_ashrrev_i32_e32 v39, 31, v39
	s_wait_alu 0xf1ff
	v_xor_b32_e32 v38, s8, v38
	v_lshlrev_b32_e32 v34, 24, v34
	v_and_b32_e32 v36, v36, v37
	v_cmp_gt_i32_e64 s8, 0, v87
	v_not_b32_e32 v37, v88
	v_ashrrev_i32_e32 v40, 31, v40
	s_wait_alu 0xfffd
	v_xor_b32_e32 v39, vcc_lo, v39
	v_and_b32_e32 v36, v36, v38
	v_cmp_gt_i32_e32 vcc_lo, 0, v88
	v_not_b32_e32 v38, v34
	v_ashrrev_i32_e32 v37, 31, v37
	s_wait_alu 0xf1ff
	v_xor_b32_e32 v40, s8, v40
	v_and_b32_e32 v36, v36, v39
	v_lshlrev_b32_e32 v35, 6, v35
	v_cmp_gt_i32_e64 s8, 0, v34
	v_ashrrev_i32_e32 v34, 31, v38
	s_wait_alu 0xfffd
	v_xor_b32_e32 v37, vcc_lo, v37
	v_and_b32_e32 v36, v36, v40
	v_add_nc_u32_e32 v88, v33, v35
	s_wait_alu 0xf1ff
	v_xor_b32_e32 v34, s8, v34
	s_delay_alu instid0(VALU_DEP_3) | instskip(SKIP_2) | instid1(VALU_DEP_1)
	v_and_b32_e32 v35, v36, v37
	ds_load_b32 v86, v88 offset:64
	; wave barrier
	v_and_b32_e32 v34, v35, v34
	v_mbcnt_lo_u32_b32 v87, v34, 0
	v_cmp_ne_u32_e64 s8, 0, v34
	s_delay_alu instid0(VALU_DEP_2)
	v_cmp_eq_u32_e32 vcc_lo, 0, v87
	s_and_b32 s10, s8, vcc_lo
	s_wait_alu 0xfffe
	s_and_saveexec_b32 s8, s10
	s_cbranch_execz .LBB85_38
; %bb.37:
	s_wait_dscnt 0x0
	v_bcnt_u32_b32 v34, v34, v86
	ds_store_b32 v88, v34 offset:64
.LBB85_38:
	s_wait_alu 0xfffe
	s_or_b32 exec_lo, exec_lo, s8
	v_and_b32_e32 v34, s9, v74
	; wave barrier
	s_delay_alu instid0(VALU_DEP_1)
	v_and_b32_e32 v36, 1, v34
	v_lshlrev_b32_e32 v37, 30, v34
	v_lshlrev_b32_e32 v38, 29, v34
	;; [unrolled: 1-line block ×4, first 2 shown]
	v_add_co_u32 v36, s8, v36, -1
	s_wait_alu 0xf1ff
	v_cndmask_b32_e64 v40, 0, 1, s8
	v_not_b32_e32 v92, v37
	v_cmp_gt_i32_e64 s8, 0, v37
	v_not_b32_e32 v37, v38
	v_lshlrev_b32_e32 v90, 26, v34
	v_cmp_ne_u32_e32 vcc_lo, 0, v40
	v_ashrrev_i32_e32 v40, 31, v92
	v_lshlrev_b32_e32 v91, 25, v34
	v_ashrrev_i32_e32 v37, 31, v37
	v_and_b32_e32 v35, 0xff, v34
	s_wait_alu 0xfffd
	v_xor_b32_e32 v36, vcc_lo, v36
	v_cmp_gt_i32_e32 vcc_lo, 0, v38
	v_not_b32_e32 v38, v39
	s_wait_alu 0xf1ff
	v_xor_b32_e32 v40, s8, v40
	v_cmp_gt_i32_e64 s8, 0, v39
	v_and_b32_e32 v36, exec_lo, v36
	v_not_b32_e32 v39, v89
	v_ashrrev_i32_e32 v38, 31, v38
	s_wait_alu 0xfffd
	v_xor_b32_e32 v37, vcc_lo, v37
	v_cmp_gt_i32_e32 vcc_lo, 0, v89
	v_and_b32_e32 v36, v36, v40
	v_not_b32_e32 v40, v90
	v_ashrrev_i32_e32 v39, 31, v39
	s_wait_alu 0xf1ff
	v_xor_b32_e32 v38, s8, v38
	v_lshlrev_b32_e32 v34, 24, v34
	v_and_b32_e32 v36, v36, v37
	v_cmp_gt_i32_e64 s8, 0, v90
	v_not_b32_e32 v37, v91
	v_ashrrev_i32_e32 v40, 31, v40
	s_wait_alu 0xfffd
	v_xor_b32_e32 v39, vcc_lo, v39
	v_and_b32_e32 v36, v36, v38
	v_cmp_gt_i32_e32 vcc_lo, 0, v91
	v_not_b32_e32 v38, v34
	v_ashrrev_i32_e32 v37, 31, v37
	s_wait_alu 0xf1ff
	v_xor_b32_e32 v40, s8, v40
	v_and_b32_e32 v36, v36, v39
	v_lshlrev_b32_e32 v35, 6, v35
	v_cmp_gt_i32_e64 s8, 0, v34
	v_ashrrev_i32_e32 v34, 31, v38
	s_wait_alu 0xfffd
	v_xor_b32_e32 v37, vcc_lo, v37
	v_and_b32_e32 v36, v36, v40
	v_add_nc_u32_e32 v91, v33, v35
	s_wait_alu 0xf1ff
	v_xor_b32_e32 v34, s8, v34
	s_delay_alu instid0(VALU_DEP_3) | instskip(SKIP_2) | instid1(VALU_DEP_1)
	v_and_b32_e32 v35, v36, v37
	ds_load_b32 v89, v91 offset:64
	; wave barrier
	v_and_b32_e32 v34, v35, v34
	v_mbcnt_lo_u32_b32 v90, v34, 0
	v_cmp_ne_u32_e64 s8, 0, v34
	s_delay_alu instid0(VALU_DEP_2)
	v_cmp_eq_u32_e32 vcc_lo, 0, v90
	s_and_b32 s10, s8, vcc_lo
	s_wait_alu 0xfffe
	s_and_saveexec_b32 s8, s10
	s_cbranch_execz .LBB85_40
; %bb.39:
	s_wait_dscnt 0x0
	v_bcnt_u32_b32 v34, v34, v89
	ds_store_b32 v91, v34 offset:64
.LBB85_40:
	s_wait_alu 0xfffe
	s_or_b32 exec_lo, exec_lo, s8
	v_and_b32_e32 v34, s9, v75
	; wave barrier
	s_delay_alu instid0(VALU_DEP_1)
	v_and_b32_e32 v36, 1, v34
	v_lshlrev_b32_e32 v37, 30, v34
	v_lshlrev_b32_e32 v38, 29, v34
	;; [unrolled: 1-line block ×4, first 2 shown]
	v_add_co_u32 v36, s8, v36, -1
	s_wait_alu 0xf1ff
	v_cndmask_b32_e64 v40, 0, 1, s8
	v_not_b32_e32 v95, v37
	v_cmp_gt_i32_e64 s8, 0, v37
	v_not_b32_e32 v37, v38
	v_lshlrev_b32_e32 v93, 26, v34
	v_cmp_ne_u32_e32 vcc_lo, 0, v40
	v_ashrrev_i32_e32 v40, 31, v95
	v_lshlrev_b32_e32 v94, 25, v34
	v_ashrrev_i32_e32 v37, 31, v37
	v_and_b32_e32 v35, 0xff, v34
	s_wait_alu 0xfffd
	v_xor_b32_e32 v36, vcc_lo, v36
	v_cmp_gt_i32_e32 vcc_lo, 0, v38
	v_not_b32_e32 v38, v39
	s_wait_alu 0xf1ff
	v_xor_b32_e32 v40, s8, v40
	v_cmp_gt_i32_e64 s8, 0, v39
	v_and_b32_e32 v36, exec_lo, v36
	v_not_b32_e32 v39, v92
	v_ashrrev_i32_e32 v38, 31, v38
	s_wait_alu 0xfffd
	v_xor_b32_e32 v37, vcc_lo, v37
	v_cmp_gt_i32_e32 vcc_lo, 0, v92
	v_and_b32_e32 v36, v36, v40
	v_not_b32_e32 v40, v93
	v_ashrrev_i32_e32 v39, 31, v39
	s_wait_alu 0xf1ff
	v_xor_b32_e32 v38, s8, v38
	v_lshlrev_b32_e32 v34, 24, v34
	v_and_b32_e32 v36, v36, v37
	v_cmp_gt_i32_e64 s8, 0, v93
	v_not_b32_e32 v37, v94
	v_ashrrev_i32_e32 v40, 31, v40
	s_wait_alu 0xfffd
	v_xor_b32_e32 v39, vcc_lo, v39
	v_and_b32_e32 v36, v36, v38
	v_cmp_gt_i32_e32 vcc_lo, 0, v94
	v_not_b32_e32 v38, v34
	v_ashrrev_i32_e32 v37, 31, v37
	s_wait_alu 0xf1ff
	v_xor_b32_e32 v40, s8, v40
	v_and_b32_e32 v36, v36, v39
	v_lshlrev_b32_e32 v35, 6, v35
	v_cmp_gt_i32_e64 s8, 0, v34
	v_ashrrev_i32_e32 v34, 31, v38
	s_wait_alu 0xfffd
	v_xor_b32_e32 v37, vcc_lo, v37
	v_and_b32_e32 v36, v36, v40
	v_add_nc_u32_e32 v94, v33, v35
	s_wait_alu 0xf1ff
	v_xor_b32_e32 v34, s8, v34
	s_delay_alu instid0(VALU_DEP_3) | instskip(SKIP_2) | instid1(VALU_DEP_1)
	v_and_b32_e32 v35, v36, v37
	ds_load_b32 v92, v94 offset:64
	; wave barrier
	v_and_b32_e32 v34, v35, v34
	v_mbcnt_lo_u32_b32 v93, v34, 0
	v_cmp_ne_u32_e64 s8, 0, v34
	s_delay_alu instid0(VALU_DEP_2)
	v_cmp_eq_u32_e32 vcc_lo, 0, v93
	s_and_b32 s10, s8, vcc_lo
	s_wait_alu 0xfffe
	s_and_saveexec_b32 s8, s10
	s_cbranch_execz .LBB85_42
; %bb.41:
	s_wait_dscnt 0x0
	v_bcnt_u32_b32 v34, v34, v92
	ds_store_b32 v94, v34 offset:64
.LBB85_42:
	s_wait_alu 0xfffe
	s_or_b32 exec_lo, exec_lo, s8
	v_and_b32_e32 v34, s9, v76
	; wave barrier
	s_delay_alu instid0(VALU_DEP_1)
	v_and_b32_e32 v36, 1, v34
	v_lshlrev_b32_e32 v37, 30, v34
	v_lshlrev_b32_e32 v38, 29, v34
	;; [unrolled: 1-line block ×4, first 2 shown]
	v_add_co_u32 v36, s8, v36, -1
	s_wait_alu 0xf1ff
	v_cndmask_b32_e64 v40, 0, 1, s8
	v_not_b32_e32 v98, v37
	v_cmp_gt_i32_e64 s8, 0, v37
	v_not_b32_e32 v37, v38
	v_lshlrev_b32_e32 v96, 26, v34
	v_cmp_ne_u32_e32 vcc_lo, 0, v40
	v_ashrrev_i32_e32 v40, 31, v98
	v_lshlrev_b32_e32 v97, 25, v34
	v_ashrrev_i32_e32 v37, 31, v37
	v_and_b32_e32 v35, 0xff, v34
	s_wait_alu 0xfffd
	v_xor_b32_e32 v36, vcc_lo, v36
	v_cmp_gt_i32_e32 vcc_lo, 0, v38
	v_not_b32_e32 v38, v39
	s_wait_alu 0xf1ff
	v_xor_b32_e32 v40, s8, v40
	v_cmp_gt_i32_e64 s8, 0, v39
	v_and_b32_e32 v36, exec_lo, v36
	v_not_b32_e32 v39, v95
	v_ashrrev_i32_e32 v38, 31, v38
	s_wait_alu 0xfffd
	v_xor_b32_e32 v37, vcc_lo, v37
	v_cmp_gt_i32_e32 vcc_lo, 0, v95
	v_and_b32_e32 v36, v36, v40
	v_not_b32_e32 v40, v96
	v_ashrrev_i32_e32 v39, 31, v39
	s_wait_alu 0xf1ff
	v_xor_b32_e32 v38, s8, v38
	v_lshlrev_b32_e32 v34, 24, v34
	v_and_b32_e32 v36, v36, v37
	v_cmp_gt_i32_e64 s8, 0, v96
	v_not_b32_e32 v37, v97
	v_ashrrev_i32_e32 v40, 31, v40
	s_wait_alu 0xfffd
	v_xor_b32_e32 v39, vcc_lo, v39
	v_and_b32_e32 v36, v36, v38
	v_cmp_gt_i32_e32 vcc_lo, 0, v97
	v_not_b32_e32 v38, v34
	v_ashrrev_i32_e32 v37, 31, v37
	s_wait_alu 0xf1ff
	v_xor_b32_e32 v40, s8, v40
	v_and_b32_e32 v36, v36, v39
	v_lshlrev_b32_e32 v35, 6, v35
	v_cmp_gt_i32_e64 s8, 0, v34
	v_ashrrev_i32_e32 v34, 31, v38
	s_wait_alu 0xfffd
	v_xor_b32_e32 v37, vcc_lo, v37
	v_and_b32_e32 v36, v36, v40
	v_add_nc_u32_e32 v97, v33, v35
	s_wait_alu 0xf1ff
	v_xor_b32_e32 v34, s8, v34
	s_delay_alu instid0(VALU_DEP_3) | instskip(SKIP_2) | instid1(VALU_DEP_1)
	v_and_b32_e32 v35, v36, v37
	ds_load_b32 v95, v97 offset:64
	; wave barrier
	v_and_b32_e32 v34, v35, v34
	v_mbcnt_lo_u32_b32 v96, v34, 0
	v_cmp_ne_u32_e64 s8, 0, v34
	s_delay_alu instid0(VALU_DEP_2)
	v_cmp_eq_u32_e32 vcc_lo, 0, v96
	s_and_b32 s10, s8, vcc_lo
	s_wait_alu 0xfffe
	s_and_saveexec_b32 s8, s10
	s_cbranch_execz .LBB85_44
; %bb.43:
	s_wait_dscnt 0x0
	v_bcnt_u32_b32 v34, v34, v95
	ds_store_b32 v97, v34 offset:64
.LBB85_44:
	s_wait_alu 0xfffe
	s_or_b32 exec_lo, exec_lo, s8
	v_and_b32_e32 v34, s9, v77
	; wave barrier
	s_delay_alu instid0(VALU_DEP_1)
	v_and_b32_e32 v36, 1, v34
	v_lshlrev_b32_e32 v37, 30, v34
	v_lshlrev_b32_e32 v38, 29, v34
	;; [unrolled: 1-line block ×4, first 2 shown]
	v_add_co_u32 v36, s8, v36, -1
	s_wait_alu 0xf1ff
	v_cndmask_b32_e64 v40, 0, 1, s8
	v_not_b32_e32 v101, v37
	v_cmp_gt_i32_e64 s8, 0, v37
	v_not_b32_e32 v37, v38
	v_lshlrev_b32_e32 v99, 26, v34
	v_cmp_ne_u32_e32 vcc_lo, 0, v40
	v_ashrrev_i32_e32 v40, 31, v101
	v_lshlrev_b32_e32 v100, 25, v34
	v_ashrrev_i32_e32 v37, 31, v37
	v_and_b32_e32 v35, 0xff, v34
	s_wait_alu 0xfffd
	v_xor_b32_e32 v36, vcc_lo, v36
	v_cmp_gt_i32_e32 vcc_lo, 0, v38
	v_not_b32_e32 v38, v39
	s_wait_alu 0xf1ff
	v_xor_b32_e32 v40, s8, v40
	v_cmp_gt_i32_e64 s8, 0, v39
	v_and_b32_e32 v36, exec_lo, v36
	v_not_b32_e32 v39, v98
	v_ashrrev_i32_e32 v38, 31, v38
	s_wait_alu 0xfffd
	v_xor_b32_e32 v37, vcc_lo, v37
	v_cmp_gt_i32_e32 vcc_lo, 0, v98
	v_and_b32_e32 v36, v36, v40
	v_not_b32_e32 v40, v99
	v_ashrrev_i32_e32 v39, 31, v39
	s_wait_alu 0xf1ff
	v_xor_b32_e32 v38, s8, v38
	v_lshlrev_b32_e32 v34, 24, v34
	v_and_b32_e32 v36, v36, v37
	v_cmp_gt_i32_e64 s8, 0, v99
	v_not_b32_e32 v37, v100
	v_ashrrev_i32_e32 v40, 31, v40
	s_wait_alu 0xfffd
	v_xor_b32_e32 v39, vcc_lo, v39
	v_and_b32_e32 v36, v36, v38
	v_cmp_gt_i32_e32 vcc_lo, 0, v100
	v_not_b32_e32 v38, v34
	v_ashrrev_i32_e32 v37, 31, v37
	s_wait_alu 0xf1ff
	v_xor_b32_e32 v40, s8, v40
	v_and_b32_e32 v36, v36, v39
	v_lshlrev_b32_e32 v35, 6, v35
	v_cmp_gt_i32_e64 s8, 0, v34
	v_ashrrev_i32_e32 v34, 31, v38
	s_wait_alu 0xfffd
	v_xor_b32_e32 v37, vcc_lo, v37
	v_and_b32_e32 v36, v36, v40
	v_add_nc_u32_e32 v100, v33, v35
	s_wait_alu 0xf1ff
	v_xor_b32_e32 v33, s8, v34
	s_delay_alu instid0(VALU_DEP_3) | instskip(SKIP_2) | instid1(VALU_DEP_1)
	v_and_b32_e32 v34, v36, v37
	ds_load_b32 v98, v100 offset:64
	; wave barrier
	v_and_b32_e32 v33, v34, v33
	v_mbcnt_lo_u32_b32 v99, v33, 0
	v_cmp_ne_u32_e64 s8, 0, v33
	s_delay_alu instid0(VALU_DEP_2)
	v_cmp_eq_u32_e32 vcc_lo, 0, v99
	s_and_b32 s9, s8, vcc_lo
	s_wait_alu 0xfffe
	s_and_saveexec_b32 s8, s9
	s_cbranch_execz .LBB85_46
; %bb.45:
	s_wait_dscnt 0x0
	v_bcnt_u32_b32 v33, v33, v98
	ds_store_b32 v100, v33 offset:64
.LBB85_46:
	s_wait_alu 0xfffe
	s_or_b32 exec_lo, exec_lo, s8
	; wave barrier
	s_wait_loadcnt_dscnt 0x0
	s_barrier_signal -1
	s_barrier_wait -1
	global_inv scope:SCOPE_SE
	ds_load_b128 v[37:40], v66 offset:64
	ds_load_b128 v[33:36], v66 offset:80
	v_min_u32_e32 v103, 0x1e0, v68
	s_mov_b32 s15, exec_lo
	s_wait_dscnt 0x1
	v_add_nc_u32_e32 v101, v38, v37
	s_delay_alu instid0(VALU_DEP_1) | instskip(SKIP_1) | instid1(VALU_DEP_1)
	v_add3_u32 v101, v101, v39, v40
	s_wait_dscnt 0x0
	v_add3_u32 v101, v101, v33, v34
	s_delay_alu instid0(VALU_DEP_1) | instskip(SKIP_1) | instid1(VALU_DEP_2)
	v_add3_u32 v36, v101, v35, v36
	v_and_b32_e32 v101, 15, v67
	v_mov_b32_dpp v102, v36 row_shr:1 row_mask:0xf bank_mask:0xf
	s_delay_alu instid0(VALU_DEP_2)
	v_cmp_eq_u32_e32 vcc_lo, 0, v101
	v_cmp_lt_u32_e64 s8, 1, v101
	v_cmp_lt_u32_e64 s9, 3, v101
	;; [unrolled: 1-line block ×3, first 2 shown]
	s_wait_alu 0xfffd
	v_cndmask_b32_e64 v102, v102, 0, vcc_lo
	s_delay_alu instid0(VALU_DEP_1) | instskip(NEXT) | instid1(VALU_DEP_1)
	v_add_nc_u32_e32 v36, v102, v36
	v_mov_b32_dpp v102, v36 row_shr:2 row_mask:0xf bank_mask:0xf
	s_wait_alu 0xf1ff
	s_delay_alu instid0(VALU_DEP_1) | instskip(NEXT) | instid1(VALU_DEP_1)
	v_cndmask_b32_e64 v102, 0, v102, s8
	v_add_nc_u32_e32 v36, v36, v102
	s_delay_alu instid0(VALU_DEP_1) | instskip(NEXT) | instid1(VALU_DEP_1)
	v_mov_b32_dpp v102, v36 row_shr:4 row_mask:0xf bank_mask:0xf
	v_cndmask_b32_e64 v102, 0, v102, s9
	s_delay_alu instid0(VALU_DEP_1) | instskip(NEXT) | instid1(VALU_DEP_1)
	v_add_nc_u32_e32 v36, v36, v102
	v_mov_b32_dpp v102, v36 row_shr:8 row_mask:0xf bank_mask:0xf
	s_delay_alu instid0(VALU_DEP_1) | instskip(SKIP_1) | instid1(VALU_DEP_2)
	v_cndmask_b32_e64 v101, 0, v102, s10
	v_bfe_i32 v102, v67, 4, 1
	v_add_nc_u32_e32 v36, v36, v101
	ds_swizzle_b32 v101, v36 offset:swizzle(BROADCAST,32,15)
	s_wait_dscnt 0x0
	v_and_b32_e32 v101, v102, v101
	v_or_b32_e32 v102, 31, v103
	s_delay_alu instid0(VALU_DEP_2) | instskip(NEXT) | instid1(VALU_DEP_2)
	v_add_nc_u32_e32 v36, v36, v101
	v_cmpx_eq_u32_e64 v44, v102
; %bb.47:
	v_lshlrev_b32_e32 v101, 2, v62
	ds_store_b32 v101, v36
; %bb.48:
	s_wait_alu 0xfffe
	s_or_b32 exec_lo, exec_lo, s15
	s_delay_alu instid0(SALU_CYCLE_1)
	s_mov_b32 s15, exec_lo
	s_wait_loadcnt_dscnt 0x0
	s_barrier_signal -1
	s_barrier_wait -1
	global_inv scope:SCOPE_SE
	v_cmpx_gt_u32_e32 16, v44
	s_cbranch_execz .LBB85_50
; %bb.49:
	v_lshlrev_b32_e32 v101, 2, v44
	ds_load_b32 v102, v101
	s_wait_dscnt 0x0
	v_mov_b32_dpp v103, v102 row_shr:1 row_mask:0xf bank_mask:0xf
	s_delay_alu instid0(VALU_DEP_1) | instskip(NEXT) | instid1(VALU_DEP_1)
	v_cndmask_b32_e64 v103, v103, 0, vcc_lo
	v_add_nc_u32_e32 v102, v103, v102
	s_delay_alu instid0(VALU_DEP_1) | instskip(NEXT) | instid1(VALU_DEP_1)
	v_mov_b32_dpp v103, v102 row_shr:2 row_mask:0xf bank_mask:0xf
	v_cndmask_b32_e64 v103, 0, v103, s8
	s_delay_alu instid0(VALU_DEP_1) | instskip(NEXT) | instid1(VALU_DEP_1)
	v_add_nc_u32_e32 v102, v102, v103
	v_mov_b32_dpp v103, v102 row_shr:4 row_mask:0xf bank_mask:0xf
	s_delay_alu instid0(VALU_DEP_1) | instskip(NEXT) | instid1(VALU_DEP_1)
	v_cndmask_b32_e64 v103, 0, v103, s9
	v_add_nc_u32_e32 v102, v102, v103
	s_delay_alu instid0(VALU_DEP_1) | instskip(NEXT) | instid1(VALU_DEP_1)
	v_mov_b32_dpp v103, v102 row_shr:8 row_mask:0xf bank_mask:0xf
	v_cndmask_b32_e64 v103, 0, v103, s10
	s_delay_alu instid0(VALU_DEP_1)
	v_add_nc_u32_e32 v102, v102, v103
	ds_store_b32 v101, v102
.LBB85_50:
	s_wait_alu 0xfffe
	s_or_b32 exec_lo, exec_lo, s15
	v_mov_b32_e32 v101, 0
	s_mov_b32 s8, exec_lo
	s_wait_loadcnt_dscnt 0x0
	s_barrier_signal -1
	s_barrier_wait -1
	global_inv scope:SCOPE_SE
	v_cmpx_lt_u32_e32 31, v44
; %bb.51:
	v_lshl_add_u32 v101, v62, 2, -4
	ds_load_b32 v101, v101
; %bb.52:
	s_wait_alu 0xfffe
	s_or_b32 exec_lo, exec_lo, s8
	v_sub_co_u32 v102, vcc_lo, v67, 1
	s_wait_dscnt 0x0
	v_add_nc_u32_e32 v36, v101, v36
	s_delay_alu instid0(VALU_DEP_2) | instskip(SKIP_1) | instid1(VALU_DEP_1)
	v_cmp_gt_i32_e64 s8, 0, v102
	s_wait_alu 0xf1ff
	v_cndmask_b32_e64 v102, v102, v67, s8
	s_delay_alu instid0(VALU_DEP_1)
	v_lshlrev_b32_e32 v102, 2, v102
	ds_bpermute_b32 v36, v102, v36
	s_wait_dscnt 0x0
	s_wait_alu 0xfffd
	v_cndmask_b32_e32 v36, v36, v101, vcc_lo
	v_cmp_ne_u32_e32 vcc_lo, 0, v44
	s_wait_alu 0xfffd
	s_delay_alu instid0(VALU_DEP_2) | instskip(NEXT) | instid1(VALU_DEP_1)
	v_cndmask_b32_e32 v36, 0, v36, vcc_lo
	v_add_nc_u32_e32 v37, v36, v37
	s_delay_alu instid0(VALU_DEP_1) | instskip(NEXT) | instid1(VALU_DEP_1)
	v_add_nc_u32_e32 v38, v37, v38
	v_add_nc_u32_e32 v39, v38, v39
	s_delay_alu instid0(VALU_DEP_1) | instskip(NEXT) | instid1(VALU_DEP_1)
	v_add_nc_u32_e32 v101, v39, v40
	;; [unrolled: 3-line block ×3, first 2 shown]
	v_add_nc_u32_e32 v104, v103, v35
	ds_store_b128 v66, v[36:39] offset:64
	ds_store_b128 v66, v[101:104] offset:80
	s_wait_loadcnt_dscnt 0x0
	s_barrier_signal -1
	s_barrier_wait -1
	global_inv scope:SCOPE_SE
	ds_load_b32 v33, v79 offset:64
	ds_load_b32 v34, v82 offset:64
	;; [unrolled: 1-line block ×8, first 2 shown]
	v_mad_u32_u24 v79, v44, 56, v57
	s_wait_loadcnt_dscnt 0x0
	s_barrier_signal -1
	s_barrier_wait -1
	global_inv scope:SCOPE_SE
	v_add_nc_u32_e32 v78, v33, v78
	v_add3_u32 v80, v81, v80, v34
	v_add3_u32 v35, v84, v83, v35
	;; [unrolled: 1-line block ×7, first 2 shown]
	ds_store_b8 v78, v0
	ds_store_b8 v80, v71
	;; [unrolled: 1-line block ×8, first 2 shown]
	v_lshlrev_b32_e32 v0, 3, v78
	v_lshlrev_b32_e32 v71, 3, v80
	;; [unrolled: 1-line block ×5, first 2 shown]
	s_wait_loadcnt_dscnt 0x0
	s_barrier_signal -1
	s_barrier_wait -1
	global_inv scope:SCOPE_SE
	ds_load_b64 v[33:34], v57
	s_wait_loadcnt_dscnt 0x0
	s_barrier_signal -1
	s_barrier_wait -1
	global_inv scope:SCOPE_SE
	v_lshlrev_b32_e32 v38, 3, v38
	v_lshlrev_b32_e32 v39, 3, v39
	v_lshlrev_b32_e32 v40, 3, v40
	ds_store_b64 v0, v[25:26]
	ds_store_b64 v71, v[27:28]
	;; [unrolled: 1-line block ×8, first 2 shown]
	s_wait_loadcnt_dscnt 0x0
	s_barrier_signal -1
	s_barrier_wait -1
	global_inv scope:SCOPE_SE
	ds_load_b128 v[29:32], v79
	ds_load_b128 v[25:28], v79 offset:16
	ds_load_b128 v[21:24], v79 offset:32
	;; [unrolled: 1-line block ×3, first 2 shown]
	s_branch .LBB85_84
.LBB85_53:
	v_lshlrev_b64_e32 v[1:2], 3, v[41:42]
	v_dual_mov_b32 v43, v42 :: v_dual_mov_b32 v10, v42
	v_dual_mov_b32 v9, v42 :: v_dual_mov_b32 v12, v42
	v_mov_b32_e32 v11, v42
	s_wait_alu 0xfffe
	s_delay_alu instid0(VALU_DEP_4) | instskip(NEXT) | instid1(VALU_DEP_1)
	v_add_co_u32 v1, vcc_lo, s12, v1
	v_add_co_ci_u32_e64 v2, null, s13, v2, vcc_lo
	v_dual_mov_b32 v3, v42 :: v_dual_mov_b32 v6, v42
	v_dual_mov_b32 v5, v42 :: v_dual_mov_b32 v8, v42
	global_load_b64 v[13:14], v[1:2], off
	v_dual_mov_b32 v1, v42 :: v_dual_mov_b32 v4, v42
	v_dual_mov_b32 v2, v42 :: v_dual_mov_b32 v7, v42
	s_or_b32 exec_lo, exec_lo, s9
	s_and_saveexec_b32 s9, s1
	s_cbranch_execz .LBB85_22
.LBB85_54:
	v_mul_lo_u32 v30, s16, v28
	v_mov_b32_e32 v31, 0
	s_delay_alu instid0(VALU_DEP_1) | instskip(NEXT) | instid1(VALU_DEP_1)
	v_lshlrev_b64_e32 v[30:31], 3, v[30:31]
	v_add_co_u32 v30, vcc_lo, s12, v30
	s_wait_alu 0xfffd
	s_delay_alu instid0(VALU_DEP_2)
	v_add_co_ci_u32_e64 v31, null, s13, v31, vcc_lo
	global_load_b64 v[42:43], v[30:31], off
	s_wait_alu 0xfffe
	s_or_b32 exec_lo, exec_lo, s9
	s_and_saveexec_b32 s9, s2
	s_cbranch_execz .LBB85_23
.LBB85_55:
	v_mul_lo_u32 v9, s16, v24
	v_mov_b32_e32 v10, 0
	s_delay_alu instid0(VALU_DEP_1) | instskip(NEXT) | instid1(VALU_DEP_1)
	v_lshlrev_b64_e32 v[9:10], 3, v[9:10]
	v_add_co_u32 v9, vcc_lo, s12, v9
	s_wait_alu 0xfffd
	s_delay_alu instid0(VALU_DEP_2)
	v_add_co_ci_u32_e64 v10, null, s13, v10, vcc_lo
	global_load_b64 v[9:10], v[9:10], off
	s_wait_alu 0xfffe
	s_or_b32 exec_lo, exec_lo, s9
	s_and_saveexec_b32 s9, s3
	s_cbranch_execz .LBB85_24
.LBB85_56:
	v_mul_lo_u32 v11, s16, v21
	v_mov_b32_e32 v12, 0
	s_delay_alu instid0(VALU_DEP_1) | instskip(NEXT) | instid1(VALU_DEP_1)
	v_lshlrev_b64_e32 v[11:12], 3, v[11:12]
	v_add_co_u32 v11, vcc_lo, s12, v11
	s_wait_alu 0xfffd
	s_delay_alu instid0(VALU_DEP_2)
	v_add_co_ci_u32_e64 v12, null, s13, v12, vcc_lo
	global_load_b64 v[11:12], v[11:12], off
	s_wait_alu 0xfffe
	s_or_b32 exec_lo, exec_lo, s9
	s_and_saveexec_b32 s9, s4
	s_cbranch_execz .LBB85_25
.LBB85_57:
	v_mul_lo_u32 v1, s16, v19
	v_mov_b32_e32 v2, 0
	s_delay_alu instid0(VALU_DEP_1) | instskip(NEXT) | instid1(VALU_DEP_1)
	v_lshlrev_b64_e32 v[1:2], 3, v[1:2]
	v_add_co_u32 v1, vcc_lo, s12, v1
	s_wait_alu 0xfffd
	s_delay_alu instid0(VALU_DEP_2)
	v_add_co_ci_u32_e64 v2, null, s13, v2, vcc_lo
	global_load_b64 v[1:2], v[1:2], off
	s_wait_alu 0xfffe
	s_or_b32 exec_lo, exec_lo, s9
	s_and_saveexec_b32 s9, s5
	s_cbranch_execz .LBB85_26
.LBB85_58:
	v_mul_lo_u32 v3, s16, v17
	v_mov_b32_e32 v4, 0
	s_delay_alu instid0(VALU_DEP_1) | instskip(NEXT) | instid1(VALU_DEP_1)
	v_lshlrev_b64_e32 v[3:4], 3, v[3:4]
	v_add_co_u32 v3, vcc_lo, s12, v3
	s_wait_alu 0xfffd
	s_delay_alu instid0(VALU_DEP_2)
	v_add_co_ci_u32_e64 v4, null, s13, v4, vcc_lo
	global_load_b64 v[3:4], v[3:4], off
	s_wait_alu 0xfffe
	s_or_b32 exec_lo, exec_lo, s9
	s_and_saveexec_b32 s9, s6
	s_cbranch_execz .LBB85_27
.LBB85_59:
	v_mul_lo_u32 v5, s16, v16
	v_mov_b32_e32 v6, 0
	s_delay_alu instid0(VALU_DEP_1) | instskip(NEXT) | instid1(VALU_DEP_1)
	v_lshlrev_b64_e32 v[5:6], 3, v[5:6]
	v_add_co_u32 v5, vcc_lo, s12, v5
	s_wait_alu 0xfffd
	s_delay_alu instid0(VALU_DEP_2)
	v_add_co_ci_u32_e64 v6, null, s13, v6, vcc_lo
	global_load_b64 v[5:6], v[5:6], off
	s_wait_alu 0xfffe
	s_or_b32 exec_lo, exec_lo, s9
	s_and_saveexec_b32 s9, s7
	s_cbranch_execnz .LBB85_28
	s_branch .LBB85_29
.LBB85_60:
                                        ; implicit-def: $vgpr19_vgpr20
                                        ; implicit-def: $vgpr23_vgpr24
                                        ; implicit-def: $vgpr27_vgpr28
                                        ; implicit-def: $vgpr31_vgpr32
                                        ; implicit-def: $vgpr34
	s_cbranch_execz .LBB85_84
; %bb.61:
	v_or_b32_e32 v0, v67, v68
	s_getpc_b64 s[8:9]
	s_wait_alu 0xfffe
	s_sext_i32_i16 s9, s9
	s_add_co_u32 s8, s8, _ZN7rocprim17ROCPRIM_400000_NS16block_radix_sortIhLj512ELj8ElLj1ELj1ELj0ELNS0_26block_radix_rank_algorithmE1ELNS0_18block_padding_hintE2ELNS0_4arch9wavefront6targetE0EE19radix_bits_per_passE@rel32@lo+12
	s_wait_alu 0xfffe
	s_add_co_ci_u32 s9, s9, _ZN7rocprim17ROCPRIM_400000_NS16block_radix_sortIhLj512ELj8ElLj1ELj1ELj0ELNS0_26block_radix_rank_algorithmE1ELNS0_18block_padding_hintE2ELNS0_4arch9wavefront6targetE0EE19radix_bits_per_passE@rel32@hi+24
	s_wait_dscnt 0x0
	v_not_b32_e32 v18, v46
	s_load_b32 s8, s[8:9], 0x0
	v_not_b32_e32 v17, v45
	v_lshlrev_b32_e32 v19, 3, v0
	v_and_or_b32 v20, 0x1f00, v57, v67
	ds_store_b64 v19, v[17:18]
	; wave barrier
	ds_load_u8 v24, v20
	v_mad_u32_u24 v0, v0, 56, v19
	ds_load_u8 v25, v20 offset:32
	ds_load_u8 v26, v20 offset:64
	;; [unrolled: 1-line block ×7, first 2 shown]
	s_wait_loadcnt_dscnt 0x0
	s_barrier_signal -1
	s_barrier_wait -1
	global_inv scope:SCOPE_SE
	ds_store_b128 v0, v[13:16]
	ds_store_b128 v0, v[9:12] offset:16
	v_mad_u32_u24 v17, v20, 7, v20
	ds_store_b128 v0, v[5:8] offset:32
	ds_store_b128 v0, v[1:4] offset:48
	s_wait_kmcnt 0x0
	s_min_u32 s8, s8, 8
	s_wait_alu 0xfffe
	s_lshl_b32 s8, -1, s8
	; wave barrier
	s_wait_alu 0xfffe
	s_not_b32 s9, s8
	ds_load_2addr_b64 v[0:3], v17 offset1:32
	ds_load_2addr_b64 v[8:11], v17 offset0:64 offset1:96
	ds_load_2addr_b64 v[4:7], v17 offset0:128 offset1:160
	s_wait_alu 0xfffe
	v_and_b32_e32 v22, s9, v24
	s_delay_alu instid0(VALU_DEP_1) | instskip(SKIP_2) | instid1(VALU_DEP_3)
	v_and_b32_e32 v12, 1, v22
	v_lshlrev_b32_e32 v16, 30, v22
	v_lshlrev_b32_e32 v20, 28, v22
	v_add_co_u32 v18, s8, v12, -1
	s_wait_alu 0xf1ff
	v_cndmask_b32_e64 v19, 0, 1, s8
	ds_load_2addr_b64 v[12:15], v17 offset0:192 offset1:224
	v_not_b32_e32 v17, v16
	v_cmp_gt_i32_e64 s8, 0, v16
	s_wait_loadcnt_dscnt 0x0
	v_cmp_ne_u32_e32 vcc_lo, 0, v19
	v_lshlrev_b32_e32 v19, 29, v22
	v_ashrrev_i32_e32 v16, 31, v17
	s_barrier_signal -1
	s_barrier_wait -1
	s_wait_alu 0xfffd
	v_xor_b32_e32 v17, vcc_lo, v18
	global_inv scope:SCOPE_SE
	s_wait_alu 0xf1ff
	v_xor_b32_e32 v16, s8, v16
	s_load_b32 s8, s[20:21], 0xc
	s_mov_b32 s20, 0
	v_not_b32_e32 v18, v19
	s_wait_alu 0xfffe
	s_mov_b32 s21, s20
	s_mov_b32 s22, s20
	;; [unrolled: 1-line block ×3, first 2 shown]
	v_and_b32_e32 v17, exec_lo, v17
	v_cmp_gt_i32_e32 vcc_lo, 0, v19
	v_ashrrev_i32_e32 v18, 31, v18
	v_not_b32_e32 v19, v20
	s_delay_alu instid0(VALU_DEP_4)
	v_and_b32_e32 v16, v17, v16
	v_lshlrev_b32_e32 v17, 27, v22
	s_wait_alu 0xfffd
	v_xor_b32_e32 v18, vcc_lo, v18
	v_cmp_gt_i32_e32 vcc_lo, 0, v20
	v_ashrrev_i32_e32 v19, 31, v19
	v_not_b32_e32 v20, v17
	s_delay_alu instid0(VALU_DEP_4)
	v_and_b32_e32 v16, v16, v18
	v_lshlrev_b32_e32 v18, 26, v22
	s_wait_alu 0xfffd
	v_xor_b32_e32 v19, vcc_lo, v19
	v_cmp_gt_i32_e32 vcc_lo, 0, v17
	v_ashrrev_i32_e32 v17, 31, v20
	s_wait_kmcnt 0x0
	s_lshr_b32 s10, s8, 16
	v_not_b32_e32 v20, v18
	v_and_b32_e32 v16, v16, v19
	v_lshlrev_b32_e32 v19, 25, v22
	s_wait_alu 0xfffd
	v_xor_b32_e32 v17, vcc_lo, v17
	v_cmp_gt_i32_e32 vcc_lo, 0, v18
	v_ashrrev_i32_e32 v18, 31, v20
	v_mad_u32_u24 v21, v70, s10, v69
	v_not_b32_e32 v20, v19
	v_and_b32_e32 v16, v16, v17
	v_lshlrev_b32_e32 v17, 24, v22
	s_wait_alu 0xfffd
	v_xor_b32_e32 v18, vcc_lo, v18
	v_cmp_gt_i32_e32 vcc_lo, 0, v19
	v_ashrrev_i32_e32 v19, 31, v20
	s_and_b32 s8, s8, 0xffff
	v_not_b32_e32 v20, v17
	v_and_b32_e32 v18, v16, v18
	s_wait_alu 0xfffd
	v_xor_b32_e32 v19, vcc_lo, v19
	v_cmp_gt_i32_e32 vcc_lo, 0, v17
	v_ashrrev_i32_e32 v20, 31, v20
	s_wait_alu 0xfffe
	v_mad_co_u64_u32 v[16:17], null, v21, s8, v[44:45]
	v_and_b32_e32 v17, v18, v19
	s_wait_alu 0xfffd
	v_xor_b32_e32 v23, vcc_lo, v20
	v_dual_mov_b32 v18, s20 :: v_dual_mov_b32 v19, s21
	v_dual_mov_b32 v20, s22 :: v_dual_mov_b32 v21, s23
	s_delay_alu instid0(VALU_DEP_3)
	v_and_b32_e32 v17, v17, v23
	v_and_b32_e32 v22, 0xff, v22
	v_lshrrev_b32_e32 v16, 3, v16
	ds_store_b128 v66, v[18:21] offset:64
	ds_store_b128 v66, v[18:21] offset:80
	v_mbcnt_lo_u32_b32 v32, v17, 0
	v_lshlrev_b32_e32 v18, 6, v22
	v_and_b32_e32 v16, 0x1ffffffc, v16
	v_cmp_ne_u32_e64 s8, 0, v17
	s_wait_loadcnt_dscnt 0x0
	v_cmp_eq_u32_e32 vcc_lo, 0, v32
	s_barrier_signal -1
	v_add_nc_u32_e32 v33, v16, v18
	s_barrier_wait -1
	global_inv scope:SCOPE_SE
	s_and_b32 s10, s8, vcc_lo
	; wave barrier
	s_wait_alu 0xfffe
	s_and_saveexec_b32 s8, s10
; %bb.62:
	v_bcnt_u32_b32 v17, v17, 0
	ds_store_b32 v33, v17 offset:64
; %bb.63:
	s_wait_alu 0xfffe
	s_or_b32 exec_lo, exec_lo, s8
	v_and_b32_e32 v17, s9, v25
	; wave barrier
	s_delay_alu instid0(VALU_DEP_1)
	v_and_b32_e32 v19, 1, v17
	v_lshlrev_b32_e32 v20, 30, v17
	v_lshlrev_b32_e32 v21, 29, v17
	v_lshlrev_b32_e32 v22, 28, v17
	v_lshlrev_b32_e32 v34, 27, v17
	v_add_co_u32 v19, s8, v19, -1
	s_wait_alu 0xf1ff
	v_cndmask_b32_e64 v23, 0, 1, s8
	v_not_b32_e32 v37, v20
	v_cmp_gt_i32_e64 s8, 0, v20
	v_not_b32_e32 v20, v21
	v_lshlrev_b32_e32 v35, 26, v17
	v_cmp_ne_u32_e32 vcc_lo, 0, v23
	v_ashrrev_i32_e32 v23, 31, v37
	v_lshlrev_b32_e32 v36, 25, v17
	v_ashrrev_i32_e32 v20, 31, v20
	v_and_b32_e32 v18, 0xff, v17
	s_wait_alu 0xfffd
	v_xor_b32_e32 v19, vcc_lo, v19
	v_cmp_gt_i32_e32 vcc_lo, 0, v21
	v_not_b32_e32 v21, v22
	s_wait_alu 0xf1ff
	v_xor_b32_e32 v23, s8, v23
	v_cmp_gt_i32_e64 s8, 0, v22
	v_and_b32_e32 v19, exec_lo, v19
	v_not_b32_e32 v22, v34
	v_ashrrev_i32_e32 v21, 31, v21
	s_wait_alu 0xfffd
	v_xor_b32_e32 v20, vcc_lo, v20
	v_cmp_gt_i32_e32 vcc_lo, 0, v34
	v_and_b32_e32 v19, v19, v23
	v_not_b32_e32 v23, v35
	v_ashrrev_i32_e32 v22, 31, v22
	s_wait_alu 0xf1ff
	v_xor_b32_e32 v21, s8, v21
	v_lshlrev_b32_e32 v17, 24, v17
	v_and_b32_e32 v19, v19, v20
	v_cmp_gt_i32_e64 s8, 0, v35
	v_not_b32_e32 v20, v36
	v_ashrrev_i32_e32 v23, 31, v23
	s_wait_alu 0xfffd
	v_xor_b32_e32 v22, vcc_lo, v22
	v_and_b32_e32 v19, v19, v21
	v_cmp_gt_i32_e32 vcc_lo, 0, v36
	v_not_b32_e32 v21, v17
	v_ashrrev_i32_e32 v20, 31, v20
	s_wait_alu 0xf1ff
	v_xor_b32_e32 v23, s8, v23
	v_and_b32_e32 v19, v19, v22
	v_lshlrev_b32_e32 v18, 6, v18
	v_cmp_gt_i32_e64 s8, 0, v17
	v_ashrrev_i32_e32 v17, 31, v21
	s_wait_alu 0xfffd
	v_xor_b32_e32 v20, vcc_lo, v20
	v_and_b32_e32 v19, v19, v23
	v_add_nc_u32_e32 v36, v16, v18
	s_wait_alu 0xf1ff
	v_xor_b32_e32 v17, s8, v17
	s_delay_alu instid0(VALU_DEP_3) | instskip(SKIP_2) | instid1(VALU_DEP_1)
	v_and_b32_e32 v18, v19, v20
	ds_load_b32 v34, v36 offset:64
	; wave barrier
	v_and_b32_e32 v17, v18, v17
	v_mbcnt_lo_u32_b32 v35, v17, 0
	v_cmp_ne_u32_e64 s8, 0, v17
	s_delay_alu instid0(VALU_DEP_2)
	v_cmp_eq_u32_e32 vcc_lo, 0, v35
	s_and_b32 s10, s8, vcc_lo
	s_wait_alu 0xfffe
	s_and_saveexec_b32 s8, s10
	s_cbranch_execz .LBB85_65
; %bb.64:
	s_wait_dscnt 0x0
	v_bcnt_u32_b32 v17, v17, v34
	ds_store_b32 v36, v17 offset:64
.LBB85_65:
	s_wait_alu 0xfffe
	s_or_b32 exec_lo, exec_lo, s8
	v_and_b32_e32 v17, s9, v26
	; wave barrier
	s_delay_alu instid0(VALU_DEP_1)
	v_and_b32_e32 v19, 1, v17
	v_lshlrev_b32_e32 v20, 30, v17
	v_lshlrev_b32_e32 v21, 29, v17
	;; [unrolled: 1-line block ×4, first 2 shown]
	v_add_co_u32 v19, s8, v19, -1
	s_wait_alu 0xf1ff
	v_cndmask_b32_e64 v23, 0, 1, s8
	v_not_b32_e32 v40, v20
	v_cmp_gt_i32_e64 s8, 0, v20
	v_not_b32_e32 v20, v21
	v_lshlrev_b32_e32 v38, 26, v17
	v_cmp_ne_u32_e32 vcc_lo, 0, v23
	v_ashrrev_i32_e32 v23, 31, v40
	v_lshlrev_b32_e32 v39, 25, v17
	v_ashrrev_i32_e32 v20, 31, v20
	v_and_b32_e32 v18, 0xff, v17
	s_wait_alu 0xfffd
	v_xor_b32_e32 v19, vcc_lo, v19
	v_cmp_gt_i32_e32 vcc_lo, 0, v21
	v_not_b32_e32 v21, v22
	s_wait_alu 0xf1ff
	v_xor_b32_e32 v23, s8, v23
	v_cmp_gt_i32_e64 s8, 0, v22
	v_and_b32_e32 v19, exec_lo, v19
	v_not_b32_e32 v22, v37
	v_ashrrev_i32_e32 v21, 31, v21
	s_wait_alu 0xfffd
	v_xor_b32_e32 v20, vcc_lo, v20
	v_cmp_gt_i32_e32 vcc_lo, 0, v37
	v_and_b32_e32 v19, v19, v23
	v_not_b32_e32 v23, v38
	v_ashrrev_i32_e32 v22, 31, v22
	s_wait_alu 0xf1ff
	v_xor_b32_e32 v21, s8, v21
	v_lshlrev_b32_e32 v17, 24, v17
	v_and_b32_e32 v19, v19, v20
	v_cmp_gt_i32_e64 s8, 0, v38
	v_not_b32_e32 v20, v39
	v_ashrrev_i32_e32 v23, 31, v23
	s_wait_alu 0xfffd
	v_xor_b32_e32 v22, vcc_lo, v22
	v_and_b32_e32 v19, v19, v21
	v_cmp_gt_i32_e32 vcc_lo, 0, v39
	v_not_b32_e32 v21, v17
	v_ashrrev_i32_e32 v20, 31, v20
	s_wait_alu 0xf1ff
	v_xor_b32_e32 v23, s8, v23
	v_and_b32_e32 v19, v19, v22
	v_lshlrev_b32_e32 v18, 6, v18
	v_cmp_gt_i32_e64 s8, 0, v17
	v_ashrrev_i32_e32 v17, 31, v21
	s_wait_alu 0xfffd
	v_xor_b32_e32 v20, vcc_lo, v20
	v_and_b32_e32 v19, v19, v23
	v_add_nc_u32_e32 v39, v16, v18
	s_wait_alu 0xf1ff
	v_xor_b32_e32 v17, s8, v17
	s_delay_alu instid0(VALU_DEP_3) | instskip(SKIP_2) | instid1(VALU_DEP_1)
	v_and_b32_e32 v18, v19, v20
	ds_load_b32 v37, v39 offset:64
	; wave barrier
	v_and_b32_e32 v17, v18, v17
	v_mbcnt_lo_u32_b32 v38, v17, 0
	v_cmp_ne_u32_e64 s8, 0, v17
	s_delay_alu instid0(VALU_DEP_2)
	v_cmp_eq_u32_e32 vcc_lo, 0, v38
	s_and_b32 s10, s8, vcc_lo
	s_wait_alu 0xfffe
	s_and_saveexec_b32 s8, s10
	s_cbranch_execz .LBB85_67
; %bb.66:
	s_wait_dscnt 0x0
	v_bcnt_u32_b32 v17, v17, v37
	ds_store_b32 v39, v17 offset:64
.LBB85_67:
	s_wait_alu 0xfffe
	s_or_b32 exec_lo, exec_lo, s8
	v_and_b32_e32 v17, s9, v27
	; wave barrier
	s_delay_alu instid0(VALU_DEP_1)
	v_and_b32_e32 v19, 1, v17
	v_lshlrev_b32_e32 v20, 30, v17
	v_lshlrev_b32_e32 v21, 29, v17
	;; [unrolled: 1-line block ×4, first 2 shown]
	v_add_co_u32 v19, s8, v19, -1
	s_wait_alu 0xf1ff
	v_cndmask_b32_e64 v23, 0, 1, s8
	v_not_b32_e32 v69, v20
	v_cmp_gt_i32_e64 s8, 0, v20
	v_not_b32_e32 v20, v21
	v_lshlrev_b32_e32 v45, 26, v17
	v_cmp_ne_u32_e32 vcc_lo, 0, v23
	v_ashrrev_i32_e32 v23, 31, v69
	v_lshlrev_b32_e32 v46, 25, v17
	v_ashrrev_i32_e32 v20, 31, v20
	v_and_b32_e32 v18, 0xff, v17
	s_wait_alu 0xfffd
	v_xor_b32_e32 v19, vcc_lo, v19
	v_cmp_gt_i32_e32 vcc_lo, 0, v21
	v_not_b32_e32 v21, v22
	s_wait_alu 0xf1ff
	v_xor_b32_e32 v23, s8, v23
	v_cmp_gt_i32_e64 s8, 0, v22
	v_and_b32_e32 v19, exec_lo, v19
	v_not_b32_e32 v22, v40
	v_ashrrev_i32_e32 v21, 31, v21
	s_wait_alu 0xfffd
	v_xor_b32_e32 v20, vcc_lo, v20
	v_cmp_gt_i32_e32 vcc_lo, 0, v40
	v_and_b32_e32 v19, v19, v23
	v_not_b32_e32 v23, v45
	v_ashrrev_i32_e32 v22, 31, v22
	s_wait_alu 0xf1ff
	v_xor_b32_e32 v21, s8, v21
	v_lshlrev_b32_e32 v17, 24, v17
	v_and_b32_e32 v19, v19, v20
	v_cmp_gt_i32_e64 s8, 0, v45
	v_not_b32_e32 v20, v46
	v_ashrrev_i32_e32 v23, 31, v23
	s_wait_alu 0xfffd
	v_xor_b32_e32 v22, vcc_lo, v22
	v_and_b32_e32 v19, v19, v21
	v_cmp_gt_i32_e32 vcc_lo, 0, v46
	v_not_b32_e32 v21, v17
	v_ashrrev_i32_e32 v20, 31, v20
	s_wait_alu 0xf1ff
	v_xor_b32_e32 v23, s8, v23
	v_and_b32_e32 v19, v19, v22
	v_lshlrev_b32_e32 v18, 6, v18
	v_cmp_gt_i32_e64 s8, 0, v17
	v_ashrrev_i32_e32 v17, 31, v21
	s_wait_alu 0xfffd
	v_xor_b32_e32 v20, vcc_lo, v20
	v_and_b32_e32 v19, v19, v23
	v_add_nc_u32_e32 v46, v16, v18
	s_wait_alu 0xf1ff
	v_xor_b32_e32 v17, s8, v17
	s_delay_alu instid0(VALU_DEP_3) | instskip(SKIP_2) | instid1(VALU_DEP_1)
	v_and_b32_e32 v18, v19, v20
	ds_load_b32 v40, v46 offset:64
	; wave barrier
	v_and_b32_e32 v17, v18, v17
	v_mbcnt_lo_u32_b32 v45, v17, 0
	v_cmp_ne_u32_e64 s8, 0, v17
	s_delay_alu instid0(VALU_DEP_2)
	v_cmp_eq_u32_e32 vcc_lo, 0, v45
	s_and_b32 s10, s8, vcc_lo
	s_wait_alu 0xfffe
	s_and_saveexec_b32 s8, s10
	s_cbranch_execz .LBB85_69
; %bb.68:
	s_wait_dscnt 0x0
	v_bcnt_u32_b32 v17, v17, v40
	ds_store_b32 v46, v17 offset:64
.LBB85_69:
	s_wait_alu 0xfffe
	s_or_b32 exec_lo, exec_lo, s8
	v_and_b32_e32 v17, s9, v28
	; wave barrier
	s_delay_alu instid0(VALU_DEP_1)
	v_and_b32_e32 v19, 1, v17
	v_lshlrev_b32_e32 v20, 30, v17
	v_lshlrev_b32_e32 v21, 29, v17
	;; [unrolled: 1-line block ×4, first 2 shown]
	v_add_co_u32 v19, s8, v19, -1
	s_wait_alu 0xf1ff
	v_cndmask_b32_e64 v23, 0, 1, s8
	v_not_b32_e32 v72, v20
	v_cmp_gt_i32_e64 s8, 0, v20
	v_not_b32_e32 v20, v21
	v_lshlrev_b32_e32 v70, 26, v17
	v_cmp_ne_u32_e32 vcc_lo, 0, v23
	v_ashrrev_i32_e32 v23, 31, v72
	v_lshlrev_b32_e32 v71, 25, v17
	v_ashrrev_i32_e32 v20, 31, v20
	v_and_b32_e32 v18, 0xff, v17
	s_wait_alu 0xfffd
	v_xor_b32_e32 v19, vcc_lo, v19
	v_cmp_gt_i32_e32 vcc_lo, 0, v21
	v_not_b32_e32 v21, v22
	s_wait_alu 0xf1ff
	v_xor_b32_e32 v23, s8, v23
	v_cmp_gt_i32_e64 s8, 0, v22
	v_and_b32_e32 v19, exec_lo, v19
	v_not_b32_e32 v22, v69
	v_ashrrev_i32_e32 v21, 31, v21
	s_wait_alu 0xfffd
	v_xor_b32_e32 v20, vcc_lo, v20
	v_cmp_gt_i32_e32 vcc_lo, 0, v69
	v_and_b32_e32 v19, v19, v23
	v_not_b32_e32 v23, v70
	v_ashrrev_i32_e32 v22, 31, v22
	s_wait_alu 0xf1ff
	v_xor_b32_e32 v21, s8, v21
	v_lshlrev_b32_e32 v17, 24, v17
	v_and_b32_e32 v19, v19, v20
	v_cmp_gt_i32_e64 s8, 0, v70
	v_not_b32_e32 v20, v71
	v_ashrrev_i32_e32 v23, 31, v23
	s_wait_alu 0xfffd
	v_xor_b32_e32 v22, vcc_lo, v22
	v_and_b32_e32 v19, v19, v21
	v_cmp_gt_i32_e32 vcc_lo, 0, v71
	v_not_b32_e32 v21, v17
	v_ashrrev_i32_e32 v20, 31, v20
	s_wait_alu 0xf1ff
	v_xor_b32_e32 v23, s8, v23
	v_and_b32_e32 v19, v19, v22
	v_lshlrev_b32_e32 v18, 6, v18
	v_cmp_gt_i32_e64 s8, 0, v17
	v_ashrrev_i32_e32 v17, 31, v21
	s_wait_alu 0xfffd
	v_xor_b32_e32 v20, vcc_lo, v20
	v_and_b32_e32 v19, v19, v23
	v_add_nc_u32_e32 v71, v16, v18
	s_wait_alu 0xf1ff
	v_xor_b32_e32 v17, s8, v17
	s_delay_alu instid0(VALU_DEP_3) | instskip(SKIP_2) | instid1(VALU_DEP_1)
	v_and_b32_e32 v18, v19, v20
	ds_load_b32 v69, v71 offset:64
	; wave barrier
	v_and_b32_e32 v17, v18, v17
	v_mbcnt_lo_u32_b32 v70, v17, 0
	v_cmp_ne_u32_e64 s8, 0, v17
	s_delay_alu instid0(VALU_DEP_2)
	v_cmp_eq_u32_e32 vcc_lo, 0, v70
	s_and_b32 s10, s8, vcc_lo
	s_wait_alu 0xfffe
	s_and_saveexec_b32 s8, s10
	s_cbranch_execz .LBB85_71
; %bb.70:
	s_wait_dscnt 0x0
	v_bcnt_u32_b32 v17, v17, v69
	ds_store_b32 v71, v17 offset:64
.LBB85_71:
	s_wait_alu 0xfffe
	s_or_b32 exec_lo, exec_lo, s8
	v_and_b32_e32 v17, s9, v29
	; wave barrier
	s_delay_alu instid0(VALU_DEP_1)
	v_and_b32_e32 v19, 1, v17
	v_lshlrev_b32_e32 v20, 30, v17
	v_lshlrev_b32_e32 v21, 29, v17
	v_lshlrev_b32_e32 v22, 28, v17
	v_lshlrev_b32_e32 v72, 27, v17
	v_add_co_u32 v19, s8, v19, -1
	s_wait_alu 0xf1ff
	v_cndmask_b32_e64 v23, 0, 1, s8
	v_not_b32_e32 v75, v20
	v_cmp_gt_i32_e64 s8, 0, v20
	v_not_b32_e32 v20, v21
	v_lshlrev_b32_e32 v73, 26, v17
	v_cmp_ne_u32_e32 vcc_lo, 0, v23
	v_ashrrev_i32_e32 v23, 31, v75
	v_lshlrev_b32_e32 v74, 25, v17
	v_ashrrev_i32_e32 v20, 31, v20
	v_and_b32_e32 v18, 0xff, v17
	s_wait_alu 0xfffd
	v_xor_b32_e32 v19, vcc_lo, v19
	v_cmp_gt_i32_e32 vcc_lo, 0, v21
	v_not_b32_e32 v21, v22
	s_wait_alu 0xf1ff
	v_xor_b32_e32 v23, s8, v23
	v_cmp_gt_i32_e64 s8, 0, v22
	v_and_b32_e32 v19, exec_lo, v19
	v_not_b32_e32 v22, v72
	v_ashrrev_i32_e32 v21, 31, v21
	s_wait_alu 0xfffd
	v_xor_b32_e32 v20, vcc_lo, v20
	v_cmp_gt_i32_e32 vcc_lo, 0, v72
	v_and_b32_e32 v19, v19, v23
	v_not_b32_e32 v23, v73
	v_ashrrev_i32_e32 v22, 31, v22
	s_wait_alu 0xf1ff
	v_xor_b32_e32 v21, s8, v21
	v_lshlrev_b32_e32 v17, 24, v17
	v_and_b32_e32 v19, v19, v20
	v_cmp_gt_i32_e64 s8, 0, v73
	v_not_b32_e32 v20, v74
	v_ashrrev_i32_e32 v23, 31, v23
	s_wait_alu 0xfffd
	v_xor_b32_e32 v22, vcc_lo, v22
	v_and_b32_e32 v19, v19, v21
	v_cmp_gt_i32_e32 vcc_lo, 0, v74
	v_not_b32_e32 v21, v17
	v_ashrrev_i32_e32 v20, 31, v20
	s_wait_alu 0xf1ff
	v_xor_b32_e32 v23, s8, v23
	v_and_b32_e32 v19, v19, v22
	v_lshlrev_b32_e32 v18, 6, v18
	v_cmp_gt_i32_e64 s8, 0, v17
	v_ashrrev_i32_e32 v17, 31, v21
	s_wait_alu 0xfffd
	v_xor_b32_e32 v20, vcc_lo, v20
	v_and_b32_e32 v19, v19, v23
	v_add_nc_u32_e32 v74, v16, v18
	s_wait_alu 0xf1ff
	v_xor_b32_e32 v17, s8, v17
	s_delay_alu instid0(VALU_DEP_3) | instskip(SKIP_2) | instid1(VALU_DEP_1)
	v_and_b32_e32 v18, v19, v20
	ds_load_b32 v72, v74 offset:64
	; wave barrier
	v_and_b32_e32 v17, v18, v17
	v_mbcnt_lo_u32_b32 v73, v17, 0
	v_cmp_ne_u32_e64 s8, 0, v17
	s_delay_alu instid0(VALU_DEP_2)
	v_cmp_eq_u32_e32 vcc_lo, 0, v73
	s_and_b32 s10, s8, vcc_lo
	s_wait_alu 0xfffe
	s_and_saveexec_b32 s8, s10
	s_cbranch_execz .LBB85_73
; %bb.72:
	s_wait_dscnt 0x0
	v_bcnt_u32_b32 v17, v17, v72
	ds_store_b32 v74, v17 offset:64
.LBB85_73:
	s_wait_alu 0xfffe
	s_or_b32 exec_lo, exec_lo, s8
	v_and_b32_e32 v17, s9, v30
	; wave barrier
	s_delay_alu instid0(VALU_DEP_1)
	v_and_b32_e32 v19, 1, v17
	v_lshlrev_b32_e32 v20, 30, v17
	v_lshlrev_b32_e32 v21, 29, v17
	;; [unrolled: 1-line block ×4, first 2 shown]
	v_add_co_u32 v19, s8, v19, -1
	s_wait_alu 0xf1ff
	v_cndmask_b32_e64 v23, 0, 1, s8
	v_not_b32_e32 v78, v20
	v_cmp_gt_i32_e64 s8, 0, v20
	v_not_b32_e32 v20, v21
	v_lshlrev_b32_e32 v76, 26, v17
	v_cmp_ne_u32_e32 vcc_lo, 0, v23
	v_ashrrev_i32_e32 v23, 31, v78
	v_lshlrev_b32_e32 v77, 25, v17
	v_ashrrev_i32_e32 v20, 31, v20
	v_and_b32_e32 v18, 0xff, v17
	s_wait_alu 0xfffd
	v_xor_b32_e32 v19, vcc_lo, v19
	v_cmp_gt_i32_e32 vcc_lo, 0, v21
	v_not_b32_e32 v21, v22
	s_wait_alu 0xf1ff
	v_xor_b32_e32 v23, s8, v23
	v_cmp_gt_i32_e64 s8, 0, v22
	v_and_b32_e32 v19, exec_lo, v19
	v_not_b32_e32 v22, v75
	v_ashrrev_i32_e32 v21, 31, v21
	s_wait_alu 0xfffd
	v_xor_b32_e32 v20, vcc_lo, v20
	v_cmp_gt_i32_e32 vcc_lo, 0, v75
	v_and_b32_e32 v19, v19, v23
	v_not_b32_e32 v23, v76
	v_ashrrev_i32_e32 v22, 31, v22
	s_wait_alu 0xf1ff
	v_xor_b32_e32 v21, s8, v21
	v_lshlrev_b32_e32 v17, 24, v17
	v_and_b32_e32 v19, v19, v20
	v_cmp_gt_i32_e64 s8, 0, v76
	v_not_b32_e32 v20, v77
	v_ashrrev_i32_e32 v23, 31, v23
	s_wait_alu 0xfffd
	v_xor_b32_e32 v22, vcc_lo, v22
	v_and_b32_e32 v19, v19, v21
	v_cmp_gt_i32_e32 vcc_lo, 0, v77
	v_not_b32_e32 v21, v17
	v_ashrrev_i32_e32 v20, 31, v20
	s_wait_alu 0xf1ff
	v_xor_b32_e32 v23, s8, v23
	v_and_b32_e32 v19, v19, v22
	v_lshlrev_b32_e32 v18, 6, v18
	v_cmp_gt_i32_e64 s8, 0, v17
	v_ashrrev_i32_e32 v17, 31, v21
	s_wait_alu 0xfffd
	v_xor_b32_e32 v20, vcc_lo, v20
	v_and_b32_e32 v19, v19, v23
	v_add_nc_u32_e32 v77, v16, v18
	s_wait_alu 0xf1ff
	v_xor_b32_e32 v17, s8, v17
	s_delay_alu instid0(VALU_DEP_3) | instskip(SKIP_2) | instid1(VALU_DEP_1)
	v_and_b32_e32 v18, v19, v20
	ds_load_b32 v75, v77 offset:64
	; wave barrier
	v_and_b32_e32 v17, v18, v17
	v_mbcnt_lo_u32_b32 v76, v17, 0
	v_cmp_ne_u32_e64 s8, 0, v17
	s_delay_alu instid0(VALU_DEP_2)
	v_cmp_eq_u32_e32 vcc_lo, 0, v76
	s_and_b32 s10, s8, vcc_lo
	s_wait_alu 0xfffe
	s_and_saveexec_b32 s8, s10
	s_cbranch_execz .LBB85_75
; %bb.74:
	s_wait_dscnt 0x0
	v_bcnt_u32_b32 v17, v17, v75
	ds_store_b32 v77, v17 offset:64
.LBB85_75:
	s_wait_alu 0xfffe
	s_or_b32 exec_lo, exec_lo, s8
	v_and_b32_e32 v17, s9, v31
	; wave barrier
	s_delay_alu instid0(VALU_DEP_1)
	v_and_b32_e32 v19, 1, v17
	v_lshlrev_b32_e32 v20, 30, v17
	v_lshlrev_b32_e32 v21, 29, v17
	;; [unrolled: 1-line block ×4, first 2 shown]
	v_add_co_u32 v19, s8, v19, -1
	s_wait_alu 0xf1ff
	v_cndmask_b32_e64 v23, 0, 1, s8
	v_not_b32_e32 v81, v20
	v_cmp_gt_i32_e64 s8, 0, v20
	v_not_b32_e32 v20, v21
	v_lshlrev_b32_e32 v79, 26, v17
	v_cmp_ne_u32_e32 vcc_lo, 0, v23
	v_ashrrev_i32_e32 v23, 31, v81
	v_lshlrev_b32_e32 v80, 25, v17
	v_ashrrev_i32_e32 v20, 31, v20
	v_and_b32_e32 v18, 0xff, v17
	s_wait_alu 0xfffd
	v_xor_b32_e32 v19, vcc_lo, v19
	v_cmp_gt_i32_e32 vcc_lo, 0, v21
	v_not_b32_e32 v21, v22
	s_wait_alu 0xf1ff
	v_xor_b32_e32 v23, s8, v23
	v_cmp_gt_i32_e64 s8, 0, v22
	v_and_b32_e32 v19, exec_lo, v19
	v_not_b32_e32 v22, v78
	v_ashrrev_i32_e32 v21, 31, v21
	s_wait_alu 0xfffd
	v_xor_b32_e32 v20, vcc_lo, v20
	v_cmp_gt_i32_e32 vcc_lo, 0, v78
	v_and_b32_e32 v19, v19, v23
	v_not_b32_e32 v23, v79
	v_ashrrev_i32_e32 v22, 31, v22
	s_wait_alu 0xf1ff
	v_xor_b32_e32 v21, s8, v21
	v_lshlrev_b32_e32 v17, 24, v17
	v_and_b32_e32 v19, v19, v20
	v_cmp_gt_i32_e64 s8, 0, v79
	v_not_b32_e32 v20, v80
	v_ashrrev_i32_e32 v23, 31, v23
	s_wait_alu 0xfffd
	v_xor_b32_e32 v22, vcc_lo, v22
	v_and_b32_e32 v19, v19, v21
	v_cmp_gt_i32_e32 vcc_lo, 0, v80
	v_not_b32_e32 v21, v17
	v_ashrrev_i32_e32 v20, 31, v20
	s_wait_alu 0xf1ff
	v_xor_b32_e32 v23, s8, v23
	v_and_b32_e32 v19, v19, v22
	v_lshlrev_b32_e32 v18, 6, v18
	v_cmp_gt_i32_e64 s8, 0, v17
	v_ashrrev_i32_e32 v17, 31, v21
	s_wait_alu 0xfffd
	v_xor_b32_e32 v20, vcc_lo, v20
	v_and_b32_e32 v19, v19, v23
	v_add_nc_u32_e32 v80, v16, v18
	s_wait_alu 0xf1ff
	v_xor_b32_e32 v16, s8, v17
	s_delay_alu instid0(VALU_DEP_3) | instskip(SKIP_2) | instid1(VALU_DEP_1)
	v_and_b32_e32 v17, v19, v20
	ds_load_b32 v78, v80 offset:64
	; wave barrier
	v_and_b32_e32 v16, v17, v16
	v_mbcnt_lo_u32_b32 v79, v16, 0
	v_cmp_ne_u32_e64 s8, 0, v16
	s_delay_alu instid0(VALU_DEP_2)
	v_cmp_eq_u32_e32 vcc_lo, 0, v79
	s_and_b32 s9, s8, vcc_lo
	s_wait_alu 0xfffe
	s_and_saveexec_b32 s8, s9
	s_cbranch_execz .LBB85_77
; %bb.76:
	s_wait_dscnt 0x0
	v_bcnt_u32_b32 v16, v16, v78
	ds_store_b32 v80, v16 offset:64
.LBB85_77:
	s_wait_alu 0xfffe
	s_or_b32 exec_lo, exec_lo, s8
	; wave barrier
	s_wait_loadcnt_dscnt 0x0
	s_barrier_signal -1
	s_barrier_wait -1
	global_inv scope:SCOPE_SE
	ds_load_b128 v[20:23], v66 offset:64
	ds_load_b128 v[16:19], v66 offset:80
	v_min_u32_e32 v68, 0x1e0, v68
	s_mov_b32 s15, exec_lo
	s_delay_alu instid0(VALU_DEP_1) | instskip(SKIP_2) | instid1(VALU_DEP_1)
	v_or_b32_e32 v68, 31, v68
	s_wait_dscnt 0x1
	v_add_nc_u32_e32 v81, v21, v20
	v_add3_u32 v81, v81, v22, v23
	s_wait_dscnt 0x0
	s_delay_alu instid0(VALU_DEP_1) | instskip(NEXT) | instid1(VALU_DEP_1)
	v_add3_u32 v81, v81, v16, v17
	v_add3_u32 v19, v81, v18, v19
	v_and_b32_e32 v81, 15, v67
	s_delay_alu instid0(VALU_DEP_2) | instskip(NEXT) | instid1(VALU_DEP_2)
	v_mov_b32_dpp v82, v19 row_shr:1 row_mask:0xf bank_mask:0xf
	v_cmp_eq_u32_e32 vcc_lo, 0, v81
	v_cmp_lt_u32_e64 s8, 1, v81
	v_cmp_lt_u32_e64 s9, 3, v81
	;; [unrolled: 1-line block ×3, first 2 shown]
	s_wait_alu 0xfffd
	v_cndmask_b32_e64 v82, v82, 0, vcc_lo
	s_delay_alu instid0(VALU_DEP_1) | instskip(NEXT) | instid1(VALU_DEP_1)
	v_add_nc_u32_e32 v19, v82, v19
	v_mov_b32_dpp v82, v19 row_shr:2 row_mask:0xf bank_mask:0xf
	s_wait_alu 0xf1ff
	s_delay_alu instid0(VALU_DEP_1) | instskip(NEXT) | instid1(VALU_DEP_1)
	v_cndmask_b32_e64 v82, 0, v82, s8
	v_add_nc_u32_e32 v19, v19, v82
	s_delay_alu instid0(VALU_DEP_1) | instskip(NEXT) | instid1(VALU_DEP_1)
	v_mov_b32_dpp v82, v19 row_shr:4 row_mask:0xf bank_mask:0xf
	v_cndmask_b32_e64 v82, 0, v82, s9
	s_delay_alu instid0(VALU_DEP_1) | instskip(NEXT) | instid1(VALU_DEP_1)
	v_add_nc_u32_e32 v19, v19, v82
	v_mov_b32_dpp v82, v19 row_shr:8 row_mask:0xf bank_mask:0xf
	s_delay_alu instid0(VALU_DEP_1) | instskip(SKIP_1) | instid1(VALU_DEP_2)
	v_cndmask_b32_e64 v81, 0, v82, s10
	v_bfe_i32 v82, v67, 4, 1
	v_add_nc_u32_e32 v19, v19, v81
	ds_swizzle_b32 v81, v19 offset:swizzle(BROADCAST,32,15)
	s_wait_dscnt 0x0
	v_and_b32_e32 v81, v82, v81
	s_delay_alu instid0(VALU_DEP_1)
	v_add_nc_u32_e32 v19, v19, v81
	v_cmpx_eq_u32_e64 v44, v68
; %bb.78:
	v_lshlrev_b32_e32 v68, 2, v62
	ds_store_b32 v68, v19
; %bb.79:
	s_wait_alu 0xfffe
	s_or_b32 exec_lo, exec_lo, s15
	s_delay_alu instid0(SALU_CYCLE_1)
	s_mov_b32 s15, exec_lo
	s_wait_loadcnt_dscnt 0x0
	s_barrier_signal -1
	s_barrier_wait -1
	global_inv scope:SCOPE_SE
	v_cmpx_gt_u32_e32 16, v44
	s_cbranch_execz .LBB85_81
; %bb.80:
	v_lshlrev_b32_e32 v68, 2, v44
	ds_load_b32 v81, v68
	s_wait_dscnt 0x0
	v_mov_b32_dpp v82, v81 row_shr:1 row_mask:0xf bank_mask:0xf
	s_delay_alu instid0(VALU_DEP_1) | instskip(NEXT) | instid1(VALU_DEP_1)
	v_cndmask_b32_e64 v82, v82, 0, vcc_lo
	v_add_nc_u32_e32 v81, v82, v81
	s_delay_alu instid0(VALU_DEP_1) | instskip(NEXT) | instid1(VALU_DEP_1)
	v_mov_b32_dpp v82, v81 row_shr:2 row_mask:0xf bank_mask:0xf
	v_cndmask_b32_e64 v82, 0, v82, s8
	s_delay_alu instid0(VALU_DEP_1) | instskip(NEXT) | instid1(VALU_DEP_1)
	v_add_nc_u32_e32 v81, v81, v82
	v_mov_b32_dpp v82, v81 row_shr:4 row_mask:0xf bank_mask:0xf
	s_delay_alu instid0(VALU_DEP_1) | instskip(NEXT) | instid1(VALU_DEP_1)
	v_cndmask_b32_e64 v82, 0, v82, s9
	v_add_nc_u32_e32 v81, v81, v82
	s_delay_alu instid0(VALU_DEP_1) | instskip(NEXT) | instid1(VALU_DEP_1)
	v_mov_b32_dpp v82, v81 row_shr:8 row_mask:0xf bank_mask:0xf
	v_cndmask_b32_e64 v82, 0, v82, s10
	s_delay_alu instid0(VALU_DEP_1)
	v_add_nc_u32_e32 v81, v81, v82
	ds_store_b32 v68, v81
.LBB85_81:
	s_wait_alu 0xfffe
	s_or_b32 exec_lo, exec_lo, s15
	v_mov_b32_e32 v68, 0
	s_mov_b32 s8, exec_lo
	s_wait_loadcnt_dscnt 0x0
	s_barrier_signal -1
	s_barrier_wait -1
	global_inv scope:SCOPE_SE
	v_cmpx_lt_u32_e32 31, v44
; %bb.82:
	v_lshl_add_u32 v62, v62, 2, -4
	ds_load_b32 v68, v62
; %bb.83:
	s_wait_alu 0xfffe
	s_or_b32 exec_lo, exec_lo, s8
	v_sub_co_u32 v62, vcc_lo, v67, 1
	s_wait_dscnt 0x0
	v_add_nc_u32_e32 v19, v68, v19
	s_delay_alu instid0(VALU_DEP_2) | instskip(SKIP_1) | instid1(VALU_DEP_1)
	v_cmp_gt_i32_e64 s8, 0, v62
	s_wait_alu 0xf1ff
	v_cndmask_b32_e64 v62, v62, v67, s8
	s_delay_alu instid0(VALU_DEP_1)
	v_lshlrev_b32_e32 v62, 2, v62
	ds_bpermute_b32 v19, v62, v19
	s_wait_dscnt 0x0
	s_wait_alu 0xfffd
	v_cndmask_b32_e32 v19, v19, v68, vcc_lo
	v_cmp_ne_u32_e32 vcc_lo, 0, v44
	s_wait_alu 0xfffd
	s_delay_alu instid0(VALU_DEP_2) | instskip(NEXT) | instid1(VALU_DEP_1)
	v_cndmask_b32_e32 v19, 0, v19, vcc_lo
	v_add_nc_u32_e32 v20, v19, v20
	s_delay_alu instid0(VALU_DEP_1) | instskip(NEXT) | instid1(VALU_DEP_1)
	v_add_nc_u32_e32 v21, v20, v21
	v_add_nc_u32_e32 v22, v21, v22
	s_delay_alu instid0(VALU_DEP_1) | instskip(NEXT) | instid1(VALU_DEP_1)
	v_add_nc_u32_e32 v81, v22, v23
	;; [unrolled: 3-line block ×3, first 2 shown]
	v_add_nc_u32_e32 v84, v83, v18
	ds_store_b128 v66, v[19:22] offset:64
	ds_store_b128 v66, v[81:84] offset:80
	s_wait_loadcnt_dscnt 0x0
	s_barrier_signal -1
	s_barrier_wait -1
	global_inv scope:SCOPE_SE
	ds_load_b32 v16, v33 offset:64
	ds_load_b32 v17, v36 offset:64
	;; [unrolled: 1-line block ×8, first 2 shown]
	v_mad_u32_u24 v36, v44, 56, v57
	s_wait_loadcnt_dscnt 0x0
	s_barrier_signal -1
	s_barrier_wait -1
	global_inv scope:SCOPE_SE
	v_add_nc_u32_e32 v16, v16, v32
	v_add3_u32 v17, v35, v34, v17
	v_add3_u32 v18, v38, v37, v18
	v_add3_u32 v19, v45, v40, v19
	v_add3_u32 v20, v70, v69, v20
	v_add3_u32 v21, v73, v72, v21
	v_add3_u32 v22, v76, v75, v22
	v_add3_u32 v23, v79, v78, v23
	ds_store_b8 v16, v24
	ds_store_b8 v17, v25
	;; [unrolled: 1-line block ×8, first 2 shown]
	v_lshlrev_b32_e32 v16, 3, v16
	v_lshlrev_b32_e32 v17, 3, v17
	v_lshlrev_b32_e32 v18, 3, v18
	v_lshlrev_b32_e32 v19, 3, v19
	v_lshlrev_b32_e32 v20, 3, v20
	v_lshlrev_b32_e32 v21, 3, v21
	v_lshlrev_b32_e32 v22, 3, v22
	v_lshlrev_b32_e32 v23, 3, v23
	s_wait_loadcnt_dscnt 0x0
	s_barrier_signal -1
	s_barrier_wait -1
	global_inv scope:SCOPE_SE
	ds_load_b64 v[33:34], v57
	s_wait_loadcnt_dscnt 0x0
	s_barrier_signal -1
	s_barrier_wait -1
	global_inv scope:SCOPE_SE
	ds_store_b64 v16, v[0:1]
	ds_store_b64 v17, v[2:3]
	;; [unrolled: 1-line block ×8, first 2 shown]
	s_wait_loadcnt_dscnt 0x0
	s_barrier_signal -1
	s_barrier_wait -1
	global_inv scope:SCOPE_SE
	ds_load_b128 v[29:32], v36
	ds_load_b128 v[25:28], v36 offset:16
	ds_load_b128 v[21:24], v36 offset:32
	;; [unrolled: 1-line block ×3, first 2 shown]
	v_not_b32_e32 v33, v33
	v_not_b32_e32 v34, v34
.LBB85_84:
	s_wait_loadcnt_dscnt 0x0
	s_barrier_signal -1
	s_barrier_wait -1
	global_inv scope:SCOPE_SE
	ds_store_2addr_b32 v56, v33, v34 offset1:1
	s_wait_loadcnt_dscnt 0x0
	s_barrier_signal -1
	s_barrier_wait -1
	global_inv scope:SCOPE_SE
	ds_load_u8 v8, v49 offset:512
	ds_load_u8 v7, v50 offset:1024
	;; [unrolled: 1-line block ×7, first 2 shown]
	v_add_co_u32 v0, s8, s18, v47
	s_wait_alu 0xf1ff
	v_add_co_ci_u32_e64 v1, null, s19, 0, s8
	s_and_saveexec_b32 s8, s0
	s_cbranch_execnz .LBB85_103
; %bb.85:
	s_wait_alu 0xfffe
	s_or_b32 exec_lo, exec_lo, s8
	s_and_saveexec_b32 s8, s1
	s_cbranch_execnz .LBB85_104
.LBB85_86:
	s_wait_alu 0xfffe
	s_or_b32 exec_lo, exec_lo, s8
	s_and_saveexec_b32 s8, s2
	s_cbranch_execnz .LBB85_105
.LBB85_87:
	s_wait_alu 0xfffe
	s_or_b32 exec_lo, exec_lo, s8
	s_and_saveexec_b32 s8, s3
	s_cbranch_execnz .LBB85_106
.LBB85_88:
	s_wait_alu 0xfffe
	s_or_b32 exec_lo, exec_lo, s8
	s_and_saveexec_b32 s8, s4
	s_cbranch_execnz .LBB85_107
.LBB85_89:
	s_wait_alu 0xfffe
	s_or_b32 exec_lo, exec_lo, s8
	s_and_saveexec_b32 s8, s5
	s_cbranch_execnz .LBB85_108
.LBB85_90:
	s_wait_alu 0xfffe
	s_or_b32 exec_lo, exec_lo, s8
	s_and_saveexec_b32 s8, s6
	s_cbranch_execnz .LBB85_109
.LBB85_91:
	s_wait_alu 0xfffe
	s_or_b32 exec_lo, exec_lo, s8
	s_and_saveexec_b32 s8, s7
	s_cbranch_execz .LBB85_93
.LBB85_92:
	s_mul_i32 s9, s14, 0xe00
	s_wait_alu 0xfffe
	v_add_co_u32 v0, vcc_lo, v0, s9
	s_wait_alu 0xfffd
	v_add_co_ci_u32_e64 v1, null, 0, v1, vcc_lo
	s_wait_dscnt 0x0
	global_store_b8 v[0:1], v2, off
.LBB85_93:
	s_wait_alu 0xfffe
	s_or_b32 exec_lo, exec_lo, s8
	s_wait_storecnt 0x0
	s_wait_loadcnt_dscnt 0x0
	s_barrier_signal -1
	s_barrier_wait -1
	global_inv scope:SCOPE_SE
	ds_store_2addr_b64 v65, v[29:30], v[31:32] offset1:1
	ds_store_2addr_b64 v65, v[25:26], v[27:28] offset0:2 offset1:3
	ds_store_2addr_b64 v65, v[21:22], v[23:24] offset0:4 offset1:5
	;; [unrolled: 1-line block ×3, first 2 shown]
	s_wait_loadcnt_dscnt 0x0
	s_barrier_signal -1
	s_barrier_wait -1
	global_inv scope:SCOPE_SE
	ds_load_b64 v[14:15], v59 offset:4096
	ds_load_b64 v[12:13], v60 offset:8192
	;; [unrolled: 1-line block ×7, first 2 shown]
	v_mov_b32_e32 v42, 0
	s_delay_alu instid0(VALU_DEP_1) | instskip(NEXT) | instid1(VALU_DEP_1)
	v_lshlrev_b64_e32 v[2:3], 3, v[41:42]
	v_add_co_u32 v2, vcc_lo, s12, v2
	s_wait_alu 0xfffd
	s_delay_alu instid0(VALU_DEP_2)
	v_add_co_ci_u32_e64 v3, null, s13, v3, vcc_lo
	s_and_saveexec_b32 s8, s0
	s_cbranch_execnz .LBB85_110
; %bb.94:
	s_wait_alu 0xfffe
	s_or_b32 exec_lo, exec_lo, s8
	s_and_saveexec_b32 s0, s1
	s_cbranch_execnz .LBB85_111
.LBB85_95:
	s_or_b32 exec_lo, exec_lo, s0
	s_and_saveexec_b32 s0, s2
	s_cbranch_execnz .LBB85_112
.LBB85_96:
	s_or_b32 exec_lo, exec_lo, s0
	s_and_saveexec_b32 s0, s3
	s_cbranch_execnz .LBB85_113
.LBB85_97:
	s_or_b32 exec_lo, exec_lo, s0
	s_and_saveexec_b32 s0, s4
	s_cbranch_execnz .LBB85_114
.LBB85_98:
	s_or_b32 exec_lo, exec_lo, s0
	s_and_saveexec_b32 s0, s5
	s_cbranch_execnz .LBB85_115
.LBB85_99:
	s_or_b32 exec_lo, exec_lo, s0
	s_and_saveexec_b32 s0, s6
	s_cbranch_execnz .LBB85_116
.LBB85_100:
	s_or_b32 exec_lo, exec_lo, s0
	s_and_saveexec_b32 s0, s7
	s_cbranch_execz .LBB85_102
.LBB85_101:
	s_mul_i32 s0, s16, 0xe00
	s_mov_b32 s1, 0
	s_delay_alu instid0(SALU_CYCLE_1) | instskip(NEXT) | instid1(SALU_CYCLE_1)
	s_lshl_b64 s[0:1], s[0:1], 3
	v_add_co_u32 v2, vcc_lo, v2, s0
	s_wait_alu 0xfffd
	v_add_co_ci_u32_e64 v3, null, s1, v3, vcc_lo
	s_wait_dscnt 0x0
	global_store_b64 v[2:3], v[0:1], off
.LBB85_102:
	s_nop 0
	s_sendmsg sendmsg(MSG_DEALLOC_VGPRS)
	s_endpgm
.LBB85_103:
	ds_load_u8 v9, v48
	s_wait_dscnt 0x0
	global_store_b8 v[0:1], v9, off
	s_wait_alu 0xfffe
	s_or_b32 exec_lo, exec_lo, s8
	s_and_saveexec_b32 s8, s1
	s_cbranch_execz .LBB85_86
.LBB85_104:
	s_lshl_b32 s9, s14, 9
	s_wait_alu 0xfffe
	v_add_co_u32 v9, vcc_lo, v0, s9
	s_wait_alu 0xfffd
	v_add_co_ci_u32_e64 v10, null, 0, v1, vcc_lo
	s_wait_dscnt 0x6
	global_store_b8 v[9:10], v8, off
	s_or_b32 exec_lo, exec_lo, s8
	s_and_saveexec_b32 s8, s2
	s_cbranch_execz .LBB85_87
.LBB85_105:
	s_lshl_b32 s9, s14, 10
	s_wait_dscnt 0x6
	s_wait_alu 0xfffe
	v_add_co_u32 v8, vcc_lo, v0, s9
	s_wait_alu 0xfffd
	v_add_co_ci_u32_e64 v9, null, 0, v1, vcc_lo
	s_wait_dscnt 0x5
	global_store_b8 v[8:9], v7, off
	s_or_b32 exec_lo, exec_lo, s8
	s_and_saveexec_b32 s8, s3
	s_cbranch_execz .LBB85_88
.LBB85_106:
	s_mul_i32 s9, s14, 0x600
	s_wait_dscnt 0x5
	s_wait_alu 0xfffe
	v_add_co_u32 v7, vcc_lo, v0, s9
	s_wait_alu 0xfffd
	v_add_co_ci_u32_e64 v8, null, 0, v1, vcc_lo
	s_wait_dscnt 0x4
	global_store_b8 v[7:8], v6, off
	s_or_b32 exec_lo, exec_lo, s8
	s_and_saveexec_b32 s8, s4
	s_cbranch_execz .LBB85_89
.LBB85_107:
	s_lshl_b32 s9, s14, 11
	s_wait_dscnt 0x4
	s_wait_alu 0xfffe
	v_add_co_u32 v6, vcc_lo, v0, s9
	s_wait_alu 0xfffd
	v_add_co_ci_u32_e64 v7, null, 0, v1, vcc_lo
	s_wait_dscnt 0x3
	global_store_b8 v[6:7], v5, off
	s_or_b32 exec_lo, exec_lo, s8
	s_and_saveexec_b32 s8, s5
	s_cbranch_execz .LBB85_90
.LBB85_108:
	s_mul_i32 s9, s14, 0xa00
	s_wait_dscnt 0x3
	s_wait_alu 0xfffe
	v_add_co_u32 v5, vcc_lo, v0, s9
	s_wait_alu 0xfffd
	v_add_co_ci_u32_e64 v6, null, 0, v1, vcc_lo
	s_wait_dscnt 0x2
	global_store_b8 v[5:6], v4, off
	s_or_b32 exec_lo, exec_lo, s8
	s_and_saveexec_b32 s8, s6
	s_cbranch_execz .LBB85_91
.LBB85_109:
	s_mul_i32 s9, s14, 0xc00
	s_wait_dscnt 0x2
	s_wait_alu 0xfffe
	v_add_co_u32 v4, vcc_lo, v0, s9
	s_wait_alu 0xfffd
	v_add_co_ci_u32_e64 v5, null, 0, v1, vcc_lo
	s_wait_dscnt 0x1
	global_store_b8 v[4:5], v3, off
	s_or_b32 exec_lo, exec_lo, s8
	s_and_saveexec_b32 s8, s7
	s_cbranch_execnz .LBB85_92
	s_branch .LBB85_93
.LBB85_110:
	ds_load_b64 v[16:17], v58
	s_wait_dscnt 0x0
	global_store_b64 v[2:3], v[16:17], off
	s_wait_alu 0xfffe
	s_or_b32 exec_lo, exec_lo, s8
	s_and_saveexec_b32 s0, s1
	s_cbranch_execz .LBB85_95
.LBB85_111:
	s_lshl_b32 s8, s16, 9
	s_mov_b32 s9, 0
	s_wait_alu 0xfffe
	s_lshl_b64 s[8:9], s[8:9], 3
	s_wait_alu 0xfffe
	v_add_co_u32 v16, vcc_lo, v2, s8
	s_wait_alu 0xfffd
	v_add_co_ci_u32_e64 v17, null, s9, v3, vcc_lo
	s_wait_dscnt 0x6
	global_store_b64 v[16:17], v[14:15], off
	s_or_b32 exec_lo, exec_lo, s0
	s_and_saveexec_b32 s0, s2
	s_cbranch_execz .LBB85_96
.LBB85_112:
	s_lshl_b32 s8, s16, 10
	s_mov_b32 s9, 0
	s_wait_alu 0xfffe
	s_lshl_b64 s[8:9], s[8:9], 3
	s_wait_dscnt 0x6
	s_wait_alu 0xfffe
	v_add_co_u32 v14, vcc_lo, v2, s8
	s_wait_alu 0xfffd
	v_add_co_ci_u32_e64 v15, null, s9, v3, vcc_lo
	s_wait_dscnt 0x5
	global_store_b64 v[14:15], v[12:13], off
	s_or_b32 exec_lo, exec_lo, s0
	s_and_saveexec_b32 s0, s3
	s_cbranch_execz .LBB85_97
.LBB85_113:
	s_mul_i32 s2, s16, 0x600
	s_mov_b32 s3, 0
	s_wait_alu 0xfffe
	s_lshl_b64 s[2:3], s[2:3], 3
	s_wait_dscnt 0x5
	s_wait_alu 0xfffe
	v_add_co_u32 v12, vcc_lo, v2, s2
	s_wait_alu 0xfffd
	v_add_co_ci_u32_e64 v13, null, s3, v3, vcc_lo
	s_wait_dscnt 0x4
	global_store_b64 v[12:13], v[10:11], off
	s_or_b32 exec_lo, exec_lo, s0
	s_and_saveexec_b32 s0, s4
	s_cbranch_execz .LBB85_98
.LBB85_114:
	s_lshl_b32 s2, s16, 11
	s_mov_b32 s3, 0
	s_wait_alu 0xfffe
	s_lshl_b64 s[2:3], s[2:3], 3
	s_wait_dscnt 0x4
	s_wait_alu 0xfffe
	v_add_co_u32 v10, vcc_lo, v2, s2
	s_wait_alu 0xfffd
	v_add_co_ci_u32_e64 v11, null, s3, v3, vcc_lo
	s_wait_dscnt 0x3
	global_store_b64 v[10:11], v[8:9], off
	s_or_b32 exec_lo, exec_lo, s0
	s_and_saveexec_b32 s0, s5
	s_cbranch_execz .LBB85_99
.LBB85_115:
	s_mul_i32 s2, s16, 0xa00
	s_mov_b32 s3, 0
	s_wait_alu 0xfffe
	s_lshl_b64 s[2:3], s[2:3], 3
	s_wait_dscnt 0x3
	s_wait_alu 0xfffe
	v_add_co_u32 v8, vcc_lo, v2, s2
	s_wait_alu 0xfffd
	v_add_co_ci_u32_e64 v9, null, s3, v3, vcc_lo
	s_wait_dscnt 0x2
	global_store_b64 v[8:9], v[6:7], off
	s_or_b32 exec_lo, exec_lo, s0
	s_and_saveexec_b32 s0, s6
	s_cbranch_execz .LBB85_100
.LBB85_116:
	s_mul_i32 s2, s16, 0xc00
	s_mov_b32 s3, 0
	s_wait_alu 0xfffe
	s_lshl_b64 s[2:3], s[2:3], 3
	s_wait_dscnt 0x2
	s_wait_alu 0xfffe
	v_add_co_u32 v6, vcc_lo, v2, s2
	s_wait_alu 0xfffd
	v_add_co_ci_u32_e64 v7, null, s3, v3, vcc_lo
	s_wait_dscnt 0x1
	global_store_b64 v[6:7], v[4:5], off
	s_or_b32 exec_lo, exec_lo, s0
	s_and_saveexec_b32 s0, s7
	s_cbranch_execnz .LBB85_101
	s_branch .LBB85_102
	.section	.rodata,"a",@progbits
	.p2align	6, 0x0
	.amdhsa_kernel _ZN2at6native18radixSortKVInPlaceILi2ELin1ELi512ELi8EhljEEvNS_4cuda6detail10TensorInfoIT3_T5_EES6_S6_S6_NS4_IT4_S6_EES6_b
		.amdhsa_group_segment_fixed_size 33792
		.amdhsa_private_segment_fixed_size 0
		.amdhsa_kernarg_size 712
		.amdhsa_user_sgpr_count 2
		.amdhsa_user_sgpr_dispatch_ptr 0
		.amdhsa_user_sgpr_queue_ptr 0
		.amdhsa_user_sgpr_kernarg_segment_ptr 1
		.amdhsa_user_sgpr_dispatch_id 0
		.amdhsa_user_sgpr_private_segment_size 0
		.amdhsa_wavefront_size32 1
		.amdhsa_uses_dynamic_stack 0
		.amdhsa_enable_private_segment 0
		.amdhsa_system_sgpr_workgroup_id_x 1
		.amdhsa_system_sgpr_workgroup_id_y 1
		.amdhsa_system_sgpr_workgroup_id_z 1
		.amdhsa_system_sgpr_workgroup_info 0
		.amdhsa_system_vgpr_workitem_id 2
		.amdhsa_next_free_vgpr 105
		.amdhsa_next_free_sgpr 28
		.amdhsa_reserve_vcc 1
		.amdhsa_float_round_mode_32 0
		.amdhsa_float_round_mode_16_64 0
		.amdhsa_float_denorm_mode_32 3
		.amdhsa_float_denorm_mode_16_64 3
		.amdhsa_fp16_overflow 0
		.amdhsa_workgroup_processor_mode 1
		.amdhsa_memory_ordered 1
		.amdhsa_forward_progress 1
		.amdhsa_inst_pref_size 102
		.amdhsa_round_robin_scheduling 0
		.amdhsa_exception_fp_ieee_invalid_op 0
		.amdhsa_exception_fp_denorm_src 0
		.amdhsa_exception_fp_ieee_div_zero 0
		.amdhsa_exception_fp_ieee_overflow 0
		.amdhsa_exception_fp_ieee_underflow 0
		.amdhsa_exception_fp_ieee_inexact 0
		.amdhsa_exception_int_div_zero 0
	.end_amdhsa_kernel
	.section	.text._ZN2at6native18radixSortKVInPlaceILi2ELin1ELi512ELi8EhljEEvNS_4cuda6detail10TensorInfoIT3_T5_EES6_S6_S6_NS4_IT4_S6_EES6_b,"axG",@progbits,_ZN2at6native18radixSortKVInPlaceILi2ELin1ELi512ELi8EhljEEvNS_4cuda6detail10TensorInfoIT3_T5_EES6_S6_S6_NS4_IT4_S6_EES6_b,comdat
.Lfunc_end85:
	.size	_ZN2at6native18radixSortKVInPlaceILi2ELin1ELi512ELi8EhljEEvNS_4cuda6detail10TensorInfoIT3_T5_EES6_S6_S6_NS4_IT4_S6_EES6_b, .Lfunc_end85-_ZN2at6native18radixSortKVInPlaceILi2ELin1ELi512ELi8EhljEEvNS_4cuda6detail10TensorInfoIT3_T5_EES6_S6_S6_NS4_IT4_S6_EES6_b
                                        ; -- End function
	.set _ZN2at6native18radixSortKVInPlaceILi2ELin1ELi512ELi8EhljEEvNS_4cuda6detail10TensorInfoIT3_T5_EES6_S6_S6_NS4_IT4_S6_EES6_b.num_vgpr, 105
	.set _ZN2at6native18radixSortKVInPlaceILi2ELin1ELi512ELi8EhljEEvNS_4cuda6detail10TensorInfoIT3_T5_EES6_S6_S6_NS4_IT4_S6_EES6_b.num_agpr, 0
	.set _ZN2at6native18radixSortKVInPlaceILi2ELin1ELi512ELi8EhljEEvNS_4cuda6detail10TensorInfoIT3_T5_EES6_S6_S6_NS4_IT4_S6_EES6_b.numbered_sgpr, 28
	.set _ZN2at6native18radixSortKVInPlaceILi2ELin1ELi512ELi8EhljEEvNS_4cuda6detail10TensorInfoIT3_T5_EES6_S6_S6_NS4_IT4_S6_EES6_b.num_named_barrier, 0
	.set _ZN2at6native18radixSortKVInPlaceILi2ELin1ELi512ELi8EhljEEvNS_4cuda6detail10TensorInfoIT3_T5_EES6_S6_S6_NS4_IT4_S6_EES6_b.private_seg_size, 0
	.set _ZN2at6native18radixSortKVInPlaceILi2ELin1ELi512ELi8EhljEEvNS_4cuda6detail10TensorInfoIT3_T5_EES6_S6_S6_NS4_IT4_S6_EES6_b.uses_vcc, 1
	.set _ZN2at6native18radixSortKVInPlaceILi2ELin1ELi512ELi8EhljEEvNS_4cuda6detail10TensorInfoIT3_T5_EES6_S6_S6_NS4_IT4_S6_EES6_b.uses_flat_scratch, 0
	.set _ZN2at6native18radixSortKVInPlaceILi2ELin1ELi512ELi8EhljEEvNS_4cuda6detail10TensorInfoIT3_T5_EES6_S6_S6_NS4_IT4_S6_EES6_b.has_dyn_sized_stack, 0
	.set _ZN2at6native18radixSortKVInPlaceILi2ELin1ELi512ELi8EhljEEvNS_4cuda6detail10TensorInfoIT3_T5_EES6_S6_S6_NS4_IT4_S6_EES6_b.has_recursion, 0
	.set _ZN2at6native18radixSortKVInPlaceILi2ELin1ELi512ELi8EhljEEvNS_4cuda6detail10TensorInfoIT3_T5_EES6_S6_S6_NS4_IT4_S6_EES6_b.has_indirect_call, 0
	.section	.AMDGPU.csdata,"",@progbits
; Kernel info:
; codeLenInByte = 12948
; TotalNumSgprs: 30
; NumVgprs: 105
; ScratchSize: 0
; MemoryBound: 0
; FloatMode: 240
; IeeeMode: 1
; LDSByteSize: 33792 bytes/workgroup (compile time only)
; SGPRBlocks: 0
; VGPRBlocks: 13
; NumSGPRsForWavesPerEU: 30
; NumVGPRsForWavesPerEU: 105
; Occupancy: 12
; WaveLimiterHint : 1
; COMPUTE_PGM_RSRC2:SCRATCH_EN: 0
; COMPUTE_PGM_RSRC2:USER_SGPR: 2
; COMPUTE_PGM_RSRC2:TRAP_HANDLER: 0
; COMPUTE_PGM_RSRC2:TGID_X_EN: 1
; COMPUTE_PGM_RSRC2:TGID_Y_EN: 1
; COMPUTE_PGM_RSRC2:TGID_Z_EN: 1
; COMPUTE_PGM_RSRC2:TIDIG_COMP_CNT: 2
	.section	.text._ZN2at6native18radixSortKVInPlaceILi2ELin1ELi256ELi8EhljEEvNS_4cuda6detail10TensorInfoIT3_T5_EES6_S6_S6_NS4_IT4_S6_EES6_b,"axG",@progbits,_ZN2at6native18radixSortKVInPlaceILi2ELin1ELi256ELi8EhljEEvNS_4cuda6detail10TensorInfoIT3_T5_EES6_S6_S6_NS4_IT4_S6_EES6_b,comdat
	.protected	_ZN2at6native18radixSortKVInPlaceILi2ELin1ELi256ELi8EhljEEvNS_4cuda6detail10TensorInfoIT3_T5_EES6_S6_S6_NS4_IT4_S6_EES6_b ; -- Begin function _ZN2at6native18radixSortKVInPlaceILi2ELin1ELi256ELi8EhljEEvNS_4cuda6detail10TensorInfoIT3_T5_EES6_S6_S6_NS4_IT4_S6_EES6_b
	.globl	_ZN2at6native18radixSortKVInPlaceILi2ELin1ELi256ELi8EhljEEvNS_4cuda6detail10TensorInfoIT3_T5_EES6_S6_S6_NS4_IT4_S6_EES6_b
	.p2align	8
	.type	_ZN2at6native18radixSortKVInPlaceILi2ELin1ELi256ELi8EhljEEvNS_4cuda6detail10TensorInfoIT3_T5_EES6_S6_S6_NS4_IT4_S6_EES6_b,@function
_ZN2at6native18radixSortKVInPlaceILi2ELin1ELi256ELi8EhljEEvNS_4cuda6detail10TensorInfoIT3_T5_EES6_S6_S6_NS4_IT4_S6_EES6_b: ; @_ZN2at6native18radixSortKVInPlaceILi2ELin1ELi256ELi8EhljEEvNS_4cuda6detail10TensorInfoIT3_T5_EES6_S6_S6_NS4_IT4_S6_EES6_b
; %bb.0:
	s_clause 0x1
	s_load_b64 s[2:3], s[0:1], 0x1c8
	s_load_b96 s[8:10], s[0:1], 0xd8
	s_lshr_b32 s4, ttmp7, 16
	s_wait_kmcnt 0x0
	s_mul_i32 s3, s3, s4
	s_and_b32 s4, ttmp7, 0xffff
	s_delay_alu instid0(SALU_CYCLE_1) | instskip(NEXT) | instid1(SALU_CYCLE_1)
	s_add_co_i32 s3, s3, s4
	s_mul_i32 s2, s3, s2
	s_delay_alu instid0(SALU_CYCLE_1) | instskip(NEXT) | instid1(SALU_CYCLE_1)
	s_add_co_i32 s2, s2, ttmp9
	s_cmp_ge_u32 s2, s8
	s_cbranch_scc1 .LBB86_102
; %bb.1:
	s_clause 0x2
	s_load_b32 s8, s[0:1], 0xc
	s_load_b64 s[4:5], s[0:1], 0x6c
	s_load_b32 s12, s[0:1], 0x1b8
	s_add_nc_u64 s[20:21], s[0:1], 0xe8
	s_wait_kmcnt 0x0
	s_cvt_f32_u32 s3, s8
	s_delay_alu instid0(SALU_CYCLE_3) | instskip(NEXT) | instid1(TRANS32_DEP_1)
	v_rcp_iflag_f32_e32 v1, s3
	v_readfirstlane_b32 s3, v1
	s_mul_f32 s3, s3, 0x4f7ffffe
	s_wait_alu 0xfffe
	s_delay_alu instid0(SALU_CYCLE_2) | instskip(SKIP_2) | instid1(SALU_CYCLE_1)
	s_cvt_u32_f32 s6, s3
	s_sub_co_i32 s3, 0, s8
	s_wait_alu 0xfffe
	s_mul_i32 s7, s3, s6
	s_mov_b32 s3, 0
	s_mul_hi_u32 s11, s6, s7
	s_wait_alu 0xfffe
	s_mov_b32 s7, s3
	s_add_co_i32 s6, s6, s11
	s_cmp_lt_i32 s12, 2
	s_mov_b32 s11, s2
	s_mov_b32 s17, s3
	s_cbranch_scc1 .LBB86_4
; %bb.2:
	s_add_co_i32 s16, s12, -1
	s_mov_b32 s17, 0
	s_mov_b32 s11, s2
	s_lshl_b64 s[14:15], s[16:17], 2
	s_delay_alu instid0(SALU_CYCLE_1)
	s_add_nc_u64 s[18:19], s[20:21], s[14:15]
	s_add_co_i32 s14, s12, 1
	s_add_nc_u64 s[12:13], s[18:19], 8
.LBB86_3:                               ; =>This Inner Loop Header: Depth=1
	s_clause 0x1
	s_load_b32 s15, s[12:13], 0x0
	s_load_b32 s16, s[12:13], 0x64
	s_mov_b32 s22, s11
	s_add_nc_u64 s[12:13], s[12:13], -4
	s_wait_kmcnt 0x0
	s_cvt_f32_u32 s18, s15
	s_sub_co_i32 s19, 0, s15
	s_wait_alu 0xfffe
	s_delay_alu instid0(SALU_CYCLE_1) | instskip(NEXT) | instid1(TRANS32_DEP_1)
	v_rcp_iflag_f32_e32 v1, s18
	v_readfirstlane_b32 s18, v1
	s_mul_f32 s18, s18, 0x4f7ffffe
	s_wait_alu 0xfffe
	s_delay_alu instid0(SALU_CYCLE_2) | instskip(SKIP_1) | instid1(SALU_CYCLE_2)
	s_cvt_u32_f32 s18, s18
	s_wait_alu 0xfffe
	s_mul_i32 s19, s19, s18
	s_wait_alu 0xfffe
	s_mul_hi_u32 s19, s18, s19
	s_wait_alu 0xfffe
	s_add_co_i32 s18, s18, s19
	s_wait_alu 0xfffe
	s_mul_hi_u32 s11, s11, s18
	s_delay_alu instid0(SALU_CYCLE_1)
	s_mul_i32 s18, s11, s15
	s_add_co_i32 s19, s11, 1
	s_wait_alu 0xfffe
	s_sub_co_i32 s18, s22, s18
	s_wait_alu 0xfffe
	s_sub_co_i32 s23, s18, s15
	s_cmp_ge_u32 s18, s15
	s_cselect_b32 s11, s19, s11
	s_cselect_b32 s18, s23, s18
	s_add_co_i32 s19, s11, 1
	s_wait_alu 0xfffe
	s_cmp_ge_u32 s18, s15
	s_cselect_b32 s11, s19, s11
	s_add_co_i32 s14, s14, -1
	s_mul_i32 s15, s11, s15
	s_delay_alu instid0(SALU_CYCLE_1) | instskip(NEXT) | instid1(SALU_CYCLE_1)
	s_sub_co_i32 s15, s22, s15
	s_mul_i32 s15, s16, s15
	s_delay_alu instid0(SALU_CYCLE_1)
	s_add_co_i32 s17, s15, s17
	s_cmp_gt_u32 s14, 2
	s_cbranch_scc1 .LBB86_3
.LBB86_4:
	s_mul_u64 s[6:7], s[2:3], s[6:7]
	s_clause 0x1
	s_load_b64 s[14:15], s[0:1], 0x0
	s_load_b64 s[12:13], s[0:1], 0x1c0
	s_mul_i32 s3, s7, s8
	s_add_nc_u64 s[18:19], s[0:1], 0x1c8
	s_wait_alu 0xfffe
	s_sub_co_i32 s0, s2, s3
	s_add_co_i32 s1, s7, 1
	s_sub_co_i32 s3, s0, s8
	s_cmp_ge_u32 s0, s8
	v_and_b32_e32 v44, 0x3ff, v0
	s_cselect_b32 s1, s1, s7
	s_wait_alu 0xfffe
	s_cselect_b32 s0, s3, s0
	s_add_co_i32 s3, s1, 1
	s_cmp_ge_u32 s0, s8
	v_mul_lo_u32 v47, s10, v44
	s_wait_alu 0xfffe
	s_cselect_b32 s0, s3, s1
	s_mov_b32 s3, 0
	s_mul_i32 s1, s0, s8
	s_mul_i32 s0, s0, s4
	s_sub_co_i32 s1, s2, s1
	s_delay_alu instid0(SALU_CYCLE_1) | instskip(NEXT) | instid1(SALU_CYCLE_1)
	s_mul_i32 s1, s1, s5
	s_add_co_i32 s2, s0, s1
	s_wait_kmcnt 0x0
	s_bitcmp1_b32 s13, 0
	s_wait_alu 0xfffe
	s_add_nc_u64 s[14:15], s[14:15], s[2:3]
	s_cselect_b32 s0, -1, 0
	s_delay_alu instid0(SALU_CYCLE_1) | instskip(SKIP_3) | instid1(VALU_DEP_2)
	s_xor_b32 s8, s0, -1
	v_cmp_gt_u32_e64 s0, s9, v44
	v_cndmask_b32_e64 v1, 0, -1, s8
	v_cndmask_b32_e64 v3, 0, -1, s8
	v_lshlrev_b32_e32 v2, 8, v1
	v_and_b32_e32 v1, 0xff, v1
	s_delay_alu instid0(VALU_DEP_1) | instskip(NEXT) | instid1(VALU_DEP_1)
	v_or_b32_e32 v1, v1, v2
	v_and_b32_e32 v2, 0xffff, v1
	v_lshlrev_b32_e32 v1, 16, v1
	s_delay_alu instid0(VALU_DEP_1) | instskip(NEXT) | instid1(VALU_DEP_1)
	v_or_b32_e32 v1, v2, v1
	v_mov_b32_e32 v2, v1
	s_and_saveexec_b32 s1, s0
	s_cbranch_execz .LBB86_6
; %bb.5:
	global_load_u8 v3, v47, s[14:15]
	v_mov_b32_e32 v5, v1
	s_wait_loadcnt 0x0
	v_perm_b32 v4, v3, v1, 0x3020104
	s_delay_alu instid0(VALU_DEP_1)
	v_dual_mov_b32 v1, v4 :: v_dual_mov_b32 v2, v5
.LBB86_6:
	s_or_b32 exec_lo, exec_lo, s1
	v_add_nc_u32_e32 v28, 0x100, v44
	s_delay_alu instid0(VALU_DEP_1)
	v_cmp_gt_u32_e64 s1, s9, v28
	s_and_saveexec_b32 s2, s1
	s_cbranch_execz .LBB86_8
; %bb.7:
	v_mul_lo_u32 v4, s10, v28
	global_load_u8 v4, v4, s[14:15]
	s_wait_loadcnt 0x0
	v_perm_b32 v1, v1, v4, 0x7060004
.LBB86_8:
	s_wait_alu 0xfffe
	s_or_b32 exec_lo, exec_lo, s2
	v_add_nc_u32_e32 v24, 0x200, v44
	s_delay_alu instid0(VALU_DEP_1)
	v_cmp_gt_u32_e64 s2, s9, v24
	s_and_saveexec_b32 s3, s2
	s_cbranch_execz .LBB86_10
; %bb.9:
	v_mul_lo_u32 v4, s10, v24
	global_load_u8 v4, v4, s[14:15]
	s_wait_loadcnt 0x0
	v_perm_b32 v4, v4, v1, 0xc0c0304
	s_delay_alu instid0(VALU_DEP_1) | instskip(NEXT) | instid1(VALU_DEP_1)
	v_lshlrev_b32_e32 v4, 16, v4
	v_and_or_b32 v1, 0xffff, v1, v4
.LBB86_10:
	s_wait_alu 0xfffe
	s_or_b32 exec_lo, exec_lo, s3
	v_add_nc_u32_e32 v21, 0x300, v44
	s_delay_alu instid0(VALU_DEP_1)
	v_cmp_gt_u32_e64 s3, s9, v21
	s_and_saveexec_b32 s4, s3
	s_cbranch_execz .LBB86_12
; %bb.11:
	v_mul_lo_u32 v4, s10, v21
	global_load_u8 v4, v4, s[14:15]
	s_wait_loadcnt 0x0
	v_perm_b32 v4, v1, v4, 0xc0c0006
	s_delay_alu instid0(VALU_DEP_1) | instskip(NEXT) | instid1(VALU_DEP_1)
	v_lshlrev_b32_e32 v4, 16, v4
	v_and_or_b32 v1, 0xffff, v1, v4
.LBB86_12:
	s_or_b32 exec_lo, exec_lo, s4
	v_or_b32_e32 v19, 0x400, v44
	s_delay_alu instid0(VALU_DEP_1)
	v_cmp_gt_u32_e64 s4, s9, v19
	s_and_saveexec_b32 s5, s4
	s_cbranch_execz .LBB86_14
; %bb.13:
	v_mul_lo_u32 v4, s10, v19
	global_load_u8 v4, v4, s[14:15]
	s_wait_loadcnt 0x0
	v_perm_b32 v2, v4, v2, 0x3020104
.LBB86_14:
	s_or_b32 exec_lo, exec_lo, s5
	v_add_nc_u32_e32 v17, 0x500, v44
	s_delay_alu instid0(VALU_DEP_1)
	v_cmp_gt_u32_e64 s5, s9, v17
	s_and_saveexec_b32 s6, s5
	s_cbranch_execz .LBB86_16
; %bb.15:
	v_mul_lo_u32 v4, s10, v17
	global_load_u8 v4, v4, s[14:15]
	s_wait_loadcnt 0x0
	v_perm_b32 v2, v2, v4, 0x7060004
.LBB86_16:
	s_or_b32 exec_lo, exec_lo, s6
	v_add_nc_u32_e32 v16, 0x600, v44
	s_delay_alu instid0(VALU_DEP_1)
	v_cmp_gt_u32_e64 s6, s9, v16
	s_and_saveexec_b32 s7, s6
	s_cbranch_execz .LBB86_18
; %bb.17:
	v_mul_lo_u32 v4, s10, v16
	global_load_u8 v4, v4, s[14:15]
	s_wait_loadcnt 0x0
	v_perm_b32 v2, v2, v4, 0x7000504
.LBB86_18:
	s_or_b32 exec_lo, exec_lo, s7
	s_clause 0x1
	s_load_b32 s13, s[20:21], 0x6c
	s_load_b64 s[20:21], s[20:21], 0x0
	v_add_nc_u32_e32 v15, 0x700, v44
	s_delay_alu instid0(VALU_DEP_1)
	v_cmp_gt_u32_e64 s7, s9, v15
	s_and_saveexec_b32 s9, s7
	s_cbranch_execz .LBB86_20
; %bb.19:
	v_mul_lo_u32 v4, s10, v15
	global_load_u8 v4, v4, s[14:15]
	s_wait_loadcnt 0x0
	v_perm_b32 v2, v2, v4, 0x60504
.LBB86_20:
	s_wait_alu 0xfffe
	s_or_b32 exec_lo, exec_lo, s9
	v_lshrrev_b32_e32 v62, 5, v44
	v_lshrrev_b32_e32 v18, 5, v28
	;; [unrolled: 1-line block ×5, first 2 shown]
	s_delay_alu instid0(VALU_DEP_4) | instskip(SKIP_4) | instid1(VALU_DEP_4)
	v_dual_mov_b32 v42, 0 :: v_dual_and_b32 v5, 60, v18
	v_and_b32_e32 v4, 28, v62
	v_and_b32_e32 v7, 60, v23
	v_lshrrev_b32_e32 v22, 5, v21
	v_lshrrev_b32_e32 v29, 2, v44
	v_dual_mov_b32 v43, v42 :: v_dual_add_nc_u32 v48, v4, v44
	v_dual_mov_b32 v11, v42 :: v_dual_and_b32 v4, 60, v20
	v_mov_b32_e32 v12, v42
	v_add_nc_u32_e32 v52, v7, v44
	v_and_b32_e32 v7, 0x7c, v26
	s_delay_alu instid0(VALU_DEP_4)
	v_add_nc_u32_e32 v50, v4, v44
	v_and_b32_e32 v4, 60, v22
	v_lshrrev_b32_e32 v25, 5, v17
	v_lshrrev_b32_e32 v27, 5, v15
	v_dual_mov_b32 v13, 0 :: v_dual_add_nc_u32 v54, v7, v44
	v_lshlrev_b32_e32 v57, 3, v44
	v_and_b32_e32 v7, 0xfc, v29
	v_add_nc_u32_e32 v51, v4, v44
	v_and_b32_e32 v4, 0x7c, v25
	v_and_b32_e32 v9, 0x7c, v27
	v_lshrrev_b32_e32 v6, 8, v1
	v_add_nc_u32_e32 v56, v7, v57
	v_dual_mov_b32 v10, v42 :: v_dual_add_nc_u32 v49, v5, v44
	v_lshrrev_b32_e32 v5, 24, v1
	v_lshrrev_b32_e32 v8, 8, v2
	v_dual_mov_b32 v14, 0 :: v_dual_add_nc_u32 v53, v4, v44
	v_lshrrev_b32_e32 v4, 24, v2
	v_add_nc_u32_e32 v55, v9, v44
	v_mov_b32_e32 v9, v42
	v_mov_b32_e32 v7, v42
	ds_store_b8 v48, v3
	ds_store_b8 v49, v6 offset:256
	ds_store_b8_d16_hi v50, v1 offset:512
	ds_store_b8 v51, v5 offset:768
	ds_store_b8 v52, v2 offset:1024
	;; [unrolled: 1-line block ×3, first 2 shown]
	ds_store_b8_d16_hi v54, v2 offset:1536
	ds_store_b8 v55, v4 offset:1792
	s_wait_dscnt 0x0
	s_barrier_signal -1
	s_barrier_wait -1
	global_inv scope:SCOPE_SE
	ds_load_2addr_b32 v[45:46], v56 offset1:1
	s_wait_kmcnt 0x0
	s_mul_i32 s9, s13, s11
	v_mul_lo_u32 v41, s12, v44
	s_mov_b32 s23, 0
	s_wait_alu 0xfffe
	s_add_co_i32 s22, s9, s17
	v_dual_mov_b32 v1, v42 :: v_dual_mov_b32 v2, v42
	v_dual_mov_b32 v3, v42 :: v_dual_mov_b32 v4, v42
	;; [unrolled: 1-line block ×3, first 2 shown]
	v_mov_b32_e32 v8, v42
	s_lshl_b64 s[16:17], s[22:23], 3
	s_wait_loadcnt_dscnt 0x0
	s_add_nc_u64 s[16:17], s[20:21], s[16:17]
	s_barrier_signal -1
	s_barrier_wait -1
	global_inv scope:SCOPE_SE
	s_and_saveexec_b32 s9, s0
	s_cbranch_execnz .LBB86_53
; %bb.21:
	s_wait_alu 0xfffe
	s_or_b32 exec_lo, exec_lo, s9
	s_and_saveexec_b32 s9, s1
	s_cbranch_execnz .LBB86_54
.LBB86_22:
	s_wait_alu 0xfffe
	s_or_b32 exec_lo, exec_lo, s9
	s_and_saveexec_b32 s9, s2
	s_cbranch_execnz .LBB86_55
.LBB86_23:
	s_wait_alu 0xfffe
	s_or_b32 exec_lo, exec_lo, s9
	s_and_saveexec_b32 s9, s3
	s_cbranch_execnz .LBB86_56
.LBB86_24:
	s_wait_alu 0xfffe
	s_or_b32 exec_lo, exec_lo, s9
	s_and_saveexec_b32 s9, s4
	s_cbranch_execnz .LBB86_57
.LBB86_25:
	s_wait_alu 0xfffe
	s_or_b32 exec_lo, exec_lo, s9
	s_and_saveexec_b32 s9, s5
	s_cbranch_execnz .LBB86_58
.LBB86_26:
	s_wait_alu 0xfffe
	s_or_b32 exec_lo, exec_lo, s9
	s_and_saveexec_b32 s9, s6
	s_cbranch_execnz .LBB86_59
.LBB86_27:
	s_wait_alu 0xfffe
	s_or_b32 exec_lo, exec_lo, s9
	s_and_saveexec_b32 s9, s7
	s_cbranch_execz .LBB86_29
.LBB86_28:
	v_mul_lo_u32 v7, s12, v15
	v_mov_b32_e32 v8, 0
	s_delay_alu instid0(VALU_DEP_1) | instskip(NEXT) | instid1(VALU_DEP_1)
	v_lshlrev_b64_e32 v[7:8], 3, v[7:8]
	v_add_co_u32 v7, vcc_lo, s16, v7
	s_wait_alu 0xfffd
	s_delay_alu instid0(VALU_DEP_2)
	v_add_co_ci_u32_e64 v8, null, s17, v8, vcc_lo
	global_load_b64 v[7:8], v[7:8], off
.LBB86_29:
	s_wait_alu 0xfffe
	s_or_b32 exec_lo, exec_lo, s9
	v_lshl_add_u32 v58, v62, 3, v57
	v_lshl_add_u32 v59, v18, 3, v57
	;; [unrolled: 1-line block ×5, first 2 shown]
	s_wait_loadcnt 0x0
	ds_store_b64 v58, v[13:14]
	ds_store_b64 v59, v[42:43] offset:2048
	ds_store_b64 v60, v[9:10] offset:4096
	;; [unrolled: 1-line block ×3, first 2 shown]
	v_lshlrev_b32_e32 v9, 3, v57
	v_lshl_add_u32 v42, v23, 3, v57
	v_lshl_add_u32 v43, v25, 3, v57
	;; [unrolled: 1-line block ×3, first 2 shown]
	ds_store_b64 v42, v[1:2] offset:8192
	ds_store_b64 v43, v[3:4] offset:10240
	;; [unrolled: 1-line block ×4, first 2 shown]
	v_lshl_add_u32 v65, v29, 3, v9
	s_wait_dscnt 0x0
	s_barrier_signal -1
	s_barrier_wait -1
	global_inv scope:SCOPE_SE
	ds_load_2addr_b64 v[13:16], v65 offset1:1
	ds_load_2addr_b64 v[9:12], v65 offset0:2 offset1:3
	ds_load_2addr_b64 v[5:8], v65 offset0:4 offset1:5
	;; [unrolled: 1-line block ×3, first 2 shown]
	v_bfe_u32 v69, v0, 10, 10
	v_bfe_u32 v70, v0, 20, 10
	v_mbcnt_lo_u32_b32 v67, -1, 0
	v_and_b32_e32 v68, 0x3e0, v44
	v_lshlrev_b32_e32 v66, 2, v57
	s_and_b32 vcc_lo, exec_lo, s8
	s_wait_loadcnt_dscnt 0x0
	s_barrier_signal -1
	s_barrier_wait -1
	global_inv scope:SCOPE_SE
	s_wait_alu 0xfffe
	s_cbranch_vccz .LBB86_60
; %bb.30:
	s_getpc_b64 s[8:9]
	s_wait_alu 0xfffe
	s_sext_i32_i16 s9, s9
	s_add_co_u32 s8, s8, _ZN7rocprim17ROCPRIM_400000_NS16block_radix_sortIhLj256ELj8ElLj1ELj1ELj0ELNS0_26block_radix_rank_algorithmE1ELNS0_18block_padding_hintE2ELNS0_4arch9wavefront6targetE0EE19radix_bits_per_passE@rel32@lo+12
	s_wait_alu 0xfffe
	s_add_co_ci_u32 s9, s9, _ZN7rocprim17ROCPRIM_400000_NS16block_radix_sortIhLj256ELj8ElLj1ELj1ELj0ELNS0_26block_radix_rank_algorithmE1ELNS0_18block_padding_hintE2ELNS0_4arch9wavefront6targetE0EE19radix_bits_per_passE@rel32@hi+24
	v_or_b32_e32 v17, v67, v68
	s_load_b32 s8, s[8:9], 0x0
	s_mov_b32 s20, 0
	v_and_or_b32 v18, 0x1f00, v57, v67
	s_mov_b32 s21, s20
	s_mov_b32 s22, s20
	;; [unrolled: 1-line block ×3, first 2 shown]
	v_lshlrev_b32_e32 v19, 3, v17
	v_mad_u32_u24 v29, v18, 7, v18
	ds_store_b64 v19, v[45:46]
	; wave barrier
	ds_load_u8 v0, v18
	ds_load_u8 v71, v18 offset:32
	ds_load_u8 v72, v18 offset:64
	;; [unrolled: 1-line block ×7, first 2 shown]
	v_mad_u32_u24 v17, v17, 56, v19
	s_wait_loadcnt_dscnt 0x0
	s_barrier_signal -1
	s_barrier_wait -1
	global_inv scope:SCOPE_SE
	s_wait_kmcnt 0x0
	s_min_u32 s8, s8, 8
	ds_store_b128 v17, v[13:16]
	ds_store_b128 v17, v[9:12] offset:16
	s_wait_alu 0xfffe
	s_lshl_b32 s8, -1, s8
	ds_store_b128 v17, v[5:8] offset:32
	ds_store_b128 v17, v[1:4] offset:48
	s_wait_alu 0xfffe
	s_not_b32 s9, s8
	; wave barrier
	s_wait_alu 0xfffe
	v_and_b32_e32 v39, s9, v0
	ds_load_2addr_b64 v[25:28], v29 offset1:32
	ds_load_2addr_b64 v[21:24], v29 offset0:64 offset1:96
	ds_load_2addr_b64 v[17:20], v29 offset0:128 offset1:160
	;; [unrolled: 1-line block ×3, first 2 shown]
	s_wait_loadcnt_dscnt 0x0
	s_barrier_signal -1
	v_and_b32_e32 v33, 1, v39
	v_lshlrev_b32_e32 v34, 30, v39
	v_lshlrev_b32_e32 v36, 29, v39
	;; [unrolled: 1-line block ×3, first 2 shown]
	s_barrier_wait -1
	v_add_co_u32 v33, s8, v33, -1
	s_wait_alu 0xf1ff
	v_cndmask_b32_e64 v35, 0, 1, s8
	v_not_b32_e32 v37, v34
	v_cmp_gt_i32_e64 s8, 0, v34
	v_not_b32_e32 v34, v36
	global_inv scope:SCOPE_SE
	v_cmp_ne_u32_e32 vcc_lo, 0, v35
	v_ashrrev_i32_e32 v35, 31, v37
	v_lshlrev_b32_e32 v37, 28, v39
	v_ashrrev_i32_e32 v34, 31, v34
	s_wait_alu 0xfffd
	v_xor_b32_e32 v33, vcc_lo, v33
	v_cmp_gt_i32_e32 vcc_lo, 0, v36
	s_wait_alu 0xf1ff
	v_xor_b32_e32 v35, s8, v35
	v_not_b32_e32 v36, v37
	s_load_b32 s8, s[18:19], 0xc
	v_and_b32_e32 v33, exec_lo, v33
	v_xor_b32_e32 v34, vcc_lo, v34
	v_cmp_gt_i32_e32 vcc_lo, 0, v37
	v_lshlrev_b32_e32 v37, 26, v39
	s_delay_alu instid0(VALU_DEP_4) | instskip(SKIP_2) | instid1(VALU_DEP_3)
	v_and_b32_e32 v33, v33, v35
	v_ashrrev_i32_e32 v35, 31, v36
	v_not_b32_e32 v36, v38
	v_and_b32_e32 v33, v33, v34
	s_wait_alu 0xfffd
	s_delay_alu instid0(VALU_DEP_3) | instskip(SKIP_3) | instid1(VALU_DEP_4)
	v_xor_b32_e32 v34, vcc_lo, v35
	v_cmp_gt_i32_e32 vcc_lo, 0, v38
	v_ashrrev_i32_e32 v35, 31, v36
	v_not_b32_e32 v36, v37
	v_and_b32_e32 v33, v33, v34
	v_lshlrev_b32_e32 v34, 25, v39
	s_wait_alu 0xfffd
	v_xor_b32_e32 v35, vcc_lo, v35
	v_cmp_gt_i32_e32 vcc_lo, 0, v37
	v_ashrrev_i32_e32 v36, 31, v36
	s_wait_kmcnt 0x0
	s_lshr_b32 s11, s8, 16
	v_not_b32_e32 v37, v34
	v_and_b32_e32 v33, v33, v35
	v_lshlrev_b32_e32 v35, 24, v39
	s_wait_alu 0xfffd
	v_xor_b32_e32 v36, vcc_lo, v36
	v_cmp_gt_i32_e32 vcc_lo, 0, v34
	v_ashrrev_i32_e32 v34, 31, v37
	s_wait_alu 0xfffe
	v_mad_u32_u24 v38, v70, s11, v69
	v_not_b32_e32 v37, v35
	v_and_b32_e32 v36, v33, v36
	s_and_b32 s8, s8, 0xffff
	s_wait_alu 0xfffd
	v_xor_b32_e32 v40, vcc_lo, v34
	v_cmp_gt_i32_e32 vcc_lo, 0, v35
	v_ashrrev_i32_e32 v35, 31, v37
	s_wait_alu 0xfffe
	v_mad_co_u64_u32 v[33:34], null, v38, s8, v[44:45]
	v_and_b32_e32 v34, v36, v40
	s_wait_alu 0xfffd
	v_xor_b32_e32 v40, vcc_lo, v35
	v_dual_mov_b32 v38, s23 :: v_dual_mov_b32 v37, s22
	v_dual_mov_b32 v36, s21 :: v_dual_mov_b32 v35, s20
	s_delay_alu instid0(VALU_DEP_3)
	v_and_b32_e32 v34, v34, v40
	v_and_b32_e32 v39, 0xff, v39
	v_lshrrev_b32_e32 v33, 3, v33
	ds_store_b128 v66, v[35:38] offset:32
	ds_store_b128 v66, v[35:38] offset:48
	v_mbcnt_lo_u32_b32 v78, v34, 0
	v_lshlrev_b32_e32 v35, 5, v39
	v_and_b32_e32 v33, 0x1ffffffc, v33
	v_cmp_ne_u32_e64 s8, 0, v34
	s_wait_loadcnt_dscnt 0x0
	v_cmp_eq_u32_e32 vcc_lo, 0, v78
	s_barrier_signal -1
	v_add_nc_u32_e32 v79, v33, v35
	s_barrier_wait -1
	global_inv scope:SCOPE_SE
	s_and_b32 s11, s8, vcc_lo
	; wave barrier
	s_wait_alu 0xfffe
	s_and_saveexec_b32 s8, s11
; %bb.31:
	v_bcnt_u32_b32 v34, v34, 0
	ds_store_b32 v79, v34 offset:32
; %bb.32:
	s_wait_alu 0xfffe
	s_or_b32 exec_lo, exec_lo, s8
	v_and_b32_e32 v34, s9, v71
	; wave barrier
	s_delay_alu instid0(VALU_DEP_1)
	v_and_b32_e32 v36, 1, v34
	v_lshlrev_b32_e32 v37, 30, v34
	v_lshlrev_b32_e32 v38, 29, v34
	;; [unrolled: 1-line block ×4, first 2 shown]
	v_add_co_u32 v36, s8, v36, -1
	s_wait_alu 0xf1ff
	v_cndmask_b32_e64 v40, 0, 1, s8
	v_not_b32_e32 v83, v37
	v_cmp_gt_i32_e64 s8, 0, v37
	v_not_b32_e32 v37, v38
	v_lshlrev_b32_e32 v81, 26, v34
	v_cmp_ne_u32_e32 vcc_lo, 0, v40
	v_ashrrev_i32_e32 v40, 31, v83
	v_lshlrev_b32_e32 v82, 25, v34
	v_ashrrev_i32_e32 v37, 31, v37
	v_and_b32_e32 v35, 0xff, v34
	s_wait_alu 0xfffd
	v_xor_b32_e32 v36, vcc_lo, v36
	v_cmp_gt_i32_e32 vcc_lo, 0, v38
	v_not_b32_e32 v38, v39
	s_wait_alu 0xf1ff
	v_xor_b32_e32 v40, s8, v40
	v_cmp_gt_i32_e64 s8, 0, v39
	v_and_b32_e32 v36, exec_lo, v36
	v_not_b32_e32 v39, v80
	v_ashrrev_i32_e32 v38, 31, v38
	s_wait_alu 0xfffd
	v_xor_b32_e32 v37, vcc_lo, v37
	v_cmp_gt_i32_e32 vcc_lo, 0, v80
	v_and_b32_e32 v36, v36, v40
	v_not_b32_e32 v40, v81
	v_ashrrev_i32_e32 v39, 31, v39
	s_wait_alu 0xf1ff
	v_xor_b32_e32 v38, s8, v38
	v_lshlrev_b32_e32 v34, 24, v34
	v_and_b32_e32 v36, v36, v37
	v_cmp_gt_i32_e64 s8, 0, v81
	v_not_b32_e32 v37, v82
	v_ashrrev_i32_e32 v40, 31, v40
	s_wait_alu 0xfffd
	v_xor_b32_e32 v39, vcc_lo, v39
	v_and_b32_e32 v36, v36, v38
	v_cmp_gt_i32_e32 vcc_lo, 0, v82
	v_not_b32_e32 v38, v34
	v_ashrrev_i32_e32 v37, 31, v37
	s_wait_alu 0xf1ff
	v_xor_b32_e32 v40, s8, v40
	v_and_b32_e32 v36, v36, v39
	v_lshlrev_b32_e32 v35, 5, v35
	v_cmp_gt_i32_e64 s8, 0, v34
	v_ashrrev_i32_e32 v34, 31, v38
	s_wait_alu 0xfffd
	v_xor_b32_e32 v37, vcc_lo, v37
	v_and_b32_e32 v36, v36, v40
	v_add_nc_u32_e32 v82, v33, v35
	s_wait_alu 0xf1ff
	v_xor_b32_e32 v34, s8, v34
	s_delay_alu instid0(VALU_DEP_3) | instskip(SKIP_2) | instid1(VALU_DEP_1)
	v_and_b32_e32 v35, v36, v37
	ds_load_b32 v80, v82 offset:32
	; wave barrier
	v_and_b32_e32 v34, v35, v34
	v_mbcnt_lo_u32_b32 v81, v34, 0
	v_cmp_ne_u32_e64 s8, 0, v34
	s_delay_alu instid0(VALU_DEP_2)
	v_cmp_eq_u32_e32 vcc_lo, 0, v81
	s_and_b32 s11, s8, vcc_lo
	s_wait_alu 0xfffe
	s_and_saveexec_b32 s8, s11
	s_cbranch_execz .LBB86_34
; %bb.33:
	s_wait_dscnt 0x0
	v_bcnt_u32_b32 v34, v34, v80
	ds_store_b32 v82, v34 offset:32
.LBB86_34:
	s_wait_alu 0xfffe
	s_or_b32 exec_lo, exec_lo, s8
	v_and_b32_e32 v34, s9, v72
	; wave barrier
	s_delay_alu instid0(VALU_DEP_1)
	v_and_b32_e32 v36, 1, v34
	v_lshlrev_b32_e32 v37, 30, v34
	v_lshlrev_b32_e32 v38, 29, v34
	;; [unrolled: 1-line block ×4, first 2 shown]
	v_add_co_u32 v36, s8, v36, -1
	s_wait_alu 0xf1ff
	v_cndmask_b32_e64 v40, 0, 1, s8
	v_not_b32_e32 v86, v37
	v_cmp_gt_i32_e64 s8, 0, v37
	v_not_b32_e32 v37, v38
	v_lshlrev_b32_e32 v84, 26, v34
	v_cmp_ne_u32_e32 vcc_lo, 0, v40
	v_ashrrev_i32_e32 v40, 31, v86
	v_lshlrev_b32_e32 v85, 25, v34
	v_ashrrev_i32_e32 v37, 31, v37
	v_and_b32_e32 v35, 0xff, v34
	s_wait_alu 0xfffd
	v_xor_b32_e32 v36, vcc_lo, v36
	v_cmp_gt_i32_e32 vcc_lo, 0, v38
	v_not_b32_e32 v38, v39
	s_wait_alu 0xf1ff
	v_xor_b32_e32 v40, s8, v40
	v_cmp_gt_i32_e64 s8, 0, v39
	v_and_b32_e32 v36, exec_lo, v36
	v_not_b32_e32 v39, v83
	v_ashrrev_i32_e32 v38, 31, v38
	s_wait_alu 0xfffd
	v_xor_b32_e32 v37, vcc_lo, v37
	v_cmp_gt_i32_e32 vcc_lo, 0, v83
	v_and_b32_e32 v36, v36, v40
	v_not_b32_e32 v40, v84
	v_ashrrev_i32_e32 v39, 31, v39
	s_wait_alu 0xf1ff
	v_xor_b32_e32 v38, s8, v38
	v_lshlrev_b32_e32 v34, 24, v34
	v_and_b32_e32 v36, v36, v37
	v_cmp_gt_i32_e64 s8, 0, v84
	v_not_b32_e32 v37, v85
	v_ashrrev_i32_e32 v40, 31, v40
	s_wait_alu 0xfffd
	v_xor_b32_e32 v39, vcc_lo, v39
	v_and_b32_e32 v36, v36, v38
	v_cmp_gt_i32_e32 vcc_lo, 0, v85
	v_not_b32_e32 v38, v34
	v_ashrrev_i32_e32 v37, 31, v37
	s_wait_alu 0xf1ff
	v_xor_b32_e32 v40, s8, v40
	v_and_b32_e32 v36, v36, v39
	v_lshlrev_b32_e32 v35, 5, v35
	v_cmp_gt_i32_e64 s8, 0, v34
	v_ashrrev_i32_e32 v34, 31, v38
	s_wait_alu 0xfffd
	v_xor_b32_e32 v37, vcc_lo, v37
	v_and_b32_e32 v36, v36, v40
	v_add_nc_u32_e32 v85, v33, v35
	s_wait_alu 0xf1ff
	v_xor_b32_e32 v34, s8, v34
	s_delay_alu instid0(VALU_DEP_3) | instskip(SKIP_2) | instid1(VALU_DEP_1)
	v_and_b32_e32 v35, v36, v37
	ds_load_b32 v83, v85 offset:32
	; wave barrier
	v_and_b32_e32 v34, v35, v34
	v_mbcnt_lo_u32_b32 v84, v34, 0
	v_cmp_ne_u32_e64 s8, 0, v34
	s_delay_alu instid0(VALU_DEP_2)
	v_cmp_eq_u32_e32 vcc_lo, 0, v84
	s_and_b32 s11, s8, vcc_lo
	s_wait_alu 0xfffe
	s_and_saveexec_b32 s8, s11
	s_cbranch_execz .LBB86_36
; %bb.35:
	s_wait_dscnt 0x0
	v_bcnt_u32_b32 v34, v34, v83
	ds_store_b32 v85, v34 offset:32
.LBB86_36:
	s_wait_alu 0xfffe
	s_or_b32 exec_lo, exec_lo, s8
	v_and_b32_e32 v34, s9, v73
	; wave barrier
	s_delay_alu instid0(VALU_DEP_1)
	v_and_b32_e32 v36, 1, v34
	v_lshlrev_b32_e32 v37, 30, v34
	v_lshlrev_b32_e32 v38, 29, v34
	;; [unrolled: 1-line block ×4, first 2 shown]
	v_add_co_u32 v36, s8, v36, -1
	s_wait_alu 0xf1ff
	v_cndmask_b32_e64 v40, 0, 1, s8
	v_not_b32_e32 v89, v37
	v_cmp_gt_i32_e64 s8, 0, v37
	v_not_b32_e32 v37, v38
	v_lshlrev_b32_e32 v87, 26, v34
	v_cmp_ne_u32_e32 vcc_lo, 0, v40
	v_ashrrev_i32_e32 v40, 31, v89
	v_lshlrev_b32_e32 v88, 25, v34
	v_ashrrev_i32_e32 v37, 31, v37
	v_and_b32_e32 v35, 0xff, v34
	s_wait_alu 0xfffd
	v_xor_b32_e32 v36, vcc_lo, v36
	v_cmp_gt_i32_e32 vcc_lo, 0, v38
	v_not_b32_e32 v38, v39
	s_wait_alu 0xf1ff
	v_xor_b32_e32 v40, s8, v40
	v_cmp_gt_i32_e64 s8, 0, v39
	v_and_b32_e32 v36, exec_lo, v36
	v_not_b32_e32 v39, v86
	v_ashrrev_i32_e32 v38, 31, v38
	s_wait_alu 0xfffd
	v_xor_b32_e32 v37, vcc_lo, v37
	v_cmp_gt_i32_e32 vcc_lo, 0, v86
	v_and_b32_e32 v36, v36, v40
	v_not_b32_e32 v40, v87
	v_ashrrev_i32_e32 v39, 31, v39
	s_wait_alu 0xf1ff
	v_xor_b32_e32 v38, s8, v38
	v_lshlrev_b32_e32 v34, 24, v34
	v_and_b32_e32 v36, v36, v37
	v_cmp_gt_i32_e64 s8, 0, v87
	v_not_b32_e32 v37, v88
	v_ashrrev_i32_e32 v40, 31, v40
	s_wait_alu 0xfffd
	v_xor_b32_e32 v39, vcc_lo, v39
	v_and_b32_e32 v36, v36, v38
	v_cmp_gt_i32_e32 vcc_lo, 0, v88
	v_not_b32_e32 v38, v34
	v_ashrrev_i32_e32 v37, 31, v37
	s_wait_alu 0xf1ff
	v_xor_b32_e32 v40, s8, v40
	v_and_b32_e32 v36, v36, v39
	v_lshlrev_b32_e32 v35, 5, v35
	v_cmp_gt_i32_e64 s8, 0, v34
	v_ashrrev_i32_e32 v34, 31, v38
	s_wait_alu 0xfffd
	v_xor_b32_e32 v37, vcc_lo, v37
	v_and_b32_e32 v36, v36, v40
	v_add_nc_u32_e32 v88, v33, v35
	s_wait_alu 0xf1ff
	v_xor_b32_e32 v34, s8, v34
	s_delay_alu instid0(VALU_DEP_3) | instskip(SKIP_2) | instid1(VALU_DEP_1)
	v_and_b32_e32 v35, v36, v37
	ds_load_b32 v86, v88 offset:32
	; wave barrier
	v_and_b32_e32 v34, v35, v34
	v_mbcnt_lo_u32_b32 v87, v34, 0
	v_cmp_ne_u32_e64 s8, 0, v34
	s_delay_alu instid0(VALU_DEP_2)
	v_cmp_eq_u32_e32 vcc_lo, 0, v87
	s_and_b32 s11, s8, vcc_lo
	s_wait_alu 0xfffe
	s_and_saveexec_b32 s8, s11
	s_cbranch_execz .LBB86_38
; %bb.37:
	s_wait_dscnt 0x0
	v_bcnt_u32_b32 v34, v34, v86
	ds_store_b32 v88, v34 offset:32
.LBB86_38:
	s_wait_alu 0xfffe
	s_or_b32 exec_lo, exec_lo, s8
	v_and_b32_e32 v34, s9, v74
	; wave barrier
	s_delay_alu instid0(VALU_DEP_1)
	v_and_b32_e32 v36, 1, v34
	v_lshlrev_b32_e32 v37, 30, v34
	v_lshlrev_b32_e32 v38, 29, v34
	;; [unrolled: 1-line block ×4, first 2 shown]
	v_add_co_u32 v36, s8, v36, -1
	s_wait_alu 0xf1ff
	v_cndmask_b32_e64 v40, 0, 1, s8
	v_not_b32_e32 v92, v37
	v_cmp_gt_i32_e64 s8, 0, v37
	v_not_b32_e32 v37, v38
	v_lshlrev_b32_e32 v90, 26, v34
	v_cmp_ne_u32_e32 vcc_lo, 0, v40
	v_ashrrev_i32_e32 v40, 31, v92
	v_lshlrev_b32_e32 v91, 25, v34
	v_ashrrev_i32_e32 v37, 31, v37
	v_and_b32_e32 v35, 0xff, v34
	s_wait_alu 0xfffd
	v_xor_b32_e32 v36, vcc_lo, v36
	v_cmp_gt_i32_e32 vcc_lo, 0, v38
	v_not_b32_e32 v38, v39
	s_wait_alu 0xf1ff
	v_xor_b32_e32 v40, s8, v40
	v_cmp_gt_i32_e64 s8, 0, v39
	v_and_b32_e32 v36, exec_lo, v36
	v_not_b32_e32 v39, v89
	v_ashrrev_i32_e32 v38, 31, v38
	s_wait_alu 0xfffd
	v_xor_b32_e32 v37, vcc_lo, v37
	v_cmp_gt_i32_e32 vcc_lo, 0, v89
	v_and_b32_e32 v36, v36, v40
	v_not_b32_e32 v40, v90
	v_ashrrev_i32_e32 v39, 31, v39
	s_wait_alu 0xf1ff
	v_xor_b32_e32 v38, s8, v38
	v_lshlrev_b32_e32 v34, 24, v34
	v_and_b32_e32 v36, v36, v37
	v_cmp_gt_i32_e64 s8, 0, v90
	v_not_b32_e32 v37, v91
	v_ashrrev_i32_e32 v40, 31, v40
	s_wait_alu 0xfffd
	v_xor_b32_e32 v39, vcc_lo, v39
	v_and_b32_e32 v36, v36, v38
	v_cmp_gt_i32_e32 vcc_lo, 0, v91
	v_not_b32_e32 v38, v34
	v_ashrrev_i32_e32 v37, 31, v37
	s_wait_alu 0xf1ff
	v_xor_b32_e32 v40, s8, v40
	v_and_b32_e32 v36, v36, v39
	v_lshlrev_b32_e32 v35, 5, v35
	v_cmp_gt_i32_e64 s8, 0, v34
	v_ashrrev_i32_e32 v34, 31, v38
	s_wait_alu 0xfffd
	v_xor_b32_e32 v37, vcc_lo, v37
	v_and_b32_e32 v36, v36, v40
	v_add_nc_u32_e32 v91, v33, v35
	s_wait_alu 0xf1ff
	v_xor_b32_e32 v34, s8, v34
	s_delay_alu instid0(VALU_DEP_3) | instskip(SKIP_2) | instid1(VALU_DEP_1)
	v_and_b32_e32 v35, v36, v37
	ds_load_b32 v89, v91 offset:32
	; wave barrier
	v_and_b32_e32 v34, v35, v34
	v_mbcnt_lo_u32_b32 v90, v34, 0
	v_cmp_ne_u32_e64 s8, 0, v34
	s_delay_alu instid0(VALU_DEP_2)
	v_cmp_eq_u32_e32 vcc_lo, 0, v90
	s_and_b32 s11, s8, vcc_lo
	s_wait_alu 0xfffe
	s_and_saveexec_b32 s8, s11
	s_cbranch_execz .LBB86_40
; %bb.39:
	s_wait_dscnt 0x0
	v_bcnt_u32_b32 v34, v34, v89
	ds_store_b32 v91, v34 offset:32
.LBB86_40:
	s_wait_alu 0xfffe
	s_or_b32 exec_lo, exec_lo, s8
	v_and_b32_e32 v34, s9, v75
	; wave barrier
	s_delay_alu instid0(VALU_DEP_1)
	v_and_b32_e32 v36, 1, v34
	v_lshlrev_b32_e32 v37, 30, v34
	v_lshlrev_b32_e32 v38, 29, v34
	;; [unrolled: 1-line block ×4, first 2 shown]
	v_add_co_u32 v36, s8, v36, -1
	s_wait_alu 0xf1ff
	v_cndmask_b32_e64 v40, 0, 1, s8
	v_not_b32_e32 v95, v37
	v_cmp_gt_i32_e64 s8, 0, v37
	v_not_b32_e32 v37, v38
	v_lshlrev_b32_e32 v93, 26, v34
	v_cmp_ne_u32_e32 vcc_lo, 0, v40
	v_ashrrev_i32_e32 v40, 31, v95
	v_lshlrev_b32_e32 v94, 25, v34
	v_ashrrev_i32_e32 v37, 31, v37
	v_and_b32_e32 v35, 0xff, v34
	s_wait_alu 0xfffd
	v_xor_b32_e32 v36, vcc_lo, v36
	v_cmp_gt_i32_e32 vcc_lo, 0, v38
	v_not_b32_e32 v38, v39
	s_wait_alu 0xf1ff
	v_xor_b32_e32 v40, s8, v40
	v_cmp_gt_i32_e64 s8, 0, v39
	v_and_b32_e32 v36, exec_lo, v36
	v_not_b32_e32 v39, v92
	v_ashrrev_i32_e32 v38, 31, v38
	s_wait_alu 0xfffd
	v_xor_b32_e32 v37, vcc_lo, v37
	v_cmp_gt_i32_e32 vcc_lo, 0, v92
	v_and_b32_e32 v36, v36, v40
	v_not_b32_e32 v40, v93
	v_ashrrev_i32_e32 v39, 31, v39
	s_wait_alu 0xf1ff
	v_xor_b32_e32 v38, s8, v38
	v_lshlrev_b32_e32 v34, 24, v34
	v_and_b32_e32 v36, v36, v37
	v_cmp_gt_i32_e64 s8, 0, v93
	v_not_b32_e32 v37, v94
	v_ashrrev_i32_e32 v40, 31, v40
	s_wait_alu 0xfffd
	v_xor_b32_e32 v39, vcc_lo, v39
	v_and_b32_e32 v36, v36, v38
	v_cmp_gt_i32_e32 vcc_lo, 0, v94
	v_not_b32_e32 v38, v34
	v_ashrrev_i32_e32 v37, 31, v37
	s_wait_alu 0xf1ff
	v_xor_b32_e32 v40, s8, v40
	v_and_b32_e32 v36, v36, v39
	v_lshlrev_b32_e32 v35, 5, v35
	v_cmp_gt_i32_e64 s8, 0, v34
	v_ashrrev_i32_e32 v34, 31, v38
	s_wait_alu 0xfffd
	v_xor_b32_e32 v37, vcc_lo, v37
	v_and_b32_e32 v36, v36, v40
	v_add_nc_u32_e32 v94, v33, v35
	s_wait_alu 0xf1ff
	v_xor_b32_e32 v34, s8, v34
	s_delay_alu instid0(VALU_DEP_3) | instskip(SKIP_2) | instid1(VALU_DEP_1)
	v_and_b32_e32 v35, v36, v37
	ds_load_b32 v92, v94 offset:32
	; wave barrier
	v_and_b32_e32 v34, v35, v34
	v_mbcnt_lo_u32_b32 v93, v34, 0
	v_cmp_ne_u32_e64 s8, 0, v34
	s_delay_alu instid0(VALU_DEP_2)
	v_cmp_eq_u32_e32 vcc_lo, 0, v93
	s_and_b32 s11, s8, vcc_lo
	s_wait_alu 0xfffe
	s_and_saveexec_b32 s8, s11
	s_cbranch_execz .LBB86_42
; %bb.41:
	s_wait_dscnt 0x0
	v_bcnt_u32_b32 v34, v34, v92
	ds_store_b32 v94, v34 offset:32
.LBB86_42:
	s_wait_alu 0xfffe
	s_or_b32 exec_lo, exec_lo, s8
	v_and_b32_e32 v34, s9, v76
	; wave barrier
	s_delay_alu instid0(VALU_DEP_1)
	v_and_b32_e32 v36, 1, v34
	v_lshlrev_b32_e32 v37, 30, v34
	v_lshlrev_b32_e32 v38, 29, v34
	;; [unrolled: 1-line block ×4, first 2 shown]
	v_add_co_u32 v36, s8, v36, -1
	s_wait_alu 0xf1ff
	v_cndmask_b32_e64 v40, 0, 1, s8
	v_not_b32_e32 v98, v37
	v_cmp_gt_i32_e64 s8, 0, v37
	v_not_b32_e32 v37, v38
	v_lshlrev_b32_e32 v96, 26, v34
	v_cmp_ne_u32_e32 vcc_lo, 0, v40
	v_ashrrev_i32_e32 v40, 31, v98
	v_lshlrev_b32_e32 v97, 25, v34
	v_ashrrev_i32_e32 v37, 31, v37
	v_and_b32_e32 v35, 0xff, v34
	s_wait_alu 0xfffd
	v_xor_b32_e32 v36, vcc_lo, v36
	v_cmp_gt_i32_e32 vcc_lo, 0, v38
	v_not_b32_e32 v38, v39
	s_wait_alu 0xf1ff
	v_xor_b32_e32 v40, s8, v40
	v_cmp_gt_i32_e64 s8, 0, v39
	v_and_b32_e32 v36, exec_lo, v36
	v_not_b32_e32 v39, v95
	v_ashrrev_i32_e32 v38, 31, v38
	s_wait_alu 0xfffd
	v_xor_b32_e32 v37, vcc_lo, v37
	v_cmp_gt_i32_e32 vcc_lo, 0, v95
	v_and_b32_e32 v36, v36, v40
	v_not_b32_e32 v40, v96
	v_ashrrev_i32_e32 v39, 31, v39
	s_wait_alu 0xf1ff
	v_xor_b32_e32 v38, s8, v38
	v_lshlrev_b32_e32 v34, 24, v34
	v_and_b32_e32 v36, v36, v37
	v_cmp_gt_i32_e64 s8, 0, v96
	v_not_b32_e32 v37, v97
	v_ashrrev_i32_e32 v40, 31, v40
	s_wait_alu 0xfffd
	v_xor_b32_e32 v39, vcc_lo, v39
	v_and_b32_e32 v36, v36, v38
	v_cmp_gt_i32_e32 vcc_lo, 0, v97
	v_not_b32_e32 v38, v34
	v_ashrrev_i32_e32 v37, 31, v37
	s_wait_alu 0xf1ff
	v_xor_b32_e32 v40, s8, v40
	v_and_b32_e32 v36, v36, v39
	v_lshlrev_b32_e32 v35, 5, v35
	v_cmp_gt_i32_e64 s8, 0, v34
	v_ashrrev_i32_e32 v34, 31, v38
	s_wait_alu 0xfffd
	v_xor_b32_e32 v37, vcc_lo, v37
	v_and_b32_e32 v36, v36, v40
	v_add_nc_u32_e32 v97, v33, v35
	s_wait_alu 0xf1ff
	v_xor_b32_e32 v34, s8, v34
	s_delay_alu instid0(VALU_DEP_3) | instskip(SKIP_2) | instid1(VALU_DEP_1)
	v_and_b32_e32 v35, v36, v37
	ds_load_b32 v95, v97 offset:32
	; wave barrier
	v_and_b32_e32 v34, v35, v34
	v_mbcnt_lo_u32_b32 v96, v34, 0
	v_cmp_ne_u32_e64 s8, 0, v34
	s_delay_alu instid0(VALU_DEP_2)
	v_cmp_eq_u32_e32 vcc_lo, 0, v96
	s_and_b32 s11, s8, vcc_lo
	s_wait_alu 0xfffe
	s_and_saveexec_b32 s8, s11
	s_cbranch_execz .LBB86_44
; %bb.43:
	s_wait_dscnt 0x0
	v_bcnt_u32_b32 v34, v34, v95
	ds_store_b32 v97, v34 offset:32
.LBB86_44:
	s_wait_alu 0xfffe
	s_or_b32 exec_lo, exec_lo, s8
	v_and_b32_e32 v34, s9, v77
	; wave barrier
	s_delay_alu instid0(VALU_DEP_1)
	v_and_b32_e32 v36, 1, v34
	v_lshlrev_b32_e32 v37, 30, v34
	v_lshlrev_b32_e32 v38, 29, v34
	;; [unrolled: 1-line block ×4, first 2 shown]
	v_add_co_u32 v36, s8, v36, -1
	s_wait_alu 0xf1ff
	v_cndmask_b32_e64 v40, 0, 1, s8
	v_not_b32_e32 v101, v37
	v_cmp_gt_i32_e64 s8, 0, v37
	v_not_b32_e32 v37, v38
	v_lshlrev_b32_e32 v99, 26, v34
	v_cmp_ne_u32_e32 vcc_lo, 0, v40
	v_ashrrev_i32_e32 v40, 31, v101
	v_lshlrev_b32_e32 v100, 25, v34
	v_ashrrev_i32_e32 v37, 31, v37
	v_and_b32_e32 v35, 0xff, v34
	s_wait_alu 0xfffd
	v_xor_b32_e32 v36, vcc_lo, v36
	v_cmp_gt_i32_e32 vcc_lo, 0, v38
	v_not_b32_e32 v38, v39
	s_wait_alu 0xf1ff
	v_xor_b32_e32 v40, s8, v40
	v_cmp_gt_i32_e64 s8, 0, v39
	v_and_b32_e32 v36, exec_lo, v36
	v_not_b32_e32 v39, v98
	v_ashrrev_i32_e32 v38, 31, v38
	s_wait_alu 0xfffd
	v_xor_b32_e32 v37, vcc_lo, v37
	v_cmp_gt_i32_e32 vcc_lo, 0, v98
	v_and_b32_e32 v36, v36, v40
	v_not_b32_e32 v40, v99
	v_ashrrev_i32_e32 v39, 31, v39
	s_wait_alu 0xf1ff
	v_xor_b32_e32 v38, s8, v38
	v_lshlrev_b32_e32 v34, 24, v34
	v_and_b32_e32 v36, v36, v37
	v_cmp_gt_i32_e64 s8, 0, v99
	v_not_b32_e32 v37, v100
	v_ashrrev_i32_e32 v40, 31, v40
	s_wait_alu 0xfffd
	v_xor_b32_e32 v39, vcc_lo, v39
	v_and_b32_e32 v36, v36, v38
	v_cmp_gt_i32_e32 vcc_lo, 0, v100
	v_not_b32_e32 v38, v34
	v_ashrrev_i32_e32 v37, 31, v37
	s_wait_alu 0xf1ff
	v_xor_b32_e32 v40, s8, v40
	v_and_b32_e32 v36, v36, v39
	v_lshlrev_b32_e32 v35, 5, v35
	v_cmp_gt_i32_e64 s8, 0, v34
	v_ashrrev_i32_e32 v34, 31, v38
	s_wait_alu 0xfffd
	v_xor_b32_e32 v37, vcc_lo, v37
	v_and_b32_e32 v36, v36, v40
	v_add_nc_u32_e32 v100, v33, v35
	s_wait_alu 0xf1ff
	v_xor_b32_e32 v33, s8, v34
	s_delay_alu instid0(VALU_DEP_3) | instskip(SKIP_2) | instid1(VALU_DEP_1)
	v_and_b32_e32 v34, v36, v37
	ds_load_b32 v98, v100 offset:32
	; wave barrier
	v_and_b32_e32 v33, v34, v33
	v_mbcnt_lo_u32_b32 v99, v33, 0
	v_cmp_ne_u32_e64 s8, 0, v33
	s_delay_alu instid0(VALU_DEP_2)
	v_cmp_eq_u32_e32 vcc_lo, 0, v99
	s_and_b32 s9, s8, vcc_lo
	s_wait_alu 0xfffe
	s_and_saveexec_b32 s8, s9
	s_cbranch_execz .LBB86_46
; %bb.45:
	s_wait_dscnt 0x0
	v_bcnt_u32_b32 v33, v33, v98
	ds_store_b32 v100, v33 offset:32
.LBB86_46:
	s_wait_alu 0xfffe
	s_or_b32 exec_lo, exec_lo, s8
	; wave barrier
	s_wait_loadcnt_dscnt 0x0
	s_barrier_signal -1
	s_barrier_wait -1
	global_inv scope:SCOPE_SE
	ds_load_b128 v[37:40], v66 offset:32
	ds_load_b128 v[33:36], v66 offset:48
	v_min_u32_e32 v103, 0xe0, v68
	s_mov_b32 s8, exec_lo
	s_wait_dscnt 0x1
	v_add_nc_u32_e32 v101, v38, v37
	s_delay_alu instid0(VALU_DEP_1) | instskip(SKIP_1) | instid1(VALU_DEP_1)
	v_add3_u32 v101, v101, v39, v40
	s_wait_dscnt 0x0
	v_add3_u32 v101, v101, v33, v34
	s_delay_alu instid0(VALU_DEP_1) | instskip(SKIP_1) | instid1(VALU_DEP_2)
	v_add3_u32 v36, v101, v35, v36
	v_and_b32_e32 v101, 15, v67
	v_mov_b32_dpp v102, v36 row_shr:1 row_mask:0xf bank_mask:0xf
	s_delay_alu instid0(VALU_DEP_2) | instskip(SKIP_1) | instid1(VALU_DEP_2)
	v_cmp_ne_u32_e32 vcc_lo, 0, v101
	s_wait_alu 0xfffd
	v_cndmask_b32_e32 v102, 0, v102, vcc_lo
	v_cmp_lt_u32_e32 vcc_lo, 1, v101
	s_delay_alu instid0(VALU_DEP_2) | instskip(NEXT) | instid1(VALU_DEP_1)
	v_add_nc_u32_e32 v36, v102, v36
	v_mov_b32_dpp v102, v36 row_shr:2 row_mask:0xf bank_mask:0xf
	s_wait_alu 0xfffd
	s_delay_alu instid0(VALU_DEP_1) | instskip(SKIP_1) | instid1(VALU_DEP_2)
	v_cndmask_b32_e32 v102, 0, v102, vcc_lo
	v_cmp_lt_u32_e32 vcc_lo, 3, v101
	v_add_nc_u32_e32 v36, v36, v102
	s_delay_alu instid0(VALU_DEP_1) | instskip(SKIP_1) | instid1(VALU_DEP_1)
	v_mov_b32_dpp v102, v36 row_shr:4 row_mask:0xf bank_mask:0xf
	s_wait_alu 0xfffd
	v_cndmask_b32_e32 v102, 0, v102, vcc_lo
	v_cmp_lt_u32_e32 vcc_lo, 7, v101
	s_delay_alu instid0(VALU_DEP_2) | instskip(NEXT) | instid1(VALU_DEP_1)
	v_add_nc_u32_e32 v36, v36, v102
	v_mov_b32_dpp v102, v36 row_shr:8 row_mask:0xf bank_mask:0xf
	s_wait_alu 0xfffd
	s_delay_alu instid0(VALU_DEP_1) | instskip(SKIP_1) | instid1(VALU_DEP_2)
	v_cndmask_b32_e32 v101, 0, v102, vcc_lo
	v_bfe_i32 v102, v67, 4, 1
	v_add_nc_u32_e32 v36, v36, v101
	ds_swizzle_b32 v101, v36 offset:swizzle(BROADCAST,32,15)
	s_wait_dscnt 0x0
	v_and_b32_e32 v101, v102, v101
	v_or_b32_e32 v102, 31, v103
	s_delay_alu instid0(VALU_DEP_2) | instskip(NEXT) | instid1(VALU_DEP_2)
	v_add_nc_u32_e32 v36, v36, v101
	v_cmpx_eq_u32_e64 v44, v102
; %bb.47:
	v_lshlrev_b32_e32 v101, 2, v62
	ds_store_b32 v101, v36
; %bb.48:
	s_wait_alu 0xfffe
	s_or_b32 exec_lo, exec_lo, s8
	s_delay_alu instid0(SALU_CYCLE_1)
	s_mov_b32 s8, exec_lo
	s_wait_loadcnt_dscnt 0x0
	s_barrier_signal -1
	s_barrier_wait -1
	global_inv scope:SCOPE_SE
	v_cmpx_gt_u32_e32 8, v44
	s_cbranch_execz .LBB86_50
; %bb.49:
	v_lshlrev_b32_e32 v101, 2, v44
	ds_load_b32 v102, v101
	s_wait_dscnt 0x0
	v_mov_b32_dpp v104, v102 row_shr:1 row_mask:0xf bank_mask:0xf
	v_and_b32_e32 v103, 7, v67
	s_delay_alu instid0(VALU_DEP_1) | instskip(SKIP_1) | instid1(VALU_DEP_3)
	v_cmp_ne_u32_e32 vcc_lo, 0, v103
	s_wait_alu 0xfffd
	v_cndmask_b32_e32 v104, 0, v104, vcc_lo
	v_cmp_lt_u32_e32 vcc_lo, 1, v103
	s_delay_alu instid0(VALU_DEP_2) | instskip(NEXT) | instid1(VALU_DEP_1)
	v_add_nc_u32_e32 v102, v104, v102
	v_mov_b32_dpp v104, v102 row_shr:2 row_mask:0xf bank_mask:0xf
	s_wait_alu 0xfffd
	s_delay_alu instid0(VALU_DEP_1) | instskip(SKIP_1) | instid1(VALU_DEP_2)
	v_cndmask_b32_e32 v104, 0, v104, vcc_lo
	v_cmp_lt_u32_e32 vcc_lo, 3, v103
	v_add_nc_u32_e32 v102, v102, v104
	s_delay_alu instid0(VALU_DEP_1) | instskip(SKIP_1) | instid1(VALU_DEP_1)
	v_mov_b32_dpp v104, v102 row_shr:4 row_mask:0xf bank_mask:0xf
	s_wait_alu 0xfffd
	v_cndmask_b32_e32 v103, 0, v104, vcc_lo
	s_delay_alu instid0(VALU_DEP_1)
	v_add_nc_u32_e32 v102, v102, v103
	ds_store_b32 v101, v102
.LBB86_50:
	s_wait_alu 0xfffe
	s_or_b32 exec_lo, exec_lo, s8
	v_mov_b32_e32 v101, 0
	s_mov_b32 s8, exec_lo
	s_wait_loadcnt_dscnt 0x0
	s_barrier_signal -1
	s_barrier_wait -1
	global_inv scope:SCOPE_SE
	v_cmpx_lt_u32_e32 31, v44
; %bb.51:
	v_lshl_add_u32 v101, v62, 2, -4
	ds_load_b32 v101, v101
; %bb.52:
	s_wait_alu 0xfffe
	s_or_b32 exec_lo, exec_lo, s8
	v_sub_co_u32 v102, vcc_lo, v67, 1
	s_wait_dscnt 0x0
	v_add_nc_u32_e32 v36, v101, v36
	s_delay_alu instid0(VALU_DEP_2) | instskip(SKIP_1) | instid1(VALU_DEP_1)
	v_cmp_gt_i32_e64 s8, 0, v102
	s_wait_alu 0xf1ff
	v_cndmask_b32_e64 v102, v102, v67, s8
	s_delay_alu instid0(VALU_DEP_1)
	v_lshlrev_b32_e32 v102, 2, v102
	ds_bpermute_b32 v36, v102, v36
	s_wait_dscnt 0x0
	s_wait_alu 0xfffd
	v_cndmask_b32_e32 v36, v36, v101, vcc_lo
	v_cmp_ne_u32_e32 vcc_lo, 0, v44
	s_wait_alu 0xfffd
	s_delay_alu instid0(VALU_DEP_2) | instskip(NEXT) | instid1(VALU_DEP_1)
	v_cndmask_b32_e32 v36, 0, v36, vcc_lo
	v_add_nc_u32_e32 v37, v36, v37
	s_delay_alu instid0(VALU_DEP_1) | instskip(NEXT) | instid1(VALU_DEP_1)
	v_add_nc_u32_e32 v38, v37, v38
	v_add_nc_u32_e32 v39, v38, v39
	s_delay_alu instid0(VALU_DEP_1) | instskip(NEXT) | instid1(VALU_DEP_1)
	v_add_nc_u32_e32 v101, v39, v40
	;; [unrolled: 3-line block ×3, first 2 shown]
	v_add_nc_u32_e32 v104, v103, v35
	ds_store_b128 v66, v[36:39] offset:32
	ds_store_b128 v66, v[101:104] offset:48
	s_wait_loadcnt_dscnt 0x0
	s_barrier_signal -1
	s_barrier_wait -1
	global_inv scope:SCOPE_SE
	ds_load_b32 v33, v79 offset:32
	ds_load_b32 v34, v82 offset:32
	;; [unrolled: 1-line block ×8, first 2 shown]
	v_mad_u32_u24 v79, v44, 56, v57
	s_wait_loadcnt_dscnt 0x0
	s_barrier_signal -1
	s_barrier_wait -1
	global_inv scope:SCOPE_SE
	v_add_nc_u32_e32 v78, v33, v78
	v_add3_u32 v80, v81, v80, v34
	v_add3_u32 v35, v84, v83, v35
	;; [unrolled: 1-line block ×7, first 2 shown]
	ds_store_b8 v78, v0
	ds_store_b8 v80, v71
	;; [unrolled: 1-line block ×8, first 2 shown]
	v_lshlrev_b32_e32 v0, 3, v78
	v_lshlrev_b32_e32 v71, 3, v80
	v_lshlrev_b32_e32 v35, 3, v35
	v_lshlrev_b32_e32 v36, 3, v36
	v_lshlrev_b32_e32 v37, 3, v37
	s_wait_loadcnt_dscnt 0x0
	s_barrier_signal -1
	s_barrier_wait -1
	global_inv scope:SCOPE_SE
	ds_load_b64 v[33:34], v57
	s_wait_loadcnt_dscnt 0x0
	s_barrier_signal -1
	s_barrier_wait -1
	global_inv scope:SCOPE_SE
	v_lshlrev_b32_e32 v38, 3, v38
	v_lshlrev_b32_e32 v39, 3, v39
	;; [unrolled: 1-line block ×3, first 2 shown]
	ds_store_b64 v0, v[25:26]
	ds_store_b64 v71, v[27:28]
	;; [unrolled: 1-line block ×8, first 2 shown]
	s_wait_loadcnt_dscnt 0x0
	s_barrier_signal -1
	s_barrier_wait -1
	global_inv scope:SCOPE_SE
	ds_load_b128 v[29:32], v79
	ds_load_b128 v[25:28], v79 offset:16
	ds_load_b128 v[21:24], v79 offset:32
	;; [unrolled: 1-line block ×3, first 2 shown]
	s_branch .LBB86_84
.LBB86_53:
	v_lshlrev_b64_e32 v[1:2], 3, v[41:42]
	v_dual_mov_b32 v43, v42 :: v_dual_mov_b32 v10, v42
	v_dual_mov_b32 v9, v42 :: v_dual_mov_b32 v12, v42
	v_mov_b32_e32 v11, v42
	s_delay_alu instid0(VALU_DEP_4) | instskip(NEXT) | instid1(VALU_DEP_1)
	v_add_co_u32 v1, vcc_lo, s16, v1
	v_add_co_ci_u32_e64 v2, null, s17, v2, vcc_lo
	v_dual_mov_b32 v3, v42 :: v_dual_mov_b32 v6, v42
	v_dual_mov_b32 v5, v42 :: v_dual_mov_b32 v8, v42
	global_load_b64 v[13:14], v[1:2], off
	v_dual_mov_b32 v1, v42 :: v_dual_mov_b32 v4, v42
	v_dual_mov_b32 v2, v42 :: v_dual_mov_b32 v7, v42
	s_wait_alu 0xfffe
	s_or_b32 exec_lo, exec_lo, s9
	s_and_saveexec_b32 s9, s1
	s_cbranch_execz .LBB86_22
.LBB86_54:
	v_mul_lo_u32 v30, s12, v28
	v_mov_b32_e32 v31, 0
	s_delay_alu instid0(VALU_DEP_1) | instskip(NEXT) | instid1(VALU_DEP_1)
	v_lshlrev_b64_e32 v[30:31], 3, v[30:31]
	v_add_co_u32 v30, vcc_lo, s16, v30
	s_wait_alu 0xfffd
	s_delay_alu instid0(VALU_DEP_2)
	v_add_co_ci_u32_e64 v31, null, s17, v31, vcc_lo
	global_load_b64 v[42:43], v[30:31], off
	s_wait_alu 0xfffe
	s_or_b32 exec_lo, exec_lo, s9
	s_and_saveexec_b32 s9, s2
	s_cbranch_execz .LBB86_23
.LBB86_55:
	v_mul_lo_u32 v9, s12, v24
	v_mov_b32_e32 v10, 0
	s_delay_alu instid0(VALU_DEP_1) | instskip(NEXT) | instid1(VALU_DEP_1)
	v_lshlrev_b64_e32 v[9:10], 3, v[9:10]
	v_add_co_u32 v9, vcc_lo, s16, v9
	s_wait_alu 0xfffd
	s_delay_alu instid0(VALU_DEP_2)
	v_add_co_ci_u32_e64 v10, null, s17, v10, vcc_lo
	global_load_b64 v[9:10], v[9:10], off
	s_wait_alu 0xfffe
	s_or_b32 exec_lo, exec_lo, s9
	s_and_saveexec_b32 s9, s3
	s_cbranch_execz .LBB86_24
.LBB86_56:
	v_mul_lo_u32 v11, s12, v21
	v_mov_b32_e32 v12, 0
	s_delay_alu instid0(VALU_DEP_1) | instskip(NEXT) | instid1(VALU_DEP_1)
	v_lshlrev_b64_e32 v[11:12], 3, v[11:12]
	v_add_co_u32 v11, vcc_lo, s16, v11
	s_wait_alu 0xfffd
	s_delay_alu instid0(VALU_DEP_2)
	v_add_co_ci_u32_e64 v12, null, s17, v12, vcc_lo
	global_load_b64 v[11:12], v[11:12], off
	s_wait_alu 0xfffe
	s_or_b32 exec_lo, exec_lo, s9
	s_and_saveexec_b32 s9, s4
	s_cbranch_execz .LBB86_25
.LBB86_57:
	v_mul_lo_u32 v1, s12, v19
	v_mov_b32_e32 v2, 0
	s_delay_alu instid0(VALU_DEP_1) | instskip(NEXT) | instid1(VALU_DEP_1)
	v_lshlrev_b64_e32 v[1:2], 3, v[1:2]
	v_add_co_u32 v1, vcc_lo, s16, v1
	s_wait_alu 0xfffd
	s_delay_alu instid0(VALU_DEP_2)
	v_add_co_ci_u32_e64 v2, null, s17, v2, vcc_lo
	global_load_b64 v[1:2], v[1:2], off
	s_wait_alu 0xfffe
	s_or_b32 exec_lo, exec_lo, s9
	s_and_saveexec_b32 s9, s5
	s_cbranch_execz .LBB86_26
.LBB86_58:
	v_mul_lo_u32 v3, s12, v17
	v_mov_b32_e32 v4, 0
	s_delay_alu instid0(VALU_DEP_1) | instskip(NEXT) | instid1(VALU_DEP_1)
	v_lshlrev_b64_e32 v[3:4], 3, v[3:4]
	v_add_co_u32 v3, vcc_lo, s16, v3
	s_wait_alu 0xfffd
	s_delay_alu instid0(VALU_DEP_2)
	v_add_co_ci_u32_e64 v4, null, s17, v4, vcc_lo
	global_load_b64 v[3:4], v[3:4], off
	s_wait_alu 0xfffe
	s_or_b32 exec_lo, exec_lo, s9
	s_and_saveexec_b32 s9, s6
	s_cbranch_execz .LBB86_27
.LBB86_59:
	v_mul_lo_u32 v5, s12, v16
	v_mov_b32_e32 v6, 0
	s_delay_alu instid0(VALU_DEP_1) | instskip(NEXT) | instid1(VALU_DEP_1)
	v_lshlrev_b64_e32 v[5:6], 3, v[5:6]
	v_add_co_u32 v5, vcc_lo, s16, v5
	s_wait_alu 0xfffd
	s_delay_alu instid0(VALU_DEP_2)
	v_add_co_ci_u32_e64 v6, null, s17, v6, vcc_lo
	global_load_b64 v[5:6], v[5:6], off
	s_wait_alu 0xfffe
	s_or_b32 exec_lo, exec_lo, s9
	s_and_saveexec_b32 s9, s7
	s_cbranch_execnz .LBB86_28
	s_branch .LBB86_29
.LBB86_60:
                                        ; implicit-def: $vgpr19_vgpr20
                                        ; implicit-def: $vgpr23_vgpr24
                                        ; implicit-def: $vgpr27_vgpr28
                                        ; implicit-def: $vgpr31_vgpr32
                                        ; implicit-def: $vgpr34
	s_cbranch_execz .LBB86_84
; %bb.61:
	v_or_b32_e32 v0, v67, v68
	s_getpc_b64 s[8:9]
	s_wait_alu 0xfffe
	s_sext_i32_i16 s9, s9
	s_add_co_u32 s8, s8, _ZN7rocprim17ROCPRIM_400000_NS16block_radix_sortIhLj256ELj8ElLj1ELj1ELj0ELNS0_26block_radix_rank_algorithmE1ELNS0_18block_padding_hintE2ELNS0_4arch9wavefront6targetE0EE19radix_bits_per_passE@rel32@lo+12
	s_wait_alu 0xfffe
	s_add_co_ci_u32 s9, s9, _ZN7rocprim17ROCPRIM_400000_NS16block_radix_sortIhLj256ELj8ElLj1ELj1ELj0ELNS0_26block_radix_rank_algorithmE1ELNS0_18block_padding_hintE2ELNS0_4arch9wavefront6targetE0EE19radix_bits_per_passE@rel32@hi+24
	s_mov_b32 s20, 0
	s_load_b32 s8, s[8:9], 0x0
	s_wait_dscnt 0x0
	v_not_b32_e32 v18, v46
	v_not_b32_e32 v17, v45
	v_and_or_b32 v20, 0x1f00, v57, v67
	s_mov_b32 s21, s20
	s_mov_b32 s22, s20
	;; [unrolled: 1-line block ×3, first 2 shown]
	v_lshlrev_b32_e32 v19, 3, v0
	ds_store_b64 v19, v[17:18]
	; wave barrier
	ds_load_u8 v24, v20
	v_mad_u32_u24 v0, v0, 56, v19
	ds_load_u8 v25, v20 offset:32
	ds_load_u8 v26, v20 offset:64
	;; [unrolled: 1-line block ×7, first 2 shown]
	s_wait_loadcnt_dscnt 0x0
	s_barrier_signal -1
	s_wait_kmcnt 0x0
	s_min_u32 s8, s8, 8
	s_barrier_wait -1
	s_wait_alu 0xfffe
	s_lshl_b32 s8, -1, s8
	global_inv scope:SCOPE_SE
	s_wait_alu 0xfffe
	s_not_b32 s9, s8
	ds_store_b128 v0, v[13:16]
	ds_store_b128 v0, v[9:12] offset:16
	v_mad_u32_u24 v17, v20, 7, v20
	ds_store_b128 v0, v[5:8] offset:32
	ds_store_b128 v0, v[1:4] offset:48
	; wave barrier
	ds_load_2addr_b64 v[0:3], v17 offset1:32
	ds_load_2addr_b64 v[8:11], v17 offset0:64 offset1:96
	ds_load_2addr_b64 v[4:7], v17 offset0:128 offset1:160
	s_wait_alu 0xfffe
	v_and_b32_e32 v22, s9, v24
	s_delay_alu instid0(VALU_DEP_1) | instskip(SKIP_2) | instid1(VALU_DEP_3)
	v_and_b32_e32 v12, 1, v22
	v_lshlrev_b32_e32 v16, 30, v22
	v_lshlrev_b32_e32 v20, 28, v22
	v_add_co_u32 v18, s8, v12, -1
	s_wait_alu 0xf1ff
	v_cndmask_b32_e64 v19, 0, 1, s8
	ds_load_2addr_b64 v[12:15], v17 offset0:192 offset1:224
	v_not_b32_e32 v17, v16
	v_cmp_gt_i32_e64 s8, 0, v16
	s_wait_loadcnt_dscnt 0x0
	v_cmp_ne_u32_e32 vcc_lo, 0, v19
	v_lshlrev_b32_e32 v19, 29, v22
	v_ashrrev_i32_e32 v16, 31, v17
	s_barrier_signal -1
	s_barrier_wait -1
	s_wait_alu 0xfffd
	v_xor_b32_e32 v17, vcc_lo, v18
	v_not_b32_e32 v18, v19
	s_wait_alu 0xf1ff
	v_xor_b32_e32 v16, s8, v16
	v_cmp_gt_i32_e32 vcc_lo, 0, v19
	v_not_b32_e32 v19, v20
	v_and_b32_e32 v17, exec_lo, v17
	v_ashrrev_i32_e32 v18, 31, v18
	global_inv scope:SCOPE_SE
	s_load_b32 s8, s[18:19], 0xc
	v_ashrrev_i32_e32 v19, 31, v19
	v_and_b32_e32 v16, v17, v16
	v_lshlrev_b32_e32 v17, 27, v22
	v_xor_b32_e32 v18, vcc_lo, v18
	v_cmp_gt_i32_e32 vcc_lo, 0, v20
	s_delay_alu instid0(VALU_DEP_3) | instskip(NEXT) | instid1(VALU_DEP_3)
	v_not_b32_e32 v20, v17
	v_and_b32_e32 v16, v16, v18
	v_lshlrev_b32_e32 v18, 26, v22
	s_wait_alu 0xfffd
	v_xor_b32_e32 v19, vcc_lo, v19
	v_cmp_gt_i32_e32 vcc_lo, 0, v17
	v_ashrrev_i32_e32 v17, 31, v20
	v_not_b32_e32 v20, v18
	s_delay_alu instid0(VALU_DEP_4)
	v_and_b32_e32 v16, v16, v19
	v_lshlrev_b32_e32 v19, 25, v22
	s_wait_alu 0xfffd
	v_xor_b32_e32 v17, vcc_lo, v17
	v_cmp_gt_i32_e32 vcc_lo, 0, v18
	v_ashrrev_i32_e32 v18, 31, v20
	s_wait_kmcnt 0x0
	s_lshr_b32 s11, s8, 16
	v_not_b32_e32 v20, v19
	v_and_b32_e32 v16, v16, v17
	v_lshlrev_b32_e32 v17, 24, v22
	s_wait_alu 0xfffd
	v_xor_b32_e32 v18, vcc_lo, v18
	v_cmp_gt_i32_e32 vcc_lo, 0, v19
	v_ashrrev_i32_e32 v19, 31, v20
	s_wait_alu 0xfffe
	v_mad_u32_u24 v21, v70, s11, v69
	v_not_b32_e32 v20, v17
	v_and_b32_e32 v18, v16, v18
	s_and_b32 s8, s8, 0xffff
	s_wait_alu 0xfffd
	v_xor_b32_e32 v19, vcc_lo, v19
	v_cmp_gt_i32_e32 vcc_lo, 0, v17
	v_ashrrev_i32_e32 v20, 31, v20
	s_wait_alu 0xfffe
	v_mad_co_u64_u32 v[16:17], null, v21, s8, v[44:45]
	v_and_b32_e32 v17, v18, v19
	s_wait_alu 0xfffd
	v_xor_b32_e32 v23, vcc_lo, v20
	v_dual_mov_b32 v18, s20 :: v_dual_mov_b32 v19, s21
	v_dual_mov_b32 v20, s22 :: v_dual_mov_b32 v21, s23
	s_delay_alu instid0(VALU_DEP_3)
	v_and_b32_e32 v17, v17, v23
	v_and_b32_e32 v22, 0xff, v22
	v_lshrrev_b32_e32 v16, 3, v16
	ds_store_b128 v66, v[18:21] offset:32
	ds_store_b128 v66, v[18:21] offset:48
	v_mbcnt_lo_u32_b32 v32, v17, 0
	v_lshlrev_b32_e32 v18, 5, v22
	v_and_b32_e32 v16, 0x1ffffffc, v16
	v_cmp_ne_u32_e64 s8, 0, v17
	s_wait_loadcnt_dscnt 0x0
	v_cmp_eq_u32_e32 vcc_lo, 0, v32
	s_barrier_signal -1
	v_add_nc_u32_e32 v33, v16, v18
	s_barrier_wait -1
	global_inv scope:SCOPE_SE
	s_and_b32 s11, s8, vcc_lo
	; wave barrier
	s_wait_alu 0xfffe
	s_and_saveexec_b32 s8, s11
; %bb.62:
	v_bcnt_u32_b32 v17, v17, 0
	ds_store_b32 v33, v17 offset:32
; %bb.63:
	s_wait_alu 0xfffe
	s_or_b32 exec_lo, exec_lo, s8
	v_and_b32_e32 v17, s9, v25
	; wave barrier
	s_delay_alu instid0(VALU_DEP_1)
	v_and_b32_e32 v19, 1, v17
	v_lshlrev_b32_e32 v20, 30, v17
	v_lshlrev_b32_e32 v21, 29, v17
	;; [unrolled: 1-line block ×4, first 2 shown]
	v_add_co_u32 v19, s8, v19, -1
	s_wait_alu 0xf1ff
	v_cndmask_b32_e64 v23, 0, 1, s8
	v_not_b32_e32 v37, v20
	v_cmp_gt_i32_e64 s8, 0, v20
	v_not_b32_e32 v20, v21
	v_lshlrev_b32_e32 v35, 26, v17
	v_cmp_ne_u32_e32 vcc_lo, 0, v23
	v_ashrrev_i32_e32 v23, 31, v37
	v_lshlrev_b32_e32 v36, 25, v17
	v_ashrrev_i32_e32 v20, 31, v20
	v_and_b32_e32 v18, 0xff, v17
	s_wait_alu 0xfffd
	v_xor_b32_e32 v19, vcc_lo, v19
	v_cmp_gt_i32_e32 vcc_lo, 0, v21
	v_not_b32_e32 v21, v22
	s_wait_alu 0xf1ff
	v_xor_b32_e32 v23, s8, v23
	v_cmp_gt_i32_e64 s8, 0, v22
	v_and_b32_e32 v19, exec_lo, v19
	v_not_b32_e32 v22, v34
	v_ashrrev_i32_e32 v21, 31, v21
	s_wait_alu 0xfffd
	v_xor_b32_e32 v20, vcc_lo, v20
	v_cmp_gt_i32_e32 vcc_lo, 0, v34
	v_and_b32_e32 v19, v19, v23
	v_not_b32_e32 v23, v35
	v_ashrrev_i32_e32 v22, 31, v22
	s_wait_alu 0xf1ff
	v_xor_b32_e32 v21, s8, v21
	v_lshlrev_b32_e32 v17, 24, v17
	v_and_b32_e32 v19, v19, v20
	v_cmp_gt_i32_e64 s8, 0, v35
	v_not_b32_e32 v20, v36
	v_ashrrev_i32_e32 v23, 31, v23
	s_wait_alu 0xfffd
	v_xor_b32_e32 v22, vcc_lo, v22
	v_and_b32_e32 v19, v19, v21
	v_cmp_gt_i32_e32 vcc_lo, 0, v36
	v_not_b32_e32 v21, v17
	v_ashrrev_i32_e32 v20, 31, v20
	s_wait_alu 0xf1ff
	v_xor_b32_e32 v23, s8, v23
	v_and_b32_e32 v19, v19, v22
	v_lshlrev_b32_e32 v18, 5, v18
	v_cmp_gt_i32_e64 s8, 0, v17
	v_ashrrev_i32_e32 v17, 31, v21
	s_wait_alu 0xfffd
	v_xor_b32_e32 v20, vcc_lo, v20
	v_and_b32_e32 v19, v19, v23
	v_add_nc_u32_e32 v36, v16, v18
	s_wait_alu 0xf1ff
	v_xor_b32_e32 v17, s8, v17
	s_delay_alu instid0(VALU_DEP_3) | instskip(SKIP_2) | instid1(VALU_DEP_1)
	v_and_b32_e32 v18, v19, v20
	ds_load_b32 v34, v36 offset:32
	; wave barrier
	v_and_b32_e32 v17, v18, v17
	v_mbcnt_lo_u32_b32 v35, v17, 0
	v_cmp_ne_u32_e64 s8, 0, v17
	s_delay_alu instid0(VALU_DEP_2)
	v_cmp_eq_u32_e32 vcc_lo, 0, v35
	s_and_b32 s11, s8, vcc_lo
	s_wait_alu 0xfffe
	s_and_saveexec_b32 s8, s11
	s_cbranch_execz .LBB86_65
; %bb.64:
	s_wait_dscnt 0x0
	v_bcnt_u32_b32 v17, v17, v34
	ds_store_b32 v36, v17 offset:32
.LBB86_65:
	s_wait_alu 0xfffe
	s_or_b32 exec_lo, exec_lo, s8
	v_and_b32_e32 v17, s9, v26
	; wave barrier
	s_delay_alu instid0(VALU_DEP_1)
	v_and_b32_e32 v19, 1, v17
	v_lshlrev_b32_e32 v20, 30, v17
	v_lshlrev_b32_e32 v21, 29, v17
	;; [unrolled: 1-line block ×4, first 2 shown]
	v_add_co_u32 v19, s8, v19, -1
	s_wait_alu 0xf1ff
	v_cndmask_b32_e64 v23, 0, 1, s8
	v_not_b32_e32 v40, v20
	v_cmp_gt_i32_e64 s8, 0, v20
	v_not_b32_e32 v20, v21
	v_lshlrev_b32_e32 v38, 26, v17
	v_cmp_ne_u32_e32 vcc_lo, 0, v23
	v_ashrrev_i32_e32 v23, 31, v40
	v_lshlrev_b32_e32 v39, 25, v17
	v_ashrrev_i32_e32 v20, 31, v20
	v_and_b32_e32 v18, 0xff, v17
	s_wait_alu 0xfffd
	v_xor_b32_e32 v19, vcc_lo, v19
	v_cmp_gt_i32_e32 vcc_lo, 0, v21
	v_not_b32_e32 v21, v22
	s_wait_alu 0xf1ff
	v_xor_b32_e32 v23, s8, v23
	v_cmp_gt_i32_e64 s8, 0, v22
	v_and_b32_e32 v19, exec_lo, v19
	v_not_b32_e32 v22, v37
	v_ashrrev_i32_e32 v21, 31, v21
	s_wait_alu 0xfffd
	v_xor_b32_e32 v20, vcc_lo, v20
	v_cmp_gt_i32_e32 vcc_lo, 0, v37
	v_and_b32_e32 v19, v19, v23
	v_not_b32_e32 v23, v38
	v_ashrrev_i32_e32 v22, 31, v22
	s_wait_alu 0xf1ff
	v_xor_b32_e32 v21, s8, v21
	v_lshlrev_b32_e32 v17, 24, v17
	v_and_b32_e32 v19, v19, v20
	v_cmp_gt_i32_e64 s8, 0, v38
	v_not_b32_e32 v20, v39
	v_ashrrev_i32_e32 v23, 31, v23
	s_wait_alu 0xfffd
	v_xor_b32_e32 v22, vcc_lo, v22
	v_and_b32_e32 v19, v19, v21
	v_cmp_gt_i32_e32 vcc_lo, 0, v39
	v_not_b32_e32 v21, v17
	v_ashrrev_i32_e32 v20, 31, v20
	s_wait_alu 0xf1ff
	v_xor_b32_e32 v23, s8, v23
	v_and_b32_e32 v19, v19, v22
	v_lshlrev_b32_e32 v18, 5, v18
	v_cmp_gt_i32_e64 s8, 0, v17
	v_ashrrev_i32_e32 v17, 31, v21
	s_wait_alu 0xfffd
	v_xor_b32_e32 v20, vcc_lo, v20
	v_and_b32_e32 v19, v19, v23
	v_add_nc_u32_e32 v39, v16, v18
	s_wait_alu 0xf1ff
	v_xor_b32_e32 v17, s8, v17
	s_delay_alu instid0(VALU_DEP_3) | instskip(SKIP_2) | instid1(VALU_DEP_1)
	v_and_b32_e32 v18, v19, v20
	ds_load_b32 v37, v39 offset:32
	; wave barrier
	v_and_b32_e32 v17, v18, v17
	v_mbcnt_lo_u32_b32 v38, v17, 0
	v_cmp_ne_u32_e64 s8, 0, v17
	s_delay_alu instid0(VALU_DEP_2)
	v_cmp_eq_u32_e32 vcc_lo, 0, v38
	s_and_b32 s11, s8, vcc_lo
	s_wait_alu 0xfffe
	s_and_saveexec_b32 s8, s11
	s_cbranch_execz .LBB86_67
; %bb.66:
	s_wait_dscnt 0x0
	v_bcnt_u32_b32 v17, v17, v37
	ds_store_b32 v39, v17 offset:32
.LBB86_67:
	s_wait_alu 0xfffe
	s_or_b32 exec_lo, exec_lo, s8
	v_and_b32_e32 v17, s9, v27
	; wave barrier
	s_delay_alu instid0(VALU_DEP_1)
	v_and_b32_e32 v19, 1, v17
	v_lshlrev_b32_e32 v20, 30, v17
	v_lshlrev_b32_e32 v21, 29, v17
	;; [unrolled: 1-line block ×4, first 2 shown]
	v_add_co_u32 v19, s8, v19, -1
	s_wait_alu 0xf1ff
	v_cndmask_b32_e64 v23, 0, 1, s8
	v_not_b32_e32 v69, v20
	v_cmp_gt_i32_e64 s8, 0, v20
	v_not_b32_e32 v20, v21
	v_lshlrev_b32_e32 v45, 26, v17
	v_cmp_ne_u32_e32 vcc_lo, 0, v23
	v_ashrrev_i32_e32 v23, 31, v69
	v_lshlrev_b32_e32 v46, 25, v17
	v_ashrrev_i32_e32 v20, 31, v20
	v_and_b32_e32 v18, 0xff, v17
	s_wait_alu 0xfffd
	v_xor_b32_e32 v19, vcc_lo, v19
	v_cmp_gt_i32_e32 vcc_lo, 0, v21
	v_not_b32_e32 v21, v22
	s_wait_alu 0xf1ff
	v_xor_b32_e32 v23, s8, v23
	v_cmp_gt_i32_e64 s8, 0, v22
	v_and_b32_e32 v19, exec_lo, v19
	v_not_b32_e32 v22, v40
	v_ashrrev_i32_e32 v21, 31, v21
	s_wait_alu 0xfffd
	v_xor_b32_e32 v20, vcc_lo, v20
	v_cmp_gt_i32_e32 vcc_lo, 0, v40
	v_and_b32_e32 v19, v19, v23
	v_not_b32_e32 v23, v45
	v_ashrrev_i32_e32 v22, 31, v22
	s_wait_alu 0xf1ff
	v_xor_b32_e32 v21, s8, v21
	v_lshlrev_b32_e32 v17, 24, v17
	v_and_b32_e32 v19, v19, v20
	v_cmp_gt_i32_e64 s8, 0, v45
	v_not_b32_e32 v20, v46
	v_ashrrev_i32_e32 v23, 31, v23
	s_wait_alu 0xfffd
	v_xor_b32_e32 v22, vcc_lo, v22
	v_and_b32_e32 v19, v19, v21
	v_cmp_gt_i32_e32 vcc_lo, 0, v46
	v_not_b32_e32 v21, v17
	v_ashrrev_i32_e32 v20, 31, v20
	s_wait_alu 0xf1ff
	v_xor_b32_e32 v23, s8, v23
	v_and_b32_e32 v19, v19, v22
	v_lshlrev_b32_e32 v18, 5, v18
	v_cmp_gt_i32_e64 s8, 0, v17
	v_ashrrev_i32_e32 v17, 31, v21
	s_wait_alu 0xfffd
	v_xor_b32_e32 v20, vcc_lo, v20
	v_and_b32_e32 v19, v19, v23
	v_add_nc_u32_e32 v46, v16, v18
	s_wait_alu 0xf1ff
	v_xor_b32_e32 v17, s8, v17
	s_delay_alu instid0(VALU_DEP_3) | instskip(SKIP_2) | instid1(VALU_DEP_1)
	v_and_b32_e32 v18, v19, v20
	ds_load_b32 v40, v46 offset:32
	; wave barrier
	v_and_b32_e32 v17, v18, v17
	v_mbcnt_lo_u32_b32 v45, v17, 0
	v_cmp_ne_u32_e64 s8, 0, v17
	s_delay_alu instid0(VALU_DEP_2)
	v_cmp_eq_u32_e32 vcc_lo, 0, v45
	s_and_b32 s11, s8, vcc_lo
	s_wait_alu 0xfffe
	s_and_saveexec_b32 s8, s11
	s_cbranch_execz .LBB86_69
; %bb.68:
	s_wait_dscnt 0x0
	v_bcnt_u32_b32 v17, v17, v40
	ds_store_b32 v46, v17 offset:32
.LBB86_69:
	s_wait_alu 0xfffe
	s_or_b32 exec_lo, exec_lo, s8
	v_and_b32_e32 v17, s9, v28
	; wave barrier
	s_delay_alu instid0(VALU_DEP_1)
	v_and_b32_e32 v19, 1, v17
	v_lshlrev_b32_e32 v20, 30, v17
	v_lshlrev_b32_e32 v21, 29, v17
	;; [unrolled: 1-line block ×4, first 2 shown]
	v_add_co_u32 v19, s8, v19, -1
	s_wait_alu 0xf1ff
	v_cndmask_b32_e64 v23, 0, 1, s8
	v_not_b32_e32 v72, v20
	v_cmp_gt_i32_e64 s8, 0, v20
	v_not_b32_e32 v20, v21
	v_lshlrev_b32_e32 v70, 26, v17
	v_cmp_ne_u32_e32 vcc_lo, 0, v23
	v_ashrrev_i32_e32 v23, 31, v72
	v_lshlrev_b32_e32 v71, 25, v17
	v_ashrrev_i32_e32 v20, 31, v20
	v_and_b32_e32 v18, 0xff, v17
	s_wait_alu 0xfffd
	v_xor_b32_e32 v19, vcc_lo, v19
	v_cmp_gt_i32_e32 vcc_lo, 0, v21
	v_not_b32_e32 v21, v22
	s_wait_alu 0xf1ff
	v_xor_b32_e32 v23, s8, v23
	v_cmp_gt_i32_e64 s8, 0, v22
	v_and_b32_e32 v19, exec_lo, v19
	v_not_b32_e32 v22, v69
	v_ashrrev_i32_e32 v21, 31, v21
	s_wait_alu 0xfffd
	v_xor_b32_e32 v20, vcc_lo, v20
	v_cmp_gt_i32_e32 vcc_lo, 0, v69
	v_and_b32_e32 v19, v19, v23
	v_not_b32_e32 v23, v70
	v_ashrrev_i32_e32 v22, 31, v22
	s_wait_alu 0xf1ff
	v_xor_b32_e32 v21, s8, v21
	v_lshlrev_b32_e32 v17, 24, v17
	v_and_b32_e32 v19, v19, v20
	v_cmp_gt_i32_e64 s8, 0, v70
	v_not_b32_e32 v20, v71
	v_ashrrev_i32_e32 v23, 31, v23
	s_wait_alu 0xfffd
	v_xor_b32_e32 v22, vcc_lo, v22
	v_and_b32_e32 v19, v19, v21
	v_cmp_gt_i32_e32 vcc_lo, 0, v71
	v_not_b32_e32 v21, v17
	v_ashrrev_i32_e32 v20, 31, v20
	s_wait_alu 0xf1ff
	v_xor_b32_e32 v23, s8, v23
	v_and_b32_e32 v19, v19, v22
	v_lshlrev_b32_e32 v18, 5, v18
	v_cmp_gt_i32_e64 s8, 0, v17
	v_ashrrev_i32_e32 v17, 31, v21
	s_wait_alu 0xfffd
	v_xor_b32_e32 v20, vcc_lo, v20
	v_and_b32_e32 v19, v19, v23
	v_add_nc_u32_e32 v71, v16, v18
	s_wait_alu 0xf1ff
	v_xor_b32_e32 v17, s8, v17
	s_delay_alu instid0(VALU_DEP_3) | instskip(SKIP_2) | instid1(VALU_DEP_1)
	v_and_b32_e32 v18, v19, v20
	ds_load_b32 v69, v71 offset:32
	; wave barrier
	v_and_b32_e32 v17, v18, v17
	v_mbcnt_lo_u32_b32 v70, v17, 0
	v_cmp_ne_u32_e64 s8, 0, v17
	s_delay_alu instid0(VALU_DEP_2)
	v_cmp_eq_u32_e32 vcc_lo, 0, v70
	s_and_b32 s11, s8, vcc_lo
	s_wait_alu 0xfffe
	s_and_saveexec_b32 s8, s11
	s_cbranch_execz .LBB86_71
; %bb.70:
	s_wait_dscnt 0x0
	v_bcnt_u32_b32 v17, v17, v69
	ds_store_b32 v71, v17 offset:32
.LBB86_71:
	s_wait_alu 0xfffe
	s_or_b32 exec_lo, exec_lo, s8
	v_and_b32_e32 v17, s9, v29
	; wave barrier
	s_delay_alu instid0(VALU_DEP_1)
	v_and_b32_e32 v19, 1, v17
	v_lshlrev_b32_e32 v20, 30, v17
	v_lshlrev_b32_e32 v21, 29, v17
	;; [unrolled: 1-line block ×4, first 2 shown]
	v_add_co_u32 v19, s8, v19, -1
	s_wait_alu 0xf1ff
	v_cndmask_b32_e64 v23, 0, 1, s8
	v_not_b32_e32 v75, v20
	v_cmp_gt_i32_e64 s8, 0, v20
	v_not_b32_e32 v20, v21
	v_lshlrev_b32_e32 v73, 26, v17
	v_cmp_ne_u32_e32 vcc_lo, 0, v23
	v_ashrrev_i32_e32 v23, 31, v75
	v_lshlrev_b32_e32 v74, 25, v17
	v_ashrrev_i32_e32 v20, 31, v20
	v_and_b32_e32 v18, 0xff, v17
	s_wait_alu 0xfffd
	v_xor_b32_e32 v19, vcc_lo, v19
	v_cmp_gt_i32_e32 vcc_lo, 0, v21
	v_not_b32_e32 v21, v22
	s_wait_alu 0xf1ff
	v_xor_b32_e32 v23, s8, v23
	v_cmp_gt_i32_e64 s8, 0, v22
	v_and_b32_e32 v19, exec_lo, v19
	v_not_b32_e32 v22, v72
	v_ashrrev_i32_e32 v21, 31, v21
	s_wait_alu 0xfffd
	v_xor_b32_e32 v20, vcc_lo, v20
	v_cmp_gt_i32_e32 vcc_lo, 0, v72
	v_and_b32_e32 v19, v19, v23
	v_not_b32_e32 v23, v73
	v_ashrrev_i32_e32 v22, 31, v22
	s_wait_alu 0xf1ff
	v_xor_b32_e32 v21, s8, v21
	v_lshlrev_b32_e32 v17, 24, v17
	v_and_b32_e32 v19, v19, v20
	v_cmp_gt_i32_e64 s8, 0, v73
	v_not_b32_e32 v20, v74
	v_ashrrev_i32_e32 v23, 31, v23
	s_wait_alu 0xfffd
	v_xor_b32_e32 v22, vcc_lo, v22
	v_and_b32_e32 v19, v19, v21
	v_cmp_gt_i32_e32 vcc_lo, 0, v74
	v_not_b32_e32 v21, v17
	v_ashrrev_i32_e32 v20, 31, v20
	s_wait_alu 0xf1ff
	v_xor_b32_e32 v23, s8, v23
	v_and_b32_e32 v19, v19, v22
	v_lshlrev_b32_e32 v18, 5, v18
	v_cmp_gt_i32_e64 s8, 0, v17
	v_ashrrev_i32_e32 v17, 31, v21
	s_wait_alu 0xfffd
	v_xor_b32_e32 v20, vcc_lo, v20
	v_and_b32_e32 v19, v19, v23
	v_add_nc_u32_e32 v74, v16, v18
	s_wait_alu 0xf1ff
	v_xor_b32_e32 v17, s8, v17
	s_delay_alu instid0(VALU_DEP_3) | instskip(SKIP_2) | instid1(VALU_DEP_1)
	v_and_b32_e32 v18, v19, v20
	ds_load_b32 v72, v74 offset:32
	; wave barrier
	v_and_b32_e32 v17, v18, v17
	v_mbcnt_lo_u32_b32 v73, v17, 0
	v_cmp_ne_u32_e64 s8, 0, v17
	s_delay_alu instid0(VALU_DEP_2)
	v_cmp_eq_u32_e32 vcc_lo, 0, v73
	s_and_b32 s11, s8, vcc_lo
	s_wait_alu 0xfffe
	s_and_saveexec_b32 s8, s11
	s_cbranch_execz .LBB86_73
; %bb.72:
	s_wait_dscnt 0x0
	v_bcnt_u32_b32 v17, v17, v72
	ds_store_b32 v74, v17 offset:32
.LBB86_73:
	s_wait_alu 0xfffe
	s_or_b32 exec_lo, exec_lo, s8
	v_and_b32_e32 v17, s9, v30
	; wave barrier
	s_delay_alu instid0(VALU_DEP_1)
	v_and_b32_e32 v19, 1, v17
	v_lshlrev_b32_e32 v20, 30, v17
	v_lshlrev_b32_e32 v21, 29, v17
	;; [unrolled: 1-line block ×4, first 2 shown]
	v_add_co_u32 v19, s8, v19, -1
	s_wait_alu 0xf1ff
	v_cndmask_b32_e64 v23, 0, 1, s8
	v_not_b32_e32 v78, v20
	v_cmp_gt_i32_e64 s8, 0, v20
	v_not_b32_e32 v20, v21
	v_lshlrev_b32_e32 v76, 26, v17
	v_cmp_ne_u32_e32 vcc_lo, 0, v23
	v_ashrrev_i32_e32 v23, 31, v78
	v_lshlrev_b32_e32 v77, 25, v17
	v_ashrrev_i32_e32 v20, 31, v20
	v_and_b32_e32 v18, 0xff, v17
	s_wait_alu 0xfffd
	v_xor_b32_e32 v19, vcc_lo, v19
	v_cmp_gt_i32_e32 vcc_lo, 0, v21
	v_not_b32_e32 v21, v22
	s_wait_alu 0xf1ff
	v_xor_b32_e32 v23, s8, v23
	v_cmp_gt_i32_e64 s8, 0, v22
	v_and_b32_e32 v19, exec_lo, v19
	v_not_b32_e32 v22, v75
	v_ashrrev_i32_e32 v21, 31, v21
	s_wait_alu 0xfffd
	v_xor_b32_e32 v20, vcc_lo, v20
	v_cmp_gt_i32_e32 vcc_lo, 0, v75
	v_and_b32_e32 v19, v19, v23
	v_not_b32_e32 v23, v76
	v_ashrrev_i32_e32 v22, 31, v22
	s_wait_alu 0xf1ff
	v_xor_b32_e32 v21, s8, v21
	v_lshlrev_b32_e32 v17, 24, v17
	v_and_b32_e32 v19, v19, v20
	v_cmp_gt_i32_e64 s8, 0, v76
	v_not_b32_e32 v20, v77
	v_ashrrev_i32_e32 v23, 31, v23
	s_wait_alu 0xfffd
	v_xor_b32_e32 v22, vcc_lo, v22
	v_and_b32_e32 v19, v19, v21
	v_cmp_gt_i32_e32 vcc_lo, 0, v77
	v_not_b32_e32 v21, v17
	v_ashrrev_i32_e32 v20, 31, v20
	s_wait_alu 0xf1ff
	v_xor_b32_e32 v23, s8, v23
	v_and_b32_e32 v19, v19, v22
	v_lshlrev_b32_e32 v18, 5, v18
	v_cmp_gt_i32_e64 s8, 0, v17
	v_ashrrev_i32_e32 v17, 31, v21
	s_wait_alu 0xfffd
	v_xor_b32_e32 v20, vcc_lo, v20
	v_and_b32_e32 v19, v19, v23
	v_add_nc_u32_e32 v77, v16, v18
	s_wait_alu 0xf1ff
	v_xor_b32_e32 v17, s8, v17
	s_delay_alu instid0(VALU_DEP_3) | instskip(SKIP_2) | instid1(VALU_DEP_1)
	v_and_b32_e32 v18, v19, v20
	ds_load_b32 v75, v77 offset:32
	; wave barrier
	v_and_b32_e32 v17, v18, v17
	v_mbcnt_lo_u32_b32 v76, v17, 0
	v_cmp_ne_u32_e64 s8, 0, v17
	s_delay_alu instid0(VALU_DEP_2)
	v_cmp_eq_u32_e32 vcc_lo, 0, v76
	s_and_b32 s11, s8, vcc_lo
	s_wait_alu 0xfffe
	s_and_saveexec_b32 s8, s11
	s_cbranch_execz .LBB86_75
; %bb.74:
	s_wait_dscnt 0x0
	v_bcnt_u32_b32 v17, v17, v75
	ds_store_b32 v77, v17 offset:32
.LBB86_75:
	s_wait_alu 0xfffe
	s_or_b32 exec_lo, exec_lo, s8
	v_and_b32_e32 v17, s9, v31
	; wave barrier
	s_delay_alu instid0(VALU_DEP_1)
	v_and_b32_e32 v19, 1, v17
	v_lshlrev_b32_e32 v20, 30, v17
	v_lshlrev_b32_e32 v21, 29, v17
	;; [unrolled: 1-line block ×4, first 2 shown]
	v_add_co_u32 v19, s8, v19, -1
	s_wait_alu 0xf1ff
	v_cndmask_b32_e64 v23, 0, 1, s8
	v_not_b32_e32 v81, v20
	v_cmp_gt_i32_e64 s8, 0, v20
	v_not_b32_e32 v20, v21
	v_lshlrev_b32_e32 v79, 26, v17
	v_cmp_ne_u32_e32 vcc_lo, 0, v23
	v_ashrrev_i32_e32 v23, 31, v81
	v_lshlrev_b32_e32 v80, 25, v17
	v_ashrrev_i32_e32 v20, 31, v20
	v_and_b32_e32 v18, 0xff, v17
	s_wait_alu 0xfffd
	v_xor_b32_e32 v19, vcc_lo, v19
	v_cmp_gt_i32_e32 vcc_lo, 0, v21
	v_not_b32_e32 v21, v22
	s_wait_alu 0xf1ff
	v_xor_b32_e32 v23, s8, v23
	v_cmp_gt_i32_e64 s8, 0, v22
	v_and_b32_e32 v19, exec_lo, v19
	v_not_b32_e32 v22, v78
	v_ashrrev_i32_e32 v21, 31, v21
	s_wait_alu 0xfffd
	v_xor_b32_e32 v20, vcc_lo, v20
	v_cmp_gt_i32_e32 vcc_lo, 0, v78
	v_and_b32_e32 v19, v19, v23
	v_not_b32_e32 v23, v79
	v_ashrrev_i32_e32 v22, 31, v22
	s_wait_alu 0xf1ff
	v_xor_b32_e32 v21, s8, v21
	v_lshlrev_b32_e32 v17, 24, v17
	v_and_b32_e32 v19, v19, v20
	v_cmp_gt_i32_e64 s8, 0, v79
	v_not_b32_e32 v20, v80
	v_ashrrev_i32_e32 v23, 31, v23
	s_wait_alu 0xfffd
	v_xor_b32_e32 v22, vcc_lo, v22
	v_and_b32_e32 v19, v19, v21
	v_cmp_gt_i32_e32 vcc_lo, 0, v80
	v_not_b32_e32 v21, v17
	v_ashrrev_i32_e32 v20, 31, v20
	s_wait_alu 0xf1ff
	v_xor_b32_e32 v23, s8, v23
	v_and_b32_e32 v19, v19, v22
	v_lshlrev_b32_e32 v18, 5, v18
	v_cmp_gt_i32_e64 s8, 0, v17
	v_ashrrev_i32_e32 v17, 31, v21
	s_wait_alu 0xfffd
	v_xor_b32_e32 v20, vcc_lo, v20
	v_and_b32_e32 v19, v19, v23
	v_add_nc_u32_e32 v80, v16, v18
	s_wait_alu 0xf1ff
	v_xor_b32_e32 v16, s8, v17
	s_delay_alu instid0(VALU_DEP_3) | instskip(SKIP_2) | instid1(VALU_DEP_1)
	v_and_b32_e32 v17, v19, v20
	ds_load_b32 v78, v80 offset:32
	; wave barrier
	v_and_b32_e32 v16, v17, v16
	v_mbcnt_lo_u32_b32 v79, v16, 0
	v_cmp_ne_u32_e64 s8, 0, v16
	s_delay_alu instid0(VALU_DEP_2)
	v_cmp_eq_u32_e32 vcc_lo, 0, v79
	s_and_b32 s9, s8, vcc_lo
	s_wait_alu 0xfffe
	s_and_saveexec_b32 s8, s9
	s_cbranch_execz .LBB86_77
; %bb.76:
	s_wait_dscnt 0x0
	v_bcnt_u32_b32 v16, v16, v78
	ds_store_b32 v80, v16 offset:32
.LBB86_77:
	s_wait_alu 0xfffe
	s_or_b32 exec_lo, exec_lo, s8
	; wave barrier
	s_wait_loadcnt_dscnt 0x0
	s_barrier_signal -1
	s_barrier_wait -1
	global_inv scope:SCOPE_SE
	ds_load_b128 v[20:23], v66 offset:32
	ds_load_b128 v[16:19], v66 offset:48
	v_min_u32_e32 v68, 0xe0, v68
	s_mov_b32 s8, exec_lo
	s_delay_alu instid0(VALU_DEP_1) | instskip(SKIP_2) | instid1(VALU_DEP_1)
	v_or_b32_e32 v68, 31, v68
	s_wait_dscnt 0x1
	v_add_nc_u32_e32 v81, v21, v20
	v_add3_u32 v81, v81, v22, v23
	s_wait_dscnt 0x0
	s_delay_alu instid0(VALU_DEP_1) | instskip(NEXT) | instid1(VALU_DEP_1)
	v_add3_u32 v81, v81, v16, v17
	v_add3_u32 v19, v81, v18, v19
	v_and_b32_e32 v81, 15, v67
	s_delay_alu instid0(VALU_DEP_2) | instskip(NEXT) | instid1(VALU_DEP_2)
	v_mov_b32_dpp v82, v19 row_shr:1 row_mask:0xf bank_mask:0xf
	v_cmp_ne_u32_e32 vcc_lo, 0, v81
	s_wait_alu 0xfffd
	s_delay_alu instid0(VALU_DEP_2) | instskip(SKIP_1) | instid1(VALU_DEP_2)
	v_cndmask_b32_e32 v82, 0, v82, vcc_lo
	v_cmp_lt_u32_e32 vcc_lo, 1, v81
	v_add_nc_u32_e32 v19, v82, v19
	s_delay_alu instid0(VALU_DEP_1) | instskip(SKIP_1) | instid1(VALU_DEP_1)
	v_mov_b32_dpp v82, v19 row_shr:2 row_mask:0xf bank_mask:0xf
	s_wait_alu 0xfffd
	v_cndmask_b32_e32 v82, 0, v82, vcc_lo
	v_cmp_lt_u32_e32 vcc_lo, 3, v81
	s_delay_alu instid0(VALU_DEP_2) | instskip(NEXT) | instid1(VALU_DEP_1)
	v_add_nc_u32_e32 v19, v19, v82
	v_mov_b32_dpp v82, v19 row_shr:4 row_mask:0xf bank_mask:0xf
	s_wait_alu 0xfffd
	s_delay_alu instid0(VALU_DEP_1) | instskip(SKIP_1) | instid1(VALU_DEP_2)
	v_cndmask_b32_e32 v82, 0, v82, vcc_lo
	v_cmp_lt_u32_e32 vcc_lo, 7, v81
	v_add_nc_u32_e32 v19, v19, v82
	s_delay_alu instid0(VALU_DEP_1) | instskip(SKIP_1) | instid1(VALU_DEP_1)
	v_mov_b32_dpp v82, v19 row_shr:8 row_mask:0xf bank_mask:0xf
	s_wait_alu 0xfffd
	v_cndmask_b32_e32 v81, 0, v82, vcc_lo
	v_bfe_i32 v82, v67, 4, 1
	s_delay_alu instid0(VALU_DEP_2) | instskip(SKIP_3) | instid1(VALU_DEP_1)
	v_add_nc_u32_e32 v19, v19, v81
	ds_swizzle_b32 v81, v19 offset:swizzle(BROADCAST,32,15)
	s_wait_dscnt 0x0
	v_and_b32_e32 v81, v82, v81
	v_add_nc_u32_e32 v19, v19, v81
	v_cmpx_eq_u32_e64 v44, v68
; %bb.78:
	v_lshlrev_b32_e32 v68, 2, v62
	ds_store_b32 v68, v19
; %bb.79:
	s_wait_alu 0xfffe
	s_or_b32 exec_lo, exec_lo, s8
	s_delay_alu instid0(SALU_CYCLE_1)
	s_mov_b32 s8, exec_lo
	s_wait_loadcnt_dscnt 0x0
	s_barrier_signal -1
	s_barrier_wait -1
	global_inv scope:SCOPE_SE
	v_cmpx_gt_u32_e32 8, v44
	s_cbranch_execz .LBB86_81
; %bb.80:
	v_and_b32_e32 v82, 7, v67
	s_delay_alu instid0(VALU_DEP_1)
	v_cmp_ne_u32_e32 vcc_lo, 0, v82
	v_lshlrev_b32_e32 v68, 2, v44
	ds_load_b32 v81, v68
	s_wait_dscnt 0x0
	v_mov_b32_dpp v83, v81 row_shr:1 row_mask:0xf bank_mask:0xf
	s_wait_alu 0xfffd
	s_delay_alu instid0(VALU_DEP_1) | instskip(SKIP_1) | instid1(VALU_DEP_2)
	v_cndmask_b32_e32 v83, 0, v83, vcc_lo
	v_cmp_lt_u32_e32 vcc_lo, 1, v82
	v_add_nc_u32_e32 v81, v83, v81
	s_delay_alu instid0(VALU_DEP_1) | instskip(SKIP_1) | instid1(VALU_DEP_1)
	v_mov_b32_dpp v83, v81 row_shr:2 row_mask:0xf bank_mask:0xf
	s_wait_alu 0xfffd
	v_cndmask_b32_e32 v83, 0, v83, vcc_lo
	v_cmp_lt_u32_e32 vcc_lo, 3, v82
	s_delay_alu instid0(VALU_DEP_2) | instskip(NEXT) | instid1(VALU_DEP_1)
	v_add_nc_u32_e32 v81, v81, v83
	v_mov_b32_dpp v83, v81 row_shr:4 row_mask:0xf bank_mask:0xf
	s_wait_alu 0xfffd
	s_delay_alu instid0(VALU_DEP_1) | instskip(NEXT) | instid1(VALU_DEP_1)
	v_cndmask_b32_e32 v82, 0, v83, vcc_lo
	v_add_nc_u32_e32 v81, v81, v82
	ds_store_b32 v68, v81
.LBB86_81:
	s_wait_alu 0xfffe
	s_or_b32 exec_lo, exec_lo, s8
	v_mov_b32_e32 v68, 0
	s_mov_b32 s8, exec_lo
	s_wait_loadcnt_dscnt 0x0
	s_barrier_signal -1
	s_barrier_wait -1
	global_inv scope:SCOPE_SE
	v_cmpx_lt_u32_e32 31, v44
; %bb.82:
	v_lshl_add_u32 v62, v62, 2, -4
	ds_load_b32 v68, v62
; %bb.83:
	s_wait_alu 0xfffe
	s_or_b32 exec_lo, exec_lo, s8
	v_sub_co_u32 v62, vcc_lo, v67, 1
	s_wait_dscnt 0x0
	v_add_nc_u32_e32 v19, v68, v19
	s_delay_alu instid0(VALU_DEP_2) | instskip(SKIP_1) | instid1(VALU_DEP_1)
	v_cmp_gt_i32_e64 s8, 0, v62
	s_wait_alu 0xf1ff
	v_cndmask_b32_e64 v62, v62, v67, s8
	s_delay_alu instid0(VALU_DEP_1)
	v_lshlrev_b32_e32 v62, 2, v62
	ds_bpermute_b32 v19, v62, v19
	s_wait_dscnt 0x0
	s_wait_alu 0xfffd
	v_cndmask_b32_e32 v19, v19, v68, vcc_lo
	v_cmp_ne_u32_e32 vcc_lo, 0, v44
	s_wait_alu 0xfffd
	s_delay_alu instid0(VALU_DEP_2) | instskip(NEXT) | instid1(VALU_DEP_1)
	v_cndmask_b32_e32 v19, 0, v19, vcc_lo
	v_add_nc_u32_e32 v20, v19, v20
	s_delay_alu instid0(VALU_DEP_1) | instskip(NEXT) | instid1(VALU_DEP_1)
	v_add_nc_u32_e32 v21, v20, v21
	v_add_nc_u32_e32 v22, v21, v22
	s_delay_alu instid0(VALU_DEP_1) | instskip(NEXT) | instid1(VALU_DEP_1)
	v_add_nc_u32_e32 v81, v22, v23
	;; [unrolled: 3-line block ×3, first 2 shown]
	v_add_nc_u32_e32 v84, v83, v18
	ds_store_b128 v66, v[19:22] offset:32
	ds_store_b128 v66, v[81:84] offset:48
	s_wait_loadcnt_dscnt 0x0
	s_barrier_signal -1
	s_barrier_wait -1
	global_inv scope:SCOPE_SE
	ds_load_b32 v16, v33 offset:32
	ds_load_b32 v17, v36 offset:32
	ds_load_b32 v18, v39 offset:32
	ds_load_b32 v19, v46 offset:32
	ds_load_b32 v20, v71 offset:32
	ds_load_b32 v21, v74 offset:32
	ds_load_b32 v22, v77 offset:32
	ds_load_b32 v23, v80 offset:32
	v_mad_u32_u24 v36, v44, 56, v57
	s_wait_loadcnt_dscnt 0x0
	s_barrier_signal -1
	s_barrier_wait -1
	global_inv scope:SCOPE_SE
	v_add_nc_u32_e32 v16, v16, v32
	v_add3_u32 v17, v35, v34, v17
	v_add3_u32 v18, v38, v37, v18
	;; [unrolled: 1-line block ×7, first 2 shown]
	ds_store_b8 v16, v24
	ds_store_b8 v17, v25
	ds_store_b8 v18, v26
	ds_store_b8 v19, v27
	ds_store_b8 v20, v28
	ds_store_b8 v21, v29
	ds_store_b8 v22, v30
	ds_store_b8 v23, v31
	v_lshlrev_b32_e32 v16, 3, v16
	v_lshlrev_b32_e32 v17, 3, v17
	v_lshlrev_b32_e32 v18, 3, v18
	v_lshlrev_b32_e32 v19, 3, v19
	v_lshlrev_b32_e32 v20, 3, v20
	v_lshlrev_b32_e32 v21, 3, v21
	v_lshlrev_b32_e32 v22, 3, v22
	v_lshlrev_b32_e32 v23, 3, v23
	s_wait_loadcnt_dscnt 0x0
	s_barrier_signal -1
	s_barrier_wait -1
	global_inv scope:SCOPE_SE
	ds_load_b64 v[33:34], v57
	s_wait_loadcnt_dscnt 0x0
	s_barrier_signal -1
	s_barrier_wait -1
	global_inv scope:SCOPE_SE
	ds_store_b64 v16, v[0:1]
	ds_store_b64 v17, v[2:3]
	;; [unrolled: 1-line block ×8, first 2 shown]
	s_wait_loadcnt_dscnt 0x0
	s_barrier_signal -1
	s_barrier_wait -1
	global_inv scope:SCOPE_SE
	ds_load_b128 v[29:32], v36
	ds_load_b128 v[25:28], v36 offset:16
	ds_load_b128 v[21:24], v36 offset:32
	;; [unrolled: 1-line block ×3, first 2 shown]
	v_not_b32_e32 v33, v33
	v_not_b32_e32 v34, v34
.LBB86_84:
	s_wait_loadcnt_dscnt 0x0
	s_barrier_signal -1
	s_barrier_wait -1
	global_inv scope:SCOPE_SE
	ds_store_2addr_b32 v56, v33, v34 offset1:1
	s_wait_loadcnt_dscnt 0x0
	s_barrier_signal -1
	s_barrier_wait -1
	global_inv scope:SCOPE_SE
	ds_load_u8 v8, v49 offset:256
	ds_load_u8 v7, v50 offset:512
	;; [unrolled: 1-line block ×7, first 2 shown]
	v_add_co_u32 v0, s8, s14, v47
	s_wait_alu 0xf1ff
	v_add_co_ci_u32_e64 v1, null, s15, 0, s8
	s_and_saveexec_b32 s8, s0
	s_cbranch_execnz .LBB86_103
; %bb.85:
	s_wait_alu 0xfffe
	s_or_b32 exec_lo, exec_lo, s8
	s_and_saveexec_b32 s8, s1
	s_cbranch_execnz .LBB86_104
.LBB86_86:
	s_wait_alu 0xfffe
	s_or_b32 exec_lo, exec_lo, s8
	s_and_saveexec_b32 s8, s2
	s_cbranch_execnz .LBB86_105
.LBB86_87:
	s_wait_alu 0xfffe
	s_or_b32 exec_lo, exec_lo, s8
	s_and_saveexec_b32 s8, s3
	s_cbranch_execnz .LBB86_106
.LBB86_88:
	s_wait_alu 0xfffe
	s_or_b32 exec_lo, exec_lo, s8
	s_and_saveexec_b32 s8, s4
	s_cbranch_execnz .LBB86_107
.LBB86_89:
	s_wait_alu 0xfffe
	s_or_b32 exec_lo, exec_lo, s8
	s_and_saveexec_b32 s8, s5
	s_cbranch_execnz .LBB86_108
.LBB86_90:
	s_wait_alu 0xfffe
	s_or_b32 exec_lo, exec_lo, s8
	s_and_saveexec_b32 s8, s6
	s_cbranch_execnz .LBB86_109
.LBB86_91:
	s_wait_alu 0xfffe
	s_or_b32 exec_lo, exec_lo, s8
	s_and_saveexec_b32 s8, s7
	s_cbranch_execz .LBB86_93
.LBB86_92:
	s_mul_i32 s9, s10, 0x700
	s_wait_alu 0xfffe
	v_add_co_u32 v0, vcc_lo, v0, s9
	s_wait_alu 0xfffd
	v_add_co_ci_u32_e64 v1, null, 0, v1, vcc_lo
	s_wait_dscnt 0x0
	global_store_b8 v[0:1], v2, off
.LBB86_93:
	s_wait_alu 0xfffe
	s_or_b32 exec_lo, exec_lo, s8
	s_wait_storecnt 0x0
	s_wait_loadcnt_dscnt 0x0
	s_barrier_signal -1
	s_barrier_wait -1
	global_inv scope:SCOPE_SE
	ds_store_2addr_b64 v65, v[29:30], v[31:32] offset1:1
	ds_store_2addr_b64 v65, v[25:26], v[27:28] offset0:2 offset1:3
	ds_store_2addr_b64 v65, v[21:22], v[23:24] offset0:4 offset1:5
	ds_store_2addr_b64 v65, v[17:18], v[19:20] offset0:6 offset1:7
	s_wait_loadcnt_dscnt 0x0
	s_barrier_signal -1
	s_barrier_wait -1
	global_inv scope:SCOPE_SE
	ds_load_b64 v[14:15], v59 offset:2048
	ds_load_b64 v[12:13], v60 offset:4096
	;; [unrolled: 1-line block ×7, first 2 shown]
	v_mov_b32_e32 v42, 0
	s_delay_alu instid0(VALU_DEP_1) | instskip(NEXT) | instid1(VALU_DEP_1)
	v_lshlrev_b64_e32 v[2:3], 3, v[41:42]
	v_add_co_u32 v2, vcc_lo, s16, v2
	s_wait_alu 0xfffd
	s_delay_alu instid0(VALU_DEP_2)
	v_add_co_ci_u32_e64 v3, null, s17, v3, vcc_lo
	s_and_saveexec_b32 s8, s0
	s_cbranch_execnz .LBB86_110
; %bb.94:
	s_wait_alu 0xfffe
	s_or_b32 exec_lo, exec_lo, s8
	s_and_saveexec_b32 s0, s1
	s_cbranch_execnz .LBB86_111
.LBB86_95:
	s_or_b32 exec_lo, exec_lo, s0
	s_and_saveexec_b32 s0, s2
	s_cbranch_execnz .LBB86_112
.LBB86_96:
	s_or_b32 exec_lo, exec_lo, s0
	s_and_saveexec_b32 s0, s3
	s_cbranch_execnz .LBB86_113
.LBB86_97:
	s_or_b32 exec_lo, exec_lo, s0
	s_and_saveexec_b32 s0, s4
	s_cbranch_execnz .LBB86_114
.LBB86_98:
	s_or_b32 exec_lo, exec_lo, s0
	s_and_saveexec_b32 s0, s5
	s_cbranch_execnz .LBB86_115
.LBB86_99:
	s_or_b32 exec_lo, exec_lo, s0
	s_and_saveexec_b32 s0, s6
	s_cbranch_execnz .LBB86_116
.LBB86_100:
	s_or_b32 exec_lo, exec_lo, s0
	s_and_saveexec_b32 s0, s7
	s_cbranch_execz .LBB86_102
.LBB86_101:
	s_mul_i32 s0, s12, 0x700
	s_mov_b32 s1, 0
	s_delay_alu instid0(SALU_CYCLE_1) | instskip(NEXT) | instid1(SALU_CYCLE_1)
	s_lshl_b64 s[0:1], s[0:1], 3
	v_add_co_u32 v2, vcc_lo, v2, s0
	s_wait_alu 0xfffd
	v_add_co_ci_u32_e64 v3, null, s1, v3, vcc_lo
	s_wait_dscnt 0x0
	global_store_b64 v[2:3], v[0:1], off
.LBB86_102:
	s_nop 0
	s_sendmsg sendmsg(MSG_DEALLOC_VGPRS)
	s_endpgm
.LBB86_103:
	ds_load_u8 v9, v48
	s_wait_dscnt 0x0
	global_store_b8 v[0:1], v9, off
	s_wait_alu 0xfffe
	s_or_b32 exec_lo, exec_lo, s8
	s_and_saveexec_b32 s8, s1
	s_cbranch_execz .LBB86_86
.LBB86_104:
	s_lshl_b32 s9, s10, 8
	s_wait_alu 0xfffe
	v_add_co_u32 v9, vcc_lo, v0, s9
	s_wait_alu 0xfffd
	v_add_co_ci_u32_e64 v10, null, 0, v1, vcc_lo
	s_wait_dscnt 0x6
	global_store_b8 v[9:10], v8, off
	s_or_b32 exec_lo, exec_lo, s8
	s_and_saveexec_b32 s8, s2
	s_cbranch_execz .LBB86_87
.LBB86_105:
	s_lshl_b32 s9, s10, 9
	s_wait_dscnt 0x6
	s_wait_alu 0xfffe
	v_add_co_u32 v8, vcc_lo, v0, s9
	s_wait_alu 0xfffd
	v_add_co_ci_u32_e64 v9, null, 0, v1, vcc_lo
	s_wait_dscnt 0x5
	global_store_b8 v[8:9], v7, off
	s_or_b32 exec_lo, exec_lo, s8
	s_and_saveexec_b32 s8, s3
	s_cbranch_execz .LBB86_88
.LBB86_106:
	s_mul_i32 s9, s10, 0x300
	s_wait_dscnt 0x5
	s_wait_alu 0xfffe
	v_add_co_u32 v7, vcc_lo, v0, s9
	s_wait_alu 0xfffd
	v_add_co_ci_u32_e64 v8, null, 0, v1, vcc_lo
	s_wait_dscnt 0x4
	global_store_b8 v[7:8], v6, off
	s_or_b32 exec_lo, exec_lo, s8
	s_and_saveexec_b32 s8, s4
	s_cbranch_execz .LBB86_89
.LBB86_107:
	s_lshl_b32 s9, s10, 10
	s_wait_dscnt 0x4
	s_wait_alu 0xfffe
	v_add_co_u32 v6, vcc_lo, v0, s9
	s_wait_alu 0xfffd
	v_add_co_ci_u32_e64 v7, null, 0, v1, vcc_lo
	s_wait_dscnt 0x3
	global_store_b8 v[6:7], v5, off
	s_or_b32 exec_lo, exec_lo, s8
	s_and_saveexec_b32 s8, s5
	s_cbranch_execz .LBB86_90
.LBB86_108:
	s_mul_i32 s9, s10, 0x500
	s_wait_dscnt 0x3
	s_wait_alu 0xfffe
	v_add_co_u32 v5, vcc_lo, v0, s9
	s_wait_alu 0xfffd
	v_add_co_ci_u32_e64 v6, null, 0, v1, vcc_lo
	s_wait_dscnt 0x2
	global_store_b8 v[5:6], v4, off
	s_or_b32 exec_lo, exec_lo, s8
	s_and_saveexec_b32 s8, s6
	s_cbranch_execz .LBB86_91
.LBB86_109:
	s_mul_i32 s9, s10, 0x600
	s_wait_dscnt 0x2
	s_wait_alu 0xfffe
	v_add_co_u32 v4, vcc_lo, v0, s9
	s_wait_alu 0xfffd
	v_add_co_ci_u32_e64 v5, null, 0, v1, vcc_lo
	s_wait_dscnt 0x1
	global_store_b8 v[4:5], v3, off
	s_or_b32 exec_lo, exec_lo, s8
	s_and_saveexec_b32 s8, s7
	s_cbranch_execnz .LBB86_92
	s_branch .LBB86_93
.LBB86_110:
	ds_load_b64 v[16:17], v58
	s_wait_dscnt 0x0
	global_store_b64 v[2:3], v[16:17], off
	s_wait_alu 0xfffe
	s_or_b32 exec_lo, exec_lo, s8
	s_and_saveexec_b32 s0, s1
	s_cbranch_execz .LBB86_95
.LBB86_111:
	s_lshl_b32 s8, s12, 8
	s_mov_b32 s9, 0
	s_wait_alu 0xfffe
	s_lshl_b64 s[8:9], s[8:9], 3
	s_wait_alu 0xfffe
	v_add_co_u32 v16, vcc_lo, v2, s8
	s_wait_alu 0xfffd
	v_add_co_ci_u32_e64 v17, null, s9, v3, vcc_lo
	s_wait_dscnt 0x6
	global_store_b64 v[16:17], v[14:15], off
	s_or_b32 exec_lo, exec_lo, s0
	s_and_saveexec_b32 s0, s2
	s_cbranch_execz .LBB86_96
.LBB86_112:
	s_lshl_b32 s8, s12, 9
	s_mov_b32 s9, 0
	s_wait_alu 0xfffe
	s_lshl_b64 s[8:9], s[8:9], 3
	s_wait_dscnt 0x6
	s_wait_alu 0xfffe
	v_add_co_u32 v14, vcc_lo, v2, s8
	s_wait_alu 0xfffd
	v_add_co_ci_u32_e64 v15, null, s9, v3, vcc_lo
	s_wait_dscnt 0x5
	global_store_b64 v[14:15], v[12:13], off
	s_or_b32 exec_lo, exec_lo, s0
	s_and_saveexec_b32 s0, s3
	s_cbranch_execz .LBB86_97
.LBB86_113:
	s_mul_i32 s2, s12, 0x300
	s_mov_b32 s3, 0
	s_wait_alu 0xfffe
	s_lshl_b64 s[2:3], s[2:3], 3
	s_wait_dscnt 0x5
	s_wait_alu 0xfffe
	v_add_co_u32 v12, vcc_lo, v2, s2
	s_wait_alu 0xfffd
	v_add_co_ci_u32_e64 v13, null, s3, v3, vcc_lo
	s_wait_dscnt 0x4
	global_store_b64 v[12:13], v[10:11], off
	s_or_b32 exec_lo, exec_lo, s0
	s_and_saveexec_b32 s0, s4
	s_cbranch_execz .LBB86_98
.LBB86_114:
	s_lshl_b32 s2, s12, 10
	s_mov_b32 s3, 0
	s_wait_alu 0xfffe
	s_lshl_b64 s[2:3], s[2:3], 3
	s_wait_dscnt 0x4
	s_wait_alu 0xfffe
	v_add_co_u32 v10, vcc_lo, v2, s2
	s_wait_alu 0xfffd
	v_add_co_ci_u32_e64 v11, null, s3, v3, vcc_lo
	s_wait_dscnt 0x3
	global_store_b64 v[10:11], v[8:9], off
	s_or_b32 exec_lo, exec_lo, s0
	s_and_saveexec_b32 s0, s5
	s_cbranch_execz .LBB86_99
.LBB86_115:
	s_mul_i32 s2, s12, 0x500
	s_mov_b32 s3, 0
	s_wait_alu 0xfffe
	s_lshl_b64 s[2:3], s[2:3], 3
	s_wait_dscnt 0x3
	s_wait_alu 0xfffe
	v_add_co_u32 v8, vcc_lo, v2, s2
	s_wait_alu 0xfffd
	v_add_co_ci_u32_e64 v9, null, s3, v3, vcc_lo
	s_wait_dscnt 0x2
	global_store_b64 v[8:9], v[6:7], off
	s_or_b32 exec_lo, exec_lo, s0
	s_and_saveexec_b32 s0, s6
	s_cbranch_execz .LBB86_100
.LBB86_116:
	s_mul_i32 s2, s12, 0x600
	s_mov_b32 s3, 0
	s_wait_alu 0xfffe
	s_lshl_b64 s[2:3], s[2:3], 3
	s_wait_dscnt 0x2
	s_wait_alu 0xfffe
	v_add_co_u32 v6, vcc_lo, v2, s2
	s_wait_alu 0xfffd
	v_add_co_ci_u32_e64 v7, null, s3, v3, vcc_lo
	s_wait_dscnt 0x1
	global_store_b64 v[6:7], v[4:5], off
	s_or_b32 exec_lo, exec_lo, s0
	s_and_saveexec_b32 s0, s7
	s_cbranch_execnz .LBB86_101
	s_branch .LBB86_102
	.section	.rodata,"a",@progbits
	.p2align	6, 0x0
	.amdhsa_kernel _ZN2at6native18radixSortKVInPlaceILi2ELin1ELi256ELi8EhljEEvNS_4cuda6detail10TensorInfoIT3_T5_EES6_S6_S6_NS4_IT4_S6_EES6_b
		.amdhsa_group_segment_fixed_size 16896
		.amdhsa_private_segment_fixed_size 0
		.amdhsa_kernarg_size 712
		.amdhsa_user_sgpr_count 2
		.amdhsa_user_sgpr_dispatch_ptr 0
		.amdhsa_user_sgpr_queue_ptr 0
		.amdhsa_user_sgpr_kernarg_segment_ptr 1
		.amdhsa_user_sgpr_dispatch_id 0
		.amdhsa_user_sgpr_private_segment_size 0
		.amdhsa_wavefront_size32 1
		.amdhsa_uses_dynamic_stack 0
		.amdhsa_enable_private_segment 0
		.amdhsa_system_sgpr_workgroup_id_x 1
		.amdhsa_system_sgpr_workgroup_id_y 1
		.amdhsa_system_sgpr_workgroup_id_z 1
		.amdhsa_system_sgpr_workgroup_info 0
		.amdhsa_system_vgpr_workitem_id 2
		.amdhsa_next_free_vgpr 105
		.amdhsa_next_free_sgpr 24
		.amdhsa_reserve_vcc 1
		.amdhsa_float_round_mode_32 0
		.amdhsa_float_round_mode_16_64 0
		.amdhsa_float_denorm_mode_32 3
		.amdhsa_float_denorm_mode_16_64 3
		.amdhsa_fp16_overflow 0
		.amdhsa_workgroup_processor_mode 1
		.amdhsa_memory_ordered 1
		.amdhsa_forward_progress 1
		.amdhsa_inst_pref_size 101
		.amdhsa_round_robin_scheduling 0
		.amdhsa_exception_fp_ieee_invalid_op 0
		.amdhsa_exception_fp_denorm_src 0
		.amdhsa_exception_fp_ieee_div_zero 0
		.amdhsa_exception_fp_ieee_overflow 0
		.amdhsa_exception_fp_ieee_underflow 0
		.amdhsa_exception_fp_ieee_inexact 0
		.amdhsa_exception_int_div_zero 0
	.end_amdhsa_kernel
	.section	.text._ZN2at6native18radixSortKVInPlaceILi2ELin1ELi256ELi8EhljEEvNS_4cuda6detail10TensorInfoIT3_T5_EES6_S6_S6_NS4_IT4_S6_EES6_b,"axG",@progbits,_ZN2at6native18radixSortKVInPlaceILi2ELin1ELi256ELi8EhljEEvNS_4cuda6detail10TensorInfoIT3_T5_EES6_S6_S6_NS4_IT4_S6_EES6_b,comdat
.Lfunc_end86:
	.size	_ZN2at6native18radixSortKVInPlaceILi2ELin1ELi256ELi8EhljEEvNS_4cuda6detail10TensorInfoIT3_T5_EES6_S6_S6_NS4_IT4_S6_EES6_b, .Lfunc_end86-_ZN2at6native18radixSortKVInPlaceILi2ELin1ELi256ELi8EhljEEvNS_4cuda6detail10TensorInfoIT3_T5_EES6_S6_S6_NS4_IT4_S6_EES6_b
                                        ; -- End function
	.set _ZN2at6native18radixSortKVInPlaceILi2ELin1ELi256ELi8EhljEEvNS_4cuda6detail10TensorInfoIT3_T5_EES6_S6_S6_NS4_IT4_S6_EES6_b.num_vgpr, 105
	.set _ZN2at6native18radixSortKVInPlaceILi2ELin1ELi256ELi8EhljEEvNS_4cuda6detail10TensorInfoIT3_T5_EES6_S6_S6_NS4_IT4_S6_EES6_b.num_agpr, 0
	.set _ZN2at6native18radixSortKVInPlaceILi2ELin1ELi256ELi8EhljEEvNS_4cuda6detail10TensorInfoIT3_T5_EES6_S6_S6_NS4_IT4_S6_EES6_b.numbered_sgpr, 24
	.set _ZN2at6native18radixSortKVInPlaceILi2ELin1ELi256ELi8EhljEEvNS_4cuda6detail10TensorInfoIT3_T5_EES6_S6_S6_NS4_IT4_S6_EES6_b.num_named_barrier, 0
	.set _ZN2at6native18radixSortKVInPlaceILi2ELin1ELi256ELi8EhljEEvNS_4cuda6detail10TensorInfoIT3_T5_EES6_S6_S6_NS4_IT4_S6_EES6_b.private_seg_size, 0
	.set _ZN2at6native18radixSortKVInPlaceILi2ELin1ELi256ELi8EhljEEvNS_4cuda6detail10TensorInfoIT3_T5_EES6_S6_S6_NS4_IT4_S6_EES6_b.uses_vcc, 1
	.set _ZN2at6native18radixSortKVInPlaceILi2ELin1ELi256ELi8EhljEEvNS_4cuda6detail10TensorInfoIT3_T5_EES6_S6_S6_NS4_IT4_S6_EES6_b.uses_flat_scratch, 0
	.set _ZN2at6native18radixSortKVInPlaceILi2ELin1ELi256ELi8EhljEEvNS_4cuda6detail10TensorInfoIT3_T5_EES6_S6_S6_NS4_IT4_S6_EES6_b.has_dyn_sized_stack, 0
	.set _ZN2at6native18radixSortKVInPlaceILi2ELin1ELi256ELi8EhljEEvNS_4cuda6detail10TensorInfoIT3_T5_EES6_S6_S6_NS4_IT4_S6_EES6_b.has_recursion, 0
	.set _ZN2at6native18radixSortKVInPlaceILi2ELin1ELi256ELi8EhljEEvNS_4cuda6detail10TensorInfoIT3_T5_EES6_S6_S6_NS4_IT4_S6_EES6_b.has_indirect_call, 0
	.section	.AMDGPU.csdata,"",@progbits
; Kernel info:
; codeLenInByte = 12876
; TotalNumSgprs: 26
; NumVgprs: 105
; ScratchSize: 0
; MemoryBound: 0
; FloatMode: 240
; IeeeMode: 1
; LDSByteSize: 16896 bytes/workgroup (compile time only)
; SGPRBlocks: 0
; VGPRBlocks: 13
; NumSGPRsForWavesPerEU: 26
; NumVGPRsForWavesPerEU: 105
; Occupancy: 12
; WaveLimiterHint : 1
; COMPUTE_PGM_RSRC2:SCRATCH_EN: 0
; COMPUTE_PGM_RSRC2:USER_SGPR: 2
; COMPUTE_PGM_RSRC2:TRAP_HANDLER: 0
; COMPUTE_PGM_RSRC2:TGID_X_EN: 1
; COMPUTE_PGM_RSRC2:TGID_Y_EN: 1
; COMPUTE_PGM_RSRC2:TGID_Z_EN: 1
; COMPUTE_PGM_RSRC2:TIDIG_COMP_CNT: 2
	.section	.text._ZN2at6native18radixSortKVInPlaceILi2ELin1ELi128ELi8EhljEEvNS_4cuda6detail10TensorInfoIT3_T5_EES6_S6_S6_NS4_IT4_S6_EES6_b,"axG",@progbits,_ZN2at6native18radixSortKVInPlaceILi2ELin1ELi128ELi8EhljEEvNS_4cuda6detail10TensorInfoIT3_T5_EES6_S6_S6_NS4_IT4_S6_EES6_b,comdat
	.protected	_ZN2at6native18radixSortKVInPlaceILi2ELin1ELi128ELi8EhljEEvNS_4cuda6detail10TensorInfoIT3_T5_EES6_S6_S6_NS4_IT4_S6_EES6_b ; -- Begin function _ZN2at6native18radixSortKVInPlaceILi2ELin1ELi128ELi8EhljEEvNS_4cuda6detail10TensorInfoIT3_T5_EES6_S6_S6_NS4_IT4_S6_EES6_b
	.globl	_ZN2at6native18radixSortKVInPlaceILi2ELin1ELi128ELi8EhljEEvNS_4cuda6detail10TensorInfoIT3_T5_EES6_S6_S6_NS4_IT4_S6_EES6_b
	.p2align	8
	.type	_ZN2at6native18radixSortKVInPlaceILi2ELin1ELi128ELi8EhljEEvNS_4cuda6detail10TensorInfoIT3_T5_EES6_S6_S6_NS4_IT4_S6_EES6_b,@function
_ZN2at6native18radixSortKVInPlaceILi2ELin1ELi128ELi8EhljEEvNS_4cuda6detail10TensorInfoIT3_T5_EES6_S6_S6_NS4_IT4_S6_EES6_b: ; @_ZN2at6native18radixSortKVInPlaceILi2ELin1ELi128ELi8EhljEEvNS_4cuda6detail10TensorInfoIT3_T5_EES6_S6_S6_NS4_IT4_S6_EES6_b
; %bb.0:
	s_clause 0x1
	s_load_b64 s[2:3], s[0:1], 0x1c8
	s_load_b96 s[8:10], s[0:1], 0xd8
	s_lshr_b32 s4, ttmp7, 16
	s_wait_kmcnt 0x0
	s_mul_i32 s3, s3, s4
	s_and_b32 s4, ttmp7, 0xffff
	s_delay_alu instid0(SALU_CYCLE_1) | instskip(NEXT) | instid1(SALU_CYCLE_1)
	s_add_co_i32 s3, s3, s4
	s_mul_i32 s2, s3, s2
	s_delay_alu instid0(SALU_CYCLE_1) | instskip(NEXT) | instid1(SALU_CYCLE_1)
	s_add_co_i32 s2, s2, ttmp9
	s_cmp_ge_u32 s2, s8
	s_cbranch_scc1 .LBB87_102
; %bb.1:
	s_clause 0x2
	s_load_b32 s8, s[0:1], 0xc
	s_load_b64 s[4:5], s[0:1], 0x6c
	s_load_b32 s12, s[0:1], 0x1b8
	s_add_nc_u64 s[20:21], s[0:1], 0xe8
	s_wait_kmcnt 0x0
	s_cvt_f32_u32 s3, s8
	s_delay_alu instid0(SALU_CYCLE_3) | instskip(NEXT) | instid1(TRANS32_DEP_1)
	v_rcp_iflag_f32_e32 v1, s3
	v_readfirstlane_b32 s3, v1
	s_mul_f32 s3, s3, 0x4f7ffffe
	s_wait_alu 0xfffe
	s_delay_alu instid0(SALU_CYCLE_2) | instskip(SKIP_2) | instid1(SALU_CYCLE_1)
	s_cvt_u32_f32 s6, s3
	s_sub_co_i32 s3, 0, s8
	s_wait_alu 0xfffe
	s_mul_i32 s7, s3, s6
	s_mov_b32 s3, 0
	s_mul_hi_u32 s11, s6, s7
	s_wait_alu 0xfffe
	s_mov_b32 s7, s3
	s_add_co_i32 s6, s6, s11
	s_cmp_lt_i32 s12, 2
	s_mov_b32 s11, s2
	s_mov_b32 s17, s3
	s_cbranch_scc1 .LBB87_4
; %bb.2:
	s_add_co_i32 s16, s12, -1
	s_mov_b32 s17, 0
	s_mov_b32 s11, s2
	s_lshl_b64 s[14:15], s[16:17], 2
	s_delay_alu instid0(SALU_CYCLE_1)
	s_add_nc_u64 s[18:19], s[20:21], s[14:15]
	s_add_co_i32 s14, s12, 1
	s_add_nc_u64 s[12:13], s[18:19], 8
.LBB87_3:                               ; =>This Inner Loop Header: Depth=1
	s_clause 0x1
	s_load_b32 s15, s[12:13], 0x0
	s_load_b32 s16, s[12:13], 0x64
	s_mov_b32 s22, s11
	s_add_nc_u64 s[12:13], s[12:13], -4
	s_wait_kmcnt 0x0
	s_cvt_f32_u32 s18, s15
	s_sub_co_i32 s19, 0, s15
	s_wait_alu 0xfffe
	s_delay_alu instid0(SALU_CYCLE_1) | instskip(NEXT) | instid1(TRANS32_DEP_1)
	v_rcp_iflag_f32_e32 v1, s18
	v_readfirstlane_b32 s18, v1
	s_mul_f32 s18, s18, 0x4f7ffffe
	s_wait_alu 0xfffe
	s_delay_alu instid0(SALU_CYCLE_2) | instskip(SKIP_1) | instid1(SALU_CYCLE_2)
	s_cvt_u32_f32 s18, s18
	s_wait_alu 0xfffe
	s_mul_i32 s19, s19, s18
	s_wait_alu 0xfffe
	s_mul_hi_u32 s19, s18, s19
	s_wait_alu 0xfffe
	s_add_co_i32 s18, s18, s19
	s_wait_alu 0xfffe
	s_mul_hi_u32 s11, s11, s18
	s_delay_alu instid0(SALU_CYCLE_1)
	s_mul_i32 s18, s11, s15
	s_add_co_i32 s19, s11, 1
	s_wait_alu 0xfffe
	s_sub_co_i32 s18, s22, s18
	s_wait_alu 0xfffe
	s_sub_co_i32 s23, s18, s15
	s_cmp_ge_u32 s18, s15
	s_cselect_b32 s11, s19, s11
	s_cselect_b32 s18, s23, s18
	s_add_co_i32 s19, s11, 1
	s_wait_alu 0xfffe
	s_cmp_ge_u32 s18, s15
	s_cselect_b32 s11, s19, s11
	s_add_co_i32 s14, s14, -1
	s_mul_i32 s15, s11, s15
	s_delay_alu instid0(SALU_CYCLE_1) | instskip(NEXT) | instid1(SALU_CYCLE_1)
	s_sub_co_i32 s15, s22, s15
	s_mul_i32 s15, s16, s15
	s_delay_alu instid0(SALU_CYCLE_1)
	s_add_co_i32 s17, s15, s17
	s_cmp_gt_u32 s14, 2
	s_cbranch_scc1 .LBB87_3
.LBB87_4:
	s_mul_u64 s[6:7], s[2:3], s[6:7]
	s_clause 0x1
	s_load_b64 s[14:15], s[0:1], 0x0
	s_load_b64 s[12:13], s[0:1], 0x1c0
	s_mul_i32 s3, s7, s8
	s_add_nc_u64 s[18:19], s[0:1], 0x1c8
	s_wait_alu 0xfffe
	s_sub_co_i32 s0, s2, s3
	s_add_co_i32 s1, s7, 1
	s_sub_co_i32 s3, s0, s8
	s_cmp_ge_u32 s0, s8
	v_and_b32_e32 v44, 0x3ff, v0
	s_cselect_b32 s1, s1, s7
	s_wait_alu 0xfffe
	s_cselect_b32 s0, s3, s0
	s_add_co_i32 s3, s1, 1
	s_cmp_ge_u32 s0, s8
	v_mul_lo_u32 v47, s10, v44
	s_wait_alu 0xfffe
	s_cselect_b32 s0, s3, s1
	s_mov_b32 s3, 0
	s_mul_i32 s1, s0, s8
	s_mul_i32 s0, s0, s4
	s_sub_co_i32 s1, s2, s1
	s_delay_alu instid0(SALU_CYCLE_1) | instskip(NEXT) | instid1(SALU_CYCLE_1)
	s_mul_i32 s1, s1, s5
	s_add_co_i32 s2, s0, s1
	s_wait_kmcnt 0x0
	s_bitcmp1_b32 s13, 0
	s_wait_alu 0xfffe
	s_add_nc_u64 s[14:15], s[14:15], s[2:3]
	s_cselect_b32 s0, -1, 0
	s_delay_alu instid0(SALU_CYCLE_1) | instskip(SKIP_3) | instid1(VALU_DEP_2)
	s_xor_b32 s8, s0, -1
	v_cmp_gt_u32_e64 s0, s9, v44
	v_cndmask_b32_e64 v1, 0, -1, s8
	v_cndmask_b32_e64 v3, 0, -1, s8
	v_lshlrev_b32_e32 v2, 8, v1
	v_and_b32_e32 v1, 0xff, v1
	s_delay_alu instid0(VALU_DEP_1) | instskip(NEXT) | instid1(VALU_DEP_1)
	v_or_b32_e32 v1, v1, v2
	v_and_b32_e32 v2, 0xffff, v1
	v_lshlrev_b32_e32 v1, 16, v1
	s_delay_alu instid0(VALU_DEP_1) | instskip(NEXT) | instid1(VALU_DEP_1)
	v_or_b32_e32 v1, v2, v1
	v_mov_b32_e32 v2, v1
	s_and_saveexec_b32 s1, s0
	s_cbranch_execz .LBB87_6
; %bb.5:
	global_load_u8 v3, v47, s[14:15]
	v_mov_b32_e32 v5, v1
	s_wait_loadcnt 0x0
	v_perm_b32 v4, v3, v1, 0x3020104
	s_delay_alu instid0(VALU_DEP_1)
	v_dual_mov_b32 v1, v4 :: v_dual_mov_b32 v2, v5
.LBB87_6:
	s_or_b32 exec_lo, exec_lo, s1
	v_add_nc_u32_e32 v28, 0x80, v44
	s_delay_alu instid0(VALU_DEP_1)
	v_cmp_gt_u32_e64 s1, s9, v28
	s_and_saveexec_b32 s2, s1
	s_cbranch_execz .LBB87_8
; %bb.7:
	v_mul_lo_u32 v4, s10, v28
	global_load_u8 v4, v4, s[14:15]
	s_wait_loadcnt 0x0
	v_perm_b32 v1, v1, v4, 0x7060004
.LBB87_8:
	s_wait_alu 0xfffe
	s_or_b32 exec_lo, exec_lo, s2
	v_add_nc_u32_e32 v24, 0x100, v44
	s_delay_alu instid0(VALU_DEP_1)
	v_cmp_gt_u32_e64 s2, s9, v24
	s_and_saveexec_b32 s3, s2
	s_cbranch_execz .LBB87_10
; %bb.9:
	v_mul_lo_u32 v4, s10, v24
	global_load_u8 v4, v4, s[14:15]
	s_wait_loadcnt 0x0
	v_perm_b32 v4, v4, v1, 0xc0c0304
	s_delay_alu instid0(VALU_DEP_1) | instskip(NEXT) | instid1(VALU_DEP_1)
	v_lshlrev_b32_e32 v4, 16, v4
	v_and_or_b32 v1, 0xffff, v1, v4
.LBB87_10:
	s_wait_alu 0xfffe
	s_or_b32 exec_lo, exec_lo, s3
	v_add_nc_u32_e32 v21, 0x180, v44
	s_delay_alu instid0(VALU_DEP_1)
	v_cmp_gt_u32_e64 s3, s9, v21
	s_and_saveexec_b32 s4, s3
	s_cbranch_execz .LBB87_12
; %bb.11:
	v_mul_lo_u32 v4, s10, v21
	global_load_u8 v4, v4, s[14:15]
	s_wait_loadcnt 0x0
	v_perm_b32 v4, v1, v4, 0xc0c0006
	s_delay_alu instid0(VALU_DEP_1) | instskip(NEXT) | instid1(VALU_DEP_1)
	v_lshlrev_b32_e32 v4, 16, v4
	v_and_or_b32 v1, 0xffff, v1, v4
.LBB87_12:
	s_or_b32 exec_lo, exec_lo, s4
	v_add_nc_u32_e32 v19, 0x200, v44
	s_delay_alu instid0(VALU_DEP_1)
	v_cmp_gt_u32_e64 s4, s9, v19
	s_and_saveexec_b32 s5, s4
	s_cbranch_execz .LBB87_14
; %bb.13:
	v_mul_lo_u32 v4, s10, v19
	global_load_u8 v4, v4, s[14:15]
	s_wait_loadcnt 0x0
	v_perm_b32 v2, v4, v2, 0x3020104
.LBB87_14:
	s_or_b32 exec_lo, exec_lo, s5
	v_add_nc_u32_e32 v17, 0x280, v44
	s_delay_alu instid0(VALU_DEP_1)
	v_cmp_gt_u32_e64 s5, s9, v17
	s_and_saveexec_b32 s6, s5
	s_cbranch_execz .LBB87_16
; %bb.15:
	v_mul_lo_u32 v4, s10, v17
	global_load_u8 v4, v4, s[14:15]
	s_wait_loadcnt 0x0
	v_perm_b32 v2, v2, v4, 0x7060004
.LBB87_16:
	;; [unrolled: 12-line block ×3, first 2 shown]
	s_or_b32 exec_lo, exec_lo, s7
	s_clause 0x1
	s_load_b32 s13, s[20:21], 0x6c
	s_load_b64 s[20:21], s[20:21], 0x0
	v_add_nc_u32_e32 v15, 0x380, v44
	s_delay_alu instid0(VALU_DEP_1)
	v_cmp_gt_u32_e64 s7, s9, v15
	s_and_saveexec_b32 s9, s7
	s_cbranch_execz .LBB87_20
; %bb.19:
	v_mul_lo_u32 v4, s10, v15
	global_load_u8 v4, v4, s[14:15]
	s_wait_loadcnt 0x0
	v_perm_b32 v2, v2, v4, 0x60504
.LBB87_20:
	s_wait_alu 0xfffe
	s_or_b32 exec_lo, exec_lo, s9
	v_lshrrev_b32_e32 v62, 5, v44
	v_lshrrev_b32_e32 v18, 5, v28
	;; [unrolled: 1-line block ×5, first 2 shown]
	s_delay_alu instid0(VALU_DEP_4) | instskip(SKIP_4) | instid1(VALU_DEP_4)
	v_dual_mov_b32 v42, 0 :: v_dual_and_b32 v5, 60, v18
	v_and_b32_e32 v4, 28, v62
	v_and_b32_e32 v7, 60, v23
	v_lshrrev_b32_e32 v22, 5, v21
	v_lshrrev_b32_e32 v29, 2, v44
	v_dual_mov_b32 v43, v42 :: v_dual_add_nc_u32 v48, v4, v44
	v_dual_mov_b32 v11, v42 :: v_dual_and_b32 v4, 60, v20
	v_mov_b32_e32 v12, v42
	v_add_nc_u32_e32 v52, v7, v44
	v_and_b32_e32 v7, 60, v26
	s_delay_alu instid0(VALU_DEP_4)
	v_add_nc_u32_e32 v50, v4, v44
	v_and_b32_e32 v4, 60, v22
	v_lshrrev_b32_e32 v25, 5, v17
	v_lshrrev_b32_e32 v27, 5, v15
	v_dual_mov_b32 v13, 0 :: v_dual_add_nc_u32 v54, v7, v44
	v_lshlrev_b32_e32 v57, 3, v44
	v_and_b32_e32 v7, 0xfc, v29
	v_add_nc_u32_e32 v51, v4, v44
	v_and_b32_e32 v4, 60, v25
	v_and_b32_e32 v9, 60, v27
	v_lshrrev_b32_e32 v6, 8, v1
	v_add_nc_u32_e32 v56, v7, v57
	v_dual_mov_b32 v10, v42 :: v_dual_add_nc_u32 v49, v5, v44
	v_lshrrev_b32_e32 v5, 24, v1
	v_lshrrev_b32_e32 v8, 8, v2
	v_dual_mov_b32 v14, 0 :: v_dual_add_nc_u32 v53, v4, v44
	v_lshrrev_b32_e32 v4, 24, v2
	v_add_nc_u32_e32 v55, v9, v44
	v_mov_b32_e32 v9, v42
	v_mov_b32_e32 v7, v42
	ds_store_b8 v48, v3
	ds_store_b8 v49, v6 offset:128
	ds_store_b8_d16_hi v50, v1 offset:256
	ds_store_b8 v51, v5 offset:384
	ds_store_b8 v52, v2 offset:512
	;; [unrolled: 1-line block ×3, first 2 shown]
	ds_store_b8_d16_hi v54, v2 offset:768
	ds_store_b8 v55, v4 offset:896
	s_wait_dscnt 0x0
	s_barrier_signal -1
	s_barrier_wait -1
	global_inv scope:SCOPE_SE
	ds_load_2addr_b32 v[45:46], v56 offset1:1
	s_wait_kmcnt 0x0
	s_mul_i32 s9, s13, s11
	v_mul_lo_u32 v41, s12, v44
	s_mov_b32 s23, 0
	s_wait_alu 0xfffe
	s_add_co_i32 s22, s9, s17
	v_dual_mov_b32 v1, v42 :: v_dual_mov_b32 v2, v42
	v_dual_mov_b32 v3, v42 :: v_dual_mov_b32 v4, v42
	;; [unrolled: 1-line block ×3, first 2 shown]
	v_mov_b32_e32 v8, v42
	s_lshl_b64 s[16:17], s[22:23], 3
	s_wait_loadcnt_dscnt 0x0
	s_add_nc_u64 s[16:17], s[20:21], s[16:17]
	s_barrier_signal -1
	s_barrier_wait -1
	global_inv scope:SCOPE_SE
	s_and_saveexec_b32 s9, s0
	s_cbranch_execnz .LBB87_53
; %bb.21:
	s_wait_alu 0xfffe
	s_or_b32 exec_lo, exec_lo, s9
	s_and_saveexec_b32 s9, s1
	s_cbranch_execnz .LBB87_54
.LBB87_22:
	s_wait_alu 0xfffe
	s_or_b32 exec_lo, exec_lo, s9
	s_and_saveexec_b32 s9, s2
	s_cbranch_execnz .LBB87_55
.LBB87_23:
	s_wait_alu 0xfffe
	s_or_b32 exec_lo, exec_lo, s9
	s_and_saveexec_b32 s9, s3
	s_cbranch_execnz .LBB87_56
.LBB87_24:
	s_wait_alu 0xfffe
	s_or_b32 exec_lo, exec_lo, s9
	s_and_saveexec_b32 s9, s4
	s_cbranch_execnz .LBB87_57
.LBB87_25:
	s_wait_alu 0xfffe
	s_or_b32 exec_lo, exec_lo, s9
	s_and_saveexec_b32 s9, s5
	s_cbranch_execnz .LBB87_58
.LBB87_26:
	s_wait_alu 0xfffe
	s_or_b32 exec_lo, exec_lo, s9
	s_and_saveexec_b32 s9, s6
	s_cbranch_execnz .LBB87_59
.LBB87_27:
	s_wait_alu 0xfffe
	s_or_b32 exec_lo, exec_lo, s9
	s_and_saveexec_b32 s9, s7
	s_cbranch_execz .LBB87_29
.LBB87_28:
	v_mul_lo_u32 v7, s12, v15
	v_mov_b32_e32 v8, 0
	s_delay_alu instid0(VALU_DEP_1) | instskip(NEXT) | instid1(VALU_DEP_1)
	v_lshlrev_b64_e32 v[7:8], 3, v[7:8]
	v_add_co_u32 v7, vcc_lo, s16, v7
	s_wait_alu 0xfffd
	s_delay_alu instid0(VALU_DEP_2)
	v_add_co_ci_u32_e64 v8, null, s17, v8, vcc_lo
	global_load_b64 v[7:8], v[7:8], off
.LBB87_29:
	s_wait_alu 0xfffe
	s_or_b32 exec_lo, exec_lo, s9
	v_lshl_add_u32 v58, v62, 3, v57
	v_lshl_add_u32 v59, v18, 3, v57
	;; [unrolled: 1-line block ×5, first 2 shown]
	s_wait_loadcnt 0x0
	ds_store_b64 v58, v[13:14]
	ds_store_b64 v59, v[42:43] offset:1024
	ds_store_b64 v60, v[9:10] offset:2048
	;; [unrolled: 1-line block ×3, first 2 shown]
	v_lshlrev_b32_e32 v9, 3, v57
	v_lshl_add_u32 v42, v23, 3, v57
	v_lshl_add_u32 v43, v25, 3, v57
	;; [unrolled: 1-line block ×3, first 2 shown]
	ds_store_b64 v42, v[1:2] offset:4096
	ds_store_b64 v43, v[3:4] offset:5120
	;; [unrolled: 1-line block ×4, first 2 shown]
	v_lshl_add_u32 v65, v29, 3, v9
	s_wait_dscnt 0x0
	s_barrier_signal -1
	s_barrier_wait -1
	global_inv scope:SCOPE_SE
	ds_load_2addr_b64 v[13:16], v65 offset1:1
	ds_load_2addr_b64 v[9:12], v65 offset0:2 offset1:3
	ds_load_2addr_b64 v[5:8], v65 offset0:4 offset1:5
	;; [unrolled: 1-line block ×3, first 2 shown]
	v_bfe_u32 v69, v0, 10, 10
	v_bfe_u32 v70, v0, 20, 10
	v_mbcnt_lo_u32_b32 v67, -1, 0
	v_and_b32_e32 v68, 0x3e0, v44
	v_lshlrev_b32_e32 v66, 2, v57
	s_and_b32 vcc_lo, exec_lo, s8
	s_wait_loadcnt_dscnt 0x0
	s_barrier_signal -1
	s_barrier_wait -1
	global_inv scope:SCOPE_SE
	s_wait_alu 0xfffe
	s_cbranch_vccz .LBB87_60
; %bb.30:
	s_getpc_b64 s[8:9]
	s_wait_alu 0xfffe
	s_sext_i32_i16 s9, s9
	s_add_co_u32 s8, s8, _ZN7rocprim17ROCPRIM_400000_NS16block_radix_sortIhLj128ELj8ElLj1ELj1ELj0ELNS0_26block_radix_rank_algorithmE1ELNS0_18block_padding_hintE2ELNS0_4arch9wavefront6targetE0EE19radix_bits_per_passE@rel32@lo+12
	s_wait_alu 0xfffe
	s_add_co_ci_u32 s9, s9, _ZN7rocprim17ROCPRIM_400000_NS16block_radix_sortIhLj128ELj8ElLj1ELj1ELj0ELNS0_26block_radix_rank_algorithmE1ELNS0_18block_padding_hintE2ELNS0_4arch9wavefront6targetE0EE19radix_bits_per_passE@rel32@hi+24
	v_or_b32_e32 v17, v67, v68
	s_load_b32 s8, s[8:9], 0x0
	s_mov_b32 s20, 0
	v_and_or_b32 v18, 0x1f00, v57, v67
	s_mov_b32 s21, s20
	s_mov_b32 s22, s20
	;; [unrolled: 1-line block ×3, first 2 shown]
	v_lshlrev_b32_e32 v19, 3, v17
	v_mad_u32_u24 v29, v18, 7, v18
	ds_store_b64 v19, v[45:46]
	; wave barrier
	ds_load_u8 v0, v18
	ds_load_u8 v71, v18 offset:32
	ds_load_u8 v72, v18 offset:64
	;; [unrolled: 1-line block ×7, first 2 shown]
	v_mad_u32_u24 v17, v17, 56, v19
	s_wait_loadcnt_dscnt 0x0
	s_barrier_signal -1
	s_barrier_wait -1
	global_inv scope:SCOPE_SE
	s_wait_kmcnt 0x0
	s_min_u32 s8, s8, 8
	ds_store_b128 v17, v[13:16]
	ds_store_b128 v17, v[9:12] offset:16
	s_wait_alu 0xfffe
	s_lshl_b32 s8, -1, s8
	ds_store_b128 v17, v[5:8] offset:32
	ds_store_b128 v17, v[1:4] offset:48
	s_wait_alu 0xfffe
	s_not_b32 s9, s8
	; wave barrier
	s_wait_alu 0xfffe
	v_and_b32_e32 v39, s9, v0
	ds_load_2addr_b64 v[25:28], v29 offset1:32
	ds_load_2addr_b64 v[21:24], v29 offset0:64 offset1:96
	ds_load_2addr_b64 v[17:20], v29 offset0:128 offset1:160
	;; [unrolled: 1-line block ×3, first 2 shown]
	s_wait_loadcnt_dscnt 0x0
	s_barrier_signal -1
	v_and_b32_e32 v33, 1, v39
	v_lshlrev_b32_e32 v34, 30, v39
	v_lshlrev_b32_e32 v36, 29, v39
	;; [unrolled: 1-line block ×3, first 2 shown]
	s_barrier_wait -1
	v_add_co_u32 v33, s8, v33, -1
	s_wait_alu 0xf1ff
	v_cndmask_b32_e64 v35, 0, 1, s8
	v_not_b32_e32 v37, v34
	v_cmp_gt_i32_e64 s8, 0, v34
	v_not_b32_e32 v34, v36
	global_inv scope:SCOPE_SE
	v_cmp_ne_u32_e32 vcc_lo, 0, v35
	v_ashrrev_i32_e32 v35, 31, v37
	v_lshlrev_b32_e32 v37, 28, v39
	v_ashrrev_i32_e32 v34, 31, v34
	s_wait_alu 0xfffd
	v_xor_b32_e32 v33, vcc_lo, v33
	v_cmp_gt_i32_e32 vcc_lo, 0, v36
	s_wait_alu 0xf1ff
	v_xor_b32_e32 v35, s8, v35
	v_not_b32_e32 v36, v37
	s_load_b32 s8, s[18:19], 0xc
	v_and_b32_e32 v33, exec_lo, v33
	v_xor_b32_e32 v34, vcc_lo, v34
	v_cmp_gt_i32_e32 vcc_lo, 0, v37
	v_lshlrev_b32_e32 v37, 26, v39
	s_delay_alu instid0(VALU_DEP_4) | instskip(SKIP_2) | instid1(VALU_DEP_3)
	v_and_b32_e32 v33, v33, v35
	v_ashrrev_i32_e32 v35, 31, v36
	v_not_b32_e32 v36, v38
	v_and_b32_e32 v33, v33, v34
	s_wait_alu 0xfffd
	s_delay_alu instid0(VALU_DEP_3) | instskip(SKIP_3) | instid1(VALU_DEP_4)
	v_xor_b32_e32 v34, vcc_lo, v35
	v_cmp_gt_i32_e32 vcc_lo, 0, v38
	v_ashrrev_i32_e32 v35, 31, v36
	v_not_b32_e32 v36, v37
	v_and_b32_e32 v33, v33, v34
	v_lshlrev_b32_e32 v34, 25, v39
	s_wait_alu 0xfffd
	v_xor_b32_e32 v35, vcc_lo, v35
	v_cmp_gt_i32_e32 vcc_lo, 0, v37
	v_ashrrev_i32_e32 v36, 31, v36
	s_wait_kmcnt 0x0
	s_lshr_b32 s11, s8, 16
	v_not_b32_e32 v37, v34
	v_and_b32_e32 v33, v33, v35
	v_lshlrev_b32_e32 v35, 24, v39
	s_wait_alu 0xfffd
	v_xor_b32_e32 v36, vcc_lo, v36
	v_cmp_gt_i32_e32 vcc_lo, 0, v34
	v_ashrrev_i32_e32 v34, 31, v37
	s_wait_alu 0xfffe
	v_mad_u32_u24 v38, v70, s11, v69
	v_not_b32_e32 v37, v35
	v_and_b32_e32 v36, v33, v36
	s_and_b32 s8, s8, 0xffff
	s_wait_alu 0xfffd
	v_xor_b32_e32 v40, vcc_lo, v34
	v_cmp_gt_i32_e32 vcc_lo, 0, v35
	v_ashrrev_i32_e32 v35, 31, v37
	s_wait_alu 0xfffe
	v_mad_co_u64_u32 v[33:34], null, v38, s8, v[44:45]
	v_and_b32_e32 v34, v36, v40
	s_wait_alu 0xfffd
	v_xor_b32_e32 v40, vcc_lo, v35
	v_dual_mov_b32 v38, s23 :: v_dual_mov_b32 v37, s22
	v_dual_mov_b32 v36, s21 :: v_dual_mov_b32 v35, s20
	s_delay_alu instid0(VALU_DEP_3)
	v_and_b32_e32 v34, v34, v40
	v_and_b32_e32 v39, 0xff, v39
	v_lshrrev_b32_e32 v33, 3, v33
	ds_store_b128 v66, v[35:38] offset:16
	ds_store_b128 v66, v[35:38] offset:32
	v_mbcnt_lo_u32_b32 v78, v34, 0
	v_lshlrev_b32_e32 v35, 4, v39
	v_and_b32_e32 v33, 0x1ffffffc, v33
	v_cmp_ne_u32_e64 s8, 0, v34
	s_wait_loadcnt_dscnt 0x0
	v_cmp_eq_u32_e32 vcc_lo, 0, v78
	s_barrier_signal -1
	v_add_nc_u32_e32 v79, v33, v35
	s_barrier_wait -1
	global_inv scope:SCOPE_SE
	s_and_b32 s11, s8, vcc_lo
	; wave barrier
	s_wait_alu 0xfffe
	s_and_saveexec_b32 s8, s11
; %bb.31:
	v_bcnt_u32_b32 v34, v34, 0
	ds_store_b32 v79, v34 offset:16
; %bb.32:
	s_wait_alu 0xfffe
	s_or_b32 exec_lo, exec_lo, s8
	v_and_b32_e32 v34, s9, v71
	; wave barrier
	s_delay_alu instid0(VALU_DEP_1)
	v_and_b32_e32 v36, 1, v34
	v_lshlrev_b32_e32 v37, 30, v34
	v_lshlrev_b32_e32 v38, 29, v34
	;; [unrolled: 1-line block ×4, first 2 shown]
	v_add_co_u32 v36, s8, v36, -1
	s_wait_alu 0xf1ff
	v_cndmask_b32_e64 v40, 0, 1, s8
	v_not_b32_e32 v83, v37
	v_cmp_gt_i32_e64 s8, 0, v37
	v_not_b32_e32 v37, v38
	v_lshlrev_b32_e32 v81, 26, v34
	v_cmp_ne_u32_e32 vcc_lo, 0, v40
	v_ashrrev_i32_e32 v40, 31, v83
	v_lshlrev_b32_e32 v82, 25, v34
	v_ashrrev_i32_e32 v37, 31, v37
	v_and_b32_e32 v35, 0xff, v34
	s_wait_alu 0xfffd
	v_xor_b32_e32 v36, vcc_lo, v36
	v_cmp_gt_i32_e32 vcc_lo, 0, v38
	v_not_b32_e32 v38, v39
	s_wait_alu 0xf1ff
	v_xor_b32_e32 v40, s8, v40
	v_cmp_gt_i32_e64 s8, 0, v39
	v_and_b32_e32 v36, exec_lo, v36
	v_not_b32_e32 v39, v80
	v_ashrrev_i32_e32 v38, 31, v38
	s_wait_alu 0xfffd
	v_xor_b32_e32 v37, vcc_lo, v37
	v_cmp_gt_i32_e32 vcc_lo, 0, v80
	v_and_b32_e32 v36, v36, v40
	v_not_b32_e32 v40, v81
	v_ashrrev_i32_e32 v39, 31, v39
	s_wait_alu 0xf1ff
	v_xor_b32_e32 v38, s8, v38
	v_lshlrev_b32_e32 v34, 24, v34
	v_and_b32_e32 v36, v36, v37
	v_cmp_gt_i32_e64 s8, 0, v81
	v_not_b32_e32 v37, v82
	v_ashrrev_i32_e32 v40, 31, v40
	s_wait_alu 0xfffd
	v_xor_b32_e32 v39, vcc_lo, v39
	v_and_b32_e32 v36, v36, v38
	v_cmp_gt_i32_e32 vcc_lo, 0, v82
	v_not_b32_e32 v38, v34
	v_ashrrev_i32_e32 v37, 31, v37
	s_wait_alu 0xf1ff
	v_xor_b32_e32 v40, s8, v40
	v_and_b32_e32 v36, v36, v39
	v_lshlrev_b32_e32 v35, 4, v35
	v_cmp_gt_i32_e64 s8, 0, v34
	v_ashrrev_i32_e32 v34, 31, v38
	s_wait_alu 0xfffd
	v_xor_b32_e32 v37, vcc_lo, v37
	v_and_b32_e32 v36, v36, v40
	v_add_nc_u32_e32 v82, v33, v35
	s_wait_alu 0xf1ff
	v_xor_b32_e32 v34, s8, v34
	s_delay_alu instid0(VALU_DEP_3) | instskip(SKIP_2) | instid1(VALU_DEP_1)
	v_and_b32_e32 v35, v36, v37
	ds_load_b32 v80, v82 offset:16
	; wave barrier
	v_and_b32_e32 v34, v35, v34
	v_mbcnt_lo_u32_b32 v81, v34, 0
	v_cmp_ne_u32_e64 s8, 0, v34
	s_delay_alu instid0(VALU_DEP_2)
	v_cmp_eq_u32_e32 vcc_lo, 0, v81
	s_and_b32 s11, s8, vcc_lo
	s_wait_alu 0xfffe
	s_and_saveexec_b32 s8, s11
	s_cbranch_execz .LBB87_34
; %bb.33:
	s_wait_dscnt 0x0
	v_bcnt_u32_b32 v34, v34, v80
	ds_store_b32 v82, v34 offset:16
.LBB87_34:
	s_wait_alu 0xfffe
	s_or_b32 exec_lo, exec_lo, s8
	v_and_b32_e32 v34, s9, v72
	; wave barrier
	s_delay_alu instid0(VALU_DEP_1)
	v_and_b32_e32 v36, 1, v34
	v_lshlrev_b32_e32 v37, 30, v34
	v_lshlrev_b32_e32 v38, 29, v34
	;; [unrolled: 1-line block ×4, first 2 shown]
	v_add_co_u32 v36, s8, v36, -1
	s_wait_alu 0xf1ff
	v_cndmask_b32_e64 v40, 0, 1, s8
	v_not_b32_e32 v86, v37
	v_cmp_gt_i32_e64 s8, 0, v37
	v_not_b32_e32 v37, v38
	v_lshlrev_b32_e32 v84, 26, v34
	v_cmp_ne_u32_e32 vcc_lo, 0, v40
	v_ashrrev_i32_e32 v40, 31, v86
	v_lshlrev_b32_e32 v85, 25, v34
	v_ashrrev_i32_e32 v37, 31, v37
	v_and_b32_e32 v35, 0xff, v34
	s_wait_alu 0xfffd
	v_xor_b32_e32 v36, vcc_lo, v36
	v_cmp_gt_i32_e32 vcc_lo, 0, v38
	v_not_b32_e32 v38, v39
	s_wait_alu 0xf1ff
	v_xor_b32_e32 v40, s8, v40
	v_cmp_gt_i32_e64 s8, 0, v39
	v_and_b32_e32 v36, exec_lo, v36
	v_not_b32_e32 v39, v83
	v_ashrrev_i32_e32 v38, 31, v38
	s_wait_alu 0xfffd
	v_xor_b32_e32 v37, vcc_lo, v37
	v_cmp_gt_i32_e32 vcc_lo, 0, v83
	v_and_b32_e32 v36, v36, v40
	v_not_b32_e32 v40, v84
	v_ashrrev_i32_e32 v39, 31, v39
	s_wait_alu 0xf1ff
	v_xor_b32_e32 v38, s8, v38
	v_lshlrev_b32_e32 v34, 24, v34
	v_and_b32_e32 v36, v36, v37
	v_cmp_gt_i32_e64 s8, 0, v84
	v_not_b32_e32 v37, v85
	v_ashrrev_i32_e32 v40, 31, v40
	s_wait_alu 0xfffd
	v_xor_b32_e32 v39, vcc_lo, v39
	v_and_b32_e32 v36, v36, v38
	v_cmp_gt_i32_e32 vcc_lo, 0, v85
	v_not_b32_e32 v38, v34
	v_ashrrev_i32_e32 v37, 31, v37
	s_wait_alu 0xf1ff
	v_xor_b32_e32 v40, s8, v40
	v_and_b32_e32 v36, v36, v39
	v_lshlrev_b32_e32 v35, 4, v35
	v_cmp_gt_i32_e64 s8, 0, v34
	v_ashrrev_i32_e32 v34, 31, v38
	s_wait_alu 0xfffd
	v_xor_b32_e32 v37, vcc_lo, v37
	v_and_b32_e32 v36, v36, v40
	v_add_nc_u32_e32 v85, v33, v35
	s_wait_alu 0xf1ff
	v_xor_b32_e32 v34, s8, v34
	s_delay_alu instid0(VALU_DEP_3) | instskip(SKIP_2) | instid1(VALU_DEP_1)
	v_and_b32_e32 v35, v36, v37
	ds_load_b32 v83, v85 offset:16
	; wave barrier
	v_and_b32_e32 v34, v35, v34
	v_mbcnt_lo_u32_b32 v84, v34, 0
	v_cmp_ne_u32_e64 s8, 0, v34
	s_delay_alu instid0(VALU_DEP_2)
	v_cmp_eq_u32_e32 vcc_lo, 0, v84
	s_and_b32 s11, s8, vcc_lo
	s_wait_alu 0xfffe
	s_and_saveexec_b32 s8, s11
	s_cbranch_execz .LBB87_36
; %bb.35:
	s_wait_dscnt 0x0
	v_bcnt_u32_b32 v34, v34, v83
	ds_store_b32 v85, v34 offset:16
.LBB87_36:
	s_wait_alu 0xfffe
	s_or_b32 exec_lo, exec_lo, s8
	v_and_b32_e32 v34, s9, v73
	; wave barrier
	s_delay_alu instid0(VALU_DEP_1)
	v_and_b32_e32 v36, 1, v34
	v_lshlrev_b32_e32 v37, 30, v34
	v_lshlrev_b32_e32 v38, 29, v34
	;; [unrolled: 1-line block ×4, first 2 shown]
	v_add_co_u32 v36, s8, v36, -1
	s_wait_alu 0xf1ff
	v_cndmask_b32_e64 v40, 0, 1, s8
	v_not_b32_e32 v89, v37
	v_cmp_gt_i32_e64 s8, 0, v37
	v_not_b32_e32 v37, v38
	v_lshlrev_b32_e32 v87, 26, v34
	v_cmp_ne_u32_e32 vcc_lo, 0, v40
	v_ashrrev_i32_e32 v40, 31, v89
	v_lshlrev_b32_e32 v88, 25, v34
	v_ashrrev_i32_e32 v37, 31, v37
	v_and_b32_e32 v35, 0xff, v34
	s_wait_alu 0xfffd
	v_xor_b32_e32 v36, vcc_lo, v36
	v_cmp_gt_i32_e32 vcc_lo, 0, v38
	v_not_b32_e32 v38, v39
	s_wait_alu 0xf1ff
	v_xor_b32_e32 v40, s8, v40
	v_cmp_gt_i32_e64 s8, 0, v39
	v_and_b32_e32 v36, exec_lo, v36
	v_not_b32_e32 v39, v86
	v_ashrrev_i32_e32 v38, 31, v38
	s_wait_alu 0xfffd
	v_xor_b32_e32 v37, vcc_lo, v37
	v_cmp_gt_i32_e32 vcc_lo, 0, v86
	v_and_b32_e32 v36, v36, v40
	v_not_b32_e32 v40, v87
	v_ashrrev_i32_e32 v39, 31, v39
	s_wait_alu 0xf1ff
	v_xor_b32_e32 v38, s8, v38
	v_lshlrev_b32_e32 v34, 24, v34
	v_and_b32_e32 v36, v36, v37
	v_cmp_gt_i32_e64 s8, 0, v87
	v_not_b32_e32 v37, v88
	v_ashrrev_i32_e32 v40, 31, v40
	s_wait_alu 0xfffd
	v_xor_b32_e32 v39, vcc_lo, v39
	v_and_b32_e32 v36, v36, v38
	v_cmp_gt_i32_e32 vcc_lo, 0, v88
	v_not_b32_e32 v38, v34
	v_ashrrev_i32_e32 v37, 31, v37
	s_wait_alu 0xf1ff
	v_xor_b32_e32 v40, s8, v40
	v_and_b32_e32 v36, v36, v39
	v_lshlrev_b32_e32 v35, 4, v35
	v_cmp_gt_i32_e64 s8, 0, v34
	v_ashrrev_i32_e32 v34, 31, v38
	s_wait_alu 0xfffd
	v_xor_b32_e32 v37, vcc_lo, v37
	v_and_b32_e32 v36, v36, v40
	v_add_nc_u32_e32 v88, v33, v35
	s_wait_alu 0xf1ff
	v_xor_b32_e32 v34, s8, v34
	s_delay_alu instid0(VALU_DEP_3) | instskip(SKIP_2) | instid1(VALU_DEP_1)
	v_and_b32_e32 v35, v36, v37
	ds_load_b32 v86, v88 offset:16
	; wave barrier
	v_and_b32_e32 v34, v35, v34
	v_mbcnt_lo_u32_b32 v87, v34, 0
	v_cmp_ne_u32_e64 s8, 0, v34
	s_delay_alu instid0(VALU_DEP_2)
	v_cmp_eq_u32_e32 vcc_lo, 0, v87
	s_and_b32 s11, s8, vcc_lo
	s_wait_alu 0xfffe
	s_and_saveexec_b32 s8, s11
	s_cbranch_execz .LBB87_38
; %bb.37:
	s_wait_dscnt 0x0
	v_bcnt_u32_b32 v34, v34, v86
	ds_store_b32 v88, v34 offset:16
.LBB87_38:
	s_wait_alu 0xfffe
	s_or_b32 exec_lo, exec_lo, s8
	v_and_b32_e32 v34, s9, v74
	; wave barrier
	s_delay_alu instid0(VALU_DEP_1)
	v_and_b32_e32 v36, 1, v34
	v_lshlrev_b32_e32 v37, 30, v34
	v_lshlrev_b32_e32 v38, 29, v34
	;; [unrolled: 1-line block ×4, first 2 shown]
	v_add_co_u32 v36, s8, v36, -1
	s_wait_alu 0xf1ff
	v_cndmask_b32_e64 v40, 0, 1, s8
	v_not_b32_e32 v92, v37
	v_cmp_gt_i32_e64 s8, 0, v37
	v_not_b32_e32 v37, v38
	v_lshlrev_b32_e32 v90, 26, v34
	v_cmp_ne_u32_e32 vcc_lo, 0, v40
	v_ashrrev_i32_e32 v40, 31, v92
	v_lshlrev_b32_e32 v91, 25, v34
	v_ashrrev_i32_e32 v37, 31, v37
	v_and_b32_e32 v35, 0xff, v34
	s_wait_alu 0xfffd
	v_xor_b32_e32 v36, vcc_lo, v36
	v_cmp_gt_i32_e32 vcc_lo, 0, v38
	v_not_b32_e32 v38, v39
	s_wait_alu 0xf1ff
	v_xor_b32_e32 v40, s8, v40
	v_cmp_gt_i32_e64 s8, 0, v39
	v_and_b32_e32 v36, exec_lo, v36
	v_not_b32_e32 v39, v89
	v_ashrrev_i32_e32 v38, 31, v38
	s_wait_alu 0xfffd
	v_xor_b32_e32 v37, vcc_lo, v37
	v_cmp_gt_i32_e32 vcc_lo, 0, v89
	v_and_b32_e32 v36, v36, v40
	v_not_b32_e32 v40, v90
	v_ashrrev_i32_e32 v39, 31, v39
	s_wait_alu 0xf1ff
	v_xor_b32_e32 v38, s8, v38
	v_lshlrev_b32_e32 v34, 24, v34
	v_and_b32_e32 v36, v36, v37
	v_cmp_gt_i32_e64 s8, 0, v90
	v_not_b32_e32 v37, v91
	v_ashrrev_i32_e32 v40, 31, v40
	s_wait_alu 0xfffd
	v_xor_b32_e32 v39, vcc_lo, v39
	v_and_b32_e32 v36, v36, v38
	v_cmp_gt_i32_e32 vcc_lo, 0, v91
	v_not_b32_e32 v38, v34
	v_ashrrev_i32_e32 v37, 31, v37
	s_wait_alu 0xf1ff
	v_xor_b32_e32 v40, s8, v40
	v_and_b32_e32 v36, v36, v39
	v_lshlrev_b32_e32 v35, 4, v35
	v_cmp_gt_i32_e64 s8, 0, v34
	v_ashrrev_i32_e32 v34, 31, v38
	s_wait_alu 0xfffd
	v_xor_b32_e32 v37, vcc_lo, v37
	v_and_b32_e32 v36, v36, v40
	v_add_nc_u32_e32 v91, v33, v35
	s_wait_alu 0xf1ff
	v_xor_b32_e32 v34, s8, v34
	s_delay_alu instid0(VALU_DEP_3) | instskip(SKIP_2) | instid1(VALU_DEP_1)
	v_and_b32_e32 v35, v36, v37
	ds_load_b32 v89, v91 offset:16
	; wave barrier
	v_and_b32_e32 v34, v35, v34
	v_mbcnt_lo_u32_b32 v90, v34, 0
	v_cmp_ne_u32_e64 s8, 0, v34
	s_delay_alu instid0(VALU_DEP_2)
	v_cmp_eq_u32_e32 vcc_lo, 0, v90
	s_and_b32 s11, s8, vcc_lo
	s_wait_alu 0xfffe
	s_and_saveexec_b32 s8, s11
	s_cbranch_execz .LBB87_40
; %bb.39:
	s_wait_dscnt 0x0
	v_bcnt_u32_b32 v34, v34, v89
	ds_store_b32 v91, v34 offset:16
.LBB87_40:
	s_wait_alu 0xfffe
	s_or_b32 exec_lo, exec_lo, s8
	v_and_b32_e32 v34, s9, v75
	; wave barrier
	s_delay_alu instid0(VALU_DEP_1)
	v_and_b32_e32 v36, 1, v34
	v_lshlrev_b32_e32 v37, 30, v34
	v_lshlrev_b32_e32 v38, 29, v34
	;; [unrolled: 1-line block ×4, first 2 shown]
	v_add_co_u32 v36, s8, v36, -1
	s_wait_alu 0xf1ff
	v_cndmask_b32_e64 v40, 0, 1, s8
	v_not_b32_e32 v95, v37
	v_cmp_gt_i32_e64 s8, 0, v37
	v_not_b32_e32 v37, v38
	v_lshlrev_b32_e32 v93, 26, v34
	v_cmp_ne_u32_e32 vcc_lo, 0, v40
	v_ashrrev_i32_e32 v40, 31, v95
	v_lshlrev_b32_e32 v94, 25, v34
	v_ashrrev_i32_e32 v37, 31, v37
	v_and_b32_e32 v35, 0xff, v34
	s_wait_alu 0xfffd
	v_xor_b32_e32 v36, vcc_lo, v36
	v_cmp_gt_i32_e32 vcc_lo, 0, v38
	v_not_b32_e32 v38, v39
	s_wait_alu 0xf1ff
	v_xor_b32_e32 v40, s8, v40
	v_cmp_gt_i32_e64 s8, 0, v39
	v_and_b32_e32 v36, exec_lo, v36
	v_not_b32_e32 v39, v92
	v_ashrrev_i32_e32 v38, 31, v38
	s_wait_alu 0xfffd
	v_xor_b32_e32 v37, vcc_lo, v37
	v_cmp_gt_i32_e32 vcc_lo, 0, v92
	v_and_b32_e32 v36, v36, v40
	v_not_b32_e32 v40, v93
	v_ashrrev_i32_e32 v39, 31, v39
	s_wait_alu 0xf1ff
	v_xor_b32_e32 v38, s8, v38
	v_lshlrev_b32_e32 v34, 24, v34
	v_and_b32_e32 v36, v36, v37
	v_cmp_gt_i32_e64 s8, 0, v93
	v_not_b32_e32 v37, v94
	v_ashrrev_i32_e32 v40, 31, v40
	s_wait_alu 0xfffd
	v_xor_b32_e32 v39, vcc_lo, v39
	v_and_b32_e32 v36, v36, v38
	v_cmp_gt_i32_e32 vcc_lo, 0, v94
	v_not_b32_e32 v38, v34
	v_ashrrev_i32_e32 v37, 31, v37
	s_wait_alu 0xf1ff
	v_xor_b32_e32 v40, s8, v40
	v_and_b32_e32 v36, v36, v39
	v_lshlrev_b32_e32 v35, 4, v35
	v_cmp_gt_i32_e64 s8, 0, v34
	v_ashrrev_i32_e32 v34, 31, v38
	s_wait_alu 0xfffd
	v_xor_b32_e32 v37, vcc_lo, v37
	v_and_b32_e32 v36, v36, v40
	v_add_nc_u32_e32 v94, v33, v35
	s_wait_alu 0xf1ff
	v_xor_b32_e32 v34, s8, v34
	s_delay_alu instid0(VALU_DEP_3) | instskip(SKIP_2) | instid1(VALU_DEP_1)
	v_and_b32_e32 v35, v36, v37
	ds_load_b32 v92, v94 offset:16
	; wave barrier
	v_and_b32_e32 v34, v35, v34
	v_mbcnt_lo_u32_b32 v93, v34, 0
	v_cmp_ne_u32_e64 s8, 0, v34
	s_delay_alu instid0(VALU_DEP_2)
	v_cmp_eq_u32_e32 vcc_lo, 0, v93
	s_and_b32 s11, s8, vcc_lo
	s_wait_alu 0xfffe
	s_and_saveexec_b32 s8, s11
	s_cbranch_execz .LBB87_42
; %bb.41:
	s_wait_dscnt 0x0
	v_bcnt_u32_b32 v34, v34, v92
	ds_store_b32 v94, v34 offset:16
.LBB87_42:
	s_wait_alu 0xfffe
	s_or_b32 exec_lo, exec_lo, s8
	v_and_b32_e32 v34, s9, v76
	; wave barrier
	s_delay_alu instid0(VALU_DEP_1)
	v_and_b32_e32 v36, 1, v34
	v_lshlrev_b32_e32 v37, 30, v34
	v_lshlrev_b32_e32 v38, 29, v34
	;; [unrolled: 1-line block ×4, first 2 shown]
	v_add_co_u32 v36, s8, v36, -1
	s_wait_alu 0xf1ff
	v_cndmask_b32_e64 v40, 0, 1, s8
	v_not_b32_e32 v98, v37
	v_cmp_gt_i32_e64 s8, 0, v37
	v_not_b32_e32 v37, v38
	v_lshlrev_b32_e32 v96, 26, v34
	v_cmp_ne_u32_e32 vcc_lo, 0, v40
	v_ashrrev_i32_e32 v40, 31, v98
	v_lshlrev_b32_e32 v97, 25, v34
	v_ashrrev_i32_e32 v37, 31, v37
	v_and_b32_e32 v35, 0xff, v34
	s_wait_alu 0xfffd
	v_xor_b32_e32 v36, vcc_lo, v36
	v_cmp_gt_i32_e32 vcc_lo, 0, v38
	v_not_b32_e32 v38, v39
	s_wait_alu 0xf1ff
	v_xor_b32_e32 v40, s8, v40
	v_cmp_gt_i32_e64 s8, 0, v39
	v_and_b32_e32 v36, exec_lo, v36
	v_not_b32_e32 v39, v95
	v_ashrrev_i32_e32 v38, 31, v38
	s_wait_alu 0xfffd
	v_xor_b32_e32 v37, vcc_lo, v37
	v_cmp_gt_i32_e32 vcc_lo, 0, v95
	v_and_b32_e32 v36, v36, v40
	v_not_b32_e32 v40, v96
	v_ashrrev_i32_e32 v39, 31, v39
	s_wait_alu 0xf1ff
	v_xor_b32_e32 v38, s8, v38
	v_lshlrev_b32_e32 v34, 24, v34
	v_and_b32_e32 v36, v36, v37
	v_cmp_gt_i32_e64 s8, 0, v96
	v_not_b32_e32 v37, v97
	v_ashrrev_i32_e32 v40, 31, v40
	s_wait_alu 0xfffd
	v_xor_b32_e32 v39, vcc_lo, v39
	v_and_b32_e32 v36, v36, v38
	v_cmp_gt_i32_e32 vcc_lo, 0, v97
	v_not_b32_e32 v38, v34
	v_ashrrev_i32_e32 v37, 31, v37
	s_wait_alu 0xf1ff
	v_xor_b32_e32 v40, s8, v40
	v_and_b32_e32 v36, v36, v39
	v_lshlrev_b32_e32 v35, 4, v35
	v_cmp_gt_i32_e64 s8, 0, v34
	v_ashrrev_i32_e32 v34, 31, v38
	s_wait_alu 0xfffd
	v_xor_b32_e32 v37, vcc_lo, v37
	v_and_b32_e32 v36, v36, v40
	v_add_nc_u32_e32 v97, v33, v35
	s_wait_alu 0xf1ff
	v_xor_b32_e32 v34, s8, v34
	s_delay_alu instid0(VALU_DEP_3) | instskip(SKIP_2) | instid1(VALU_DEP_1)
	v_and_b32_e32 v35, v36, v37
	ds_load_b32 v95, v97 offset:16
	; wave barrier
	v_and_b32_e32 v34, v35, v34
	v_mbcnt_lo_u32_b32 v96, v34, 0
	v_cmp_ne_u32_e64 s8, 0, v34
	s_delay_alu instid0(VALU_DEP_2)
	v_cmp_eq_u32_e32 vcc_lo, 0, v96
	s_and_b32 s11, s8, vcc_lo
	s_wait_alu 0xfffe
	s_and_saveexec_b32 s8, s11
	s_cbranch_execz .LBB87_44
; %bb.43:
	s_wait_dscnt 0x0
	v_bcnt_u32_b32 v34, v34, v95
	ds_store_b32 v97, v34 offset:16
.LBB87_44:
	s_wait_alu 0xfffe
	s_or_b32 exec_lo, exec_lo, s8
	v_and_b32_e32 v34, s9, v77
	; wave barrier
	s_delay_alu instid0(VALU_DEP_1)
	v_and_b32_e32 v36, 1, v34
	v_lshlrev_b32_e32 v37, 30, v34
	v_lshlrev_b32_e32 v38, 29, v34
	;; [unrolled: 1-line block ×4, first 2 shown]
	v_add_co_u32 v36, s8, v36, -1
	s_wait_alu 0xf1ff
	v_cndmask_b32_e64 v40, 0, 1, s8
	v_not_b32_e32 v101, v37
	v_cmp_gt_i32_e64 s8, 0, v37
	v_not_b32_e32 v37, v38
	v_lshlrev_b32_e32 v99, 26, v34
	v_cmp_ne_u32_e32 vcc_lo, 0, v40
	v_ashrrev_i32_e32 v40, 31, v101
	v_lshlrev_b32_e32 v100, 25, v34
	v_ashrrev_i32_e32 v37, 31, v37
	v_and_b32_e32 v35, 0xff, v34
	s_wait_alu 0xfffd
	v_xor_b32_e32 v36, vcc_lo, v36
	v_cmp_gt_i32_e32 vcc_lo, 0, v38
	v_not_b32_e32 v38, v39
	s_wait_alu 0xf1ff
	v_xor_b32_e32 v40, s8, v40
	v_cmp_gt_i32_e64 s8, 0, v39
	v_and_b32_e32 v36, exec_lo, v36
	v_not_b32_e32 v39, v98
	v_ashrrev_i32_e32 v38, 31, v38
	s_wait_alu 0xfffd
	v_xor_b32_e32 v37, vcc_lo, v37
	v_cmp_gt_i32_e32 vcc_lo, 0, v98
	v_and_b32_e32 v36, v36, v40
	v_not_b32_e32 v40, v99
	v_ashrrev_i32_e32 v39, 31, v39
	s_wait_alu 0xf1ff
	v_xor_b32_e32 v38, s8, v38
	v_lshlrev_b32_e32 v34, 24, v34
	v_and_b32_e32 v36, v36, v37
	v_cmp_gt_i32_e64 s8, 0, v99
	v_not_b32_e32 v37, v100
	v_ashrrev_i32_e32 v40, 31, v40
	s_wait_alu 0xfffd
	v_xor_b32_e32 v39, vcc_lo, v39
	v_and_b32_e32 v36, v36, v38
	v_cmp_gt_i32_e32 vcc_lo, 0, v100
	v_not_b32_e32 v38, v34
	v_ashrrev_i32_e32 v37, 31, v37
	s_wait_alu 0xf1ff
	v_xor_b32_e32 v40, s8, v40
	v_and_b32_e32 v36, v36, v39
	v_lshlrev_b32_e32 v35, 4, v35
	v_cmp_gt_i32_e64 s8, 0, v34
	v_ashrrev_i32_e32 v34, 31, v38
	s_wait_alu 0xfffd
	v_xor_b32_e32 v37, vcc_lo, v37
	v_and_b32_e32 v36, v36, v40
	v_add_nc_u32_e32 v100, v33, v35
	s_wait_alu 0xf1ff
	v_xor_b32_e32 v33, s8, v34
	s_delay_alu instid0(VALU_DEP_3) | instskip(SKIP_2) | instid1(VALU_DEP_1)
	v_and_b32_e32 v34, v36, v37
	ds_load_b32 v98, v100 offset:16
	; wave barrier
	v_and_b32_e32 v33, v34, v33
	v_mbcnt_lo_u32_b32 v99, v33, 0
	v_cmp_ne_u32_e64 s8, 0, v33
	s_delay_alu instid0(VALU_DEP_2)
	v_cmp_eq_u32_e32 vcc_lo, 0, v99
	s_and_b32 s9, s8, vcc_lo
	s_wait_alu 0xfffe
	s_and_saveexec_b32 s8, s9
	s_cbranch_execz .LBB87_46
; %bb.45:
	s_wait_dscnt 0x0
	v_bcnt_u32_b32 v33, v33, v98
	ds_store_b32 v100, v33 offset:16
.LBB87_46:
	s_wait_alu 0xfffe
	s_or_b32 exec_lo, exec_lo, s8
	; wave barrier
	s_wait_loadcnt_dscnt 0x0
	s_barrier_signal -1
	s_barrier_wait -1
	global_inv scope:SCOPE_SE
	ds_load_b128 v[37:40], v66 offset:16
	ds_load_b128 v[33:36], v66 offset:32
	v_min_u32_e32 v103, 0x60, v68
	s_mov_b32 s8, exec_lo
	s_wait_dscnt 0x1
	v_add_nc_u32_e32 v101, v38, v37
	s_delay_alu instid0(VALU_DEP_1) | instskip(SKIP_1) | instid1(VALU_DEP_1)
	v_add3_u32 v101, v101, v39, v40
	s_wait_dscnt 0x0
	v_add3_u32 v101, v101, v33, v34
	s_delay_alu instid0(VALU_DEP_1) | instskip(SKIP_1) | instid1(VALU_DEP_2)
	v_add3_u32 v36, v101, v35, v36
	v_and_b32_e32 v101, 15, v67
	v_mov_b32_dpp v102, v36 row_shr:1 row_mask:0xf bank_mask:0xf
	s_delay_alu instid0(VALU_DEP_2) | instskip(SKIP_1) | instid1(VALU_DEP_2)
	v_cmp_ne_u32_e32 vcc_lo, 0, v101
	s_wait_alu 0xfffd
	v_cndmask_b32_e32 v102, 0, v102, vcc_lo
	v_cmp_lt_u32_e32 vcc_lo, 1, v101
	s_delay_alu instid0(VALU_DEP_2) | instskip(NEXT) | instid1(VALU_DEP_1)
	v_add_nc_u32_e32 v36, v102, v36
	v_mov_b32_dpp v102, v36 row_shr:2 row_mask:0xf bank_mask:0xf
	s_wait_alu 0xfffd
	s_delay_alu instid0(VALU_DEP_1) | instskip(SKIP_1) | instid1(VALU_DEP_2)
	v_cndmask_b32_e32 v102, 0, v102, vcc_lo
	v_cmp_lt_u32_e32 vcc_lo, 3, v101
	v_add_nc_u32_e32 v36, v36, v102
	s_delay_alu instid0(VALU_DEP_1) | instskip(SKIP_1) | instid1(VALU_DEP_1)
	v_mov_b32_dpp v102, v36 row_shr:4 row_mask:0xf bank_mask:0xf
	s_wait_alu 0xfffd
	v_cndmask_b32_e32 v102, 0, v102, vcc_lo
	v_cmp_lt_u32_e32 vcc_lo, 7, v101
	s_delay_alu instid0(VALU_DEP_2) | instskip(NEXT) | instid1(VALU_DEP_1)
	v_add_nc_u32_e32 v36, v36, v102
	v_mov_b32_dpp v102, v36 row_shr:8 row_mask:0xf bank_mask:0xf
	s_wait_alu 0xfffd
	s_delay_alu instid0(VALU_DEP_1) | instskip(SKIP_1) | instid1(VALU_DEP_2)
	v_cndmask_b32_e32 v101, 0, v102, vcc_lo
	v_bfe_i32 v102, v67, 4, 1
	v_add_nc_u32_e32 v36, v36, v101
	ds_swizzle_b32 v101, v36 offset:swizzle(BROADCAST,32,15)
	s_wait_dscnt 0x0
	v_and_b32_e32 v101, v102, v101
	v_or_b32_e32 v102, 31, v103
	s_delay_alu instid0(VALU_DEP_2) | instskip(NEXT) | instid1(VALU_DEP_2)
	v_add_nc_u32_e32 v36, v36, v101
	v_cmpx_eq_u32_e64 v44, v102
; %bb.47:
	v_lshlrev_b32_e32 v101, 2, v62
	ds_store_b32 v101, v36
; %bb.48:
	s_wait_alu 0xfffe
	s_or_b32 exec_lo, exec_lo, s8
	s_delay_alu instid0(SALU_CYCLE_1)
	s_mov_b32 s8, exec_lo
	s_wait_loadcnt_dscnt 0x0
	s_barrier_signal -1
	s_barrier_wait -1
	global_inv scope:SCOPE_SE
	v_cmpx_gt_u32_e32 4, v44
	s_cbranch_execz .LBB87_50
; %bb.49:
	v_lshlrev_b32_e32 v101, 2, v44
	ds_load_b32 v102, v101
	s_wait_dscnt 0x0
	v_mov_b32_dpp v104, v102 row_shr:1 row_mask:0xf bank_mask:0xf
	v_and_b32_e32 v103, 3, v67
	s_delay_alu instid0(VALU_DEP_1) | instskip(SKIP_1) | instid1(VALU_DEP_3)
	v_cmp_ne_u32_e32 vcc_lo, 0, v103
	s_wait_alu 0xfffd
	v_cndmask_b32_e32 v104, 0, v104, vcc_lo
	v_cmp_lt_u32_e32 vcc_lo, 1, v103
	s_delay_alu instid0(VALU_DEP_2) | instskip(NEXT) | instid1(VALU_DEP_1)
	v_add_nc_u32_e32 v102, v104, v102
	v_mov_b32_dpp v104, v102 row_shr:2 row_mask:0xf bank_mask:0xf
	s_wait_alu 0xfffd
	s_delay_alu instid0(VALU_DEP_1) | instskip(NEXT) | instid1(VALU_DEP_1)
	v_cndmask_b32_e32 v103, 0, v104, vcc_lo
	v_add_nc_u32_e32 v102, v102, v103
	ds_store_b32 v101, v102
.LBB87_50:
	s_wait_alu 0xfffe
	s_or_b32 exec_lo, exec_lo, s8
	v_mov_b32_e32 v101, 0
	s_mov_b32 s8, exec_lo
	s_wait_loadcnt_dscnt 0x0
	s_barrier_signal -1
	s_barrier_wait -1
	global_inv scope:SCOPE_SE
	v_cmpx_lt_u32_e32 31, v44
; %bb.51:
	v_lshl_add_u32 v101, v62, 2, -4
	ds_load_b32 v101, v101
; %bb.52:
	s_wait_alu 0xfffe
	s_or_b32 exec_lo, exec_lo, s8
	v_sub_co_u32 v102, vcc_lo, v67, 1
	s_wait_dscnt 0x0
	v_add_nc_u32_e32 v36, v101, v36
	s_delay_alu instid0(VALU_DEP_2) | instskip(SKIP_1) | instid1(VALU_DEP_1)
	v_cmp_gt_i32_e64 s8, 0, v102
	s_wait_alu 0xf1ff
	v_cndmask_b32_e64 v102, v102, v67, s8
	s_delay_alu instid0(VALU_DEP_1)
	v_lshlrev_b32_e32 v102, 2, v102
	ds_bpermute_b32 v36, v102, v36
	s_wait_dscnt 0x0
	s_wait_alu 0xfffd
	v_cndmask_b32_e32 v36, v36, v101, vcc_lo
	v_cmp_ne_u32_e32 vcc_lo, 0, v44
	s_wait_alu 0xfffd
	s_delay_alu instid0(VALU_DEP_2) | instskip(NEXT) | instid1(VALU_DEP_1)
	v_cndmask_b32_e32 v36, 0, v36, vcc_lo
	v_add_nc_u32_e32 v37, v36, v37
	s_delay_alu instid0(VALU_DEP_1) | instskip(NEXT) | instid1(VALU_DEP_1)
	v_add_nc_u32_e32 v38, v37, v38
	v_add_nc_u32_e32 v39, v38, v39
	s_delay_alu instid0(VALU_DEP_1) | instskip(NEXT) | instid1(VALU_DEP_1)
	v_add_nc_u32_e32 v101, v39, v40
	;; [unrolled: 3-line block ×3, first 2 shown]
	v_add_nc_u32_e32 v104, v103, v35
	ds_store_b128 v66, v[36:39] offset:16
	ds_store_b128 v66, v[101:104] offset:32
	s_wait_loadcnt_dscnt 0x0
	s_barrier_signal -1
	s_barrier_wait -1
	global_inv scope:SCOPE_SE
	ds_load_b32 v33, v79 offset:16
	ds_load_b32 v34, v82 offset:16
	;; [unrolled: 1-line block ×8, first 2 shown]
	v_mad_u32_u24 v79, v44, 56, v57
	s_wait_loadcnt_dscnt 0x0
	s_barrier_signal -1
	s_barrier_wait -1
	global_inv scope:SCOPE_SE
	v_add_nc_u32_e32 v78, v33, v78
	v_add3_u32 v80, v81, v80, v34
	v_add3_u32 v35, v84, v83, v35
	;; [unrolled: 1-line block ×7, first 2 shown]
	ds_store_b8 v78, v0
	ds_store_b8 v80, v71
	;; [unrolled: 1-line block ×8, first 2 shown]
	v_lshlrev_b32_e32 v0, 3, v78
	v_lshlrev_b32_e32 v71, 3, v80
	;; [unrolled: 1-line block ×5, first 2 shown]
	s_wait_loadcnt_dscnt 0x0
	s_barrier_signal -1
	s_barrier_wait -1
	global_inv scope:SCOPE_SE
	ds_load_b64 v[33:34], v57
	s_wait_loadcnt_dscnt 0x0
	s_barrier_signal -1
	s_barrier_wait -1
	global_inv scope:SCOPE_SE
	v_lshlrev_b32_e32 v38, 3, v38
	v_lshlrev_b32_e32 v39, 3, v39
	;; [unrolled: 1-line block ×3, first 2 shown]
	ds_store_b64 v0, v[25:26]
	ds_store_b64 v71, v[27:28]
	;; [unrolled: 1-line block ×8, first 2 shown]
	s_wait_loadcnt_dscnt 0x0
	s_barrier_signal -1
	s_barrier_wait -1
	global_inv scope:SCOPE_SE
	ds_load_b128 v[29:32], v79
	ds_load_b128 v[25:28], v79 offset:16
	ds_load_b128 v[21:24], v79 offset:32
	;; [unrolled: 1-line block ×3, first 2 shown]
	s_branch .LBB87_84
.LBB87_53:
	v_lshlrev_b64_e32 v[1:2], 3, v[41:42]
	v_dual_mov_b32 v43, v42 :: v_dual_mov_b32 v10, v42
	v_dual_mov_b32 v9, v42 :: v_dual_mov_b32 v12, v42
	v_mov_b32_e32 v11, v42
	s_delay_alu instid0(VALU_DEP_4) | instskip(NEXT) | instid1(VALU_DEP_1)
	v_add_co_u32 v1, vcc_lo, s16, v1
	v_add_co_ci_u32_e64 v2, null, s17, v2, vcc_lo
	v_dual_mov_b32 v3, v42 :: v_dual_mov_b32 v6, v42
	v_dual_mov_b32 v5, v42 :: v_dual_mov_b32 v8, v42
	global_load_b64 v[13:14], v[1:2], off
	v_dual_mov_b32 v1, v42 :: v_dual_mov_b32 v4, v42
	v_dual_mov_b32 v2, v42 :: v_dual_mov_b32 v7, v42
	s_wait_alu 0xfffe
	s_or_b32 exec_lo, exec_lo, s9
	s_and_saveexec_b32 s9, s1
	s_cbranch_execz .LBB87_22
.LBB87_54:
	v_mul_lo_u32 v30, s12, v28
	v_mov_b32_e32 v31, 0
	s_delay_alu instid0(VALU_DEP_1) | instskip(NEXT) | instid1(VALU_DEP_1)
	v_lshlrev_b64_e32 v[30:31], 3, v[30:31]
	v_add_co_u32 v30, vcc_lo, s16, v30
	s_wait_alu 0xfffd
	s_delay_alu instid0(VALU_DEP_2)
	v_add_co_ci_u32_e64 v31, null, s17, v31, vcc_lo
	global_load_b64 v[42:43], v[30:31], off
	s_wait_alu 0xfffe
	s_or_b32 exec_lo, exec_lo, s9
	s_and_saveexec_b32 s9, s2
	s_cbranch_execz .LBB87_23
.LBB87_55:
	v_mul_lo_u32 v9, s12, v24
	v_mov_b32_e32 v10, 0
	s_delay_alu instid0(VALU_DEP_1) | instskip(NEXT) | instid1(VALU_DEP_1)
	v_lshlrev_b64_e32 v[9:10], 3, v[9:10]
	v_add_co_u32 v9, vcc_lo, s16, v9
	s_wait_alu 0xfffd
	s_delay_alu instid0(VALU_DEP_2)
	v_add_co_ci_u32_e64 v10, null, s17, v10, vcc_lo
	global_load_b64 v[9:10], v[9:10], off
	s_wait_alu 0xfffe
	s_or_b32 exec_lo, exec_lo, s9
	s_and_saveexec_b32 s9, s3
	s_cbranch_execz .LBB87_24
.LBB87_56:
	v_mul_lo_u32 v11, s12, v21
	v_mov_b32_e32 v12, 0
	s_delay_alu instid0(VALU_DEP_1) | instskip(NEXT) | instid1(VALU_DEP_1)
	v_lshlrev_b64_e32 v[11:12], 3, v[11:12]
	v_add_co_u32 v11, vcc_lo, s16, v11
	s_wait_alu 0xfffd
	s_delay_alu instid0(VALU_DEP_2)
	v_add_co_ci_u32_e64 v12, null, s17, v12, vcc_lo
	global_load_b64 v[11:12], v[11:12], off
	s_wait_alu 0xfffe
	s_or_b32 exec_lo, exec_lo, s9
	s_and_saveexec_b32 s9, s4
	s_cbranch_execz .LBB87_25
.LBB87_57:
	v_mul_lo_u32 v1, s12, v19
	v_mov_b32_e32 v2, 0
	s_delay_alu instid0(VALU_DEP_1) | instskip(NEXT) | instid1(VALU_DEP_1)
	v_lshlrev_b64_e32 v[1:2], 3, v[1:2]
	v_add_co_u32 v1, vcc_lo, s16, v1
	s_wait_alu 0xfffd
	s_delay_alu instid0(VALU_DEP_2)
	v_add_co_ci_u32_e64 v2, null, s17, v2, vcc_lo
	global_load_b64 v[1:2], v[1:2], off
	s_wait_alu 0xfffe
	s_or_b32 exec_lo, exec_lo, s9
	s_and_saveexec_b32 s9, s5
	s_cbranch_execz .LBB87_26
.LBB87_58:
	v_mul_lo_u32 v3, s12, v17
	v_mov_b32_e32 v4, 0
	s_delay_alu instid0(VALU_DEP_1) | instskip(NEXT) | instid1(VALU_DEP_1)
	v_lshlrev_b64_e32 v[3:4], 3, v[3:4]
	v_add_co_u32 v3, vcc_lo, s16, v3
	s_wait_alu 0xfffd
	s_delay_alu instid0(VALU_DEP_2)
	v_add_co_ci_u32_e64 v4, null, s17, v4, vcc_lo
	global_load_b64 v[3:4], v[3:4], off
	s_wait_alu 0xfffe
	s_or_b32 exec_lo, exec_lo, s9
	s_and_saveexec_b32 s9, s6
	s_cbranch_execz .LBB87_27
.LBB87_59:
	v_mul_lo_u32 v5, s12, v16
	v_mov_b32_e32 v6, 0
	s_delay_alu instid0(VALU_DEP_1) | instskip(NEXT) | instid1(VALU_DEP_1)
	v_lshlrev_b64_e32 v[5:6], 3, v[5:6]
	v_add_co_u32 v5, vcc_lo, s16, v5
	s_wait_alu 0xfffd
	s_delay_alu instid0(VALU_DEP_2)
	v_add_co_ci_u32_e64 v6, null, s17, v6, vcc_lo
	global_load_b64 v[5:6], v[5:6], off
	s_wait_alu 0xfffe
	s_or_b32 exec_lo, exec_lo, s9
	s_and_saveexec_b32 s9, s7
	s_cbranch_execnz .LBB87_28
	s_branch .LBB87_29
.LBB87_60:
                                        ; implicit-def: $vgpr19_vgpr20
                                        ; implicit-def: $vgpr23_vgpr24
                                        ; implicit-def: $vgpr27_vgpr28
                                        ; implicit-def: $vgpr31_vgpr32
                                        ; implicit-def: $vgpr34
	s_cbranch_execz .LBB87_84
; %bb.61:
	v_or_b32_e32 v0, v67, v68
	s_getpc_b64 s[8:9]
	s_wait_alu 0xfffe
	s_sext_i32_i16 s9, s9
	s_add_co_u32 s8, s8, _ZN7rocprim17ROCPRIM_400000_NS16block_radix_sortIhLj128ELj8ElLj1ELj1ELj0ELNS0_26block_radix_rank_algorithmE1ELNS0_18block_padding_hintE2ELNS0_4arch9wavefront6targetE0EE19radix_bits_per_passE@rel32@lo+12
	s_wait_alu 0xfffe
	s_add_co_ci_u32 s9, s9, _ZN7rocprim17ROCPRIM_400000_NS16block_radix_sortIhLj128ELj8ElLj1ELj1ELj0ELNS0_26block_radix_rank_algorithmE1ELNS0_18block_padding_hintE2ELNS0_4arch9wavefront6targetE0EE19radix_bits_per_passE@rel32@hi+24
	s_mov_b32 s20, 0
	s_load_b32 s8, s[8:9], 0x0
	s_wait_dscnt 0x0
	v_not_b32_e32 v18, v46
	v_not_b32_e32 v17, v45
	v_and_or_b32 v20, 0x1f00, v57, v67
	s_mov_b32 s21, s20
	s_mov_b32 s22, s20
	;; [unrolled: 1-line block ×3, first 2 shown]
	v_lshlrev_b32_e32 v19, 3, v0
	ds_store_b64 v19, v[17:18]
	; wave barrier
	ds_load_u8 v24, v20
	v_mad_u32_u24 v0, v0, 56, v19
	ds_load_u8 v25, v20 offset:32
	ds_load_u8 v26, v20 offset:64
	;; [unrolled: 1-line block ×7, first 2 shown]
	s_wait_loadcnt_dscnt 0x0
	s_barrier_signal -1
	s_wait_kmcnt 0x0
	s_min_u32 s8, s8, 8
	s_barrier_wait -1
	s_wait_alu 0xfffe
	s_lshl_b32 s8, -1, s8
	global_inv scope:SCOPE_SE
	s_wait_alu 0xfffe
	s_not_b32 s9, s8
	ds_store_b128 v0, v[13:16]
	ds_store_b128 v0, v[9:12] offset:16
	v_mad_u32_u24 v17, v20, 7, v20
	ds_store_b128 v0, v[5:8] offset:32
	ds_store_b128 v0, v[1:4] offset:48
	; wave barrier
	ds_load_2addr_b64 v[0:3], v17 offset1:32
	ds_load_2addr_b64 v[8:11], v17 offset0:64 offset1:96
	ds_load_2addr_b64 v[4:7], v17 offset0:128 offset1:160
	s_wait_alu 0xfffe
	v_and_b32_e32 v22, s9, v24
	s_delay_alu instid0(VALU_DEP_1) | instskip(SKIP_2) | instid1(VALU_DEP_3)
	v_and_b32_e32 v12, 1, v22
	v_lshlrev_b32_e32 v16, 30, v22
	v_lshlrev_b32_e32 v20, 28, v22
	v_add_co_u32 v18, s8, v12, -1
	s_wait_alu 0xf1ff
	v_cndmask_b32_e64 v19, 0, 1, s8
	ds_load_2addr_b64 v[12:15], v17 offset0:192 offset1:224
	v_not_b32_e32 v17, v16
	v_cmp_gt_i32_e64 s8, 0, v16
	s_wait_loadcnt_dscnt 0x0
	v_cmp_ne_u32_e32 vcc_lo, 0, v19
	v_lshlrev_b32_e32 v19, 29, v22
	v_ashrrev_i32_e32 v16, 31, v17
	s_barrier_signal -1
	s_barrier_wait -1
	s_wait_alu 0xfffd
	v_xor_b32_e32 v17, vcc_lo, v18
	v_not_b32_e32 v18, v19
	s_wait_alu 0xf1ff
	v_xor_b32_e32 v16, s8, v16
	v_cmp_gt_i32_e32 vcc_lo, 0, v19
	v_not_b32_e32 v19, v20
	v_and_b32_e32 v17, exec_lo, v17
	v_ashrrev_i32_e32 v18, 31, v18
	global_inv scope:SCOPE_SE
	s_load_b32 s8, s[18:19], 0xc
	v_ashrrev_i32_e32 v19, 31, v19
	v_and_b32_e32 v16, v17, v16
	v_lshlrev_b32_e32 v17, 27, v22
	v_xor_b32_e32 v18, vcc_lo, v18
	v_cmp_gt_i32_e32 vcc_lo, 0, v20
	s_delay_alu instid0(VALU_DEP_3) | instskip(NEXT) | instid1(VALU_DEP_3)
	v_not_b32_e32 v20, v17
	v_and_b32_e32 v16, v16, v18
	v_lshlrev_b32_e32 v18, 26, v22
	s_wait_alu 0xfffd
	v_xor_b32_e32 v19, vcc_lo, v19
	v_cmp_gt_i32_e32 vcc_lo, 0, v17
	v_ashrrev_i32_e32 v17, 31, v20
	v_not_b32_e32 v20, v18
	s_delay_alu instid0(VALU_DEP_4)
	v_and_b32_e32 v16, v16, v19
	v_lshlrev_b32_e32 v19, 25, v22
	s_wait_alu 0xfffd
	v_xor_b32_e32 v17, vcc_lo, v17
	v_cmp_gt_i32_e32 vcc_lo, 0, v18
	v_ashrrev_i32_e32 v18, 31, v20
	s_wait_kmcnt 0x0
	s_lshr_b32 s11, s8, 16
	v_not_b32_e32 v20, v19
	v_and_b32_e32 v16, v16, v17
	v_lshlrev_b32_e32 v17, 24, v22
	s_wait_alu 0xfffd
	v_xor_b32_e32 v18, vcc_lo, v18
	v_cmp_gt_i32_e32 vcc_lo, 0, v19
	v_ashrrev_i32_e32 v19, 31, v20
	s_wait_alu 0xfffe
	v_mad_u32_u24 v21, v70, s11, v69
	v_not_b32_e32 v20, v17
	v_and_b32_e32 v18, v16, v18
	s_and_b32 s8, s8, 0xffff
	s_wait_alu 0xfffd
	v_xor_b32_e32 v19, vcc_lo, v19
	v_cmp_gt_i32_e32 vcc_lo, 0, v17
	v_ashrrev_i32_e32 v20, 31, v20
	s_wait_alu 0xfffe
	v_mad_co_u64_u32 v[16:17], null, v21, s8, v[44:45]
	v_and_b32_e32 v17, v18, v19
	s_wait_alu 0xfffd
	v_xor_b32_e32 v23, vcc_lo, v20
	v_dual_mov_b32 v18, s20 :: v_dual_mov_b32 v19, s21
	v_dual_mov_b32 v20, s22 :: v_dual_mov_b32 v21, s23
	s_delay_alu instid0(VALU_DEP_3)
	v_and_b32_e32 v17, v17, v23
	v_and_b32_e32 v22, 0xff, v22
	v_lshrrev_b32_e32 v16, 3, v16
	ds_store_b128 v66, v[18:21] offset:16
	ds_store_b128 v66, v[18:21] offset:32
	v_mbcnt_lo_u32_b32 v32, v17, 0
	v_lshlrev_b32_e32 v18, 4, v22
	v_and_b32_e32 v16, 0x1ffffffc, v16
	v_cmp_ne_u32_e64 s8, 0, v17
	s_wait_loadcnt_dscnt 0x0
	v_cmp_eq_u32_e32 vcc_lo, 0, v32
	s_barrier_signal -1
	v_add_nc_u32_e32 v33, v16, v18
	s_barrier_wait -1
	global_inv scope:SCOPE_SE
	s_and_b32 s11, s8, vcc_lo
	; wave barrier
	s_wait_alu 0xfffe
	s_and_saveexec_b32 s8, s11
; %bb.62:
	v_bcnt_u32_b32 v17, v17, 0
	ds_store_b32 v33, v17 offset:16
; %bb.63:
	s_wait_alu 0xfffe
	s_or_b32 exec_lo, exec_lo, s8
	v_and_b32_e32 v17, s9, v25
	; wave barrier
	s_delay_alu instid0(VALU_DEP_1)
	v_and_b32_e32 v19, 1, v17
	v_lshlrev_b32_e32 v20, 30, v17
	v_lshlrev_b32_e32 v21, 29, v17
	;; [unrolled: 1-line block ×4, first 2 shown]
	v_add_co_u32 v19, s8, v19, -1
	s_wait_alu 0xf1ff
	v_cndmask_b32_e64 v23, 0, 1, s8
	v_not_b32_e32 v37, v20
	v_cmp_gt_i32_e64 s8, 0, v20
	v_not_b32_e32 v20, v21
	v_lshlrev_b32_e32 v35, 26, v17
	v_cmp_ne_u32_e32 vcc_lo, 0, v23
	v_ashrrev_i32_e32 v23, 31, v37
	v_lshlrev_b32_e32 v36, 25, v17
	v_ashrrev_i32_e32 v20, 31, v20
	v_and_b32_e32 v18, 0xff, v17
	s_wait_alu 0xfffd
	v_xor_b32_e32 v19, vcc_lo, v19
	v_cmp_gt_i32_e32 vcc_lo, 0, v21
	v_not_b32_e32 v21, v22
	s_wait_alu 0xf1ff
	v_xor_b32_e32 v23, s8, v23
	v_cmp_gt_i32_e64 s8, 0, v22
	v_and_b32_e32 v19, exec_lo, v19
	v_not_b32_e32 v22, v34
	v_ashrrev_i32_e32 v21, 31, v21
	s_wait_alu 0xfffd
	v_xor_b32_e32 v20, vcc_lo, v20
	v_cmp_gt_i32_e32 vcc_lo, 0, v34
	v_and_b32_e32 v19, v19, v23
	v_not_b32_e32 v23, v35
	v_ashrrev_i32_e32 v22, 31, v22
	s_wait_alu 0xf1ff
	v_xor_b32_e32 v21, s8, v21
	v_lshlrev_b32_e32 v17, 24, v17
	v_and_b32_e32 v19, v19, v20
	v_cmp_gt_i32_e64 s8, 0, v35
	v_not_b32_e32 v20, v36
	v_ashrrev_i32_e32 v23, 31, v23
	s_wait_alu 0xfffd
	v_xor_b32_e32 v22, vcc_lo, v22
	v_and_b32_e32 v19, v19, v21
	v_cmp_gt_i32_e32 vcc_lo, 0, v36
	v_not_b32_e32 v21, v17
	v_ashrrev_i32_e32 v20, 31, v20
	s_wait_alu 0xf1ff
	v_xor_b32_e32 v23, s8, v23
	v_and_b32_e32 v19, v19, v22
	v_lshlrev_b32_e32 v18, 4, v18
	v_cmp_gt_i32_e64 s8, 0, v17
	v_ashrrev_i32_e32 v17, 31, v21
	s_wait_alu 0xfffd
	v_xor_b32_e32 v20, vcc_lo, v20
	v_and_b32_e32 v19, v19, v23
	v_add_nc_u32_e32 v36, v16, v18
	s_wait_alu 0xf1ff
	v_xor_b32_e32 v17, s8, v17
	s_delay_alu instid0(VALU_DEP_3) | instskip(SKIP_2) | instid1(VALU_DEP_1)
	v_and_b32_e32 v18, v19, v20
	ds_load_b32 v34, v36 offset:16
	; wave barrier
	v_and_b32_e32 v17, v18, v17
	v_mbcnt_lo_u32_b32 v35, v17, 0
	v_cmp_ne_u32_e64 s8, 0, v17
	s_delay_alu instid0(VALU_DEP_2)
	v_cmp_eq_u32_e32 vcc_lo, 0, v35
	s_and_b32 s11, s8, vcc_lo
	s_wait_alu 0xfffe
	s_and_saveexec_b32 s8, s11
	s_cbranch_execz .LBB87_65
; %bb.64:
	s_wait_dscnt 0x0
	v_bcnt_u32_b32 v17, v17, v34
	ds_store_b32 v36, v17 offset:16
.LBB87_65:
	s_wait_alu 0xfffe
	s_or_b32 exec_lo, exec_lo, s8
	v_and_b32_e32 v17, s9, v26
	; wave barrier
	s_delay_alu instid0(VALU_DEP_1)
	v_and_b32_e32 v19, 1, v17
	v_lshlrev_b32_e32 v20, 30, v17
	v_lshlrev_b32_e32 v21, 29, v17
	v_lshlrev_b32_e32 v22, 28, v17
	v_lshlrev_b32_e32 v37, 27, v17
	v_add_co_u32 v19, s8, v19, -1
	s_wait_alu 0xf1ff
	v_cndmask_b32_e64 v23, 0, 1, s8
	v_not_b32_e32 v40, v20
	v_cmp_gt_i32_e64 s8, 0, v20
	v_not_b32_e32 v20, v21
	v_lshlrev_b32_e32 v38, 26, v17
	v_cmp_ne_u32_e32 vcc_lo, 0, v23
	v_ashrrev_i32_e32 v23, 31, v40
	v_lshlrev_b32_e32 v39, 25, v17
	v_ashrrev_i32_e32 v20, 31, v20
	v_and_b32_e32 v18, 0xff, v17
	s_wait_alu 0xfffd
	v_xor_b32_e32 v19, vcc_lo, v19
	v_cmp_gt_i32_e32 vcc_lo, 0, v21
	v_not_b32_e32 v21, v22
	s_wait_alu 0xf1ff
	v_xor_b32_e32 v23, s8, v23
	v_cmp_gt_i32_e64 s8, 0, v22
	v_and_b32_e32 v19, exec_lo, v19
	v_not_b32_e32 v22, v37
	v_ashrrev_i32_e32 v21, 31, v21
	s_wait_alu 0xfffd
	v_xor_b32_e32 v20, vcc_lo, v20
	v_cmp_gt_i32_e32 vcc_lo, 0, v37
	v_and_b32_e32 v19, v19, v23
	v_not_b32_e32 v23, v38
	v_ashrrev_i32_e32 v22, 31, v22
	s_wait_alu 0xf1ff
	v_xor_b32_e32 v21, s8, v21
	v_lshlrev_b32_e32 v17, 24, v17
	v_and_b32_e32 v19, v19, v20
	v_cmp_gt_i32_e64 s8, 0, v38
	v_not_b32_e32 v20, v39
	v_ashrrev_i32_e32 v23, 31, v23
	s_wait_alu 0xfffd
	v_xor_b32_e32 v22, vcc_lo, v22
	v_and_b32_e32 v19, v19, v21
	v_cmp_gt_i32_e32 vcc_lo, 0, v39
	v_not_b32_e32 v21, v17
	v_ashrrev_i32_e32 v20, 31, v20
	s_wait_alu 0xf1ff
	v_xor_b32_e32 v23, s8, v23
	v_and_b32_e32 v19, v19, v22
	v_lshlrev_b32_e32 v18, 4, v18
	v_cmp_gt_i32_e64 s8, 0, v17
	v_ashrrev_i32_e32 v17, 31, v21
	s_wait_alu 0xfffd
	v_xor_b32_e32 v20, vcc_lo, v20
	v_and_b32_e32 v19, v19, v23
	v_add_nc_u32_e32 v39, v16, v18
	s_wait_alu 0xf1ff
	v_xor_b32_e32 v17, s8, v17
	s_delay_alu instid0(VALU_DEP_3) | instskip(SKIP_2) | instid1(VALU_DEP_1)
	v_and_b32_e32 v18, v19, v20
	ds_load_b32 v37, v39 offset:16
	; wave barrier
	v_and_b32_e32 v17, v18, v17
	v_mbcnt_lo_u32_b32 v38, v17, 0
	v_cmp_ne_u32_e64 s8, 0, v17
	s_delay_alu instid0(VALU_DEP_2)
	v_cmp_eq_u32_e32 vcc_lo, 0, v38
	s_and_b32 s11, s8, vcc_lo
	s_wait_alu 0xfffe
	s_and_saveexec_b32 s8, s11
	s_cbranch_execz .LBB87_67
; %bb.66:
	s_wait_dscnt 0x0
	v_bcnt_u32_b32 v17, v17, v37
	ds_store_b32 v39, v17 offset:16
.LBB87_67:
	s_wait_alu 0xfffe
	s_or_b32 exec_lo, exec_lo, s8
	v_and_b32_e32 v17, s9, v27
	; wave barrier
	s_delay_alu instid0(VALU_DEP_1)
	v_and_b32_e32 v19, 1, v17
	v_lshlrev_b32_e32 v20, 30, v17
	v_lshlrev_b32_e32 v21, 29, v17
	;; [unrolled: 1-line block ×4, first 2 shown]
	v_add_co_u32 v19, s8, v19, -1
	s_wait_alu 0xf1ff
	v_cndmask_b32_e64 v23, 0, 1, s8
	v_not_b32_e32 v69, v20
	v_cmp_gt_i32_e64 s8, 0, v20
	v_not_b32_e32 v20, v21
	v_lshlrev_b32_e32 v45, 26, v17
	v_cmp_ne_u32_e32 vcc_lo, 0, v23
	v_ashrrev_i32_e32 v23, 31, v69
	v_lshlrev_b32_e32 v46, 25, v17
	v_ashrrev_i32_e32 v20, 31, v20
	v_and_b32_e32 v18, 0xff, v17
	s_wait_alu 0xfffd
	v_xor_b32_e32 v19, vcc_lo, v19
	v_cmp_gt_i32_e32 vcc_lo, 0, v21
	v_not_b32_e32 v21, v22
	s_wait_alu 0xf1ff
	v_xor_b32_e32 v23, s8, v23
	v_cmp_gt_i32_e64 s8, 0, v22
	v_and_b32_e32 v19, exec_lo, v19
	v_not_b32_e32 v22, v40
	v_ashrrev_i32_e32 v21, 31, v21
	s_wait_alu 0xfffd
	v_xor_b32_e32 v20, vcc_lo, v20
	v_cmp_gt_i32_e32 vcc_lo, 0, v40
	v_and_b32_e32 v19, v19, v23
	v_not_b32_e32 v23, v45
	v_ashrrev_i32_e32 v22, 31, v22
	s_wait_alu 0xf1ff
	v_xor_b32_e32 v21, s8, v21
	v_lshlrev_b32_e32 v17, 24, v17
	v_and_b32_e32 v19, v19, v20
	v_cmp_gt_i32_e64 s8, 0, v45
	v_not_b32_e32 v20, v46
	v_ashrrev_i32_e32 v23, 31, v23
	s_wait_alu 0xfffd
	v_xor_b32_e32 v22, vcc_lo, v22
	v_and_b32_e32 v19, v19, v21
	v_cmp_gt_i32_e32 vcc_lo, 0, v46
	v_not_b32_e32 v21, v17
	v_ashrrev_i32_e32 v20, 31, v20
	s_wait_alu 0xf1ff
	v_xor_b32_e32 v23, s8, v23
	v_and_b32_e32 v19, v19, v22
	v_lshlrev_b32_e32 v18, 4, v18
	v_cmp_gt_i32_e64 s8, 0, v17
	v_ashrrev_i32_e32 v17, 31, v21
	s_wait_alu 0xfffd
	v_xor_b32_e32 v20, vcc_lo, v20
	v_and_b32_e32 v19, v19, v23
	v_add_nc_u32_e32 v46, v16, v18
	s_wait_alu 0xf1ff
	v_xor_b32_e32 v17, s8, v17
	s_delay_alu instid0(VALU_DEP_3) | instskip(SKIP_2) | instid1(VALU_DEP_1)
	v_and_b32_e32 v18, v19, v20
	ds_load_b32 v40, v46 offset:16
	; wave barrier
	v_and_b32_e32 v17, v18, v17
	v_mbcnt_lo_u32_b32 v45, v17, 0
	v_cmp_ne_u32_e64 s8, 0, v17
	s_delay_alu instid0(VALU_DEP_2)
	v_cmp_eq_u32_e32 vcc_lo, 0, v45
	s_and_b32 s11, s8, vcc_lo
	s_wait_alu 0xfffe
	s_and_saveexec_b32 s8, s11
	s_cbranch_execz .LBB87_69
; %bb.68:
	s_wait_dscnt 0x0
	v_bcnt_u32_b32 v17, v17, v40
	ds_store_b32 v46, v17 offset:16
.LBB87_69:
	s_wait_alu 0xfffe
	s_or_b32 exec_lo, exec_lo, s8
	v_and_b32_e32 v17, s9, v28
	; wave barrier
	s_delay_alu instid0(VALU_DEP_1)
	v_and_b32_e32 v19, 1, v17
	v_lshlrev_b32_e32 v20, 30, v17
	v_lshlrev_b32_e32 v21, 29, v17
	v_lshlrev_b32_e32 v22, 28, v17
	v_lshlrev_b32_e32 v69, 27, v17
	v_add_co_u32 v19, s8, v19, -1
	s_wait_alu 0xf1ff
	v_cndmask_b32_e64 v23, 0, 1, s8
	v_not_b32_e32 v72, v20
	v_cmp_gt_i32_e64 s8, 0, v20
	v_not_b32_e32 v20, v21
	v_lshlrev_b32_e32 v70, 26, v17
	v_cmp_ne_u32_e32 vcc_lo, 0, v23
	v_ashrrev_i32_e32 v23, 31, v72
	v_lshlrev_b32_e32 v71, 25, v17
	v_ashrrev_i32_e32 v20, 31, v20
	v_and_b32_e32 v18, 0xff, v17
	s_wait_alu 0xfffd
	v_xor_b32_e32 v19, vcc_lo, v19
	v_cmp_gt_i32_e32 vcc_lo, 0, v21
	v_not_b32_e32 v21, v22
	s_wait_alu 0xf1ff
	v_xor_b32_e32 v23, s8, v23
	v_cmp_gt_i32_e64 s8, 0, v22
	v_and_b32_e32 v19, exec_lo, v19
	v_not_b32_e32 v22, v69
	v_ashrrev_i32_e32 v21, 31, v21
	s_wait_alu 0xfffd
	v_xor_b32_e32 v20, vcc_lo, v20
	v_cmp_gt_i32_e32 vcc_lo, 0, v69
	v_and_b32_e32 v19, v19, v23
	v_not_b32_e32 v23, v70
	v_ashrrev_i32_e32 v22, 31, v22
	s_wait_alu 0xf1ff
	v_xor_b32_e32 v21, s8, v21
	v_lshlrev_b32_e32 v17, 24, v17
	v_and_b32_e32 v19, v19, v20
	v_cmp_gt_i32_e64 s8, 0, v70
	v_not_b32_e32 v20, v71
	v_ashrrev_i32_e32 v23, 31, v23
	s_wait_alu 0xfffd
	v_xor_b32_e32 v22, vcc_lo, v22
	v_and_b32_e32 v19, v19, v21
	v_cmp_gt_i32_e32 vcc_lo, 0, v71
	v_not_b32_e32 v21, v17
	v_ashrrev_i32_e32 v20, 31, v20
	s_wait_alu 0xf1ff
	v_xor_b32_e32 v23, s8, v23
	v_and_b32_e32 v19, v19, v22
	v_lshlrev_b32_e32 v18, 4, v18
	v_cmp_gt_i32_e64 s8, 0, v17
	v_ashrrev_i32_e32 v17, 31, v21
	s_wait_alu 0xfffd
	v_xor_b32_e32 v20, vcc_lo, v20
	v_and_b32_e32 v19, v19, v23
	v_add_nc_u32_e32 v71, v16, v18
	s_wait_alu 0xf1ff
	v_xor_b32_e32 v17, s8, v17
	s_delay_alu instid0(VALU_DEP_3) | instskip(SKIP_2) | instid1(VALU_DEP_1)
	v_and_b32_e32 v18, v19, v20
	ds_load_b32 v69, v71 offset:16
	; wave barrier
	v_and_b32_e32 v17, v18, v17
	v_mbcnt_lo_u32_b32 v70, v17, 0
	v_cmp_ne_u32_e64 s8, 0, v17
	s_delay_alu instid0(VALU_DEP_2)
	v_cmp_eq_u32_e32 vcc_lo, 0, v70
	s_and_b32 s11, s8, vcc_lo
	s_wait_alu 0xfffe
	s_and_saveexec_b32 s8, s11
	s_cbranch_execz .LBB87_71
; %bb.70:
	s_wait_dscnt 0x0
	v_bcnt_u32_b32 v17, v17, v69
	ds_store_b32 v71, v17 offset:16
.LBB87_71:
	s_wait_alu 0xfffe
	s_or_b32 exec_lo, exec_lo, s8
	v_and_b32_e32 v17, s9, v29
	; wave barrier
	s_delay_alu instid0(VALU_DEP_1)
	v_and_b32_e32 v19, 1, v17
	v_lshlrev_b32_e32 v20, 30, v17
	v_lshlrev_b32_e32 v21, 29, v17
	;; [unrolled: 1-line block ×4, first 2 shown]
	v_add_co_u32 v19, s8, v19, -1
	s_wait_alu 0xf1ff
	v_cndmask_b32_e64 v23, 0, 1, s8
	v_not_b32_e32 v75, v20
	v_cmp_gt_i32_e64 s8, 0, v20
	v_not_b32_e32 v20, v21
	v_lshlrev_b32_e32 v73, 26, v17
	v_cmp_ne_u32_e32 vcc_lo, 0, v23
	v_ashrrev_i32_e32 v23, 31, v75
	v_lshlrev_b32_e32 v74, 25, v17
	v_ashrrev_i32_e32 v20, 31, v20
	v_and_b32_e32 v18, 0xff, v17
	s_wait_alu 0xfffd
	v_xor_b32_e32 v19, vcc_lo, v19
	v_cmp_gt_i32_e32 vcc_lo, 0, v21
	v_not_b32_e32 v21, v22
	s_wait_alu 0xf1ff
	v_xor_b32_e32 v23, s8, v23
	v_cmp_gt_i32_e64 s8, 0, v22
	v_and_b32_e32 v19, exec_lo, v19
	v_not_b32_e32 v22, v72
	v_ashrrev_i32_e32 v21, 31, v21
	s_wait_alu 0xfffd
	v_xor_b32_e32 v20, vcc_lo, v20
	v_cmp_gt_i32_e32 vcc_lo, 0, v72
	v_and_b32_e32 v19, v19, v23
	v_not_b32_e32 v23, v73
	v_ashrrev_i32_e32 v22, 31, v22
	s_wait_alu 0xf1ff
	v_xor_b32_e32 v21, s8, v21
	v_lshlrev_b32_e32 v17, 24, v17
	v_and_b32_e32 v19, v19, v20
	v_cmp_gt_i32_e64 s8, 0, v73
	v_not_b32_e32 v20, v74
	v_ashrrev_i32_e32 v23, 31, v23
	s_wait_alu 0xfffd
	v_xor_b32_e32 v22, vcc_lo, v22
	v_and_b32_e32 v19, v19, v21
	v_cmp_gt_i32_e32 vcc_lo, 0, v74
	v_not_b32_e32 v21, v17
	v_ashrrev_i32_e32 v20, 31, v20
	s_wait_alu 0xf1ff
	v_xor_b32_e32 v23, s8, v23
	v_and_b32_e32 v19, v19, v22
	v_lshlrev_b32_e32 v18, 4, v18
	v_cmp_gt_i32_e64 s8, 0, v17
	v_ashrrev_i32_e32 v17, 31, v21
	s_wait_alu 0xfffd
	v_xor_b32_e32 v20, vcc_lo, v20
	v_and_b32_e32 v19, v19, v23
	v_add_nc_u32_e32 v74, v16, v18
	s_wait_alu 0xf1ff
	v_xor_b32_e32 v17, s8, v17
	s_delay_alu instid0(VALU_DEP_3) | instskip(SKIP_2) | instid1(VALU_DEP_1)
	v_and_b32_e32 v18, v19, v20
	ds_load_b32 v72, v74 offset:16
	; wave barrier
	v_and_b32_e32 v17, v18, v17
	v_mbcnt_lo_u32_b32 v73, v17, 0
	v_cmp_ne_u32_e64 s8, 0, v17
	s_delay_alu instid0(VALU_DEP_2)
	v_cmp_eq_u32_e32 vcc_lo, 0, v73
	s_and_b32 s11, s8, vcc_lo
	s_wait_alu 0xfffe
	s_and_saveexec_b32 s8, s11
	s_cbranch_execz .LBB87_73
; %bb.72:
	s_wait_dscnt 0x0
	v_bcnt_u32_b32 v17, v17, v72
	ds_store_b32 v74, v17 offset:16
.LBB87_73:
	s_wait_alu 0xfffe
	s_or_b32 exec_lo, exec_lo, s8
	v_and_b32_e32 v17, s9, v30
	; wave barrier
	s_delay_alu instid0(VALU_DEP_1)
	v_and_b32_e32 v19, 1, v17
	v_lshlrev_b32_e32 v20, 30, v17
	v_lshlrev_b32_e32 v21, 29, v17
	;; [unrolled: 1-line block ×4, first 2 shown]
	v_add_co_u32 v19, s8, v19, -1
	s_wait_alu 0xf1ff
	v_cndmask_b32_e64 v23, 0, 1, s8
	v_not_b32_e32 v78, v20
	v_cmp_gt_i32_e64 s8, 0, v20
	v_not_b32_e32 v20, v21
	v_lshlrev_b32_e32 v76, 26, v17
	v_cmp_ne_u32_e32 vcc_lo, 0, v23
	v_ashrrev_i32_e32 v23, 31, v78
	v_lshlrev_b32_e32 v77, 25, v17
	v_ashrrev_i32_e32 v20, 31, v20
	v_and_b32_e32 v18, 0xff, v17
	s_wait_alu 0xfffd
	v_xor_b32_e32 v19, vcc_lo, v19
	v_cmp_gt_i32_e32 vcc_lo, 0, v21
	v_not_b32_e32 v21, v22
	s_wait_alu 0xf1ff
	v_xor_b32_e32 v23, s8, v23
	v_cmp_gt_i32_e64 s8, 0, v22
	v_and_b32_e32 v19, exec_lo, v19
	v_not_b32_e32 v22, v75
	v_ashrrev_i32_e32 v21, 31, v21
	s_wait_alu 0xfffd
	v_xor_b32_e32 v20, vcc_lo, v20
	v_cmp_gt_i32_e32 vcc_lo, 0, v75
	v_and_b32_e32 v19, v19, v23
	v_not_b32_e32 v23, v76
	v_ashrrev_i32_e32 v22, 31, v22
	s_wait_alu 0xf1ff
	v_xor_b32_e32 v21, s8, v21
	v_lshlrev_b32_e32 v17, 24, v17
	v_and_b32_e32 v19, v19, v20
	v_cmp_gt_i32_e64 s8, 0, v76
	v_not_b32_e32 v20, v77
	v_ashrrev_i32_e32 v23, 31, v23
	s_wait_alu 0xfffd
	v_xor_b32_e32 v22, vcc_lo, v22
	v_and_b32_e32 v19, v19, v21
	v_cmp_gt_i32_e32 vcc_lo, 0, v77
	v_not_b32_e32 v21, v17
	v_ashrrev_i32_e32 v20, 31, v20
	s_wait_alu 0xf1ff
	v_xor_b32_e32 v23, s8, v23
	v_and_b32_e32 v19, v19, v22
	v_lshlrev_b32_e32 v18, 4, v18
	v_cmp_gt_i32_e64 s8, 0, v17
	v_ashrrev_i32_e32 v17, 31, v21
	s_wait_alu 0xfffd
	v_xor_b32_e32 v20, vcc_lo, v20
	v_and_b32_e32 v19, v19, v23
	v_add_nc_u32_e32 v77, v16, v18
	s_wait_alu 0xf1ff
	v_xor_b32_e32 v17, s8, v17
	s_delay_alu instid0(VALU_DEP_3) | instskip(SKIP_2) | instid1(VALU_DEP_1)
	v_and_b32_e32 v18, v19, v20
	ds_load_b32 v75, v77 offset:16
	; wave barrier
	v_and_b32_e32 v17, v18, v17
	v_mbcnt_lo_u32_b32 v76, v17, 0
	v_cmp_ne_u32_e64 s8, 0, v17
	s_delay_alu instid0(VALU_DEP_2)
	v_cmp_eq_u32_e32 vcc_lo, 0, v76
	s_and_b32 s11, s8, vcc_lo
	s_wait_alu 0xfffe
	s_and_saveexec_b32 s8, s11
	s_cbranch_execz .LBB87_75
; %bb.74:
	s_wait_dscnt 0x0
	v_bcnt_u32_b32 v17, v17, v75
	ds_store_b32 v77, v17 offset:16
.LBB87_75:
	s_wait_alu 0xfffe
	s_or_b32 exec_lo, exec_lo, s8
	v_and_b32_e32 v17, s9, v31
	; wave barrier
	s_delay_alu instid0(VALU_DEP_1)
	v_and_b32_e32 v19, 1, v17
	v_lshlrev_b32_e32 v20, 30, v17
	v_lshlrev_b32_e32 v21, 29, v17
	;; [unrolled: 1-line block ×4, first 2 shown]
	v_add_co_u32 v19, s8, v19, -1
	s_wait_alu 0xf1ff
	v_cndmask_b32_e64 v23, 0, 1, s8
	v_not_b32_e32 v81, v20
	v_cmp_gt_i32_e64 s8, 0, v20
	v_not_b32_e32 v20, v21
	v_lshlrev_b32_e32 v79, 26, v17
	v_cmp_ne_u32_e32 vcc_lo, 0, v23
	v_ashrrev_i32_e32 v23, 31, v81
	v_lshlrev_b32_e32 v80, 25, v17
	v_ashrrev_i32_e32 v20, 31, v20
	v_and_b32_e32 v18, 0xff, v17
	s_wait_alu 0xfffd
	v_xor_b32_e32 v19, vcc_lo, v19
	v_cmp_gt_i32_e32 vcc_lo, 0, v21
	v_not_b32_e32 v21, v22
	s_wait_alu 0xf1ff
	v_xor_b32_e32 v23, s8, v23
	v_cmp_gt_i32_e64 s8, 0, v22
	v_and_b32_e32 v19, exec_lo, v19
	v_not_b32_e32 v22, v78
	v_ashrrev_i32_e32 v21, 31, v21
	s_wait_alu 0xfffd
	v_xor_b32_e32 v20, vcc_lo, v20
	v_cmp_gt_i32_e32 vcc_lo, 0, v78
	v_and_b32_e32 v19, v19, v23
	v_not_b32_e32 v23, v79
	v_ashrrev_i32_e32 v22, 31, v22
	s_wait_alu 0xf1ff
	v_xor_b32_e32 v21, s8, v21
	v_lshlrev_b32_e32 v17, 24, v17
	v_and_b32_e32 v19, v19, v20
	v_cmp_gt_i32_e64 s8, 0, v79
	v_not_b32_e32 v20, v80
	v_ashrrev_i32_e32 v23, 31, v23
	s_wait_alu 0xfffd
	v_xor_b32_e32 v22, vcc_lo, v22
	v_and_b32_e32 v19, v19, v21
	v_cmp_gt_i32_e32 vcc_lo, 0, v80
	v_not_b32_e32 v21, v17
	v_ashrrev_i32_e32 v20, 31, v20
	s_wait_alu 0xf1ff
	v_xor_b32_e32 v23, s8, v23
	v_and_b32_e32 v19, v19, v22
	v_lshlrev_b32_e32 v18, 4, v18
	v_cmp_gt_i32_e64 s8, 0, v17
	v_ashrrev_i32_e32 v17, 31, v21
	s_wait_alu 0xfffd
	v_xor_b32_e32 v20, vcc_lo, v20
	v_and_b32_e32 v19, v19, v23
	v_add_nc_u32_e32 v80, v16, v18
	s_wait_alu 0xf1ff
	v_xor_b32_e32 v16, s8, v17
	s_delay_alu instid0(VALU_DEP_3) | instskip(SKIP_2) | instid1(VALU_DEP_1)
	v_and_b32_e32 v17, v19, v20
	ds_load_b32 v78, v80 offset:16
	; wave barrier
	v_and_b32_e32 v16, v17, v16
	v_mbcnt_lo_u32_b32 v79, v16, 0
	v_cmp_ne_u32_e64 s8, 0, v16
	s_delay_alu instid0(VALU_DEP_2)
	v_cmp_eq_u32_e32 vcc_lo, 0, v79
	s_and_b32 s9, s8, vcc_lo
	s_wait_alu 0xfffe
	s_and_saveexec_b32 s8, s9
	s_cbranch_execz .LBB87_77
; %bb.76:
	s_wait_dscnt 0x0
	v_bcnt_u32_b32 v16, v16, v78
	ds_store_b32 v80, v16 offset:16
.LBB87_77:
	s_wait_alu 0xfffe
	s_or_b32 exec_lo, exec_lo, s8
	; wave barrier
	s_wait_loadcnt_dscnt 0x0
	s_barrier_signal -1
	s_barrier_wait -1
	global_inv scope:SCOPE_SE
	ds_load_b128 v[20:23], v66 offset:16
	ds_load_b128 v[16:19], v66 offset:32
	v_min_u32_e32 v68, 0x60, v68
	s_mov_b32 s8, exec_lo
	s_delay_alu instid0(VALU_DEP_1) | instskip(SKIP_2) | instid1(VALU_DEP_1)
	v_or_b32_e32 v68, 31, v68
	s_wait_dscnt 0x1
	v_add_nc_u32_e32 v81, v21, v20
	v_add3_u32 v81, v81, v22, v23
	s_wait_dscnt 0x0
	s_delay_alu instid0(VALU_DEP_1) | instskip(NEXT) | instid1(VALU_DEP_1)
	v_add3_u32 v81, v81, v16, v17
	v_add3_u32 v19, v81, v18, v19
	v_and_b32_e32 v81, 15, v67
	s_delay_alu instid0(VALU_DEP_2) | instskip(NEXT) | instid1(VALU_DEP_2)
	v_mov_b32_dpp v82, v19 row_shr:1 row_mask:0xf bank_mask:0xf
	v_cmp_ne_u32_e32 vcc_lo, 0, v81
	s_wait_alu 0xfffd
	s_delay_alu instid0(VALU_DEP_2) | instskip(SKIP_1) | instid1(VALU_DEP_2)
	v_cndmask_b32_e32 v82, 0, v82, vcc_lo
	v_cmp_lt_u32_e32 vcc_lo, 1, v81
	v_add_nc_u32_e32 v19, v82, v19
	s_delay_alu instid0(VALU_DEP_1) | instskip(SKIP_1) | instid1(VALU_DEP_1)
	v_mov_b32_dpp v82, v19 row_shr:2 row_mask:0xf bank_mask:0xf
	s_wait_alu 0xfffd
	v_cndmask_b32_e32 v82, 0, v82, vcc_lo
	v_cmp_lt_u32_e32 vcc_lo, 3, v81
	s_delay_alu instid0(VALU_DEP_2) | instskip(NEXT) | instid1(VALU_DEP_1)
	v_add_nc_u32_e32 v19, v19, v82
	v_mov_b32_dpp v82, v19 row_shr:4 row_mask:0xf bank_mask:0xf
	s_wait_alu 0xfffd
	s_delay_alu instid0(VALU_DEP_1) | instskip(SKIP_1) | instid1(VALU_DEP_2)
	v_cndmask_b32_e32 v82, 0, v82, vcc_lo
	v_cmp_lt_u32_e32 vcc_lo, 7, v81
	v_add_nc_u32_e32 v19, v19, v82
	s_delay_alu instid0(VALU_DEP_1) | instskip(SKIP_1) | instid1(VALU_DEP_1)
	v_mov_b32_dpp v82, v19 row_shr:8 row_mask:0xf bank_mask:0xf
	s_wait_alu 0xfffd
	v_cndmask_b32_e32 v81, 0, v82, vcc_lo
	v_bfe_i32 v82, v67, 4, 1
	s_delay_alu instid0(VALU_DEP_2) | instskip(SKIP_3) | instid1(VALU_DEP_1)
	v_add_nc_u32_e32 v19, v19, v81
	ds_swizzle_b32 v81, v19 offset:swizzle(BROADCAST,32,15)
	s_wait_dscnt 0x0
	v_and_b32_e32 v81, v82, v81
	v_add_nc_u32_e32 v19, v19, v81
	v_cmpx_eq_u32_e64 v44, v68
; %bb.78:
	v_lshlrev_b32_e32 v68, 2, v62
	ds_store_b32 v68, v19
; %bb.79:
	s_wait_alu 0xfffe
	s_or_b32 exec_lo, exec_lo, s8
	s_delay_alu instid0(SALU_CYCLE_1)
	s_mov_b32 s8, exec_lo
	s_wait_loadcnt_dscnt 0x0
	s_barrier_signal -1
	s_barrier_wait -1
	global_inv scope:SCOPE_SE
	v_cmpx_gt_u32_e32 4, v44
	s_cbranch_execz .LBB87_81
; %bb.80:
	v_and_b32_e32 v82, 3, v67
	s_delay_alu instid0(VALU_DEP_1)
	v_cmp_ne_u32_e32 vcc_lo, 0, v82
	v_lshlrev_b32_e32 v68, 2, v44
	ds_load_b32 v81, v68
	s_wait_dscnt 0x0
	v_mov_b32_dpp v83, v81 row_shr:1 row_mask:0xf bank_mask:0xf
	s_wait_alu 0xfffd
	s_delay_alu instid0(VALU_DEP_1) | instskip(SKIP_1) | instid1(VALU_DEP_2)
	v_cndmask_b32_e32 v83, 0, v83, vcc_lo
	v_cmp_lt_u32_e32 vcc_lo, 1, v82
	v_add_nc_u32_e32 v81, v83, v81
	s_delay_alu instid0(VALU_DEP_1) | instskip(SKIP_1) | instid1(VALU_DEP_1)
	v_mov_b32_dpp v83, v81 row_shr:2 row_mask:0xf bank_mask:0xf
	s_wait_alu 0xfffd
	v_cndmask_b32_e32 v82, 0, v83, vcc_lo
	s_delay_alu instid0(VALU_DEP_1)
	v_add_nc_u32_e32 v81, v81, v82
	ds_store_b32 v68, v81
.LBB87_81:
	s_wait_alu 0xfffe
	s_or_b32 exec_lo, exec_lo, s8
	v_mov_b32_e32 v68, 0
	s_mov_b32 s8, exec_lo
	s_wait_loadcnt_dscnt 0x0
	s_barrier_signal -1
	s_barrier_wait -1
	global_inv scope:SCOPE_SE
	v_cmpx_lt_u32_e32 31, v44
; %bb.82:
	v_lshl_add_u32 v62, v62, 2, -4
	ds_load_b32 v68, v62
; %bb.83:
	s_wait_alu 0xfffe
	s_or_b32 exec_lo, exec_lo, s8
	v_sub_co_u32 v62, vcc_lo, v67, 1
	s_wait_dscnt 0x0
	v_add_nc_u32_e32 v19, v68, v19
	s_delay_alu instid0(VALU_DEP_2) | instskip(SKIP_1) | instid1(VALU_DEP_1)
	v_cmp_gt_i32_e64 s8, 0, v62
	s_wait_alu 0xf1ff
	v_cndmask_b32_e64 v62, v62, v67, s8
	s_delay_alu instid0(VALU_DEP_1)
	v_lshlrev_b32_e32 v62, 2, v62
	ds_bpermute_b32 v19, v62, v19
	s_wait_dscnt 0x0
	s_wait_alu 0xfffd
	v_cndmask_b32_e32 v19, v19, v68, vcc_lo
	v_cmp_ne_u32_e32 vcc_lo, 0, v44
	s_wait_alu 0xfffd
	s_delay_alu instid0(VALU_DEP_2) | instskip(NEXT) | instid1(VALU_DEP_1)
	v_cndmask_b32_e32 v19, 0, v19, vcc_lo
	v_add_nc_u32_e32 v20, v19, v20
	s_delay_alu instid0(VALU_DEP_1) | instskip(NEXT) | instid1(VALU_DEP_1)
	v_add_nc_u32_e32 v21, v20, v21
	v_add_nc_u32_e32 v22, v21, v22
	s_delay_alu instid0(VALU_DEP_1) | instskip(NEXT) | instid1(VALU_DEP_1)
	v_add_nc_u32_e32 v81, v22, v23
	;; [unrolled: 3-line block ×3, first 2 shown]
	v_add_nc_u32_e32 v84, v83, v18
	ds_store_b128 v66, v[19:22] offset:16
	ds_store_b128 v66, v[81:84] offset:32
	s_wait_loadcnt_dscnt 0x0
	s_barrier_signal -1
	s_barrier_wait -1
	global_inv scope:SCOPE_SE
	ds_load_b32 v16, v33 offset:16
	ds_load_b32 v17, v36 offset:16
	;; [unrolled: 1-line block ×8, first 2 shown]
	v_mad_u32_u24 v36, v44, 56, v57
	s_wait_loadcnt_dscnt 0x0
	s_barrier_signal -1
	s_barrier_wait -1
	global_inv scope:SCOPE_SE
	v_add_nc_u32_e32 v16, v16, v32
	v_add3_u32 v17, v35, v34, v17
	v_add3_u32 v18, v38, v37, v18
	;; [unrolled: 1-line block ×7, first 2 shown]
	ds_store_b8 v16, v24
	ds_store_b8 v17, v25
	;; [unrolled: 1-line block ×8, first 2 shown]
	v_lshlrev_b32_e32 v16, 3, v16
	v_lshlrev_b32_e32 v17, 3, v17
	;; [unrolled: 1-line block ×8, first 2 shown]
	s_wait_loadcnt_dscnt 0x0
	s_barrier_signal -1
	s_barrier_wait -1
	global_inv scope:SCOPE_SE
	ds_load_b64 v[33:34], v57
	s_wait_loadcnt_dscnt 0x0
	s_barrier_signal -1
	s_barrier_wait -1
	global_inv scope:SCOPE_SE
	ds_store_b64 v16, v[0:1]
	ds_store_b64 v17, v[2:3]
	;; [unrolled: 1-line block ×8, first 2 shown]
	s_wait_loadcnt_dscnt 0x0
	s_barrier_signal -1
	s_barrier_wait -1
	global_inv scope:SCOPE_SE
	ds_load_b128 v[29:32], v36
	ds_load_b128 v[25:28], v36 offset:16
	ds_load_b128 v[21:24], v36 offset:32
	ds_load_b128 v[17:20], v36 offset:48
	v_not_b32_e32 v33, v33
	v_not_b32_e32 v34, v34
.LBB87_84:
	s_wait_loadcnt_dscnt 0x0
	s_barrier_signal -1
	s_barrier_wait -1
	global_inv scope:SCOPE_SE
	ds_store_2addr_b32 v56, v33, v34 offset1:1
	s_wait_loadcnt_dscnt 0x0
	s_barrier_signal -1
	s_barrier_wait -1
	global_inv scope:SCOPE_SE
	ds_load_u8 v8, v49 offset:128
	ds_load_u8 v7, v50 offset:256
	;; [unrolled: 1-line block ×7, first 2 shown]
	v_add_co_u32 v0, s8, s14, v47
	s_wait_alu 0xf1ff
	v_add_co_ci_u32_e64 v1, null, s15, 0, s8
	s_and_saveexec_b32 s8, s0
	s_cbranch_execnz .LBB87_103
; %bb.85:
	s_wait_alu 0xfffe
	s_or_b32 exec_lo, exec_lo, s8
	s_and_saveexec_b32 s8, s1
	s_cbranch_execnz .LBB87_104
.LBB87_86:
	s_wait_alu 0xfffe
	s_or_b32 exec_lo, exec_lo, s8
	s_and_saveexec_b32 s8, s2
	s_cbranch_execnz .LBB87_105
.LBB87_87:
	s_wait_alu 0xfffe
	s_or_b32 exec_lo, exec_lo, s8
	s_and_saveexec_b32 s8, s3
	s_cbranch_execnz .LBB87_106
.LBB87_88:
	s_wait_alu 0xfffe
	s_or_b32 exec_lo, exec_lo, s8
	s_and_saveexec_b32 s8, s4
	s_cbranch_execnz .LBB87_107
.LBB87_89:
	s_wait_alu 0xfffe
	s_or_b32 exec_lo, exec_lo, s8
	s_and_saveexec_b32 s8, s5
	s_cbranch_execnz .LBB87_108
.LBB87_90:
	s_wait_alu 0xfffe
	s_or_b32 exec_lo, exec_lo, s8
	s_and_saveexec_b32 s8, s6
	s_cbranch_execnz .LBB87_109
.LBB87_91:
	s_wait_alu 0xfffe
	s_or_b32 exec_lo, exec_lo, s8
	s_and_saveexec_b32 s8, s7
	s_cbranch_execz .LBB87_93
.LBB87_92:
	s_mul_i32 s9, s10, 0x380
	s_wait_alu 0xfffe
	v_add_co_u32 v0, vcc_lo, v0, s9
	s_wait_alu 0xfffd
	v_add_co_ci_u32_e64 v1, null, 0, v1, vcc_lo
	s_wait_dscnt 0x0
	global_store_b8 v[0:1], v2, off
.LBB87_93:
	s_wait_alu 0xfffe
	s_or_b32 exec_lo, exec_lo, s8
	s_wait_storecnt 0x0
	s_wait_loadcnt_dscnt 0x0
	s_barrier_signal -1
	s_barrier_wait -1
	global_inv scope:SCOPE_SE
	ds_store_2addr_b64 v65, v[29:30], v[31:32] offset1:1
	ds_store_2addr_b64 v65, v[25:26], v[27:28] offset0:2 offset1:3
	ds_store_2addr_b64 v65, v[21:22], v[23:24] offset0:4 offset1:5
	;; [unrolled: 1-line block ×3, first 2 shown]
	s_wait_loadcnt_dscnt 0x0
	s_barrier_signal -1
	s_barrier_wait -1
	global_inv scope:SCOPE_SE
	ds_load_b64 v[14:15], v59 offset:1024
	ds_load_b64 v[12:13], v60 offset:2048
	;; [unrolled: 1-line block ×7, first 2 shown]
	v_mov_b32_e32 v42, 0
	s_delay_alu instid0(VALU_DEP_1) | instskip(NEXT) | instid1(VALU_DEP_1)
	v_lshlrev_b64_e32 v[2:3], 3, v[41:42]
	v_add_co_u32 v2, vcc_lo, s16, v2
	s_wait_alu 0xfffd
	s_delay_alu instid0(VALU_DEP_2)
	v_add_co_ci_u32_e64 v3, null, s17, v3, vcc_lo
	s_and_saveexec_b32 s8, s0
	s_cbranch_execnz .LBB87_110
; %bb.94:
	s_wait_alu 0xfffe
	s_or_b32 exec_lo, exec_lo, s8
	s_and_saveexec_b32 s0, s1
	s_cbranch_execnz .LBB87_111
.LBB87_95:
	s_or_b32 exec_lo, exec_lo, s0
	s_and_saveexec_b32 s0, s2
	s_cbranch_execnz .LBB87_112
.LBB87_96:
	s_or_b32 exec_lo, exec_lo, s0
	s_and_saveexec_b32 s0, s3
	s_cbranch_execnz .LBB87_113
.LBB87_97:
	s_or_b32 exec_lo, exec_lo, s0
	s_and_saveexec_b32 s0, s4
	s_cbranch_execnz .LBB87_114
.LBB87_98:
	s_or_b32 exec_lo, exec_lo, s0
	s_and_saveexec_b32 s0, s5
	s_cbranch_execnz .LBB87_115
.LBB87_99:
	s_or_b32 exec_lo, exec_lo, s0
	s_and_saveexec_b32 s0, s6
	s_cbranch_execnz .LBB87_116
.LBB87_100:
	s_or_b32 exec_lo, exec_lo, s0
	s_and_saveexec_b32 s0, s7
	s_cbranch_execz .LBB87_102
.LBB87_101:
	s_mul_i32 s0, s12, 0x380
	s_mov_b32 s1, 0
	s_delay_alu instid0(SALU_CYCLE_1) | instskip(NEXT) | instid1(SALU_CYCLE_1)
	s_lshl_b64 s[0:1], s[0:1], 3
	v_add_co_u32 v2, vcc_lo, v2, s0
	s_wait_alu 0xfffd
	v_add_co_ci_u32_e64 v3, null, s1, v3, vcc_lo
	s_wait_dscnt 0x0
	global_store_b64 v[2:3], v[0:1], off
.LBB87_102:
	s_nop 0
	s_sendmsg sendmsg(MSG_DEALLOC_VGPRS)
	s_endpgm
.LBB87_103:
	ds_load_u8 v9, v48
	s_wait_dscnt 0x0
	global_store_b8 v[0:1], v9, off
	s_wait_alu 0xfffe
	s_or_b32 exec_lo, exec_lo, s8
	s_and_saveexec_b32 s8, s1
	s_cbranch_execz .LBB87_86
.LBB87_104:
	s_lshl_b32 s9, s10, 7
	s_wait_alu 0xfffe
	v_add_co_u32 v9, vcc_lo, v0, s9
	s_wait_alu 0xfffd
	v_add_co_ci_u32_e64 v10, null, 0, v1, vcc_lo
	s_wait_dscnt 0x6
	global_store_b8 v[9:10], v8, off
	s_or_b32 exec_lo, exec_lo, s8
	s_and_saveexec_b32 s8, s2
	s_cbranch_execz .LBB87_87
.LBB87_105:
	s_lshl_b32 s9, s10, 8
	s_wait_dscnt 0x6
	s_wait_alu 0xfffe
	v_add_co_u32 v8, vcc_lo, v0, s9
	s_wait_alu 0xfffd
	v_add_co_ci_u32_e64 v9, null, 0, v1, vcc_lo
	s_wait_dscnt 0x5
	global_store_b8 v[8:9], v7, off
	s_or_b32 exec_lo, exec_lo, s8
	s_and_saveexec_b32 s8, s3
	s_cbranch_execz .LBB87_88
.LBB87_106:
	s_mul_i32 s9, s10, 0x180
	s_wait_dscnt 0x5
	s_wait_alu 0xfffe
	v_add_co_u32 v7, vcc_lo, v0, s9
	s_wait_alu 0xfffd
	v_add_co_ci_u32_e64 v8, null, 0, v1, vcc_lo
	s_wait_dscnt 0x4
	global_store_b8 v[7:8], v6, off
	s_or_b32 exec_lo, exec_lo, s8
	s_and_saveexec_b32 s8, s4
	s_cbranch_execz .LBB87_89
.LBB87_107:
	s_lshl_b32 s9, s10, 9
	s_wait_dscnt 0x4
	s_wait_alu 0xfffe
	v_add_co_u32 v6, vcc_lo, v0, s9
	s_wait_alu 0xfffd
	v_add_co_ci_u32_e64 v7, null, 0, v1, vcc_lo
	s_wait_dscnt 0x3
	global_store_b8 v[6:7], v5, off
	s_or_b32 exec_lo, exec_lo, s8
	s_and_saveexec_b32 s8, s5
	s_cbranch_execz .LBB87_90
.LBB87_108:
	s_mul_i32 s9, s10, 0x280
	s_wait_dscnt 0x3
	s_wait_alu 0xfffe
	v_add_co_u32 v5, vcc_lo, v0, s9
	s_wait_alu 0xfffd
	v_add_co_ci_u32_e64 v6, null, 0, v1, vcc_lo
	s_wait_dscnt 0x2
	global_store_b8 v[5:6], v4, off
	s_or_b32 exec_lo, exec_lo, s8
	s_and_saveexec_b32 s8, s6
	s_cbranch_execz .LBB87_91
.LBB87_109:
	s_mul_i32 s9, s10, 0x300
	s_wait_dscnt 0x2
	s_wait_alu 0xfffe
	v_add_co_u32 v4, vcc_lo, v0, s9
	s_wait_alu 0xfffd
	v_add_co_ci_u32_e64 v5, null, 0, v1, vcc_lo
	s_wait_dscnt 0x1
	global_store_b8 v[4:5], v3, off
	s_or_b32 exec_lo, exec_lo, s8
	s_and_saveexec_b32 s8, s7
	s_cbranch_execnz .LBB87_92
	s_branch .LBB87_93
.LBB87_110:
	ds_load_b64 v[16:17], v58
	s_wait_dscnt 0x0
	global_store_b64 v[2:3], v[16:17], off
	s_wait_alu 0xfffe
	s_or_b32 exec_lo, exec_lo, s8
	s_and_saveexec_b32 s0, s1
	s_cbranch_execz .LBB87_95
.LBB87_111:
	s_lshl_b32 s8, s12, 7
	s_mov_b32 s9, 0
	s_wait_alu 0xfffe
	s_lshl_b64 s[8:9], s[8:9], 3
	s_wait_alu 0xfffe
	v_add_co_u32 v16, vcc_lo, v2, s8
	s_wait_alu 0xfffd
	v_add_co_ci_u32_e64 v17, null, s9, v3, vcc_lo
	s_wait_dscnt 0x6
	global_store_b64 v[16:17], v[14:15], off
	s_or_b32 exec_lo, exec_lo, s0
	s_and_saveexec_b32 s0, s2
	s_cbranch_execz .LBB87_96
.LBB87_112:
	s_lshl_b32 s8, s12, 8
	s_mov_b32 s9, 0
	s_wait_alu 0xfffe
	s_lshl_b64 s[8:9], s[8:9], 3
	s_wait_dscnt 0x6
	s_wait_alu 0xfffe
	v_add_co_u32 v14, vcc_lo, v2, s8
	s_wait_alu 0xfffd
	v_add_co_ci_u32_e64 v15, null, s9, v3, vcc_lo
	s_wait_dscnt 0x5
	global_store_b64 v[14:15], v[12:13], off
	s_or_b32 exec_lo, exec_lo, s0
	s_and_saveexec_b32 s0, s3
	s_cbranch_execz .LBB87_97
.LBB87_113:
	s_mul_i32 s2, s12, 0x180
	s_mov_b32 s3, 0
	s_wait_alu 0xfffe
	s_lshl_b64 s[2:3], s[2:3], 3
	s_wait_dscnt 0x5
	s_wait_alu 0xfffe
	v_add_co_u32 v12, vcc_lo, v2, s2
	s_wait_alu 0xfffd
	v_add_co_ci_u32_e64 v13, null, s3, v3, vcc_lo
	s_wait_dscnt 0x4
	global_store_b64 v[12:13], v[10:11], off
	s_or_b32 exec_lo, exec_lo, s0
	s_and_saveexec_b32 s0, s4
	s_cbranch_execz .LBB87_98
.LBB87_114:
	s_lshl_b32 s2, s12, 9
	s_mov_b32 s3, 0
	s_wait_alu 0xfffe
	s_lshl_b64 s[2:3], s[2:3], 3
	s_wait_dscnt 0x4
	s_wait_alu 0xfffe
	v_add_co_u32 v10, vcc_lo, v2, s2
	s_wait_alu 0xfffd
	v_add_co_ci_u32_e64 v11, null, s3, v3, vcc_lo
	s_wait_dscnt 0x3
	global_store_b64 v[10:11], v[8:9], off
	s_or_b32 exec_lo, exec_lo, s0
	s_and_saveexec_b32 s0, s5
	s_cbranch_execz .LBB87_99
.LBB87_115:
	s_mul_i32 s2, s12, 0x280
	s_mov_b32 s3, 0
	s_wait_alu 0xfffe
	s_lshl_b64 s[2:3], s[2:3], 3
	s_wait_dscnt 0x3
	s_wait_alu 0xfffe
	v_add_co_u32 v8, vcc_lo, v2, s2
	s_wait_alu 0xfffd
	v_add_co_ci_u32_e64 v9, null, s3, v3, vcc_lo
	s_wait_dscnt 0x2
	global_store_b64 v[8:9], v[6:7], off
	s_or_b32 exec_lo, exec_lo, s0
	s_and_saveexec_b32 s0, s6
	s_cbranch_execz .LBB87_100
.LBB87_116:
	s_mul_i32 s2, s12, 0x300
	s_mov_b32 s3, 0
	s_wait_alu 0xfffe
	s_lshl_b64 s[2:3], s[2:3], 3
	s_wait_dscnt 0x2
	s_wait_alu 0xfffe
	v_add_co_u32 v6, vcc_lo, v2, s2
	s_wait_alu 0xfffd
	v_add_co_ci_u32_e64 v7, null, s3, v3, vcc_lo
	s_wait_dscnt 0x1
	global_store_b64 v[6:7], v[4:5], off
	s_or_b32 exec_lo, exec_lo, s0
	s_and_saveexec_b32 s0, s7
	s_cbranch_execnz .LBB87_101
	s_branch .LBB87_102
	.section	.rodata,"a",@progbits
	.p2align	6, 0x0
	.amdhsa_kernel _ZN2at6native18radixSortKVInPlaceILi2ELin1ELi128ELi8EhljEEvNS_4cuda6detail10TensorInfoIT3_T5_EES6_S6_S6_NS4_IT4_S6_EES6_b
		.amdhsa_group_segment_fixed_size 8448
		.amdhsa_private_segment_fixed_size 0
		.amdhsa_kernarg_size 712
		.amdhsa_user_sgpr_count 2
		.amdhsa_user_sgpr_dispatch_ptr 0
		.amdhsa_user_sgpr_queue_ptr 0
		.amdhsa_user_sgpr_kernarg_segment_ptr 1
		.amdhsa_user_sgpr_dispatch_id 0
		.amdhsa_user_sgpr_private_segment_size 0
		.amdhsa_wavefront_size32 1
		.amdhsa_uses_dynamic_stack 0
		.amdhsa_enable_private_segment 0
		.amdhsa_system_sgpr_workgroup_id_x 1
		.amdhsa_system_sgpr_workgroup_id_y 1
		.amdhsa_system_sgpr_workgroup_id_z 1
		.amdhsa_system_sgpr_workgroup_info 0
		.amdhsa_system_vgpr_workitem_id 2
		.amdhsa_next_free_vgpr 105
		.amdhsa_next_free_sgpr 24
		.amdhsa_reserve_vcc 1
		.amdhsa_float_round_mode_32 0
		.amdhsa_float_round_mode_16_64 0
		.amdhsa_float_denorm_mode_32 3
		.amdhsa_float_denorm_mode_16_64 3
		.amdhsa_fp16_overflow 0
		.amdhsa_workgroup_processor_mode 1
		.amdhsa_memory_ordered 1
		.amdhsa_forward_progress 1
		.amdhsa_inst_pref_size 101
		.amdhsa_round_robin_scheduling 0
		.amdhsa_exception_fp_ieee_invalid_op 0
		.amdhsa_exception_fp_denorm_src 0
		.amdhsa_exception_fp_ieee_div_zero 0
		.amdhsa_exception_fp_ieee_overflow 0
		.amdhsa_exception_fp_ieee_underflow 0
		.amdhsa_exception_fp_ieee_inexact 0
		.amdhsa_exception_int_div_zero 0
	.end_amdhsa_kernel
	.section	.text._ZN2at6native18radixSortKVInPlaceILi2ELin1ELi128ELi8EhljEEvNS_4cuda6detail10TensorInfoIT3_T5_EES6_S6_S6_NS4_IT4_S6_EES6_b,"axG",@progbits,_ZN2at6native18radixSortKVInPlaceILi2ELin1ELi128ELi8EhljEEvNS_4cuda6detail10TensorInfoIT3_T5_EES6_S6_S6_NS4_IT4_S6_EES6_b,comdat
.Lfunc_end87:
	.size	_ZN2at6native18radixSortKVInPlaceILi2ELin1ELi128ELi8EhljEEvNS_4cuda6detail10TensorInfoIT3_T5_EES6_S6_S6_NS4_IT4_S6_EES6_b, .Lfunc_end87-_ZN2at6native18radixSortKVInPlaceILi2ELin1ELi128ELi8EhljEEvNS_4cuda6detail10TensorInfoIT3_T5_EES6_S6_S6_NS4_IT4_S6_EES6_b
                                        ; -- End function
	.set _ZN2at6native18radixSortKVInPlaceILi2ELin1ELi128ELi8EhljEEvNS_4cuda6detail10TensorInfoIT3_T5_EES6_S6_S6_NS4_IT4_S6_EES6_b.num_vgpr, 105
	.set _ZN2at6native18radixSortKVInPlaceILi2ELin1ELi128ELi8EhljEEvNS_4cuda6detail10TensorInfoIT3_T5_EES6_S6_S6_NS4_IT4_S6_EES6_b.num_agpr, 0
	.set _ZN2at6native18radixSortKVInPlaceILi2ELin1ELi128ELi8EhljEEvNS_4cuda6detail10TensorInfoIT3_T5_EES6_S6_S6_NS4_IT4_S6_EES6_b.numbered_sgpr, 24
	.set _ZN2at6native18radixSortKVInPlaceILi2ELin1ELi128ELi8EhljEEvNS_4cuda6detail10TensorInfoIT3_T5_EES6_S6_S6_NS4_IT4_S6_EES6_b.num_named_barrier, 0
	.set _ZN2at6native18radixSortKVInPlaceILi2ELin1ELi128ELi8EhljEEvNS_4cuda6detail10TensorInfoIT3_T5_EES6_S6_S6_NS4_IT4_S6_EES6_b.private_seg_size, 0
	.set _ZN2at6native18radixSortKVInPlaceILi2ELin1ELi128ELi8EhljEEvNS_4cuda6detail10TensorInfoIT3_T5_EES6_S6_S6_NS4_IT4_S6_EES6_b.uses_vcc, 1
	.set _ZN2at6native18radixSortKVInPlaceILi2ELin1ELi128ELi8EhljEEvNS_4cuda6detail10TensorInfoIT3_T5_EES6_S6_S6_NS4_IT4_S6_EES6_b.uses_flat_scratch, 0
	.set _ZN2at6native18radixSortKVInPlaceILi2ELin1ELi128ELi8EhljEEvNS_4cuda6detail10TensorInfoIT3_T5_EES6_S6_S6_NS4_IT4_S6_EES6_b.has_dyn_sized_stack, 0
	.set _ZN2at6native18radixSortKVInPlaceILi2ELin1ELi128ELi8EhljEEvNS_4cuda6detail10TensorInfoIT3_T5_EES6_S6_S6_NS4_IT4_S6_EES6_b.has_recursion, 0
	.set _ZN2at6native18radixSortKVInPlaceILi2ELin1ELi128ELi8EhljEEvNS_4cuda6detail10TensorInfoIT3_T5_EES6_S6_S6_NS4_IT4_S6_EES6_b.has_indirect_call, 0
	.section	.AMDGPU.csdata,"",@progbits
; Kernel info:
; codeLenInByte = 12804
; TotalNumSgprs: 26
; NumVgprs: 105
; ScratchSize: 0
; MemoryBound: 0
; FloatMode: 240
; IeeeMode: 1
; LDSByteSize: 8448 bytes/workgroup (compile time only)
; SGPRBlocks: 0
; VGPRBlocks: 13
; NumSGPRsForWavesPerEU: 26
; NumVGPRsForWavesPerEU: 105
; Occupancy: 12
; WaveLimiterHint : 1
; COMPUTE_PGM_RSRC2:SCRATCH_EN: 0
; COMPUTE_PGM_RSRC2:USER_SGPR: 2
; COMPUTE_PGM_RSRC2:TRAP_HANDLER: 0
; COMPUTE_PGM_RSRC2:TGID_X_EN: 1
; COMPUTE_PGM_RSRC2:TGID_Y_EN: 1
; COMPUTE_PGM_RSRC2:TGID_Z_EN: 1
; COMPUTE_PGM_RSRC2:TIDIG_COMP_CNT: 2
	.section	.text._ZN2at6native18radixSortKVInPlaceILi2ELin1ELi32ELi4EhljEEvNS_4cuda6detail10TensorInfoIT3_T5_EES6_S6_S6_NS4_IT4_S6_EES6_b,"axG",@progbits,_ZN2at6native18radixSortKVInPlaceILi2ELin1ELi32ELi4EhljEEvNS_4cuda6detail10TensorInfoIT3_T5_EES6_S6_S6_NS4_IT4_S6_EES6_b,comdat
	.protected	_ZN2at6native18radixSortKVInPlaceILi2ELin1ELi32ELi4EhljEEvNS_4cuda6detail10TensorInfoIT3_T5_EES6_S6_S6_NS4_IT4_S6_EES6_b ; -- Begin function _ZN2at6native18radixSortKVInPlaceILi2ELin1ELi32ELi4EhljEEvNS_4cuda6detail10TensorInfoIT3_T5_EES6_S6_S6_NS4_IT4_S6_EES6_b
	.globl	_ZN2at6native18radixSortKVInPlaceILi2ELin1ELi32ELi4EhljEEvNS_4cuda6detail10TensorInfoIT3_T5_EES6_S6_S6_NS4_IT4_S6_EES6_b
	.p2align	8
	.type	_ZN2at6native18radixSortKVInPlaceILi2ELin1ELi32ELi4EhljEEvNS_4cuda6detail10TensorInfoIT3_T5_EES6_S6_S6_NS4_IT4_S6_EES6_b,@function
_ZN2at6native18radixSortKVInPlaceILi2ELin1ELi32ELi4EhljEEvNS_4cuda6detail10TensorInfoIT3_T5_EES6_S6_S6_NS4_IT4_S6_EES6_b: ; @_ZN2at6native18radixSortKVInPlaceILi2ELin1ELi32ELi4EhljEEvNS_4cuda6detail10TensorInfoIT3_T5_EES6_S6_S6_NS4_IT4_S6_EES6_b
; %bb.0:
	s_clause 0x1
	s_load_b64 s[2:3], s[0:1], 0x1c8
	s_load_b96 s[8:10], s[0:1], 0xd8
	s_lshr_b32 s4, ttmp7, 16
	s_wait_kmcnt 0x0
	s_mul_i32 s3, s3, s4
	s_and_b32 s4, ttmp7, 0xffff
	s_delay_alu instid0(SALU_CYCLE_1) | instskip(NEXT) | instid1(SALU_CYCLE_1)
	s_add_co_i32 s3, s3, s4
	s_mul_i32 s2, s3, s2
	s_delay_alu instid0(SALU_CYCLE_1) | instskip(NEXT) | instid1(SALU_CYCLE_1)
	s_add_co_i32 s2, s2, ttmp9
	s_cmp_ge_u32 s2, s8
	s_cbranch_scc1 .LBB88_54
; %bb.1:
	s_clause 0x2
	s_load_b32 s11, s[0:1], 0xc
	s_load_b64 s[14:15], s[0:1], 0x6c
	s_load_b32 s16, s[0:1], 0x1b8
	s_add_nc_u64 s[6:7], s[0:1], 0xe8
	s_mov_b32 s8, s2
	s_wait_kmcnt 0x0
	s_cvt_f32_u32 s3, s11
	s_delay_alu instid0(SALU_CYCLE_3) | instskip(NEXT) | instid1(TRANS32_DEP_1)
	v_rcp_iflag_f32_e32 v1, s3
	v_readfirstlane_b32 s3, v1
	s_mul_f32 s3, s3, 0x4f7ffffe
	s_wait_alu 0xfffe
	s_delay_alu instid0(SALU_CYCLE_2) | instskip(SKIP_2) | instid1(SALU_CYCLE_1)
	s_cvt_u32_f32 s4, s3
	s_sub_co_i32 s3, 0, s11
	s_wait_alu 0xfffe
	s_mul_i32 s5, s3, s4
	s_mov_b32 s3, 0
	s_mul_hi_u32 s5, s4, s5
	s_wait_alu 0xfffe
	s_mov_b32 s13, s3
	s_add_co_i32 s12, s4, s5
	s_cmp_lt_i32 s16, 2
	s_mov_b32 s5, s3
	s_cbranch_scc1 .LBB88_4
; %bb.2:
	s_add_co_i32 s4, s16, -1
	s_mov_b32 s5, 0
	s_mov_b32 s8, s2
	s_lshl_b64 s[18:19], s[4:5], 2
	s_add_co_i32 s4, s16, 1
	s_add_nc_u64 s[18:19], s[6:7], s[18:19]
	s_delay_alu instid0(SALU_CYCLE_1)
	s_add_nc_u64 s[16:17], s[18:19], 8
.LBB88_3:                               ; =>This Inner Loop Header: Depth=1
	s_clause 0x1
	s_load_b32 s18, s[16:17], 0x0
	s_load_b32 s19, s[16:17], 0x64
	s_mov_b32 s22, s8
	s_add_nc_u64 s[16:17], s[16:17], -4
	s_wait_kmcnt 0x0
	s_cvt_f32_u32 s20, s18
	s_sub_co_i32 s21, 0, s18
	s_wait_alu 0xfffe
	s_delay_alu instid0(SALU_CYCLE_1) | instskip(NEXT) | instid1(TRANS32_DEP_1)
	v_rcp_iflag_f32_e32 v1, s20
	v_readfirstlane_b32 s20, v1
	s_mul_f32 s20, s20, 0x4f7ffffe
	s_wait_alu 0xfffe
	s_delay_alu instid0(SALU_CYCLE_2) | instskip(SKIP_1) | instid1(SALU_CYCLE_2)
	s_cvt_u32_f32 s20, s20
	s_wait_alu 0xfffe
	s_mul_i32 s21, s21, s20
	s_wait_alu 0xfffe
	s_mul_hi_u32 s21, s20, s21
	s_wait_alu 0xfffe
	s_add_co_i32 s20, s20, s21
	s_wait_alu 0xfffe
	s_mul_hi_u32 s8, s8, s20
	s_delay_alu instid0(SALU_CYCLE_1)
	s_mul_i32 s20, s8, s18
	s_add_co_i32 s21, s8, 1
	s_wait_alu 0xfffe
	s_sub_co_i32 s20, s22, s20
	s_wait_alu 0xfffe
	s_sub_co_i32 s23, s20, s18
	s_cmp_ge_u32 s20, s18
	s_cselect_b32 s8, s21, s8
	s_cselect_b32 s20, s23, s20
	s_add_co_i32 s21, s8, 1
	s_wait_alu 0xfffe
	s_cmp_ge_u32 s20, s18
	s_cselect_b32 s8, s21, s8
	s_add_co_i32 s4, s4, -1
	s_mul_i32 s18, s8, s18
	s_delay_alu instid0(SALU_CYCLE_1) | instskip(NEXT) | instid1(SALU_CYCLE_1)
	s_sub_co_i32 s18, s22, s18
	s_mul_i32 s18, s19, s18
	s_delay_alu instid0(SALU_CYCLE_1)
	s_add_co_i32 s5, s18, s5
	s_cmp_gt_u32 s4, 2
	s_cbranch_scc1 .LBB88_3
.LBB88_4:
	s_mul_u64 s[20:21], s[2:3], s[12:13]
	s_clause 0x1
	s_load_b64 s[16:17], s[0:1], 0x0
	s_load_b64 s[12:13], s[0:1], 0x1c0
	s_mul_i32 s3, s21, s11
	s_add_nc_u64 s[18:19], s[0:1], 0x1c8
	s_wait_alu 0xfffe
	s_sub_co_i32 s0, s2, s3
	s_add_co_i32 s1, s21, 1
	s_sub_co_i32 s3, s0, s11
	s_cmp_ge_u32 s0, s11
	s_cselect_b32 s1, s1, s21
	s_wait_alu 0xfffe
	s_cselect_b32 s0, s3, s0
	s_add_co_i32 s3, s1, 1
	s_cmp_ge_u32 s0, s11
	s_wait_alu 0xfffe
	s_cselect_b32 s0, s3, s1
	s_mov_b32 s3, 0
	s_mul_i32 s1, s0, s11
	s_mul_i32 s0, s0, s14
	s_sub_co_i32 s1, s2, s1
	s_delay_alu instid0(SALU_CYCLE_1) | instskip(NEXT) | instid1(SALU_CYCLE_1)
	s_mul_i32 s1, s1, s15
	s_add_co_i32 s2, s0, s1
	s_wait_kmcnt 0x0
	s_bitcmp1_b32 s13, 0
	s_wait_alu 0xfffe
	s_add_nc_u64 s[14:15], s[16:17], s[2:3]
	s_cselect_b32 s0, -1, 0
	s_delay_alu instid0(SALU_CYCLE_1) | instskip(NEXT) | instid1(SALU_CYCLE_1)
	s_xor_b32 s4, s0, -1
	v_cndmask_b32_e64 v2, 0, -1, s4
	v_cndmask_b32_e64 v1, 0, -1, s4
	s_delay_alu instid0(VALU_DEP_2) | instskip(SKIP_2) | instid1(SALU_CYCLE_1)
	v_readfirstlane_b32 s0, v2
	s_lshl_b32 s1, s0, 8
	s_and_b32 s0, s0, 0xff
	s_or_b32 s0, s0, s1
	s_delay_alu instid0(SALU_CYCLE_1) | instskip(SKIP_1) | instid1(SALU_CYCLE_1)
	s_and_b32 s1, s0, 0xffff
	s_lshl_b32 s0, s0, 16
	s_or_b32 s1, s1, s0
	s_delay_alu instid0(SALU_CYCLE_1) | instskip(NEXT) | instid1(VALU_DEP_1)
	v_dual_mov_b32 v2, s1 :: v_dual_and_b32 v11, 0x3ff, v0
	v_mul_lo_u32 v20, s10, v11
	v_cmp_gt_u32_e64 s0, s9, v11
	s_and_saveexec_b32 s2, s0
	s_cbranch_execz .LBB88_6
; %bb.5:
	global_load_u8 v1, v20, s[14:15]
	s_wait_loadcnt 0x0
	v_perm_b32 v2, v1, s1, 0x3020104
.LBB88_6:
	s_wait_alu 0xfffe
	s_or_b32 exec_lo, exec_lo, s2
	v_add_nc_u32_e32 v5, 32, v11
	s_delay_alu instid0(VALU_DEP_1)
	v_cmp_gt_u32_e64 s3, s9, v5
	s_and_saveexec_b32 s1, s3
	s_cbranch_execz .LBB88_8
; %bb.7:
	v_mul_lo_u32 v3, s10, v5
	global_load_u8 v3, v3, s[14:15]
	s_wait_loadcnt 0x0
	v_perm_b32 v2, v2, v3, 0x7060004
.LBB88_8:
	s_wait_alu 0xfffe
	s_or_b32 exec_lo, exec_lo, s1
	v_add_nc_u32_e32 v16, 64, v11
	s_delay_alu instid0(VALU_DEP_1)
	v_cmp_gt_u32_e64 s1, s9, v16
	s_and_saveexec_b32 s2, s1
	s_cbranch_execz .LBB88_10
; %bb.9:
	v_mul_lo_u32 v3, s10, v16
	global_load_u8 v3, v3, s[14:15]
	s_wait_loadcnt 0x0
	v_perm_b32 v2, v2, v3, 0x7000504
.LBB88_10:
	s_wait_alu 0xfffe
	s_or_b32 exec_lo, exec_lo, s2
	s_clause 0x1
	s_load_b32 s11, s[6:7], 0x6c
	s_load_b64 s[6:7], s[6:7], 0x0
	v_add_nc_u32_e32 v14, 0x60, v11
	s_delay_alu instid0(VALU_DEP_1)
	v_cmp_gt_u32_e64 s2, s9, v14
	s_and_saveexec_b32 s9, s2
	s_cbranch_execz .LBB88_12
; %bb.11:
	v_mul_lo_u32 v3, s10, v14
	global_load_u8 v3, v3, s[14:15]
	s_wait_loadcnt 0x0
	v_perm_b32 v2, v2, v3, 0x60504
.LBB88_12:
	s_wait_alu 0xfffe
	s_or_b32 exec_lo, exec_lo, s9
	v_lshrrev_b32_e32 v13, 5, v5
	v_lshrrev_b32_e32 v12, 5, v11
	;; [unrolled: 1-line block ×5, first 2 shown]
	v_and_b32_e32 v6, 60, v13
	v_and_b32_e32 v4, 28, v12
	;; [unrolled: 1-line block ×3, first 2 shown]
	v_lshlrev_b32_e32 v27, 2, v11
	v_lshrrev_b32_e32 v3, 8, v2
	v_add_nc_u32_e32 v22, v6, v11
	v_and_b32_e32 v6, 0x7c, v18
	v_add_nc_u32_e32 v21, v4, v11
	v_and_b32_e32 v4, 60, v17
	v_add_nc_u32_e32 v23, v7, v11
	v_lshrrev_b32_e32 v7, 24, v2
	v_add_nc_u32_e32 v25, v6, v27
	ds_store_b8 v21, v1
	ds_store_b8 v22, v3 offset:32
	v_add_nc_u32_e32 v24, v4, v11
	ds_store_b8_d16_hi v23, v2 offset:64
	ds_store_b8 v24, v7 offset:96
	s_wait_dscnt 0x0
	; wave barrier
	global_inv scope:SCOPE_SE
	ds_load_b32 v35, v25
	s_wait_kmcnt 0x0
	s_mul_i32 s8, s11, s8
	v_mul_lo_u32 v9, s12, v11
	s_wait_alu 0xfffe
	s_add_co_i32 s8, s8, s5
	s_mov_b32 s9, 0
	v_mov_b32_e32 v1, 0
	v_dual_mov_b32 v3, 0 :: v_dual_mov_b32 v2, 0
	v_mov_b32_e32 v4, 0
	s_wait_alu 0xfffe
	s_lshl_b64 s[8:9], s[8:9], 3
	s_wait_loadcnt_dscnt 0x0
	s_wait_alu 0xfffe
	s_add_nc_u64 s[16:17], s[6:7], s[8:9]
	; wave barrier
	global_inv scope:SCOPE_SE
	s_and_saveexec_b32 s5, s0
	s_cbranch_execz .LBB88_14
; %bb.13:
	v_mov_b32_e32 v10, 0
	s_delay_alu instid0(VALU_DEP_1) | instskip(NEXT) | instid1(VALU_DEP_1)
	v_lshlrev_b64_e32 v[3:4], 3, v[9:10]
	v_add_co_u32 v3, vcc_lo, s16, v3
	s_delay_alu instid0(VALU_DEP_1)
	v_add_co_ci_u32_e64 v4, null, s17, v4, vcc_lo
	global_load_b64 v[3:4], v[3:4], off
.LBB88_14:
	s_wait_alu 0xfffe
	s_or_b32 exec_lo, exec_lo, s5
	s_and_saveexec_b32 s5, s3
	s_cbranch_execz .LBB88_16
; %bb.15:
	v_mul_lo_u32 v1, s12, v5
	v_mov_b32_e32 v2, 0
	s_delay_alu instid0(VALU_DEP_1) | instskip(NEXT) | instid1(VALU_DEP_1)
	v_lshlrev_b64_e32 v[1:2], 3, v[1:2]
	v_add_co_u32 v1, vcc_lo, s16, v1
	s_wait_alu 0xfffd
	s_delay_alu instid0(VALU_DEP_2)
	v_add_co_ci_u32_e64 v2, null, s17, v2, vcc_lo
	global_load_b64 v[1:2], v[1:2], off
.LBB88_16:
	s_wait_alu 0xfffe
	s_or_b32 exec_lo, exec_lo, s5
	v_mov_b32_e32 v5, 0
	v_dual_mov_b32 v6, 0 :: v_dual_mov_b32 v7, 0
	v_mov_b32_e32 v8, 0
	s_and_saveexec_b32 s5, s1
	s_cbranch_execz .LBB88_18
; %bb.17:
	v_mul_lo_u32 v7, s12, v16
	v_mov_b32_e32 v8, 0
	s_delay_alu instid0(VALU_DEP_1) | instskip(NEXT) | instid1(VALU_DEP_1)
	v_lshlrev_b64_e32 v[7:8], 3, v[7:8]
	v_add_co_u32 v7, vcc_lo, s16, v7
	s_wait_alu 0xfffd
	s_delay_alu instid0(VALU_DEP_2)
	v_add_co_ci_u32_e64 v8, null, s17, v8, vcc_lo
	global_load_b64 v[7:8], v[7:8], off
.LBB88_18:
	s_wait_alu 0xfffe
	s_or_b32 exec_lo, exec_lo, s5
	s_and_saveexec_b32 s5, s2
	s_cbranch_execz .LBB88_20
; %bb.19:
	v_mul_lo_u32 v5, s12, v14
	v_mov_b32_e32 v6, 0
	s_delay_alu instid0(VALU_DEP_1) | instskip(NEXT) | instid1(VALU_DEP_1)
	v_lshlrev_b64_e32 v[5:6], 3, v[5:6]
	v_add_co_u32 v5, vcc_lo, s16, v5
	s_wait_alu 0xfffd
	s_delay_alu instid0(VALU_DEP_2)
	v_add_co_ci_u32_e64 v6, null, s17, v6, vcc_lo
	global_load_b64 v[5:6], v[5:6], off
.LBB88_20:
	s_wait_alu 0xfffe
	s_or_b32 exec_lo, exec_lo, s5
	v_lshlrev_b32_e32 v14, 3, v11
	v_lshlrev_b32_e32 v10, 3, v27
	v_lshrrev_b32_e32 v37, 16, v35
	v_lshrrev_b32_e32 v38, 8, v35
	;; [unrolled: 1-line block ×3, first 2 shown]
	v_lshl_add_u32 v26, v12, 3, v14
	v_lshl_add_u32 v31, v18, 3, v10
	;; [unrolled: 1-line block ×5, first 2 shown]
	s_wait_loadcnt 0x0
	ds_store_b64 v26, v[3:4]
	ds_store_b64 v28, v[1:2] offset:256
	ds_store_b64 v29, v[7:8] offset:512
	;; [unrolled: 1-line block ×3, first 2 shown]
	s_wait_dscnt 0x0
	; wave barrier
	global_inv scope:SCOPE_SE
	ds_load_2addr_b64 v[5:8], v31 offset1:1
	ds_load_2addr_b64 v[1:4], v31 offset0:2 offset1:3
	v_bfe_u32 v34, v0, 10, 10
	v_bfe_u32 v0, v0, 20, 10
	v_mbcnt_lo_u32_b32 v33, -1, 0
	v_lshlrev_b32_e32 v32, 5, v11
	s_and_b32 vcc_lo, exec_lo, s4
	; wave barrier
	s_wait_loadcnt_dscnt 0x0
	global_inv scope:SCOPE_SE
	s_wait_alu 0xfffe
	s_cbranch_vccz .LBB88_32
; %bb.21:
	v_and_b32_e32 v39, 3, v33
	v_and_b32_e32 v14, 28, v33
	;; [unrolled: 1-line block ×4, first 2 shown]
	s_getpc_b64 s[8:9]
	s_wait_alu 0xfffe
	s_sext_i32_i16 s9, s9
	s_add_co_u32 s8, s8, _ZN7rocprim17ROCPRIM_400000_NS16block_radix_sortIhLj32ELj4ElLj1ELj1ELj0ELNS0_26block_radix_rank_algorithmE1ELNS0_18block_padding_hintE2ELNS0_4arch9wavefront6targetE0EE19radix_bits_per_passE@rel32@lo+12
	s_wait_alu 0xfffe
	s_add_co_ci_u32 s9, s9, _ZN7rocprim17ROCPRIM_400000_NS16block_radix_sortIhLj32ELj4ElLj1ELj1ELj0ELNS0_26block_radix_rank_algorithmE1ELNS0_18block_padding_hintE2ELNS0_4arch9wavefront6targetE0EE19radix_bits_per_passE@rel32@hi+24
	v_cmp_eq_u32_e32 vcc_lo, 3, v39
	v_and_b32_e32 v12, 0xff, v35
	ds_bpermute_b32 v17, v14, v13
	ds_bpermute_b32 v18, v14, v16
	v_and_b32_e32 v19, 0xffff, v36
	v_cmp_eq_u32_e64 s6, 0, v39
	ds_bpermute_b32 v15, v14, v12
	v_cmp_eq_u32_e64 s5, 1, v39
	v_cmp_eq_u32_e64 s4, 2, v39
	ds_bpermute_b32 v40, v14, v19
	s_load_b32 s8, s[8:9], 0x0
	; wave barrier
	s_wait_loadcnt_dscnt 0x0
	global_inv scope:SCOPE_SE
	s_load_b32 s7, s[18:19], 0xc
	ds_bpermute_b32 v58, v14, v5
	ds_bpermute_b32 v59, v14, v6
	;; [unrolled: 1-line block ×7, first 2 shown]
	ds_bpermute_b32 v60, v14, v5 offset:32
	v_and_b32_e32 v17, 0xff, v17
	v_and_b32_e32 v18, 0xff, v18
	ds_bpermute_b32 v61, v14, v6 offset:32
	ds_bpermute_b32 v50, v14, v7 offset:32
	v_and_b32_e32 v15, 0xff, v15
	ds_bpermute_b32 v51, v14, v8 offset:32
	ds_bpermute_b32 v47, v14, v1 offset:32
	;; [unrolled: 1-line block ×3, first 2 shown]
	s_wait_kmcnt 0x0
	s_min_u32 s8, s8, 8
	v_cndmask_b32_e64 v15, 0, v15, s6
	s_wait_alu 0xfffe
	s_lshl_b32 s8, -1, s8
	s_and_b32 s11, s7, 0xffff
	s_wait_alu 0xfffe
	s_not_b32 s9, s8
	s_lshr_b32 s8, s7, 16
	v_cndmask_b32_e64 v15, v15, v17, s5
	ds_bpermute_b32 v46, v14, v4 offset:32
	ds_bpermute_b32 v62, v14, v5 offset:64
	;; [unrolled: 1-line block ×4, first 2 shown]
	v_cndmask_b32_e64 v15, v15, v18, s4
	ds_bpermute_b32 v57, v14, v8 offset:64
	ds_bpermute_b32 v53, v14, v1 offset:64
	;; [unrolled: 1-line block ×4, first 2 shown]
	v_perm_b32 v17, v40, v15, 0x3020104
	ds_bpermute_b32 v40, v14, v3
	ds_bpermute_b32 v65, v14, v5 offset:96
	ds_bpermute_b32 v66, v14, v6 offset:96
	;; [unrolled: 1-line block ×3, first 2 shown]
	v_cndmask_b32_e32 v15, v15, v17, vcc_lo
	ds_bpermute_b32 v41, v14, v12 offset:32
	ds_bpermute_b32 v17, v14, v13 offset:32
	;; [unrolled: 1-line block ×3, first 2 shown]
	v_and_b32_e32 v39, 0xff, v15
	s_wait_dscnt 0x2
	v_lshlrev_b16 v18, 8, v41
	s_wait_dscnt 0x1
	v_lshlrev_b16 v17, 8, v17
	ds_bpermute_b32 v41, v14, v3 offset:64
	v_or_b32_e32 v18, v39, v18
	ds_bpermute_b32 v39, v14, v16 offset:32
	v_and_b32_e32 v18, 0xffff, v18
	s_delay_alu instid0(VALU_DEP_1) | instskip(NEXT) | instid1(VALU_DEP_1)
	v_cndmask_b32_e64 v15, v15, v18, s6
	v_and_b32_e32 v18, 0xff, v15
	s_delay_alu instid0(VALU_DEP_1) | instskip(NEXT) | instid1(VALU_DEP_1)
	v_or_b32_e32 v17, v18, v17
	v_and_b32_e32 v17, 0xffff, v17
	s_delay_alu instid0(VALU_DEP_1) | instskip(NEXT) | instid1(VALU_DEP_1)
	v_and_or_b32 v17, 0xffff0000, v15, v17
	v_cndmask_b32_e64 v15, v15, v17, s5
	s_wait_dscnt 0x0
	v_lshlrev_b16 v17, 8, v39
	ds_bpermute_b32 v39, v14, v19 offset:32
	v_and_b32_e32 v18, 0xff, v15
	s_delay_alu instid0(VALU_DEP_1) | instskip(NEXT) | instid1(VALU_DEP_1)
	v_or_b32_e32 v17, v18, v17
	v_and_b32_e32 v17, 0xffff, v17
	s_delay_alu instid0(VALU_DEP_1) | instskip(NEXT) | instid1(VALU_DEP_1)
	v_and_or_b32 v17, 0xffff0000, v15, v17
	v_cndmask_b32_e64 v15, v15, v17, s4
	s_wait_dscnt 0x0
	v_lshlrev_b16 v17, 8, v39
	ds_bpermute_b32 v39, v14, v12 offset:64
	ds_bpermute_b32 v12, v14, v12 offset:96
	v_and_b32_e32 v18, 0xff, v15
	s_delay_alu instid0(VALU_DEP_1) | instskip(NEXT) | instid1(VALU_DEP_1)
	v_or_b32_e32 v17, v18, v17
	v_and_b32_e32 v17, 0xffff, v17
	s_delay_alu instid0(VALU_DEP_1) | instskip(SKIP_2) | instid1(VALU_DEP_2)
	v_and_or_b32 v17, 0xffff0000, v15, v17
	s_wait_dscnt 0x0
	v_lshlrev_b16 v12, 8, v12
	v_cndmask_b32_e32 v15, v15, v17, vcc_lo
	ds_bpermute_b32 v17, v14, v13 offset:64
	ds_bpermute_b32 v13, v14, v13 offset:96
	v_perm_b32 v18, v39, v15, 0xc0c0304
	ds_bpermute_b32 v39, v14, v3 offset:32
	v_lshlrev_b32_e32 v18, 16, v18
	s_delay_alu instid0(VALU_DEP_1) | instskip(NEXT) | instid1(VALU_DEP_1)
	v_and_or_b32 v18, 0xffff, v15, v18
	v_cndmask_b32_e64 v15, v15, v18, s6
	ds_bpermute_b32 v18, v14, v16 offset:64
	s_wait_dscnt 0x2
	v_lshlrev_b16 v13, 8, v13
	v_perm_b32 v17, v17, v15, 0xc0c0304
	s_delay_alu instid0(VALU_DEP_1) | instskip(NEXT) | instid1(VALU_DEP_1)
	v_lshlrev_b32_e32 v17, 16, v17
	v_and_or_b32 v17, 0xffff, v15, v17
	s_delay_alu instid0(VALU_DEP_1) | instskip(SKIP_3) | instid1(VALU_DEP_1)
	v_cndmask_b32_e64 v15, v15, v17, s5
	ds_bpermute_b32 v17, v14, v19 offset:64
	s_wait_dscnt 0x1
	v_perm_b32 v18, v18, v15, 0xc0c0304
	v_lshlrev_b32_e32 v18, 16, v18
	s_delay_alu instid0(VALU_DEP_1) | instskip(NEXT) | instid1(VALU_DEP_1)
	v_and_or_b32 v18, 0xffff, v15, v18
	v_cndmask_b32_e64 v15, v15, v18, s4
	s_wait_dscnt 0x0
	s_delay_alu instid0(VALU_DEP_1) | instskip(NEXT) | instid1(VALU_DEP_1)
	v_perm_b32 v17, v17, v15, 0xc0c0304
	v_lshlrev_b32_e32 v17, 16, v17
	s_delay_alu instid0(VALU_DEP_1) | instskip(NEXT) | instid1(VALU_DEP_1)
	v_and_or_b32 v17, 0xffff, v15, v17
	v_cndmask_b32_e32 v15, v15, v17, vcc_lo
	s_delay_alu instid0(VALU_DEP_1) | instskip(NEXT) | instid1(VALU_DEP_1)
	v_lshrrev_b32_e32 v17, 16, v15
	v_and_b32_e32 v17, 0xff, v17
	s_delay_alu instid0(VALU_DEP_1) | instskip(NEXT) | instid1(VALU_DEP_1)
	v_or_b32_e32 v12, v17, v12
	v_lshlrev_b32_e32 v12, 16, v12
	s_delay_alu instid0(VALU_DEP_1) | instskip(NEXT) | instid1(VALU_DEP_1)
	v_and_or_b32 v12, 0xffff, v15, v12
	v_cndmask_b32_e64 v12, v15, v12, s6
	s_delay_alu instid0(VALU_DEP_1) | instskip(NEXT) | instid1(VALU_DEP_1)
	v_lshrrev_b32_e32 v15, 16, v12
	v_and_b32_e32 v15, 0xff, v15
	s_delay_alu instid0(VALU_DEP_1) | instskip(SKIP_2) | instid1(VALU_DEP_1)
	v_or_b32_e32 v13, v15, v13
	ds_bpermute_b32 v15, v14, v16 offset:96
	v_lshlrev_b32_e32 v13, 16, v13
	v_and_or_b32 v13, 0xffff, v12, v13
	s_delay_alu instid0(VALU_DEP_1) | instskip(NEXT) | instid1(VALU_DEP_1)
	v_cndmask_b32_e64 v12, v12, v13, s5
	v_lshrrev_b32_e32 v13, 16, v12
	s_wait_dscnt 0x0
	v_lshlrev_b16 v15, 8, v15
	s_delay_alu instid0(VALU_DEP_2) | instskip(NEXT) | instid1(VALU_DEP_1)
	v_and_b32_e32 v13, 0xff, v13
	v_or_b32_e32 v13, v13, v15
	ds_bpermute_b32 v15, v14, v19 offset:96
	v_lshlrev_b32_e32 v13, 16, v13
	s_delay_alu instid0(VALU_DEP_1) | instskip(NEXT) | instid1(VALU_DEP_1)
	v_and_or_b32 v13, 0xffff, v12, v13
	v_cndmask_b32_e64 v12, v12, v13, s4
	s_delay_alu instid0(VALU_DEP_1) | instskip(SKIP_2) | instid1(VALU_DEP_2)
	v_lshrrev_b32_e32 v13, 16, v12
	s_wait_dscnt 0x0
	v_lshlrev_b16 v15, 8, v15
	v_and_b32_e32 v13, 0xff, v13
	s_delay_alu instid0(VALU_DEP_1) | instskip(NEXT) | instid1(VALU_DEP_1)
	v_or_b32_e32 v13, v13, v15
	v_lshlrev_b32_e32 v13, 16, v13
	s_delay_alu instid0(VALU_DEP_1) | instskip(NEXT) | instid1(VALU_DEP_1)
	v_and_or_b32 v13, 0xffff, v12, v13
	v_cndmask_b32_e32 v48, v12, v13, vcc_lo
	s_wait_alu 0xfffe
	v_mad_u32_u24 v12, v0, s8, v34
	s_delay_alu instid0(VALU_DEP_2) | instskip(NEXT) | instid1(VALU_DEP_1)
	v_and_b32_e32 v15, s9, v48
	v_and_b32_e32 v13, 1, v15
	v_lshlrev_b32_e32 v16, 30, v15
	v_lshlrev_b32_e32 v17, 29, v15
	;; [unrolled: 1-line block ×4, first 2 shown]
	v_add_co_u32 v13, s7, v13, -1
	s_wait_alu 0xf1ff
	v_cndmask_b32_e64 v19, 0, 1, s7
	v_not_b32_e32 v70, v16
	v_cmp_gt_i32_e64 s8, 0, v16
	v_not_b32_e32 v16, v17
	v_lshlrev_b32_e32 v68, 26, v15
	v_cmp_ne_u32_e64 s7, 0, v19
	v_ashrrev_i32_e32 v70, 31, v70
	v_lshlrev_b32_e32 v69, 25, v15
	v_ashrrev_i32_e32 v16, 31, v16
	v_lshlrev_b32_e32 v19, 24, v15
	s_wait_alu 0xf1ff
	v_xor_b32_e32 v13, s7, v13
	v_cmp_gt_i32_e64 s7, 0, v17
	v_not_b32_e32 v17, v18
	v_xor_b32_e32 v70, s8, v70
	v_cmp_gt_i32_e64 s8, 0, v18
	v_and_b32_e32 v13, exec_lo, v13
	v_not_b32_e32 v18, v67
	v_ashrrev_i32_e32 v17, 31, v17
	s_wait_alu 0xf1ff
	v_xor_b32_e32 v16, s7, v16
	v_cmp_gt_i32_e64 s7, 0, v67
	v_and_b32_e32 v13, v13, v70
	v_not_b32_e32 v67, v68
	v_ashrrev_i32_e32 v18, 31, v18
	v_xor_b32_e32 v17, s8, v17
	v_cmp_gt_i32_e64 s8, 0, v68
	v_and_b32_e32 v13, v13, v16
	v_not_b32_e32 v16, v69
	v_ashrrev_i32_e32 v67, 31, v67
	s_wait_alu 0xf1ff
	v_xor_b32_e32 v18, s7, v18
	v_cmp_gt_i32_e64 s7, 0, v69
	v_and_b32_e32 v13, v13, v17
	v_not_b32_e32 v17, v19
	v_ashrrev_i32_e32 v16, 31, v16
	v_xor_b32_e32 v67, s8, v67
	v_cmp_gt_i32_e64 s8, 0, v19
	v_and_b32_e32 v18, v13, v18
	v_mad_co_u64_u32 v[12:13], null, v12, s11, v[11:12]
	v_ashrrev_i32_e32 v13, 31, v17
	s_wait_alu 0xf1ff
	v_xor_b32_e32 v16, s7, v16
	v_and_b32_e32 v17, v18, v67
	ds_bpermute_b32 v68, v14, v1 offset:96
	ds_bpermute_b32 v70, v14, v2 offset:96
	v_xor_b32_e32 v13, s8, v13
	ds_bpermute_b32 v67, v14, v3 offset:96
	v_and_b32_e32 v16, v17, v16
	ds_bpermute_b32 v69, v14, v4 offset:96
	v_lshrrev_b32_e32 v12, 3, v12
	v_dual_mov_b32 v14, 0 :: v_dual_and_b32 v15, 0xff, v15
	v_and_b32_e32 v13, v16, v13
	ds_store_2addr_b32 v32, v14, v14 offset0:1 offset1:2
	ds_store_2addr_b32 v32, v14, v14 offset0:3 offset1:4
	;; [unrolled: 1-line block ×4, first 2 shown]
	v_mbcnt_lo_u32_b32 v72, v13, 0
	v_and_b32_e32 v12, 0x1ffffffc, v12
	v_cmp_ne_u32_e64 s8, 0, v13
	; wave barrier
	s_wait_loadcnt_dscnt 0x0
	global_inv scope:SCOPE_SE
	v_cmp_eq_u32_e64 s7, 0, v72
	v_lshl_add_u32 v74, v15, 2, v12
	; wave barrier
	s_and_b32 s8, s8, s7
	s_wait_alu 0xfffe
	s_and_saveexec_b32 s7, s8
; %bb.22:
	v_bcnt_u32_b32 v13, v13, 0
	ds_store_b32 v74, v13 offset:4
; %bb.23:
	s_wait_alu 0xfffe
	s_or_b32 exec_lo, exec_lo, s7
	v_lshrrev_b32_e32 v73, 8, v48
	; wave barrier
	s_delay_alu instid0(VALU_DEP_1) | instskip(NEXT) | instid1(VALU_DEP_1)
	v_and_b32_e32 v13, s9, v73
	v_and_b32_e32 v14, 1, v13
	v_lshlrev_b32_e32 v15, 30, v13
	v_lshlrev_b32_e32 v16, 29, v13
	;; [unrolled: 1-line block ×4, first 2 shown]
	v_add_co_u32 v14, s7, v14, -1
	s_wait_alu 0xf1ff
	v_cndmask_b32_e64 v18, 0, 1, s7
	v_not_b32_e32 v77, v15
	v_cmp_gt_i32_e64 s8, 0, v15
	v_not_b32_e32 v15, v16
	v_lshlrev_b32_e32 v75, 26, v13
	v_cmp_ne_u32_e64 s7, 0, v18
	v_ashrrev_i32_e32 v77, 31, v77
	v_lshlrev_b32_e32 v76, 25, v13
	v_ashrrev_i32_e32 v15, 31, v15
	v_lshlrev_b32_e32 v18, 24, v13
	s_wait_alu 0xf1ff
	v_xor_b32_e32 v14, s7, v14
	v_cmp_gt_i32_e64 s7, 0, v16
	v_not_b32_e32 v16, v17
	v_xor_b32_e32 v77, s8, v77
	v_cmp_gt_i32_e64 s8, 0, v17
	v_and_b32_e32 v14, exec_lo, v14
	v_not_b32_e32 v17, v19
	v_ashrrev_i32_e32 v16, 31, v16
	s_wait_alu 0xf1ff
	v_xor_b32_e32 v15, s7, v15
	v_cmp_gt_i32_e64 s7, 0, v19
	v_and_b32_e32 v14, v14, v77
	v_not_b32_e32 v19, v75
	v_ashrrev_i32_e32 v17, 31, v17
	v_xor_b32_e32 v16, s8, v16
	v_cmp_gt_i32_e64 s8, 0, v75
	v_and_b32_e32 v14, v14, v15
	v_not_b32_e32 v15, v76
	v_ashrrev_i32_e32 v19, 31, v19
	s_wait_alu 0xf1ff
	v_xor_b32_e32 v17, s7, v17
	v_cmp_gt_i32_e64 s7, 0, v76
	v_and_b32_e32 v14, v14, v16
	v_not_b32_e32 v16, v18
	v_ashrrev_i32_e32 v15, 31, v15
	v_xor_b32_e32 v19, s8, v19
	v_and_b32_e32 v13, 0xff, v13
	v_and_b32_e32 v14, v14, v17
	v_cmp_gt_i32_e64 s8, 0, v18
	v_ashrrev_i32_e32 v16, 31, v16
	s_wait_alu 0xf1ff
	v_xor_b32_e32 v15, s7, v15
	v_lshl_add_u32 v78, v13, 2, v12
	v_and_b32_e32 v14, v14, v19
	v_xor_b32_e32 v13, s8, v16
	ds_load_b32 v75, v78 offset:4
	v_and_b32_e32 v14, v14, v15
	; wave barrier
	s_delay_alu instid0(VALU_DEP_1) | instskip(NEXT) | instid1(VALU_DEP_1)
	v_and_b32_e32 v13, v14, v13
	v_mbcnt_lo_u32_b32 v76, v13, 0
	v_cmp_ne_u32_e64 s8, 0, v13
	s_delay_alu instid0(VALU_DEP_2)
	v_cmp_eq_u32_e64 s7, 0, v76
	s_and_b32 s8, s8, s7
	s_wait_alu 0xfffe
	s_and_saveexec_b32 s7, s8
	s_cbranch_execz .LBB88_25
; %bb.24:
	s_wait_dscnt 0x0
	v_bcnt_u32_b32 v13, v13, v75
	ds_store_b32 v78, v13 offset:4
.LBB88_25:
	s_wait_alu 0xfffe
	s_or_b32 exec_lo, exec_lo, s7
	v_lshrrev_b32_e32 v77, 16, v48
	; wave barrier
	s_delay_alu instid0(VALU_DEP_1) | instskip(NEXT) | instid1(VALU_DEP_1)
	v_and_b32_e32 v13, s9, v77
	v_and_b32_e32 v14, 1, v13
	v_lshlrev_b32_e32 v15, 30, v13
	v_lshlrev_b32_e32 v16, 29, v13
	;; [unrolled: 1-line block ×4, first 2 shown]
	v_add_co_u32 v14, s7, v14, -1
	s_wait_alu 0xf1ff
	v_cndmask_b32_e64 v18, 0, 1, s7
	v_not_b32_e32 v81, v15
	v_cmp_gt_i32_e64 s8, 0, v15
	v_not_b32_e32 v15, v16
	v_lshlrev_b32_e32 v79, 26, v13
	v_cmp_ne_u32_e64 s7, 0, v18
	v_ashrrev_i32_e32 v81, 31, v81
	v_lshlrev_b32_e32 v80, 25, v13
	v_ashrrev_i32_e32 v15, 31, v15
	v_lshlrev_b32_e32 v18, 24, v13
	s_wait_alu 0xf1ff
	v_xor_b32_e32 v14, s7, v14
	v_cmp_gt_i32_e64 s7, 0, v16
	v_not_b32_e32 v16, v17
	v_xor_b32_e32 v81, s8, v81
	v_cmp_gt_i32_e64 s8, 0, v17
	v_and_b32_e32 v14, exec_lo, v14
	v_not_b32_e32 v17, v19
	v_ashrrev_i32_e32 v16, 31, v16
	s_wait_alu 0xf1ff
	v_xor_b32_e32 v15, s7, v15
	v_cmp_gt_i32_e64 s7, 0, v19
	v_and_b32_e32 v14, v14, v81
	v_not_b32_e32 v19, v79
	v_ashrrev_i32_e32 v17, 31, v17
	v_xor_b32_e32 v16, s8, v16
	v_cmp_gt_i32_e64 s8, 0, v79
	v_and_b32_e32 v14, v14, v15
	v_not_b32_e32 v15, v80
	v_ashrrev_i32_e32 v19, 31, v19
	s_wait_alu 0xf1ff
	v_xor_b32_e32 v17, s7, v17
	v_cmp_gt_i32_e64 s7, 0, v80
	v_and_b32_e32 v14, v14, v16
	v_not_b32_e32 v16, v18
	v_ashrrev_i32_e32 v15, 31, v15
	v_xor_b32_e32 v19, s8, v19
	v_and_b32_e32 v13, 0xff, v13
	v_and_b32_e32 v14, v14, v17
	v_cmp_gt_i32_e64 s8, 0, v18
	v_ashrrev_i32_e32 v16, 31, v16
	s_wait_alu 0xf1ff
	v_xor_b32_e32 v15, s7, v15
	v_lshl_add_u32 v82, v13, 2, v12
	v_and_b32_e32 v14, v14, v19
	v_xor_b32_e32 v13, s8, v16
	ds_load_b32 v79, v82 offset:4
	v_and_b32_e32 v14, v14, v15
	; wave barrier
	s_delay_alu instid0(VALU_DEP_1) | instskip(NEXT) | instid1(VALU_DEP_1)
	v_and_b32_e32 v13, v14, v13
	v_mbcnt_lo_u32_b32 v80, v13, 0
	v_cmp_ne_u32_e64 s8, 0, v13
	s_delay_alu instid0(VALU_DEP_2)
	v_cmp_eq_u32_e64 s7, 0, v80
	s_and_b32 s8, s8, s7
	s_wait_alu 0xfffe
	s_and_saveexec_b32 s7, s8
	s_cbranch_execz .LBB88_27
; %bb.26:
	s_wait_dscnt 0x0
	v_bcnt_u32_b32 v13, v13, v79
	ds_store_b32 v82, v13 offset:4
.LBB88_27:
	s_wait_alu 0xfffe
	s_or_b32 exec_lo, exec_lo, s7
	v_lshrrev_b32_e32 v81, 24, v48
	; wave barrier
	s_delay_alu instid0(VALU_DEP_1) | instskip(NEXT) | instid1(VALU_DEP_1)
	v_and_b32_e32 v13, s9, v81
	v_and_b32_e32 v14, 1, v13
	v_lshlrev_b32_e32 v15, 30, v13
	v_lshlrev_b32_e32 v16, 29, v13
	;; [unrolled: 1-line block ×4, first 2 shown]
	v_add_co_u32 v14, s7, v14, -1
	s_wait_alu 0xf1ff
	v_cndmask_b32_e64 v18, 0, 1, s7
	v_not_b32_e32 v85, v15
	v_cmp_gt_i32_e64 s8, 0, v15
	v_not_b32_e32 v15, v16
	v_lshlrev_b32_e32 v83, 26, v13
	v_cmp_ne_u32_e64 s7, 0, v18
	v_ashrrev_i32_e32 v85, 31, v85
	v_lshlrev_b32_e32 v84, 25, v13
	v_ashrrev_i32_e32 v15, 31, v15
	v_lshlrev_b32_e32 v18, 24, v13
	s_wait_alu 0xf1ff
	v_xor_b32_e32 v14, s7, v14
	v_cmp_gt_i32_e64 s7, 0, v16
	v_not_b32_e32 v16, v17
	v_xor_b32_e32 v85, s8, v85
	v_cmp_gt_i32_e64 s8, 0, v17
	v_and_b32_e32 v14, exec_lo, v14
	v_not_b32_e32 v17, v19
	v_ashrrev_i32_e32 v16, 31, v16
	s_wait_alu 0xf1ff
	v_xor_b32_e32 v15, s7, v15
	v_cmp_gt_i32_e64 s7, 0, v19
	v_and_b32_e32 v14, v14, v85
	v_not_b32_e32 v19, v83
	v_ashrrev_i32_e32 v17, 31, v17
	v_xor_b32_e32 v16, s8, v16
	v_cmp_gt_i32_e64 s8, 0, v83
	v_and_b32_e32 v14, v14, v15
	v_not_b32_e32 v15, v84
	v_ashrrev_i32_e32 v19, 31, v19
	s_wait_alu 0xf1ff
	v_xor_b32_e32 v17, s7, v17
	v_cmp_gt_i32_e64 s7, 0, v84
	v_and_b32_e32 v14, v14, v16
	v_not_b32_e32 v16, v18
	v_ashrrev_i32_e32 v15, 31, v15
	v_xor_b32_e32 v19, s8, v19
	v_cmp_gt_i32_e64 s8, 0, v18
	v_and_b32_e32 v14, v14, v17
	v_ashrrev_i32_e32 v16, 31, v16
	s_wait_alu 0xf1ff
	v_xor_b32_e32 v15, s7, v15
	v_lshl_add_u32 v85, v13, 2, v12
	v_and_b32_e32 v14, v14, v19
	v_xor_b32_e32 v12, s8, v16
	ds_load_b32 v83, v85 offset:4
	v_and_b32_e32 v13, v14, v15
	; wave barrier
	s_delay_alu instid0(VALU_DEP_1) | instskip(NEXT) | instid1(VALU_DEP_1)
	v_and_b32_e32 v12, v13, v12
	v_mbcnt_lo_u32_b32 v84, v12, 0
	v_cmp_ne_u32_e64 s8, 0, v12
	s_delay_alu instid0(VALU_DEP_2)
	v_cmp_eq_u32_e64 s7, 0, v84
	s_and_b32 s8, s8, s7
	s_wait_alu 0xfffe
	s_and_saveexec_b32 s7, s8
	s_cbranch_execz .LBB88_29
; %bb.28:
	s_wait_dscnt 0x0
	v_bcnt_u32_b32 v12, v12, v83
	ds_store_b32 v85, v12 offset:4
.LBB88_29:
	s_wait_alu 0xfffe
	s_or_b32 exec_lo, exec_lo, s7
	; wave barrier
	; wave barrier
	s_wait_loadcnt_dscnt 0x0
	global_inv scope:SCOPE_SE
	ds_load_2addr_b32 v[18:19], v32 offset0:1 offset1:2
	ds_load_2addr_b32 v[16:17], v32 offset0:3 offset1:4
	;; [unrolled: 1-line block ×4, first 2 shown]
	s_mov_b32 s8, 0
	s_mov_b32 s9, exec_lo
	s_wait_dscnt 0x3
	v_add_nc_u32_e32 v86, v19, v18
	s_wait_dscnt 0x2
	s_delay_alu instid0(VALU_DEP_1) | instskip(SKIP_1) | instid1(VALU_DEP_1)
	v_add3_u32 v86, v86, v16, v17
	s_wait_dscnt 0x1
	v_add3_u32 v86, v86, v14, v15
	s_wait_dscnt 0x0
	s_delay_alu instid0(VALU_DEP_1) | instskip(SKIP_1) | instid1(VALU_DEP_2)
	v_add3_u32 v13, v86, v12, v13
	v_and_b32_e32 v86, 15, v33
	v_mov_b32_dpp v87, v13 row_shr:1 row_mask:0xf bank_mask:0xf
	s_delay_alu instid0(VALU_DEP_2) | instskip(SKIP_1) | instid1(VALU_DEP_1)
	v_cmp_ne_u32_e64 s7, 0, v86
	s_wait_alu 0xf1ff
	v_cndmask_b32_e64 v87, 0, v87, s7
	v_cmp_lt_u32_e64 s7, 1, v86
	s_delay_alu instid0(VALU_DEP_2) | instskip(NEXT) | instid1(VALU_DEP_1)
	v_add_nc_u32_e32 v13, v87, v13
	v_mov_b32_dpp v87, v13 row_shr:2 row_mask:0xf bank_mask:0xf
	s_wait_alu 0xf1ff
	s_delay_alu instid0(VALU_DEP_1) | instskip(SKIP_1) | instid1(VALU_DEP_2)
	v_cndmask_b32_e64 v87, 0, v87, s7
	v_cmp_lt_u32_e64 s7, 3, v86
	v_add_nc_u32_e32 v13, v13, v87
	s_delay_alu instid0(VALU_DEP_1) | instskip(SKIP_1) | instid1(VALU_DEP_1)
	v_mov_b32_dpp v87, v13 row_shr:4 row_mask:0xf bank_mask:0xf
	s_wait_alu 0xf1ff
	v_cndmask_b32_e64 v87, 0, v87, s7
	v_cmp_lt_u32_e64 s7, 7, v86
	s_delay_alu instid0(VALU_DEP_2) | instskip(NEXT) | instid1(VALU_DEP_1)
	v_add_nc_u32_e32 v13, v13, v87
	v_mov_b32_dpp v87, v13 row_shr:8 row_mask:0xf bank_mask:0xf
	s_wait_alu 0xf1ff
	s_delay_alu instid0(VALU_DEP_1) | instskip(SKIP_1) | instid1(VALU_DEP_2)
	v_cndmask_b32_e64 v86, 0, v87, s7
	v_bfe_i32 v87, v33, 4, 1
	v_add_nc_u32_e32 v13, v13, v86
	ds_swizzle_b32 v86, v13 offset:swizzle(BROADCAST,32,15)
	s_wait_dscnt 0x0
	v_and_b32_e32 v86, v87, v86
	s_delay_alu instid0(VALU_DEP_1)
	v_add_nc_u32_e32 v13, v13, v86
	v_cmpx_eq_u32_e32 31, v11
; %bb.30:
	v_mov_b32_e32 v86, 0
	ds_store_b32 v86, v13
; %bb.31:
	s_wait_alu 0xfffe
	s_or_b32 exec_lo, exec_lo, s9
	v_sub_co_u32 v86, s9, v33, 1
	v_cndmask_b32_e64 v58, 0, v58, s6
	v_cndmask_b32_e64 v59, 0, v59, s6
	s_wait_loadcnt_dscnt 0x0
	s_delay_alu instid0(VALU_DEP_3)
	v_cmp_gt_i32_e64 s7, 0, v86
	; wave barrier
	global_inv scope:SCOPE_SE
	v_cndmask_b32_e64 v52, v58, v52, s5
	v_cndmask_b32_e64 v55, v59, v55, s5
	;; [unrolled: 1-line block ×3, first 2 shown]
	s_wait_alu 0xf1ff
	v_cndmask_b32_e64 v86, v86, v33, s7
	v_cmp_eq_u32_e64 s7, 0, v11
	v_cndmask_b32_e64 v44, v52, v44, s4
	v_cndmask_b32_e64 v45, v55, v45, s4
	;; [unrolled: 1-line block ×3, first 2 shown]
	v_lshlrev_b32_e32 v86, 2, v86
	s_or_b32 s7, s7, s9
	v_cndmask_b32_e64 v64, 0, v64, s6
	v_cndmask_b32_e64 v62, 0, v62, s6
	;; [unrolled: 1-line block ×3, first 2 shown]
	ds_bpermute_b32 v13, v86, v13
	v_cndmask_b32_e64 v66, 0, v66, s6
	s_wait_dscnt 0x0
	s_wait_alu 0xfffe
	v_cndmask_b32_e64 v13, v13, 0, s7
	s_delay_alu instid0(VALU_DEP_1) | instskip(NEXT) | instid1(VALU_DEP_1)
	v_add_nc_u32_e32 v18, v13, v18
	v_add_nc_u32_e32 v19, v18, v19
	s_delay_alu instid0(VALU_DEP_1) | instskip(NEXT) | instid1(VALU_DEP_1)
	v_add_nc_u32_e32 v16, v19, v16
	v_add_nc_u32_e32 v17, v16, v17
	;; [unrolled: 3-line block ×3, first 2 shown]
	s_delay_alu instid0(VALU_DEP_1)
	v_add_nc_u32_e32 v12, v15, v12
	ds_store_2addr_b32 v32, v13, v18 offset0:1 offset1:2
	ds_store_2addr_b32 v32, v19, v16 offset0:3 offset1:4
	;; [unrolled: 1-line block ×4, first 2 shown]
	; wave barrier
	s_wait_loadcnt_dscnt 0x0
	global_inv scope:SCOPE_SE
	ds_load_b32 v12, v74 offset:4
	ds_load_b32 v15, v78 offset:4
	;; [unrolled: 1-line block ×4, first 2 shown]
	v_cndmask_b32_e64 v13, v61, v51, s5
	v_cndmask_b32_e64 v14, v60, v50, s5
	;; [unrolled: 1-line block ×3, first 2 shown]
	; wave barrier
	s_wait_loadcnt_dscnt 0x0
	global_inv scope:SCOPE_SE
	v_cndmask_b32_e64 v49, v13, v49, s4
	v_cndmask_b32_e64 v47, v14, v47, s4
	v_dual_cndmask_b32 v14, v45, v42 :: v_dual_cndmask_b32 v13, v44, v40
	v_cndmask_b32_e64 v52, v16, v54, s4
	s_delay_alu instid0(VALU_DEP_4)
	v_cndmask_b32_e32 v16, v49, v46, vcc_lo
	v_cndmask_b32_e64 v19, v62, v56, s5
	v_cndmask_b32_e64 v50, v66, v71, s5
	;; [unrolled: 1-line block ×3, first 2 shown]
	v_add_nc_u32_e32 v42, v12, v72
	v_add3_u32 v44, v76, v75, v15
	v_add3_u32 v45, v80, v79, v17
	;; [unrolled: 1-line block ×3, first 2 shown]
	ds_store_b8 v42, v48
	ds_store_b8 v44, v73
	;; [unrolled: 1-line block ×4, first 2 shown]
	; wave barrier
	s_wait_loadcnt_dscnt 0x0
	global_inv scope:SCOPE_SE
	ds_load_b32 v12, v27
	v_cndmask_b32_e64 v19, v19, v53, s4
	v_cndmask_b32_e64 v40, v50, v70, s4
	;; [unrolled: 1-line block ×3, first 2 shown]
	v_cndmask_b32_e32 v18, v52, v43, vcc_lo
	v_cndmask_b32_e32 v15, v47, v39, vcc_lo
	;; [unrolled: 1-line block ×3, first 2 shown]
	v_lshlrev_b32_e32 v19, 3, v42
	v_lshlrev_b32_e32 v41, 3, v44
	;; [unrolled: 1-line block ×3, first 2 shown]
	v_cndmask_b32_e32 v40, v40, v69, vcc_lo
	v_cndmask_b32_e32 v39, v48, v67, vcc_lo
	v_lshlrev_b32_e32 v43, 3, v46
	; wave barrier
	s_wait_loadcnt_dscnt 0x0
	global_inv scope:SCOPE_SE
	ds_store_b64 v19, v[13:14]
	ds_store_b64 v41, v[15:16]
	ds_store_b64 v42, v[17:18]
	ds_store_b64 v43, v[39:40]
	; wave barrier
	s_wait_loadcnt_dscnt 0x0
	global_inv scope:SCOPE_SE
	s_and_b32 vcc_lo, exec_lo, s8
	s_wait_alu 0xfffe
	s_cbranch_vccnz .LBB88_33
	s_branch .LBB88_44
.LBB88_32:
                                        ; implicit-def: $vgpr12
	s_cbranch_execz .LBB88_44
.LBB88_33:
	v_xor_b32_e32 v12, -1, v35
	v_xor_b32_e32 v13, -1, v38
	v_and_b32_e32 v55, 28, v33
	v_xor_b32_e32 v14, -1, v37
	v_and_b32_e32 v19, 3, v33
	v_and_b32_e32 v12, 0xff, v12
	v_and_b32_e32 v13, 0xff, v13
	v_xor_b32_e32 v18, -1, v36
	s_getpc_b64 s[8:9]
	s_wait_alu 0xfffe
	s_sext_i32_i16 s9, s9
	s_add_co_u32 s8, s8, _ZN7rocprim17ROCPRIM_400000_NS16block_radix_sortIhLj32ELj4ElLj1ELj1ELj0ELNS0_26block_radix_rank_algorithmE1ELNS0_18block_padding_hintE2ELNS0_4arch9wavefront6targetE0EE19radix_bits_per_passE@rel32@lo+12
	s_wait_alu 0xfffe
	s_add_co_ci_u32 s9, s9, _ZN7rocprim17ROCPRIM_400000_NS16block_radix_sortIhLj32ELj4ElLj1ELj1ELj0ELNS0_26block_radix_rank_algorithmE1ELNS0_18block_padding_hintE2ELNS0_4arch9wavefront6targetE0EE19radix_bits_per_passE@rel32@hi+24
	v_cmp_eq_u32_e32 vcc_lo, 3, v19
	ds_bpermute_b32 v15, v55, v12
	v_and_b32_e32 v14, 0xff, v14
	ds_bpermute_b32 v16, v55, v13
	v_and_b32_e32 v18, 0xff, v18
	v_cmp_eq_u32_e64 s6, 0, v19
	v_cmp_eq_u32_e64 s5, 1, v19
	ds_bpermute_b32 v17, v55, v14
	ds_bpermute_b32 v36, v55, v12 offset:32
	ds_bpermute_b32 v35, v55, v18
	v_cmp_eq_u32_e64 s4, 2, v19
	s_load_b32 s8, s[8:9], 0x0
	; wave barrier
	s_wait_loadcnt_dscnt 0x0
	global_inv scope:SCOPE_SE
	s_load_b32 s7, s[18:19], 0xc
	ds_bpermute_b32 v47, v55, v5
	ds_bpermute_b32 v49, v55, v5 offset:32
	ds_bpermute_b32 v51, v55, v5 offset:64
	;; [unrolled: 1-line block ×3, first 2 shown]
	ds_bpermute_b32 v48, v55, v6
	ds_bpermute_b32 v50, v55, v6 offset:32
	v_and_b32_e32 v15, 0xff, v15
	ds_bpermute_b32 v52, v55, v6 offset:64
	v_and_b32_e32 v16, 0xff, v16
	ds_bpermute_b32 v54, v55, v6 offset:96
	ds_bpermute_b32 v37, v55, v7
	v_cndmask_b32_e64 v15, 0, v15, s6
	v_and_b32_e32 v17, 0xff, v17
	ds_bpermute_b32 v42, v55, v7 offset:32
	ds_bpermute_b32 v45, v55, v7 offset:64
	;; [unrolled: 1-line block ×3, first 2 shown]
	v_cndmask_b32_e64 v15, v15, v16, s5
	s_wait_kmcnt 0x0
	s_min_u32 s8, s8, 8
	ds_bpermute_b32 v38, v55, v8
	s_wait_alu 0xfffe
	s_lshl_b32 s8, -1, s8
	s_and_b32 s11, s7, 0xffff
	v_cndmask_b32_e64 v15, v15, v17, s4
	v_lshlrev_b16 v17, 8, v36
	s_wait_alu 0xfffe
	s_not_b32 s9, s8
	s_lshr_b32 s8, s7, 16
	ds_bpermute_b32 v36, v55, v2
	v_perm_b32 v16, v35, v15, 0x3020104
	s_wait_alu 0xfffe
	v_mad_u32_u24 v0, v0, s8, v34
	ds_bpermute_b32 v35, v55, v4
	ds_bpermute_b32 v43, v55, v8 offset:32
	ds_bpermute_b32 v40, v55, v2 offset:32
	v_cndmask_b32_e32 v15, v15, v16, vcc_lo
	ds_bpermute_b32 v16, v55, v13 offset:32
	ds_bpermute_b32 v46, v55, v8 offset:64
	v_and_b32_e32 v19, 0xff, v15
	s_delay_alu instid0(VALU_DEP_1) | instskip(SKIP_2) | instid1(VALU_DEP_1)
	v_or_b32_e32 v17, v19, v17
	ds_bpermute_b32 v19, v55, v14 offset:32
	v_and_b32_e32 v17, 0xffff, v17
	v_cndmask_b32_e64 v15, v15, v17, s6
	s_wait_dscnt 0x2
	v_lshlrev_b16 v16, 8, v16
	s_delay_alu instid0(VALU_DEP_2) | instskip(NEXT) | instid1(VALU_DEP_1)
	v_and_b32_e32 v17, 0xff, v15
	v_or_b32_e32 v16, v17, v16
	s_delay_alu instid0(VALU_DEP_1) | instskip(NEXT) | instid1(VALU_DEP_1)
	v_and_b32_e32 v16, 0xffff, v16
	v_and_or_b32 v16, 0xffff0000, v15, v16
	s_delay_alu instid0(VALU_DEP_1) | instskip(SKIP_4) | instid1(VALU_DEP_1)
	v_cndmask_b32_e64 v15, v15, v16, s5
	s_wait_dscnt 0x0
	v_lshlrev_b16 v16, 8, v19
	ds_bpermute_b32 v19, v55, v18 offset:32
	v_and_b32_e32 v17, 0xff, v15
	v_or_b32_e32 v16, v17, v16
	s_delay_alu instid0(VALU_DEP_1) | instskip(NEXT) | instid1(VALU_DEP_1)
	v_and_b32_e32 v16, 0xffff, v16
	v_and_or_b32 v16, 0xffff0000, v15, v16
	s_delay_alu instid0(VALU_DEP_1)
	v_cndmask_b32_e64 v15, v15, v16, s4
	s_wait_dscnt 0x0
	v_lshlrev_b16 v16, 8, v19
	ds_bpermute_b32 v19, v55, v12 offset:64
	ds_bpermute_b32 v12, v55, v12 offset:96
	v_and_b32_e32 v17, 0xff, v15
	s_delay_alu instid0(VALU_DEP_1) | instskip(NEXT) | instid1(VALU_DEP_1)
	v_or_b32_e32 v16, v17, v16
	v_and_b32_e32 v16, 0xffff, v16
	s_delay_alu instid0(VALU_DEP_1) | instskip(SKIP_2) | instid1(VALU_DEP_2)
	v_and_or_b32 v16, 0xffff0000, v15, v16
	s_wait_dscnt 0x0
	v_lshlrev_b16 v12, 8, v12
	v_cndmask_b32_e32 v15, v15, v16, vcc_lo
	ds_bpermute_b32 v16, v55, v13 offset:64
	ds_bpermute_b32 v13, v55, v13 offset:96
	v_perm_b32 v17, v19, v15, 0xc0c0304
	ds_bpermute_b32 v19, v55, v1
	v_lshlrev_b32_e32 v17, 16, v17
	s_delay_alu instid0(VALU_DEP_1) | instskip(NEXT) | instid1(VALU_DEP_1)
	v_and_or_b32 v17, 0xffff, v15, v17
	v_cndmask_b32_e64 v15, v15, v17, s6
	ds_bpermute_b32 v17, v55, v14 offset:64
	s_wait_dscnt 0x2
	v_lshlrev_b16 v13, 8, v13
	ds_bpermute_b32 v14, v55, v14 offset:96
	v_perm_b32 v16, v16, v15, 0xc0c0304
	s_delay_alu instid0(VALU_DEP_1) | instskip(NEXT) | instid1(VALU_DEP_1)
	v_lshlrev_b32_e32 v16, 16, v16
	v_and_or_b32 v16, 0xffff, v15, v16
	s_delay_alu instid0(VALU_DEP_1) | instskip(SKIP_4) | instid1(VALU_DEP_1)
	v_cndmask_b32_e64 v15, v15, v16, s5
	ds_bpermute_b32 v16, v55, v18 offset:64
	s_wait_dscnt 0x1
	v_lshlrev_b16 v14, 8, v14
	v_perm_b32 v17, v17, v15, 0xc0c0304
	v_lshlrev_b32_e32 v17, 16, v17
	s_delay_alu instid0(VALU_DEP_1) | instskip(NEXT) | instid1(VALU_DEP_1)
	v_and_or_b32 v17, 0xffff, v15, v17
	v_cndmask_b32_e64 v15, v15, v17, s4
	ds_bpermute_b32 v17, v55, v2 offset:64
	s_wait_dscnt 0x1
	v_perm_b32 v16, v16, v15, 0xc0c0304
	s_delay_alu instid0(VALU_DEP_1) | instskip(NEXT) | instid1(VALU_DEP_1)
	v_lshlrev_b32_e32 v16, 16, v16
	v_and_or_b32 v16, 0xffff, v15, v16
	s_delay_alu instid0(VALU_DEP_1) | instskip(NEXT) | instid1(VALU_DEP_1)
	v_cndmask_b32_e32 v15, v15, v16, vcc_lo
	v_lshrrev_b32_e32 v16, 16, v15
	s_delay_alu instid0(VALU_DEP_1) | instskip(NEXT) | instid1(VALU_DEP_1)
	v_and_b32_e32 v16, 0xff, v16
	v_or_b32_e32 v12, v16, v12
	ds_bpermute_b32 v16, v55, v4 offset:64
	v_lshlrev_b32_e32 v12, 16, v12
	s_delay_alu instid0(VALU_DEP_1) | instskip(NEXT) | instid1(VALU_DEP_1)
	v_and_or_b32 v12, 0xffff, v15, v12
	v_cndmask_b32_e64 v12, v15, v12, s6
	s_delay_alu instid0(VALU_DEP_1) | instskip(NEXT) | instid1(VALU_DEP_1)
	v_lshrrev_b32_e32 v15, 16, v12
	v_and_b32_e32 v15, 0xff, v15
	s_delay_alu instid0(VALU_DEP_1) | instskip(SKIP_2) | instid1(VALU_DEP_1)
	v_or_b32_e32 v13, v15, v13
	ds_bpermute_b32 v15, v55, v1 offset:64
	v_lshlrev_b32_e32 v13, 16, v13
	v_and_or_b32 v13, 0xffff, v12, v13
	s_delay_alu instid0(VALU_DEP_1) | instskip(NEXT) | instid1(VALU_DEP_1)
	v_cndmask_b32_e64 v12, v12, v13, s5
	v_lshrrev_b32_e32 v13, 16, v12
	s_delay_alu instid0(VALU_DEP_1) | instskip(NEXT) | instid1(VALU_DEP_1)
	v_and_b32_e32 v13, 0xff, v13
	v_or_b32_e32 v13, v13, v14
	ds_bpermute_b32 v14, v55, v18 offset:96
	ds_bpermute_b32 v18, v55, v3
	v_lshlrev_b32_e32 v13, 16, v13
	s_delay_alu instid0(VALU_DEP_1) | instskip(NEXT) | instid1(VALU_DEP_1)
	v_and_or_b32 v13, 0xffff, v12, v13
	v_cndmask_b32_e64 v41, v12, v13, s4
	s_delay_alu instid0(VALU_DEP_1) | instskip(SKIP_2) | instid1(VALU_DEP_2)
	v_lshrrev_b32_e32 v12, 16, v41
	s_wait_dscnt 0x1
	v_lshlrev_b16 v13, 8, v14
	v_and_b32_e32 v12, 0xff, v12
	s_delay_alu instid0(VALU_DEP_1) | instskip(SKIP_3) | instid1(VALU_DEP_1)
	v_or_b32_e32 v14, v12, v13
	ds_bpermute_b32 v12, v55, v3 offset:32
	ds_bpermute_b32 v13, v55, v4 offset:32
	v_lshlrev_b32_e32 v14, 16, v14
	v_and_or_b32 v44, 0xffff, v41, v14
	ds_bpermute_b32 v14, v55, v3 offset:64
	v_cndmask_b32_e32 v41, v41, v44, vcc_lo
	ds_bpermute_b32 v44, v55, v7 offset:96
	v_and_b32_e32 v58, s9, v41
	s_delay_alu instid0(VALU_DEP_1)
	v_and_b32_e32 v5, 1, v58
	v_lshlrev_b32_e32 v6, 30, v58
	v_lshlrev_b32_e32 v7, 29, v58
	;; [unrolled: 1-line block ×4, first 2 shown]
	v_add_co_u32 v5, s7, v5, -1
	s_wait_alu 0xf1ff
	v_cndmask_b32_e64 v56, 0, 1, s7
	v_not_b32_e32 v61, v6
	v_cmp_gt_i32_e64 s8, 0, v6
	v_not_b32_e32 v6, v7
	v_lshlrev_b32_e32 v59, 26, v58
	v_cmp_ne_u32_e64 s7, 0, v56
	v_ashrrev_i32_e32 v61, 31, v61
	v_lshlrev_b32_e32 v60, 25, v58
	v_ashrrev_i32_e32 v6, 31, v6
	v_lshlrev_b32_e32 v56, 24, v58
	s_wait_alu 0xf1ff
	v_xor_b32_e32 v5, s7, v5
	v_cmp_gt_i32_e64 s7, 0, v7
	v_not_b32_e32 v7, v34
	v_xor_b32_e32 v61, s8, v61
	v_cmp_gt_i32_e64 s8, 0, v34
	v_and_b32_e32 v5, exec_lo, v5
	v_not_b32_e32 v34, v57
	v_ashrrev_i32_e32 v7, 31, v7
	s_wait_alu 0xf1ff
	v_xor_b32_e32 v6, s7, v6
	v_cmp_gt_i32_e64 s7, 0, v57
	v_and_b32_e32 v5, v5, v61
	v_not_b32_e32 v57, v59
	v_ashrrev_i32_e32 v34, 31, v34
	v_xor_b32_e32 v7, s8, v7
	v_cmp_gt_i32_e64 s8, 0, v59
	v_and_b32_e32 v5, v5, v6
	v_not_b32_e32 v6, v60
	v_ashrrev_i32_e32 v57, 31, v57
	s_wait_alu 0xf1ff
	v_xor_b32_e32 v34, s7, v34
	v_cmp_gt_i32_e64 s7, 0, v60
	v_and_b32_e32 v5, v5, v7
	v_not_b32_e32 v7, v56
	v_ashrrev_i32_e32 v59, 31, v6
	v_xor_b32_e32 v57, s8, v57
	v_cmp_gt_i32_e64 s8, 0, v56
	v_and_b32_e32 v34, v5, v34
	s_wait_dscnt 0x3
	v_mad_co_u64_u32 v[5:6], null, v0, s11, v[11:12]
	v_ashrrev_i32_e32 v0, 31, v7
	s_wait_alu 0xf1ff
	v_xor_b32_e32 v6, s7, v59
	v_and_b32_e32 v7, v34, v57
	ds_bpermute_b32 v34, v55, v1 offset:96
	ds_bpermute_b32 v57, v55, v8 offset:96
	v_xor_b32_e32 v0, s8, v0
	ds_bpermute_b32 v56, v55, v2 offset:96
	v_and_b32_e32 v1, v7, v6
	ds_bpermute_b32 v8, v55, v3 offset:96
	ds_bpermute_b32 v55, v55, v4 offset:96
	v_lshrrev_b32_e32 v2, 3, v5
	v_mov_b32_e32 v3, 0
	v_and_b32_e32 v1, v1, v0
	ds_store_2addr_b32 v32, v3, v3 offset0:1 offset1:2
	ds_store_2addr_b32 v32, v3, v3 offset0:3 offset1:4
	;; [unrolled: 1-line block ×4, first 2 shown]
	v_and_b32_e32 v0, 0x1ffffffc, v2
	v_and_b32_e32 v2, 0xff, v58
	v_mbcnt_lo_u32_b32 v58, v1, 0
	v_cmp_ne_u32_e64 s8, 0, v1
	; wave barrier
	s_wait_loadcnt_dscnt 0x0
	global_inv scope:SCOPE_SE
	v_lshl_add_u32 v60, v2, 2, v0
	v_cmp_eq_u32_e64 s7, 0, v58
	; wave barrier
	s_and_b32 s8, s8, s7
	s_wait_alu 0xfffe
	s_and_saveexec_b32 s7, s8
; %bb.34:
	v_bcnt_u32_b32 v1, v1, 0
	ds_store_b32 v60, v1 offset:4
; %bb.35:
	s_wait_alu 0xfffe
	s_or_b32 exec_lo, exec_lo, s7
	v_lshrrev_b32_e32 v59, 8, v41
	; wave barrier
	s_delay_alu instid0(VALU_DEP_1) | instskip(NEXT) | instid1(VALU_DEP_1)
	v_and_b32_e32 v1, s9, v59
	v_and_b32_e32 v2, 1, v1
	v_lshlrev_b32_e32 v3, 30, v1
	v_lshlrev_b32_e32 v4, 29, v1
	;; [unrolled: 1-line block ×4, first 2 shown]
	v_add_co_u32 v2, s7, v2, -1
	s_wait_alu 0xf1ff
	v_cndmask_b32_e64 v6, 0, 1, s7
	v_not_b32_e32 v63, v3
	v_cmp_gt_i32_e64 s8, 0, v3
	v_not_b32_e32 v3, v4
	v_lshlrev_b32_e32 v61, 26, v1
	v_cmp_ne_u32_e64 s7, 0, v6
	v_ashrrev_i32_e32 v63, 31, v63
	v_lshlrev_b32_e32 v62, 25, v1
	v_ashrrev_i32_e32 v3, 31, v3
	v_lshlrev_b32_e32 v6, 24, v1
	s_wait_alu 0xf1ff
	v_xor_b32_e32 v2, s7, v2
	v_cmp_gt_i32_e64 s7, 0, v4
	v_not_b32_e32 v4, v5
	v_xor_b32_e32 v63, s8, v63
	v_cmp_gt_i32_e64 s8, 0, v5
	v_and_b32_e32 v2, exec_lo, v2
	v_not_b32_e32 v5, v7
	v_ashrrev_i32_e32 v4, 31, v4
	s_wait_alu 0xf1ff
	v_xor_b32_e32 v3, s7, v3
	v_cmp_gt_i32_e64 s7, 0, v7
	v_and_b32_e32 v2, v2, v63
	v_not_b32_e32 v7, v61
	v_ashrrev_i32_e32 v5, 31, v5
	v_xor_b32_e32 v4, s8, v4
	v_cmp_gt_i32_e64 s8, 0, v61
	v_and_b32_e32 v2, v2, v3
	v_not_b32_e32 v3, v62
	v_ashrrev_i32_e32 v7, 31, v7
	s_wait_alu 0xf1ff
	v_xor_b32_e32 v5, s7, v5
	v_cmp_gt_i32_e64 s7, 0, v62
	v_and_b32_e32 v2, v2, v4
	v_not_b32_e32 v4, v6
	v_ashrrev_i32_e32 v3, 31, v3
	v_xor_b32_e32 v7, s8, v7
	v_and_b32_e32 v1, 0xff, v1
	v_and_b32_e32 v2, v2, v5
	v_cmp_gt_i32_e64 s8, 0, v6
	v_ashrrev_i32_e32 v4, 31, v4
	s_wait_alu 0xf1ff
	v_xor_b32_e32 v3, s7, v3
	v_lshl_add_u32 v64, v1, 2, v0
	v_and_b32_e32 v2, v2, v7
	v_xor_b32_e32 v1, s8, v4
	ds_load_b32 v61, v64 offset:4
	v_and_b32_e32 v2, v2, v3
	; wave barrier
	s_delay_alu instid0(VALU_DEP_1) | instskip(NEXT) | instid1(VALU_DEP_1)
	v_and_b32_e32 v1, v2, v1
	v_mbcnt_lo_u32_b32 v62, v1, 0
	v_cmp_ne_u32_e64 s8, 0, v1
	s_delay_alu instid0(VALU_DEP_2)
	v_cmp_eq_u32_e64 s7, 0, v62
	s_and_b32 s8, s8, s7
	s_wait_alu 0xfffe
	s_and_saveexec_b32 s7, s8
	s_cbranch_execz .LBB88_37
; %bb.36:
	s_wait_dscnt 0x0
	v_bcnt_u32_b32 v1, v1, v61
	ds_store_b32 v64, v1 offset:4
.LBB88_37:
	s_wait_alu 0xfffe
	s_or_b32 exec_lo, exec_lo, s7
	v_lshrrev_b32_e32 v63, 16, v41
	; wave barrier
	s_delay_alu instid0(VALU_DEP_1) | instskip(NEXT) | instid1(VALU_DEP_1)
	v_and_b32_e32 v1, s9, v63
	v_and_b32_e32 v2, 1, v1
	v_lshlrev_b32_e32 v3, 30, v1
	v_lshlrev_b32_e32 v4, 29, v1
	;; [unrolled: 1-line block ×4, first 2 shown]
	v_add_co_u32 v2, s7, v2, -1
	s_wait_alu 0xf1ff
	v_cndmask_b32_e64 v6, 0, 1, s7
	v_not_b32_e32 v67, v3
	v_cmp_gt_i32_e64 s8, 0, v3
	v_not_b32_e32 v3, v4
	v_lshlrev_b32_e32 v65, 26, v1
	v_cmp_ne_u32_e64 s7, 0, v6
	v_ashrrev_i32_e32 v67, 31, v67
	v_lshlrev_b32_e32 v66, 25, v1
	v_ashrrev_i32_e32 v3, 31, v3
	v_lshlrev_b32_e32 v6, 24, v1
	s_wait_alu 0xf1ff
	v_xor_b32_e32 v2, s7, v2
	v_cmp_gt_i32_e64 s7, 0, v4
	v_not_b32_e32 v4, v5
	v_xor_b32_e32 v67, s8, v67
	v_cmp_gt_i32_e64 s8, 0, v5
	v_and_b32_e32 v2, exec_lo, v2
	v_not_b32_e32 v5, v7
	v_ashrrev_i32_e32 v4, 31, v4
	s_wait_alu 0xf1ff
	v_xor_b32_e32 v3, s7, v3
	v_cmp_gt_i32_e64 s7, 0, v7
	v_and_b32_e32 v2, v2, v67
	v_not_b32_e32 v7, v65
	v_ashrrev_i32_e32 v5, 31, v5
	v_xor_b32_e32 v4, s8, v4
	v_cmp_gt_i32_e64 s8, 0, v65
	v_and_b32_e32 v2, v2, v3
	v_not_b32_e32 v3, v66
	v_ashrrev_i32_e32 v7, 31, v7
	s_wait_alu 0xf1ff
	v_xor_b32_e32 v5, s7, v5
	v_cmp_gt_i32_e64 s7, 0, v66
	v_and_b32_e32 v2, v2, v4
	v_not_b32_e32 v4, v6
	v_ashrrev_i32_e32 v3, 31, v3
	v_xor_b32_e32 v7, s8, v7
	v_and_b32_e32 v1, 0xff, v1
	v_and_b32_e32 v2, v2, v5
	v_cmp_gt_i32_e64 s8, 0, v6
	v_ashrrev_i32_e32 v4, 31, v4
	s_wait_alu 0xf1ff
	v_xor_b32_e32 v3, s7, v3
	v_lshl_add_u32 v68, v1, 2, v0
	v_and_b32_e32 v2, v2, v7
	v_xor_b32_e32 v1, s8, v4
	ds_load_b32 v65, v68 offset:4
	v_and_b32_e32 v2, v2, v3
	; wave barrier
	s_delay_alu instid0(VALU_DEP_1) | instskip(NEXT) | instid1(VALU_DEP_1)
	v_and_b32_e32 v1, v2, v1
	v_mbcnt_lo_u32_b32 v66, v1, 0
	v_cmp_ne_u32_e64 s8, 0, v1
	s_delay_alu instid0(VALU_DEP_2)
	v_cmp_eq_u32_e64 s7, 0, v66
	s_and_b32 s8, s8, s7
	s_wait_alu 0xfffe
	s_and_saveexec_b32 s7, s8
	s_cbranch_execz .LBB88_39
; %bb.38:
	s_wait_dscnt 0x0
	v_bcnt_u32_b32 v1, v1, v65
	ds_store_b32 v68, v1 offset:4
.LBB88_39:
	s_wait_alu 0xfffe
	s_or_b32 exec_lo, exec_lo, s7
	v_lshrrev_b32_e32 v67, 24, v41
	; wave barrier
	s_delay_alu instid0(VALU_DEP_1) | instskip(NEXT) | instid1(VALU_DEP_1)
	v_and_b32_e32 v1, s9, v67
	v_and_b32_e32 v2, 1, v1
	v_lshlrev_b32_e32 v3, 30, v1
	v_lshlrev_b32_e32 v4, 29, v1
	;; [unrolled: 1-line block ×4, first 2 shown]
	v_add_co_u32 v2, s7, v2, -1
	s_wait_alu 0xf1ff
	v_cndmask_b32_e64 v6, 0, 1, s7
	v_not_b32_e32 v71, v3
	v_cmp_gt_i32_e64 s8, 0, v3
	v_not_b32_e32 v3, v4
	v_lshlrev_b32_e32 v69, 26, v1
	v_cmp_ne_u32_e64 s7, 0, v6
	v_ashrrev_i32_e32 v71, 31, v71
	v_lshlrev_b32_e32 v70, 25, v1
	v_ashrrev_i32_e32 v3, 31, v3
	v_lshlrev_b32_e32 v6, 24, v1
	s_wait_alu 0xf1ff
	v_xor_b32_e32 v2, s7, v2
	v_cmp_gt_i32_e64 s7, 0, v4
	v_not_b32_e32 v4, v5
	v_xor_b32_e32 v71, s8, v71
	v_cmp_gt_i32_e64 s8, 0, v5
	v_and_b32_e32 v2, exec_lo, v2
	v_not_b32_e32 v5, v7
	v_ashrrev_i32_e32 v4, 31, v4
	s_wait_alu 0xf1ff
	v_xor_b32_e32 v3, s7, v3
	v_cmp_gt_i32_e64 s7, 0, v7
	v_and_b32_e32 v2, v2, v71
	v_not_b32_e32 v7, v69
	v_ashrrev_i32_e32 v5, 31, v5
	v_xor_b32_e32 v4, s8, v4
	v_cmp_gt_i32_e64 s8, 0, v69
	v_and_b32_e32 v2, v2, v3
	v_not_b32_e32 v3, v70
	v_ashrrev_i32_e32 v7, 31, v7
	s_wait_alu 0xf1ff
	v_xor_b32_e32 v5, s7, v5
	v_cmp_gt_i32_e64 s7, 0, v70
	v_and_b32_e32 v2, v2, v4
	v_not_b32_e32 v4, v6
	v_ashrrev_i32_e32 v3, 31, v3
	v_xor_b32_e32 v7, s8, v7
	v_cmp_gt_i32_e64 s8, 0, v6
	v_and_b32_e32 v2, v2, v5
	v_ashrrev_i32_e32 v4, 31, v4
	s_wait_alu 0xf1ff
	v_xor_b32_e32 v3, s7, v3
	v_lshl_add_u32 v71, v1, 2, v0
	v_and_b32_e32 v2, v2, v7
	v_xor_b32_e32 v0, s8, v4
	ds_load_b32 v69, v71 offset:4
	v_and_b32_e32 v1, v2, v3
	; wave barrier
	s_delay_alu instid0(VALU_DEP_1) | instskip(NEXT) | instid1(VALU_DEP_1)
	v_and_b32_e32 v0, v1, v0
	v_mbcnt_lo_u32_b32 v70, v0, 0
	v_cmp_ne_u32_e64 s8, 0, v0
	s_delay_alu instid0(VALU_DEP_2)
	v_cmp_eq_u32_e64 s7, 0, v70
	s_and_b32 s8, s8, s7
	s_wait_alu 0xfffe
	s_and_saveexec_b32 s7, s8
	s_cbranch_execz .LBB88_41
; %bb.40:
	s_wait_dscnt 0x0
	v_bcnt_u32_b32 v0, v0, v69
	ds_store_b32 v71, v0 offset:4
.LBB88_41:
	s_wait_alu 0xfffe
	s_or_b32 exec_lo, exec_lo, s7
	; wave barrier
	; wave barrier
	s_wait_loadcnt_dscnt 0x0
	global_inv scope:SCOPE_SE
	ds_load_2addr_b32 v[6:7], v32 offset0:1 offset1:2
	ds_load_2addr_b32 v[4:5], v32 offset0:3 offset1:4
	;; [unrolled: 1-line block ×4, first 2 shown]
	s_mov_b32 s8, exec_lo
	s_wait_dscnt 0x3
	v_add_nc_u32_e32 v72, v7, v6
	s_wait_dscnt 0x2
	s_delay_alu instid0(VALU_DEP_1) | instskip(SKIP_1) | instid1(VALU_DEP_1)
	v_add3_u32 v72, v72, v4, v5
	s_wait_dscnt 0x1
	v_add3_u32 v72, v72, v2, v3
	s_wait_dscnt 0x0
	s_delay_alu instid0(VALU_DEP_1) | instskip(SKIP_1) | instid1(VALU_DEP_2)
	v_add3_u32 v1, v72, v0, v1
	v_and_b32_e32 v72, 15, v33
	v_mov_b32_dpp v73, v1 row_shr:1 row_mask:0xf bank_mask:0xf
	s_delay_alu instid0(VALU_DEP_2) | instskip(SKIP_1) | instid1(VALU_DEP_1)
	v_cmp_ne_u32_e64 s7, 0, v72
	s_wait_alu 0xf1ff
	v_cndmask_b32_e64 v73, 0, v73, s7
	v_cmp_lt_u32_e64 s7, 1, v72
	s_delay_alu instid0(VALU_DEP_2) | instskip(NEXT) | instid1(VALU_DEP_1)
	v_add_nc_u32_e32 v1, v73, v1
	v_mov_b32_dpp v73, v1 row_shr:2 row_mask:0xf bank_mask:0xf
	s_wait_alu 0xf1ff
	s_delay_alu instid0(VALU_DEP_1) | instskip(SKIP_1) | instid1(VALU_DEP_2)
	v_cndmask_b32_e64 v73, 0, v73, s7
	v_cmp_lt_u32_e64 s7, 3, v72
	v_add_nc_u32_e32 v1, v1, v73
	s_delay_alu instid0(VALU_DEP_1) | instskip(SKIP_1) | instid1(VALU_DEP_1)
	v_mov_b32_dpp v73, v1 row_shr:4 row_mask:0xf bank_mask:0xf
	s_wait_alu 0xf1ff
	v_cndmask_b32_e64 v73, 0, v73, s7
	v_cmp_lt_u32_e64 s7, 7, v72
	s_delay_alu instid0(VALU_DEP_2) | instskip(NEXT) | instid1(VALU_DEP_1)
	v_add_nc_u32_e32 v1, v1, v73
	v_mov_b32_dpp v73, v1 row_shr:8 row_mask:0xf bank_mask:0xf
	s_wait_alu 0xf1ff
	s_delay_alu instid0(VALU_DEP_1) | instskip(SKIP_1) | instid1(VALU_DEP_2)
	v_cndmask_b32_e64 v72, 0, v73, s7
	v_bfe_i32 v73, v33, 4, 1
	v_add_nc_u32_e32 v1, v1, v72
	ds_swizzle_b32 v72, v1 offset:swizzle(BROADCAST,32,15)
	s_wait_dscnt 0x0
	v_and_b32_e32 v72, v73, v72
	s_delay_alu instid0(VALU_DEP_1)
	v_add_nc_u32_e32 v1, v1, v72
	v_cmpx_eq_u32_e32 31, v11
; %bb.42:
	v_mov_b32_e32 v72, 0
	ds_store_b32 v72, v1
; %bb.43:
	s_wait_alu 0xfffe
	s_or_b32 exec_lo, exec_lo, s8
	v_sub_co_u32 v72, s8, v33, 1
	; wave barrier
	s_wait_loadcnt_dscnt 0x0
	global_inv scope:SCOPE_SE
	v_cmp_gt_i32_e64 s7, 0, v72
	s_wait_alu 0xf1ff
	s_delay_alu instid0(VALU_DEP_1)
	v_cndmask_b32_e64 v33, v72, v33, s7
	v_cmp_eq_u32_e64 s7, 0, v11
	v_cndmask_b32_e64 v11, 0, v47, s6
	v_cndmask_b32_e64 v47, 0, v49, s6
	;; [unrolled: 1-line block ×3, first 2 shown]
	v_lshlrev_b32_e32 v33, 2, v33
	s_or_b32 s7, s7, s8
	ds_bpermute_b32 v1, v33, v1
	v_cndmask_b32_e64 v33, 0, v48, s6
	v_cndmask_b32_e64 v48, 0, v50, s6
	;; [unrolled: 1-line block ×3, first 2 shown]
	s_wait_dscnt 0x0
	s_wait_alu 0xfffe
	v_cndmask_b32_e64 v1, v1, 0, s7
	s_delay_alu instid0(VALU_DEP_1) | instskip(NEXT) | instid1(VALU_DEP_1)
	v_add_nc_u32_e32 v6, v1, v6
	v_add_nc_u32_e32 v7, v6, v7
	s_delay_alu instid0(VALU_DEP_1) | instskip(NEXT) | instid1(VALU_DEP_1)
	v_add_nc_u32_e32 v4, v7, v4
	v_add_nc_u32_e32 v5, v4, v5
	;; [unrolled: 3-line block ×3, first 2 shown]
	s_delay_alu instid0(VALU_DEP_1)
	v_add_nc_u32_e32 v0, v3, v0
	ds_store_2addr_b32 v32, v1, v6 offset0:1 offset1:2
	ds_store_2addr_b32 v32, v7, v4 offset0:3 offset1:4
	;; [unrolled: 1-line block ×4, first 2 shown]
	; wave barrier
	s_wait_loadcnt_dscnt 0x0
	global_inv scope:SCOPE_SE
	ds_load_b32 v2, v60 offset:4
	ds_load_b32 v3, v64 offset:4
	;; [unrolled: 1-line block ×4, first 2 shown]
	v_cndmask_b32_e64 v0, 0, v54, s6
	v_cndmask_b32_e64 v7, v11, v37, s5
	;; [unrolled: 1-line block ×5, first 2 shown]
	s_wait_loadcnt_dscnt 0x0
	v_cndmask_b32_e64 v7, v7, v19, s4
	v_cndmask_b32_e64 v19, v0, v57, s5
	;; [unrolled: 1-line block ×3, first 2 shown]
	; wave barrier
	global_inv scope:SCOPE_SE
	v_cndmask_b32_e64 v33, v50, v46, s5
	v_cndmask_b32_e32 v0, v7, v18, vcc_lo
	v_cndmask_b32_e64 v7, v19, v56, s4
	v_cndmask_b32_e32 v1, v1, v35, vcc_lo
	v_cndmask_b32_e64 v37, v49, v45, s5
	v_cndmask_b32_e64 v11, v11, v40, s4
	s_delay_alu instid0(VALU_DEP_4)
	v_dual_cndmask_b32 v7, v7, v55 :: v_dual_add_nc_u32 v18, v2, v58
	v_add3_u32 v35, v62, v61, v3
	v_add3_u32 v36, v66, v65, v4
	;; [unrolled: 1-line block ×3, first 2 shown]
	ds_store_b8 v18, v41
	ds_store_b8 v35, v59
	;; [unrolled: 1-line block ×4, first 2 shown]
	; wave barrier
	s_wait_loadcnt_dscnt 0x0
	global_inv scope:SCOPE_SE
	ds_load_b32 v27, v27
	v_cndmask_b32_e64 v2, v6, v44, s5
	v_cndmask_b32_e64 v32, v47, v42, s5
	v_cndmask_b32_e32 v3, v11, v13, vcc_lo
	v_cndmask_b32_e64 v4, v33, v17, s4
	v_cndmask_b32_e64 v6, v37, v15, s4
	;; [unrolled: 1-line block ×4, first 2 shown]
	v_lshlrev_b32_e32 v13, 3, v36
	s_delay_alu instid0(VALU_DEP_4) | instskip(NEXT) | instid1(VALU_DEP_4)
	v_dual_cndmask_b32 v5, v4, v16 :: v_dual_cndmask_b32 v4, v6, v14
	v_cndmask_b32_e32 v6, v11, v8, vcc_lo
	v_lshlrev_b32_e32 v8, 3, v18
	v_dual_cndmask_b32 v2, v32, v12 :: v_dual_lshlrev_b32 v11, 3, v35
	v_lshlrev_b32_e32 v14, 3, v38
	; wave barrier
	s_wait_loadcnt_dscnt 0x0
	global_inv scope:SCOPE_SE
	ds_store_b64 v8, v[0:1]
	ds_store_b64 v11, v[2:3]
	;; [unrolled: 1-line block ×4, first 2 shown]
	v_not_b32_e32 v12, v27
	; wave barrier
	s_wait_loadcnt_dscnt 0x0
	global_inv scope:SCOPE_SE
.LBB88_44:
	ds_load_b128 v[0:3], v10
	ds_load_b128 v[4:7], v10 offset:16
	; wave barrier
	s_wait_loadcnt_dscnt 0x0
	global_inv scope:SCOPE_SE
	ds_store_b32 v25, v12
	; wave barrier
	s_wait_loadcnt_dscnt 0x0
	global_inv scope:SCOPE_SE
	ds_load_u8 v13, v22 offset:32
	ds_load_u8 v12, v23 offset:64
	;; [unrolled: 1-line block ×3, first 2 shown]
	v_add_co_u32 v10, s4, s14, v20
	s_wait_alu 0xf1ff
	v_add_co_ci_u32_e64 v11, null, s15, 0, s4
	s_and_saveexec_b32 s4, s0
	s_cbranch_execnz .LBB88_55
; %bb.45:
	s_wait_alu 0xfffe
	s_or_b32 exec_lo, exec_lo, s4
	s_and_saveexec_b32 s4, s3
	s_cbranch_execnz .LBB88_56
.LBB88_46:
	s_wait_alu 0xfffe
	s_or_b32 exec_lo, exec_lo, s4
	s_and_saveexec_b32 s4, s1
	s_cbranch_execnz .LBB88_57
.LBB88_47:
	s_wait_alu 0xfffe
	s_or_b32 exec_lo, exec_lo, s4
	s_and_saveexec_b32 s4, s2
	s_cbranch_execz .LBB88_49
.LBB88_48:
	s_mul_i32 s5, s10, 0x60
	s_wait_alu 0xfffe
	v_add_co_u32 v10, vcc_lo, v10, s5
	s_wait_alu 0xfffd
	v_add_co_ci_u32_e64 v11, null, 0, v11, vcc_lo
	s_wait_dscnt 0x0
	global_store_b8 v[10:11], v8, off
.LBB88_49:
	s_wait_alu 0xfffe
	s_or_b32 exec_lo, exec_lo, s4
	s_wait_storecnt 0x0
	; wave barrier
	s_wait_loadcnt_dscnt 0x0
	global_inv scope:SCOPE_SE
	ds_store_2addr_b64 v31, v[0:1], v[2:3] offset1:1
	ds_store_2addr_b64 v31, v[4:5], v[6:7] offset0:2 offset1:3
	; wave barrier
	s_wait_loadcnt_dscnt 0x0
	global_inv scope:SCOPE_SE
	ds_load_b64 v[6:7], v28 offset:256
	ds_load_b64 v[4:5], v29 offset:512
	;; [unrolled: 1-line block ×3, first 2 shown]
	v_mov_b32_e32 v10, 0
	s_delay_alu instid0(VALU_DEP_1) | instskip(NEXT) | instid1(VALU_DEP_1)
	v_lshlrev_b64_e32 v[2:3], 3, v[9:10]
	v_add_co_u32 v2, vcc_lo, s16, v2
	s_wait_alu 0xfffd
	s_delay_alu instid0(VALU_DEP_2)
	v_add_co_ci_u32_e64 v3, null, s17, v3, vcc_lo
	s_and_saveexec_b32 s4, s0
	s_cbranch_execnz .LBB88_58
; %bb.50:
	s_wait_alu 0xfffe
	s_or_b32 exec_lo, exec_lo, s4
	s_and_saveexec_b32 s0, s3
	s_cbranch_execnz .LBB88_59
.LBB88_51:
	s_wait_alu 0xfffe
	s_or_b32 exec_lo, exec_lo, s0
	s_and_saveexec_b32 s0, s1
	s_cbranch_execnz .LBB88_60
.LBB88_52:
	s_wait_alu 0xfffe
	s_or_b32 exec_lo, exec_lo, s0
	s_and_saveexec_b32 s0, s2
	s_cbranch_execz .LBB88_54
.LBB88_53:
	s_mul_i32 s0, s12, 0x60
	s_mov_b32 s1, 0
	s_wait_alu 0xfffe
	s_lshl_b64 s[0:1], s[0:1], 3
	s_wait_alu 0xfffe
	v_add_co_u32 v2, vcc_lo, v2, s0
	s_wait_alu 0xfffd
	v_add_co_ci_u32_e64 v3, null, s1, v3, vcc_lo
	s_wait_dscnt 0x0
	global_store_b64 v[2:3], v[0:1], off
.LBB88_54:
	s_endpgm
.LBB88_55:
	ds_load_u8 v14, v21
	s_wait_dscnt 0x0
	global_store_b8 v[10:11], v14, off
	s_wait_alu 0xfffe
	s_or_b32 exec_lo, exec_lo, s4
	s_and_saveexec_b32 s4, s3
	s_cbranch_execz .LBB88_46
.LBB88_56:
	s_lshl_b32 s5, s10, 5
	s_wait_alu 0xfffe
	v_add_co_u32 v14, vcc_lo, v10, s5
	s_wait_alu 0xfffd
	v_add_co_ci_u32_e64 v15, null, 0, v11, vcc_lo
	s_wait_dscnt 0x2
	global_store_b8 v[14:15], v13, off
	s_or_b32 exec_lo, exec_lo, s4
	s_and_saveexec_b32 s4, s1
	s_cbranch_execz .LBB88_47
.LBB88_57:
	s_lshl_b32 s5, s10, 6
	s_wait_dscnt 0x2
	s_wait_alu 0xfffe
	v_add_co_u32 v13, vcc_lo, v10, s5
	s_wait_alu 0xfffd
	v_add_co_ci_u32_e64 v14, null, 0, v11, vcc_lo
	s_wait_dscnt 0x1
	global_store_b8 v[13:14], v12, off
	s_or_b32 exec_lo, exec_lo, s4
	s_and_saveexec_b32 s4, s2
	s_cbranch_execnz .LBB88_48
	s_branch .LBB88_49
.LBB88_58:
	ds_load_b64 v[8:9], v26
	s_wait_dscnt 0x0
	global_store_b64 v[2:3], v[8:9], off
	s_wait_alu 0xfffe
	s_or_b32 exec_lo, exec_lo, s4
	s_and_saveexec_b32 s0, s3
	s_cbranch_execz .LBB88_51
.LBB88_59:
	s_lshl_b32 s4, s12, 5
	s_mov_b32 s5, 0
	s_wait_alu 0xfffe
	s_lshl_b64 s[4:5], s[4:5], 3
	s_wait_alu 0xfffe
	v_add_co_u32 v8, vcc_lo, v2, s4
	s_wait_alu 0xfffd
	v_add_co_ci_u32_e64 v9, null, s5, v3, vcc_lo
	s_wait_dscnt 0x2
	global_store_b64 v[8:9], v[6:7], off
	s_or_b32 exec_lo, exec_lo, s0
	s_and_saveexec_b32 s0, s1
	s_cbranch_execz .LBB88_52
.LBB88_60:
	s_lshl_b32 s4, s12, 6
	s_mov_b32 s5, 0
	s_wait_alu 0xfffe
	s_lshl_b64 s[4:5], s[4:5], 3
	s_wait_dscnt 0x2
	s_wait_alu 0xfffe
	v_add_co_u32 v6, vcc_lo, v2, s4
	s_wait_alu 0xfffd
	v_add_co_ci_u32_e64 v7, null, s5, v3, vcc_lo
	s_wait_dscnt 0x1
	global_store_b64 v[6:7], v[4:5], off
	s_or_b32 exec_lo, exec_lo, s0
	s_and_saveexec_b32 s0, s2
	s_cbranch_execnz .LBB88_53
	s_branch .LBB88_54
	.section	.rodata,"a",@progbits
	.p2align	6, 0x0
	.amdhsa_kernel _ZN2at6native18radixSortKVInPlaceILi2ELin1ELi32ELi4EhljEEvNS_4cuda6detail10TensorInfoIT3_T5_EES6_S6_S6_NS4_IT4_S6_EES6_b
		.amdhsa_group_segment_fixed_size 1056
		.amdhsa_private_segment_fixed_size 0
		.amdhsa_kernarg_size 712
		.amdhsa_user_sgpr_count 2
		.amdhsa_user_sgpr_dispatch_ptr 0
		.amdhsa_user_sgpr_queue_ptr 0
		.amdhsa_user_sgpr_kernarg_segment_ptr 1
		.amdhsa_user_sgpr_dispatch_id 0
		.amdhsa_user_sgpr_private_segment_size 0
		.amdhsa_wavefront_size32 1
		.amdhsa_uses_dynamic_stack 0
		.amdhsa_enable_private_segment 0
		.amdhsa_system_sgpr_workgroup_id_x 1
		.amdhsa_system_sgpr_workgroup_id_y 1
		.amdhsa_system_sgpr_workgroup_id_z 1
		.amdhsa_system_sgpr_workgroup_info 0
		.amdhsa_system_vgpr_workitem_id 2
		.amdhsa_next_free_vgpr 88
		.amdhsa_next_free_sgpr 24
		.amdhsa_reserve_vcc 1
		.amdhsa_float_round_mode_32 0
		.amdhsa_float_round_mode_16_64 0
		.amdhsa_float_denorm_mode_32 3
		.amdhsa_float_denorm_mode_16_64 3
		.amdhsa_fp16_overflow 0
		.amdhsa_workgroup_processor_mode 1
		.amdhsa_memory_ordered 1
		.amdhsa_forward_progress 1
		.amdhsa_inst_pref_size 77
		.amdhsa_round_robin_scheduling 0
		.amdhsa_exception_fp_ieee_invalid_op 0
		.amdhsa_exception_fp_denorm_src 0
		.amdhsa_exception_fp_ieee_div_zero 0
		.amdhsa_exception_fp_ieee_overflow 0
		.amdhsa_exception_fp_ieee_underflow 0
		.amdhsa_exception_fp_ieee_inexact 0
		.amdhsa_exception_int_div_zero 0
	.end_amdhsa_kernel
	.section	.text._ZN2at6native18radixSortKVInPlaceILi2ELin1ELi32ELi4EhljEEvNS_4cuda6detail10TensorInfoIT3_T5_EES6_S6_S6_NS4_IT4_S6_EES6_b,"axG",@progbits,_ZN2at6native18radixSortKVInPlaceILi2ELin1ELi32ELi4EhljEEvNS_4cuda6detail10TensorInfoIT3_T5_EES6_S6_S6_NS4_IT4_S6_EES6_b,comdat
.Lfunc_end88:
	.size	_ZN2at6native18radixSortKVInPlaceILi2ELin1ELi32ELi4EhljEEvNS_4cuda6detail10TensorInfoIT3_T5_EES6_S6_S6_NS4_IT4_S6_EES6_b, .Lfunc_end88-_ZN2at6native18radixSortKVInPlaceILi2ELin1ELi32ELi4EhljEEvNS_4cuda6detail10TensorInfoIT3_T5_EES6_S6_S6_NS4_IT4_S6_EES6_b
                                        ; -- End function
	.set _ZN2at6native18radixSortKVInPlaceILi2ELin1ELi32ELi4EhljEEvNS_4cuda6detail10TensorInfoIT3_T5_EES6_S6_S6_NS4_IT4_S6_EES6_b.num_vgpr, 88
	.set _ZN2at6native18radixSortKVInPlaceILi2ELin1ELi32ELi4EhljEEvNS_4cuda6detail10TensorInfoIT3_T5_EES6_S6_S6_NS4_IT4_S6_EES6_b.num_agpr, 0
	.set _ZN2at6native18radixSortKVInPlaceILi2ELin1ELi32ELi4EhljEEvNS_4cuda6detail10TensorInfoIT3_T5_EES6_S6_S6_NS4_IT4_S6_EES6_b.numbered_sgpr, 24
	.set _ZN2at6native18radixSortKVInPlaceILi2ELin1ELi32ELi4EhljEEvNS_4cuda6detail10TensorInfoIT3_T5_EES6_S6_S6_NS4_IT4_S6_EES6_b.num_named_barrier, 0
	.set _ZN2at6native18radixSortKVInPlaceILi2ELin1ELi32ELi4EhljEEvNS_4cuda6detail10TensorInfoIT3_T5_EES6_S6_S6_NS4_IT4_S6_EES6_b.private_seg_size, 0
	.set _ZN2at6native18radixSortKVInPlaceILi2ELin1ELi32ELi4EhljEEvNS_4cuda6detail10TensorInfoIT3_T5_EES6_S6_S6_NS4_IT4_S6_EES6_b.uses_vcc, 1
	.set _ZN2at6native18radixSortKVInPlaceILi2ELin1ELi32ELi4EhljEEvNS_4cuda6detail10TensorInfoIT3_T5_EES6_S6_S6_NS4_IT4_S6_EES6_b.uses_flat_scratch, 0
	.set _ZN2at6native18radixSortKVInPlaceILi2ELin1ELi32ELi4EhljEEvNS_4cuda6detail10TensorInfoIT3_T5_EES6_S6_S6_NS4_IT4_S6_EES6_b.has_dyn_sized_stack, 0
	.set _ZN2at6native18radixSortKVInPlaceILi2ELin1ELi32ELi4EhljEEvNS_4cuda6detail10TensorInfoIT3_T5_EES6_S6_S6_NS4_IT4_S6_EES6_b.has_recursion, 0
	.set _ZN2at6native18radixSortKVInPlaceILi2ELin1ELi32ELi4EhljEEvNS_4cuda6detail10TensorInfoIT3_T5_EES6_S6_S6_NS4_IT4_S6_EES6_b.has_indirect_call, 0
	.section	.AMDGPU.csdata,"",@progbits
; Kernel info:
; codeLenInByte = 9832
; TotalNumSgprs: 26
; NumVgprs: 88
; ScratchSize: 0
; MemoryBound: 0
; FloatMode: 240
; IeeeMode: 1
; LDSByteSize: 1056 bytes/workgroup (compile time only)
; SGPRBlocks: 0
; VGPRBlocks: 10
; NumSGPRsForWavesPerEU: 26
; NumVGPRsForWavesPerEU: 88
; Occupancy: 16
; WaveLimiterHint : 1
; COMPUTE_PGM_RSRC2:SCRATCH_EN: 0
; COMPUTE_PGM_RSRC2:USER_SGPR: 2
; COMPUTE_PGM_RSRC2:TRAP_HANDLER: 0
; COMPUTE_PGM_RSRC2:TGID_X_EN: 1
; COMPUTE_PGM_RSRC2:TGID_Y_EN: 1
; COMPUTE_PGM_RSRC2:TGID_Z_EN: 1
; COMPUTE_PGM_RSRC2:TIDIG_COMP_CNT: 2
	.section	.text._ZN2at6native18radixSortKVInPlaceILi2ELin1ELi16ELi2EhljEEvNS_4cuda6detail10TensorInfoIT3_T5_EES6_S6_S6_NS4_IT4_S6_EES6_b,"axG",@progbits,_ZN2at6native18radixSortKVInPlaceILi2ELin1ELi16ELi2EhljEEvNS_4cuda6detail10TensorInfoIT3_T5_EES6_S6_S6_NS4_IT4_S6_EES6_b,comdat
	.protected	_ZN2at6native18radixSortKVInPlaceILi2ELin1ELi16ELi2EhljEEvNS_4cuda6detail10TensorInfoIT3_T5_EES6_S6_S6_NS4_IT4_S6_EES6_b ; -- Begin function _ZN2at6native18radixSortKVInPlaceILi2ELin1ELi16ELi2EhljEEvNS_4cuda6detail10TensorInfoIT3_T5_EES6_S6_S6_NS4_IT4_S6_EES6_b
	.globl	_ZN2at6native18radixSortKVInPlaceILi2ELin1ELi16ELi2EhljEEvNS_4cuda6detail10TensorInfoIT3_T5_EES6_S6_S6_NS4_IT4_S6_EES6_b
	.p2align	8
	.type	_ZN2at6native18radixSortKVInPlaceILi2ELin1ELi16ELi2EhljEEvNS_4cuda6detail10TensorInfoIT3_T5_EES6_S6_S6_NS4_IT4_S6_EES6_b,@function
_ZN2at6native18radixSortKVInPlaceILi2ELin1ELi16ELi2EhljEEvNS_4cuda6detail10TensorInfoIT3_T5_EES6_S6_S6_NS4_IT4_S6_EES6_b: ; @_ZN2at6native18radixSortKVInPlaceILi2ELin1ELi16ELi2EhljEEvNS_4cuda6detail10TensorInfoIT3_T5_EES6_S6_S6_NS4_IT4_S6_EES6_b
; %bb.0:
	s_clause 0x1
	s_load_b64 s[2:3], s[0:1], 0x1c8
	s_load_b96 s[8:10], s[0:1], 0xd8
	s_lshr_b32 s4, ttmp7, 16
	s_wait_kmcnt 0x0
	s_mul_i32 s3, s3, s4
	s_and_b32 s4, ttmp7, 0xffff
	s_delay_alu instid0(SALU_CYCLE_1) | instskip(NEXT) | instid1(SALU_CYCLE_1)
	s_add_co_i32 s3, s3, s4
	s_mul_i32 s2, s3, s2
	s_delay_alu instid0(SALU_CYCLE_1) | instskip(NEXT) | instid1(SALU_CYCLE_1)
	s_add_co_i32 s6, s2, ttmp9
	s_cmp_ge_u32 s6, s8
	s_cbranch_scc1 .LBB89_68
; %bb.1:
	s_clause 0x2
	s_load_b32 s8, s[0:1], 0xc
	s_load_b64 s[14:15], s[0:1], 0x6c
	s_load_b32 s11, s[0:1], 0x1b8
	s_mov_b32 s7, 0
	s_add_nc_u64 s[4:5], s[0:1], 0xe8
	s_mov_b32 s13, s7
	s_wait_kmcnt 0x0
	s_cvt_f32_u32 s2, s8
	s_sub_co_i32 s3, 0, s8
	s_delay_alu instid0(SALU_CYCLE_2) | instskip(NEXT) | instid1(TRANS32_DEP_1)
	v_rcp_iflag_f32_e32 v1, s2
	v_readfirstlane_b32 s2, v1
	s_mul_f32 s2, s2, 0x4f7ffffe
	s_wait_alu 0xfffe
	s_delay_alu instid0(SALU_CYCLE_2) | instskip(SKIP_1) | instid1(SALU_CYCLE_2)
	s_cvt_u32_f32 s2, s2
	s_wait_alu 0xfffe
	s_mul_i32 s3, s3, s2
	s_wait_alu 0xfffe
	s_mul_hi_u32 s3, s2, s3
	s_wait_alu 0xfffe
	s_add_co_i32 s12, s2, s3
	s_cmp_lt_i32 s11, 2
	s_mov_b32 s2, s6
	s_mov_b32 s3, s7
	s_cbranch_scc1 .LBB89_4
; %bb.2:
	s_add_co_i32 s2, s11, -1
	s_mov_b32 s3, 0
	s_add_co_i32 s11, s11, 1
	s_wait_alu 0xfffe
	s_lshl_b64 s[16:17], s[2:3], 2
	s_mov_b32 s2, s6
	s_add_nc_u64 s[16:17], s[4:5], s[16:17]
	s_delay_alu instid0(SALU_CYCLE_1)
	s_add_nc_u64 s[16:17], s[16:17], 8
.LBB89_3:                               ; =>This Inner Loop Header: Depth=1
	s_clause 0x1
	s_load_b32 s18, s[16:17], 0x0
	s_load_b32 s19, s[16:17], 0x64
	s_mov_b32 s22, s2
	s_add_nc_u64 s[16:17], s[16:17], -4
	s_wait_kmcnt 0x0
	s_cvt_f32_u32 s20, s18
	s_sub_co_i32 s21, 0, s18
	s_wait_alu 0xfffe
	s_delay_alu instid0(SALU_CYCLE_1) | instskip(NEXT) | instid1(TRANS32_DEP_1)
	v_rcp_iflag_f32_e32 v1, s20
	v_readfirstlane_b32 s20, v1
	s_mul_f32 s20, s20, 0x4f7ffffe
	s_wait_alu 0xfffe
	s_delay_alu instid0(SALU_CYCLE_2) | instskip(SKIP_1) | instid1(SALU_CYCLE_2)
	s_cvt_u32_f32 s20, s20
	s_wait_alu 0xfffe
	s_mul_i32 s21, s21, s20
	s_wait_alu 0xfffe
	s_mul_hi_u32 s21, s20, s21
	s_wait_alu 0xfffe
	s_add_co_i32 s20, s20, s21
	s_wait_alu 0xfffe
	s_mul_hi_u32 s2, s2, s20
	s_wait_alu 0xfffe
	s_mul_i32 s20, s2, s18
	s_add_co_i32 s21, s2, 1
	s_wait_alu 0xfffe
	s_sub_co_i32 s20, s22, s20
	s_wait_alu 0xfffe
	s_sub_co_i32 s23, s20, s18
	s_cmp_ge_u32 s20, s18
	s_cselect_b32 s2, s21, s2
	s_cselect_b32 s20, s23, s20
	s_wait_alu 0xfffe
	s_add_co_i32 s21, s2, 1
	s_cmp_ge_u32 s20, s18
	s_wait_alu 0xfffe
	s_cselect_b32 s2, s21, s2
	s_add_co_i32 s11, s11, -1
	s_wait_alu 0xfffe
	s_mul_i32 s18, s2, s18
	s_delay_alu instid0(SALU_CYCLE_1) | instskip(NEXT) | instid1(SALU_CYCLE_1)
	s_sub_co_i32 s18, s22, s18
	s_mul_i32 s18, s19, s18
	s_delay_alu instid0(SALU_CYCLE_1)
	s_add_co_i32 s3, s18, s3
	s_cmp_gt_u32 s11, 2
	s_cbranch_scc1 .LBB89_3
.LBB89_4:
	s_mul_u64 s[18:19], s[6:7], s[12:13]
	s_clause 0x1
	s_load_b64 s[16:17], s[0:1], 0x0
	s_load_b64 s[12:13], s[0:1], 0x1c0
	s_mul_i32 s7, s19, s8
	s_add_co_i32 s1, s19, 1
	s_sub_co_i32 s0, s6, s7
	v_mul_lo_u32 v20, s10, v0
	s_sub_co_i32 s7, s0, s8
	s_cmp_ge_u32 s0, s8
	s_cselect_b32 s1, s1, s19
	s_cselect_b32 s0, s7, s0
	s_add_co_i32 s7, s1, 1
	s_cmp_ge_u32 s0, s8
	s_cselect_b32 s0, s7, s1
	s_delay_alu instid0(SALU_CYCLE_1) | instskip(SKIP_2) | instid1(SALU_CYCLE_1)
	s_mul_i32 s1, s0, s8
	s_mul_i32 s0, s0, s14
	s_sub_co_i32 s1, s6, s1
	s_mul_i32 s1, s1, s15
	s_mov_b32 s15, 0
	s_add_co_i32 s14, s0, s1
	s_wait_kmcnt 0x0
	s_bitcmp1_b32 s13, 0
	s_add_nc_u64 s[14:15], s[16:17], s[14:15]
	s_cselect_b32 s0, -1, 0
	s_delay_alu instid0(SALU_CYCLE_1) | instskip(SKIP_3) | instid1(VALU_DEP_2)
	s_xor_b32 s6, s0, -1
	v_cmp_gt_u32_e64 s0, s9, v0
	v_cndmask_b32_e64 v2, 0, -1, s6
	v_cndmask_b32_e64 v1, 0, -1, s6
	v_lshlrev_b32_e32 v3, 8, v2
	v_and_b32_e32 v2, 0xff, v2
	s_delay_alu instid0(VALU_DEP_1) | instskip(NEXT) | instid1(VALU_DEP_1)
	v_or_b32_e32 v2, v2, v3
	v_and_b32_e32 v2, 0xffff, v2
	s_and_saveexec_b32 s1, s0
	s_cbranch_execz .LBB89_6
; %bb.5:
	global_load_u8 v1, v20, s[14:15]
	s_wait_loadcnt 0x0
	v_perm_b32 v2, v1, v2, 0xc0c0104
.LBB89_6:
	s_or_b32 exec_lo, exec_lo, s1
	s_clause 0x1
	s_load_b32 s7, s[4:5], 0x6c
	s_load_b64 s[4:5], s[4:5], 0x0
	v_or_b32_e32 v3, 16, v0
	s_delay_alu instid0(VALU_DEP_1)
	v_cmp_gt_u32_e64 s1, s9, v3
	s_and_saveexec_b32 s8, s1
	s_cbranch_execz .LBB89_8
; %bb.7:
	v_mul_lo_u32 v4, s10, v3
	global_load_u8 v4, v4, s[14:15]
	s_wait_loadcnt 0x0
	v_perm_b32 v2, v2, v4, 0xc0c0004
.LBB89_8:
	s_wait_alu 0xfffe
	s_or_b32 exec_lo, exec_lo, s8
	v_dual_mov_b32 v18, 0 :: v_dual_lshlrev_b32 v21, 1, v0
	s_delay_alu instid0(VALU_DEP_2)
	v_lshrrev_b16 v2, 8, v2
	s_wait_kmcnt 0x0
	s_mul_i32 s2, s7, s2
	ds_store_b8 v0, v1
	ds_store_b8 v0, v2 offset:16
	s_wait_dscnt 0x0
	; wave barrier
	global_inv scope:SCOPE_SE
	ds_load_u16 v24, v21
	v_mul_lo_u32 v17, s12, v0
	s_wait_alu 0xfffe
	s_add_co_i32 s2, s2, s3
	s_mov_b32 s3, 0
	v_mov_b32_e32 v1, 0
	v_dual_mov_b32 v2, 0 :: v_dual_mov_b32 v19, v18
	s_wait_alu 0xfffe
	s_lshl_b64 s[2:3], s[2:3], 3
	s_wait_loadcnt_dscnt 0x0
	s_wait_alu 0xfffe
	s_add_nc_u64 s[8:9], s[4:5], s[2:3]
	; wave barrier
	global_inv scope:SCOPE_SE
	s_and_saveexec_b32 s2, s0
	s_cbranch_execz .LBB89_10
; %bb.9:
	v_lshlrev_b64_e32 v[1:2], 3, v[17:18]
	v_mov_b32_e32 v19, v18
	s_wait_alu 0xfffe
	s_delay_alu instid0(VALU_DEP_2) | instskip(NEXT) | instid1(VALU_DEP_1)
	v_add_co_u32 v1, vcc_lo, s8, v1
	v_add_co_ci_u32_e64 v2, null, s9, v2, vcc_lo
	global_load_b64 v[1:2], v[1:2], off
.LBB89_10:
	s_wait_alu 0xfffe
	s_or_b32 exec_lo, exec_lo, s2
	s_and_saveexec_b32 s2, s1
	s_cbranch_execz .LBB89_12
; %bb.11:
	v_mul_lo_u32 v3, s12, v3
	v_mov_b32_e32 v4, 0
	s_delay_alu instid0(VALU_DEP_1) | instskip(NEXT) | instid1(VALU_DEP_1)
	v_lshlrev_b64_e32 v[3:4], 3, v[3:4]
	v_add_co_u32 v3, vcc_lo, s8, v3
	s_wait_alu 0xfffd
	s_delay_alu instid0(VALU_DEP_2)
	v_add_co_ci_u32_e64 v4, null, s9, v4, vcc_lo
	global_load_b64 v[18:19], v[3:4], off
.LBB89_12:
	s_wait_alu 0xfffe
	s_or_b32 exec_lo, exec_lo, s2
	v_lshlrev_b32_e32 v22, 3, v0
	v_lshlrev_b32_e32 v23, 3, v21
	v_cmp_gt_u32_e64 s2, 0x80, v0
	s_and_b32 vcc_lo, exec_lo, s6
	s_wait_loadcnt 0x0
	ds_store_2addr_b64 v22, v[1:2], v[18:19] offset1:16
	s_wait_dscnt 0x0
	; wave barrier
	global_inv scope:SCOPE_SE
	ds_load_2addr_b64 v[1:4], v23 offset1:1
	v_lshrrev_b16 v19, 8, v24
	v_lshlrev_b32_e32 v18, 5, v0
	; wave barrier
	s_wait_loadcnt_dscnt 0x0
	global_inv scope:SCOPE_SE
	s_wait_alu 0xfffe
	s_cbranch_vccz .LBB89_36
; %bb.13:
	s_getpc_b64 s[4:5]
	s_sext_i32_i16 s5, s5
	s_add_co_u32 s4, s4, _ZN7rocprim17ROCPRIM_400000_NS16block_radix_sortIhLj16ELj2ElLj1ELj1ELj0ELNS0_26block_radix_rank_algorithmE1ELNS0_18block_padding_hintE2ELNS0_4arch9wavefront6targetE0EE19radix_bits_per_passE@rel32@lo+8
	s_add_co_ci_u32 s5, s5, _ZN7rocprim17ROCPRIM_400000_NS16block_radix_sortIhLj16ELj2ElLj1ELj1ELj0ELNS0_26block_radix_rank_algorithmE1ELNS0_18block_padding_hintE2ELNS0_4arch9wavefront6targetE0EE19radix_bits_per_passE@rel32@hi+16
	v_mad_i32_i24 v26, 0xffffffe2, v0, v18
	s_load_b32 s11, s[4:5], 0x0
	s_delay_alu instid0(VALU_DEP_1)
	v_mad_u32_u24 v25, v0, 14, v26
	s_and_saveexec_b32 s3, s2
	s_cbranch_execz .LBB89_22
; %bb.14:
	s_delay_alu instid0(VALU_DEP_1)
	v_mad_i32_i24 v5, v0, -12, v25
	v_mov_b32_e32 v6, 0
	v_cmp_gt_u32_e32 vcc_lo, 0x70, v0
	ds_store_b32 v5, v6
	s_and_b32 exec_lo, exec_lo, vcc_lo
	s_cbranch_execz .LBB89_22
; %bb.15:
	v_mul_i32_i24_e32 v5, -12, v0
	v_cmp_gt_u32_e32 vcc_lo, 0x60, v0
	s_delay_alu instid0(VALU_DEP_2)
	v_add_nc_u32_e32 v5, v25, v5
	ds_store_b32 v5, v6 offset:64
	s_and_b32 exec_lo, exec_lo, vcc_lo
	s_cbranch_execz .LBB89_22
; %bb.16:
	v_mov_b32_e32 v6, 0
	v_cmp_gt_u32_e32 vcc_lo, 0x50, v0
	ds_store_b32 v5, v6 offset:128
	s_and_b32 exec_lo, exec_lo, vcc_lo
	s_cbranch_execz .LBB89_22
; %bb.17:
	v_cmp_gt_u32_e32 vcc_lo, 64, v0
	ds_store_b32 v5, v6 offset:192
	s_and_b32 exec_lo, exec_lo, vcc_lo
	s_cbranch_execz .LBB89_22
; %bb.18:
	v_mov_b32_e32 v6, 0
	v_cmp_gt_u32_e32 vcc_lo, 48, v0
	ds_store_b32 v5, v6 offset:256
	s_and_b32 exec_lo, exec_lo, vcc_lo
	s_cbranch_execz .LBB89_22
; %bb.19:
	v_cmp_gt_u32_e32 vcc_lo, 32, v0
	ds_store_b32 v5, v6 offset:320
	s_and_b32 exec_lo, exec_lo, vcc_lo
	s_cbranch_execz .LBB89_22
; %bb.20:
	v_mov_b32_e32 v6, 0
	v_cmp_gt_u32_e32 vcc_lo, 16, v0
	ds_store_b32 v5, v6 offset:384
	s_and_b32 exec_lo, exec_lo, vcc_lo
; %bb.21:
	ds_store_b32 v5, v6 offset:448
.LBB89_22:
	s_wait_alu 0xfffe
	s_or_b32 exec_lo, exec_lo, s3
	s_wait_kmcnt 0x0
	s_min_u32 s3, s11, 8
	s_wait_alu 0xfffe
	s_lshl_b32 s3, -1, s3
	s_wait_alu 0xfffe
	s_not_b32 s3, s3
	s_wait_alu 0xfffe
	v_and_b32_e32 v5, s3, v24
	s_delay_alu instid0(VALU_DEP_1) | instskip(SKIP_1) | instid1(VALU_DEP_2)
	v_lshlrev_b32_e32 v6, 4, v5
	v_lshrrev_b32_e32 v5, 2, v5
	v_and_or_b32 v6, 0x70, v6, v0
	s_delay_alu instid0(VALU_DEP_2) | instskip(NEXT) | instid1(VALU_DEP_1)
	v_and_b32_e32 v5, 62, v5
	v_lshl_add_u32 v14, v6, 2, v5
	v_and_b32_e32 v5, 0xffff, v19
	ds_load_u16 v13, v14
	v_and_b32_e32 v5, s3, v5
	v_cmp_eq_u32_e64 s3, 15, v0
	s_delay_alu instid0(VALU_DEP_2) | instskip(SKIP_1) | instid1(VALU_DEP_2)
	v_lshlrev_b32_e32 v6, 4, v5
	v_lshrrev_b32_e32 v5, 2, v5
	v_and_or_b32 v6, 0x70, v6, v0
	s_delay_alu instid0(VALU_DEP_2) | instskip(NEXT) | instid1(VALU_DEP_1)
	v_and_b32_e32 v5, 62, v5
	v_lshl_add_u32 v15, v6, 2, v5
	s_wait_dscnt 0x0
	v_add_nc_u16 v7, v13, 1
	ds_store_b16 v14, v7
	ds_load_u16 v16, v15
	s_wait_dscnt 0x0
	v_add_nc_u16 v5, v16, 1
	ds_store_b16 v15, v5
	; wave barrier
	s_wait_loadcnt_dscnt 0x0
	global_inv scope:SCOPE_SE
	ds_load_b128 v[9:12], v18
	ds_load_b128 v[5:8], v18 offset:16
	s_wait_dscnt 0x1
	v_add_nc_u32_e32 v27, v10, v9
	s_delay_alu instid0(VALU_DEP_1) | instskip(SKIP_1) | instid1(VALU_DEP_1)
	v_add3_u32 v27, v27, v11, v12
	s_wait_dscnt 0x0
	v_add3_u32 v28, v27, v5, v6
	v_mbcnt_lo_u32_b32 v27, -1, 0
	s_delay_alu instid0(VALU_DEP_2) | instskip(NEXT) | instid1(VALU_DEP_2)
	v_add3_u32 v8, v28, v7, v8
	v_and_b32_e32 v28, 15, v27
	s_delay_alu instid0(VALU_DEP_2) | instskip(NEXT) | instid1(VALU_DEP_2)
	v_mov_b32_dpp v29, v8 row_shr:1 row_mask:0xf bank_mask:0xf
	v_cmp_eq_u32_e32 vcc_lo, 0, v28
	v_cmp_lt_u32_e64 s4, 1, v28
	v_cmp_lt_u32_e64 s5, 3, v28
	v_cmp_lt_u32_e64 s6, 7, v28
	s_wait_alu 0xfffd
	v_cndmask_b32_e64 v29, v29, 0, vcc_lo
	s_delay_alu instid0(VALU_DEP_1) | instskip(NEXT) | instid1(VALU_DEP_1)
	v_add_nc_u32_e32 v8, v29, v8
	v_mov_b32_dpp v29, v8 row_shr:2 row_mask:0xf bank_mask:0xf
	s_delay_alu instid0(VALU_DEP_1) | instskip(NEXT) | instid1(VALU_DEP_1)
	v_cndmask_b32_e64 v29, 0, v29, s4
	v_add_nc_u32_e32 v8, v8, v29
	s_delay_alu instid0(VALU_DEP_1) | instskip(NEXT) | instid1(VALU_DEP_1)
	v_mov_b32_dpp v29, v8 row_shr:4 row_mask:0xf bank_mask:0xf
	v_cndmask_b32_e64 v29, 0, v29, s5
	s_delay_alu instid0(VALU_DEP_1) | instskip(NEXT) | instid1(VALU_DEP_1)
	v_add_nc_u32_e32 v8, v8, v29
	v_mov_b32_dpp v29, v8 row_shr:8 row_mask:0xf bank_mask:0xf
	s_wait_alu 0xf1ff
	s_delay_alu instid0(VALU_DEP_1) | instskip(NEXT) | instid1(VALU_DEP_1)
	v_cndmask_b32_e64 v28, 0, v29, s6
	v_add_nc_u32_e32 v8, v8, v28
	s_and_saveexec_b32 s7, s3
; %bb.23:
	v_mov_b32_e32 v28, 0
	ds_store_b32 v28, v8 offset:512
; %bb.24:
	s_wait_alu 0xfffe
	s_or_b32 exec_lo, exec_lo, s7
	v_sub_co_u32 v28, s13, v27, 1
	v_and_b32_e32 v29, 16, v27
	; wave barrier
	s_wait_loadcnt_dscnt 0x0
	global_inv scope:SCOPE_SE
	v_cmp_lt_i32_e64 s7, v28, v29
	v_mov_b32_e32 v29, 0
	s_wait_alu 0xf1ff
	s_delay_alu instid0(VALU_DEP_2)
	v_cndmask_b32_e64 v27, v28, v27, s7
	ds_load_b32 v28, v29 offset:512
	v_lshlrev_b32_e32 v27, 2, v27
	ds_bpermute_b32 v8, v27, v8
	s_wait_dscnt 0x0
	v_cndmask_b32_e64 v8, v8, 0, s13
	s_delay_alu instid0(VALU_DEP_1) | instskip(NEXT) | instid1(VALU_DEP_1)
	v_lshl_add_u32 v8, v28, 16, v8
	v_add_nc_u32_e32 v9, v8, v9
	s_delay_alu instid0(VALU_DEP_1) | instskip(NEXT) | instid1(VALU_DEP_1)
	v_add_nc_u32_e32 v10, v9, v10
	v_add_nc_u32_e32 v11, v10, v11
	s_delay_alu instid0(VALU_DEP_1) | instskip(NEXT) | instid1(VALU_DEP_1)
	v_add_nc_u32_e32 v30, v11, v12
	;; [unrolled: 3-line block ×3, first 2 shown]
	v_add_nc_u32_e32 v33, v32, v7
	v_and_b32_e32 v7, 0xffff, v13
	ds_store_b128 v18, v[8:11]
	ds_store_b128 v18, v[30:33] offset:16
	; wave barrier
	s_wait_loadcnt_dscnt 0x0
	global_inv scope:SCOPE_SE
	ds_load_u16 v5, v14
	ds_load_u16 v6, v15
	v_and_b32_e32 v8, 0xffff, v16
	; wave barrier
	s_wait_loadcnt_dscnt 0x0
	global_inv scope:SCOPE_SE
	v_add_nc_u32_e32 v5, v5, v7
	v_add_nc_u32_e32 v6, v6, v8
	ds_store_b8 v5, v24
	ds_store_b8 v6, v19
	v_lshlrev_b32_e32 v5, 3, v5
	v_lshlrev_b32_e32 v6, 3, v6
	; wave barrier
	s_wait_loadcnt_dscnt 0x0
	global_inv scope:SCOPE_SE
	ds_load_u16 v28, v26
	; wave barrier
	s_wait_loadcnt_dscnt 0x0
	global_inv scope:SCOPE_SE
	ds_store_b64 v5, v[1:2]
	ds_store_b64 v6, v[3:4]
	; wave barrier
	s_wait_loadcnt_dscnt 0x0
	global_inv scope:SCOPE_SE
	ds_load_b128 v[5:8], v25
	; wave barrier
	s_wait_loadcnt_dscnt 0x0
	global_inv scope:SCOPE_SE
	s_and_saveexec_b32 s7, s2
	s_cbranch_execz .LBB89_33
; %bb.25:
	v_lshlrev_b32_e32 v9, 2, v0
	v_cmp_gt_u32_e64 s2, 0x70, v0
	ds_store_b32 v9, v29
	s_and_b32 exec_lo, exec_lo, s2
	s_cbranch_execz .LBB89_33
; %bb.26:
	v_mov_b32_e32 v10, 0
	v_cmp_gt_u32_e64 s2, 0x60, v0
	ds_store_b32 v9, v10 offset:64
	s_and_b32 exec_lo, exec_lo, s2
	s_cbranch_execz .LBB89_33
; %bb.27:
	v_cmp_gt_u32_e64 s2, 0x50, v0
	ds_store_b32 v9, v10 offset:128
	s_and_b32 exec_lo, exec_lo, s2
	s_cbranch_execz .LBB89_33
; %bb.28:
	v_mov_b32_e32 v10, 0
	v_cmp_gt_u32_e64 s2, 64, v0
	ds_store_b32 v9, v10 offset:192
	s_and_b32 exec_lo, exec_lo, s2
	s_cbranch_execz .LBB89_33
; %bb.29:
	v_cmp_gt_u32_e64 s2, 48, v0
	ds_store_b32 v9, v10 offset:256
	;; [unrolled: 11-line block ×3, first 2 shown]
	s_and_b32 exec_lo, exec_lo, s2
; %bb.32:
	v_mov_b32_e32 v10, 0
	ds_store_b32 v9, v10 offset:448
.LBB89_33:
	s_wait_alu 0xfffe
	s_or_b32 exec_lo, exec_lo, s7
	v_lshrrev_b16 v9, 4, v28
	s_min_u32 s2, s11, 4
	s_wait_alu 0xfffe
	s_lshl_b32 s2, -1, s2
	s_wait_alu 0xfffe
	s_not_b32 s2, s2
	v_and_b32_e32 v9, 15, v9
	s_delay_alu instid0(VALU_DEP_1) | instskip(SKIP_1) | instid1(VALU_DEP_1)
	v_and_b32_e32 v9, 0xffff, v9
	s_wait_alu 0xfffe
	v_and_b32_e32 v9, s2, v9
	s_delay_alu instid0(VALU_DEP_1) | instskip(SKIP_1) | instid1(VALU_DEP_2)
	v_lshlrev_b32_e32 v10, 4, v9
	v_lshrrev_b32_e32 v9, 2, v9
	v_and_or_b32 v10, 0x70, v10, v0
	s_delay_alu instid0(VALU_DEP_2) | instskip(NEXT) | instid1(VALU_DEP_1)
	v_and_b32_e32 v9, 2, v9
	v_lshl_or_b32 v29, v10, 2, v9
	v_lshrrev_b16 v9, 12, v28
	ds_load_u16 v30, v29
	v_and_b32_e32 v9, 0xffff, v9
	s_delay_alu instid0(VALU_DEP_1) | instskip(SKIP_1) | instid1(VALU_DEP_1)
	v_and_b32_e32 v9, s2, v9
	s_mov_b32 s2, 0
	v_lshlrev_b32_e32 v10, 4, v9
	v_lshrrev_b32_e32 v9, 2, v9
	s_delay_alu instid0(VALU_DEP_2) | instskip(NEXT) | instid1(VALU_DEP_2)
	v_and_or_b32 v10, 0x70, v10, v0
	v_and_b32_e32 v9, 2, v9
	s_wait_dscnt 0x0
	v_add_nc_u16 v11, v30, 1
	s_delay_alu instid0(VALU_DEP_2)
	v_lshl_or_b32 v31, v10, 2, v9
	ds_store_b16 v29, v11
	ds_load_u16 v32, v31
	s_wait_dscnt 0x0
	v_add_nc_u16 v9, v32, 1
	ds_store_b16 v31, v9
	; wave barrier
	s_wait_loadcnt_dscnt 0x0
	global_inv scope:SCOPE_SE
	ds_load_b128 v[13:16], v18
	ds_load_b128 v[9:12], v18 offset:16
	s_wait_dscnt 0x1
	v_add_nc_u32_e32 v33, v14, v13
	s_delay_alu instid0(VALU_DEP_1) | instskip(SKIP_1) | instid1(VALU_DEP_1)
	v_add3_u32 v33, v33, v15, v16
	s_wait_dscnt 0x0
	v_add3_u32 v33, v33, v9, v10
	s_delay_alu instid0(VALU_DEP_1) | instskip(NEXT) | instid1(VALU_DEP_1)
	v_add3_u32 v12, v33, v11, v12
	v_mov_b32_dpp v33, v12 row_shr:1 row_mask:0xf bank_mask:0xf
	s_delay_alu instid0(VALU_DEP_1) | instskip(NEXT) | instid1(VALU_DEP_1)
	v_cndmask_b32_e64 v33, v33, 0, vcc_lo
	v_add_nc_u32_e32 v12, v33, v12
	s_delay_alu instid0(VALU_DEP_1) | instskip(NEXT) | instid1(VALU_DEP_1)
	v_mov_b32_dpp v33, v12 row_shr:2 row_mask:0xf bank_mask:0xf
	v_cndmask_b32_e64 v33, 0, v33, s4
	s_delay_alu instid0(VALU_DEP_1) | instskip(NEXT) | instid1(VALU_DEP_1)
	v_add_nc_u32_e32 v12, v12, v33
	v_mov_b32_dpp v33, v12 row_shr:4 row_mask:0xf bank_mask:0xf
	s_delay_alu instid0(VALU_DEP_1) | instskip(NEXT) | instid1(VALU_DEP_1)
	v_cndmask_b32_e64 v33, 0, v33, s5
	v_add_nc_u32_e32 v33, v12, v33
	s_delay_alu instid0(VALU_DEP_1) | instskip(NEXT) | instid1(VALU_DEP_1)
	v_mov_b32_dpp v12, v33 row_shr:8 row_mask:0xf bank_mask:0xf
	v_cndmask_b32_e64 v34, 0, v12, s6
	v_lshrrev_b16 v12, 8, v28
	s_delay_alu instid0(VALU_DEP_2)
	v_add_nc_u32_e32 v33, v33, v34
	s_and_saveexec_b32 s4, s3
; %bb.34:
	v_mov_b32_e32 v34, 0
	ds_store_b32 v34, v33 offset:512
; %bb.35:
	s_wait_alu 0xfffe
	s_or_b32 exec_lo, exec_lo, s4
	ds_bpermute_b32 v27, v27, v33
	v_mov_b32_e32 v33, 0
	; wave barrier
	s_wait_loadcnt_dscnt 0x0
	global_inv scope:SCOPE_SE
	ds_load_b32 v33, v33 offset:512
	v_cndmask_b32_e64 v27, v27, 0, s13
	s_wait_dscnt 0x0
	s_delay_alu instid0(VALU_DEP_1) | instskip(NEXT) | instid1(VALU_DEP_1)
	v_lshl_add_u32 v33, v33, 16, v27
	v_add_nc_u32_e32 v34, v33, v13
	s_delay_alu instid0(VALU_DEP_1) | instskip(NEXT) | instid1(VALU_DEP_1)
	v_add_nc_u32_e32 v35, v34, v14
	v_add_nc_u32_e32 v36, v35, v15
	s_delay_alu instid0(VALU_DEP_1) | instskip(NEXT) | instid1(VALU_DEP_1)
	v_add_nc_u32_e32 v13, v36, v16
	;; [unrolled: 3-line block ×3, first 2 shown]
	v_add_nc_u32_e32 v16, v15, v11
	v_and_b32_e32 v11, 0xffff, v30
	ds_store_b128 v18, v[33:36]
	ds_store_b128 v18, v[13:16] offset:16
	; wave barrier
	s_wait_loadcnt_dscnt 0x0
	global_inv scope:SCOPE_SE
	ds_load_u16 v9, v29
	ds_load_u16 v10, v31
	v_and_b32_e32 v13, 0xffff, v32
	; wave barrier
	s_wait_loadcnt_dscnt 0x0
	global_inv scope:SCOPE_SE
	v_add_nc_u32_e32 v9, v9, v11
	v_add_nc_u32_e32 v10, v10, v13
	ds_store_b8 v9, v28
	ds_store_b8 v10, v12
	v_lshlrev_b32_e32 v11, 3, v9
	v_lshlrev_b32_e32 v10, 3, v10
	; wave barrier
	s_wait_loadcnt_dscnt 0x0
	global_inv scope:SCOPE_SE
	ds_load_u16 v9, v26
	; wave barrier
	s_wait_loadcnt_dscnt 0x0
	global_inv scope:SCOPE_SE
	ds_store_b64 v11, v[5:6]
	ds_store_b64 v10, v[7:8]
	; wave barrier
	s_wait_loadcnt_dscnt 0x0
	global_inv scope:SCOPE_SE
	ds_load_b128 v[5:8], v25
	s_and_b32 vcc_lo, exec_lo, s2
	s_wait_alu 0xfffe
	s_cbranch_vccnz .LBB89_37
	s_branch .LBB89_60
.LBB89_36:
                                        ; implicit-def: $vgpr7_vgpr8
                                        ; implicit-def: $vgpr9
	s_cbranch_execz .LBB89_60
.LBB89_37:
	s_getpc_b64 s[2:3]
	s_wait_alu 0xfffe
	s_sext_i32_i16 s3, s3
	s_add_co_u32 s2, s2, _ZN7rocprim17ROCPRIM_400000_NS16block_radix_sortIhLj16ELj2ElLj1ELj1ELj0ELNS0_26block_radix_rank_algorithmE1ELNS0_18block_padding_hintE2ELNS0_4arch9wavefront6targetE0EE19radix_bits_per_passE@rel32@lo+12
	s_wait_alu 0xfffe
	s_add_co_ci_u32 s3, s3, _ZN7rocprim17ROCPRIM_400000_NS16block_radix_sortIhLj16ELj2ElLj1ELj1ELj0ELNS0_26block_radix_rank_algorithmE1ELNS0_18block_padding_hintE2ELNS0_4arch9wavefront6targetE0EE19radix_bits_per_passE@rel32@hi+24
	v_mad_i32_i24 v14, 0xffffffe2, v0, v18
	s_load_b32 s11, s[2:3], 0x0
	v_cmp_gt_u32_e32 vcc_lo, 0x80, v0
	s_delay_alu instid0(VALU_DEP_2)
	v_mad_u32_u24 v13, v0, 14, v14
	s_and_saveexec_b32 s3, vcc_lo
	s_cbranch_execz .LBB89_46
; %bb.38:
	s_wait_dscnt 0x0
	s_delay_alu instid0(VALU_DEP_1)
	v_mad_i32_i24 v5, v0, -12, v13
	v_mov_b32_e32 v6, 0
	v_cmp_gt_u32_e64 s2, 0x70, v0
	ds_store_b32 v5, v6
	s_and_b32 exec_lo, exec_lo, s2
	s_cbranch_execz .LBB89_46
; %bb.39:
	v_mul_i32_i24_e32 v5, -12, v0
	v_cmp_gt_u32_e64 s2, 0x60, v0
	s_delay_alu instid0(VALU_DEP_2)
	v_add_nc_u32_e32 v5, v13, v5
	ds_store_b32 v5, v6 offset:64
	s_and_b32 exec_lo, exec_lo, s2
	s_cbranch_execz .LBB89_46
; %bb.40:
	v_mov_b32_e32 v6, 0
	v_cmp_gt_u32_e64 s2, 0x50, v0
	ds_store_b32 v5, v6 offset:128
	s_and_b32 exec_lo, exec_lo, s2
	s_cbranch_execz .LBB89_46
; %bb.41:
	v_cmp_gt_u32_e64 s2, 64, v0
	ds_store_b32 v5, v6 offset:192
	s_and_b32 exec_lo, exec_lo, s2
	s_cbranch_execz .LBB89_46
; %bb.42:
	v_mov_b32_e32 v6, 0
	v_cmp_gt_u32_e64 s2, 48, v0
	ds_store_b32 v5, v6 offset:256
	s_and_b32 exec_lo, exec_lo, s2
	s_cbranch_execz .LBB89_46
; %bb.43:
	v_cmp_gt_u32_e64 s2, 32, v0
	ds_store_b32 v5, v6 offset:320
	s_and_b32 exec_lo, exec_lo, s2
	s_cbranch_execz .LBB89_46
; %bb.44:
	v_mov_b32_e32 v6, 0
	v_cmp_gt_u32_e64 s2, 16, v0
	ds_store_b32 v5, v6 offset:384
	s_and_b32 exec_lo, exec_lo, s2
; %bb.45:
	ds_store_b32 v5, v6 offset:448
.LBB89_46:
	s_wait_alu 0xfffe
	s_or_b32 exec_lo, exec_lo, s3
	s_wait_kmcnt 0x0
	s_min_u32 s2, s11, 8
	v_xor_b32_e32 v16, -1, v24
	s_wait_alu 0xfffe
	s_lshl_b32 s2, -1, s2
	v_xor_b32_e32 v19, -1, v19
	s_wait_alu 0xfffe
	s_not_b32 s2, s2
	v_cmp_eq_u32_e64 s4, 15, v0
	s_wait_dscnt 0x0
	s_wait_alu 0xfffe
	v_and_b32_e32 v5, s2, v16
	s_delay_alu instid0(VALU_DEP_1) | instskip(SKIP_1) | instid1(VALU_DEP_2)
	v_lshlrev_b32_e32 v6, 4, v5
	v_lshrrev_b32_e32 v5, 2, v5
	v_and_or_b32 v6, 0x70, v6, v0
	s_delay_alu instid0(VALU_DEP_2) | instskip(NEXT) | instid1(VALU_DEP_1)
	v_and_b32_e32 v5, 62, v5
	v_lshl_add_u32 v25, v6, 2, v5
	v_and_b32_e32 v5, s2, v19
	ds_load_u16 v24, v25
	v_lshlrev_b32_e32 v6, 4, v5
	v_lshrrev_b32_e32 v5, 2, v5
	s_delay_alu instid0(VALU_DEP_2) | instskip(NEXT) | instid1(VALU_DEP_2)
	v_and_or_b32 v6, 0x70, v6, v0
	v_and_b32_e32 v5, 62, v5
	s_delay_alu instid0(VALU_DEP_1)
	v_lshl_add_u32 v26, v6, 2, v5
	s_wait_dscnt 0x0
	v_add_nc_u16 v7, v24, 1
	ds_store_b16 v25, v7
	ds_load_u16 v27, v26
	s_wait_dscnt 0x0
	v_add_nc_u16 v5, v27, 1
	ds_store_b16 v26, v5
	; wave barrier
	s_wait_loadcnt_dscnt 0x0
	global_inv scope:SCOPE_SE
	ds_load_b128 v[9:12], v18
	ds_load_b128 v[5:8], v18 offset:16
	s_wait_dscnt 0x1
	v_add_nc_u32_e32 v15, v10, v9
	s_delay_alu instid0(VALU_DEP_1) | instskip(SKIP_1) | instid1(VALU_DEP_1)
	v_add3_u32 v15, v15, v11, v12
	s_wait_dscnt 0x0
	v_add3_u32 v28, v15, v5, v6
	v_mbcnt_lo_u32_b32 v15, -1, 0
	s_delay_alu instid0(VALU_DEP_2) | instskip(NEXT) | instid1(VALU_DEP_2)
	v_add3_u32 v8, v28, v7, v8
	v_and_b32_e32 v28, 15, v15
	s_delay_alu instid0(VALU_DEP_2) | instskip(NEXT) | instid1(VALU_DEP_2)
	v_mov_b32_dpp v29, v8 row_shr:1 row_mask:0xf bank_mask:0xf
	v_cmp_eq_u32_e64 s2, 0, v28
	v_cmp_lt_u32_e64 s3, 1, v28
	v_cmp_lt_u32_e64 s5, 3, v28
	;; [unrolled: 1-line block ×3, first 2 shown]
	s_wait_alu 0xf1ff
	v_cndmask_b32_e64 v29, v29, 0, s2
	s_delay_alu instid0(VALU_DEP_1) | instskip(NEXT) | instid1(VALU_DEP_1)
	v_add_nc_u32_e32 v8, v29, v8
	v_mov_b32_dpp v29, v8 row_shr:2 row_mask:0xf bank_mask:0xf
	s_delay_alu instid0(VALU_DEP_1) | instskip(NEXT) | instid1(VALU_DEP_1)
	v_cndmask_b32_e64 v29, 0, v29, s3
	v_add_nc_u32_e32 v8, v8, v29
	s_delay_alu instid0(VALU_DEP_1) | instskip(NEXT) | instid1(VALU_DEP_1)
	v_mov_b32_dpp v29, v8 row_shr:4 row_mask:0xf bank_mask:0xf
	v_cndmask_b32_e64 v29, 0, v29, s5
	s_delay_alu instid0(VALU_DEP_1) | instskip(NEXT) | instid1(VALU_DEP_1)
	v_add_nc_u32_e32 v8, v8, v29
	v_mov_b32_dpp v29, v8 row_shr:8 row_mask:0xf bank_mask:0xf
	s_delay_alu instid0(VALU_DEP_1) | instskip(NEXT) | instid1(VALU_DEP_1)
	v_cndmask_b32_e64 v28, 0, v29, s6
	v_add_nc_u32_e32 v28, v8, v28
	s_and_saveexec_b32 s7, s4
; %bb.47:
	v_mov_b32_e32 v8, 0
	ds_store_b32 v8, v28 offset:512
; %bb.48:
	s_wait_alu 0xfffe
	s_or_b32 exec_lo, exec_lo, s7
	v_sub_co_u32 v8, s13, v15, 1
	v_and_b32_e32 v29, 16, v15
	; wave barrier
	s_wait_loadcnt_dscnt 0x0
	global_inv scope:SCOPE_SE
	v_cmp_lt_i32_e64 s7, v8, v29
	s_wait_alu 0xf1ff
	s_delay_alu instid0(VALU_DEP_1) | instskip(NEXT) | instid1(VALU_DEP_1)
	v_cndmask_b32_e64 v8, v8, v15, s7
	v_dual_mov_b32 v8, 0 :: v_dual_lshlrev_b32 v15, 2, v8
	ds_bpermute_b32 v28, v15, v28
	ds_load_b32 v29, v8 offset:512
	s_wait_dscnt 0x1
	v_cndmask_b32_e64 v28, v28, 0, s13
	s_wait_dscnt 0x0
	s_delay_alu instid0(VALU_DEP_1) | instskip(NEXT) | instid1(VALU_DEP_1)
	v_lshl_add_u32 v28, v29, 16, v28
	v_add_nc_u32_e32 v29, v28, v9
	s_delay_alu instid0(VALU_DEP_1) | instskip(NEXT) | instid1(VALU_DEP_1)
	v_add_nc_u32_e32 v30, v29, v10
	v_add_nc_u32_e32 v31, v30, v11
	s_delay_alu instid0(VALU_DEP_1) | instskip(NEXT) | instid1(VALU_DEP_1)
	v_add_nc_u32_e32 v9, v31, v12
	;; [unrolled: 3-line block ×3, first 2 shown]
	v_add_nc_u32_e32 v12, v11, v7
	v_and_b32_e32 v7, 0xffff, v24
	ds_store_b128 v18, v[28:31]
	ds_store_b128 v18, v[9:12] offset:16
	; wave barrier
	s_wait_loadcnt_dscnt 0x0
	global_inv scope:SCOPE_SE
	ds_load_u16 v5, v25
	ds_load_u16 v6, v26
	v_and_b32_e32 v9, 0xffff, v27
	; wave barrier
	s_wait_loadcnt_dscnt 0x0
	global_inv scope:SCOPE_SE
	v_add_nc_u32_e32 v5, v5, v7
	v_add_nc_u32_e32 v6, v6, v9
	ds_store_b8 v5, v16
	ds_store_b8 v6, v19
	v_lshlrev_b32_e32 v5, 3, v5
	v_lshlrev_b32_e32 v6, 3, v6
	; wave barrier
	s_wait_loadcnt_dscnt 0x0
	global_inv scope:SCOPE_SE
	ds_load_u16 v16, v14
	; wave barrier
	s_wait_loadcnt_dscnt 0x0
	global_inv scope:SCOPE_SE
	ds_store_b64 v5, v[1:2]
	ds_store_b64 v6, v[3:4]
	; wave barrier
	s_wait_loadcnt_dscnt 0x0
	global_inv scope:SCOPE_SE
	ds_load_b128 v[1:4], v13
	; wave barrier
	s_wait_loadcnt_dscnt 0x0
	global_inv scope:SCOPE_SE
	s_and_saveexec_b32 s7, vcc_lo
	s_cbranch_execz .LBB89_57
; %bb.49:
	v_lshlrev_b32_e32 v5, 2, v0
	v_cmp_gt_u32_e32 vcc_lo, 0x70, v0
	ds_store_b32 v5, v8
	s_and_b32 exec_lo, exec_lo, vcc_lo
	s_cbranch_execz .LBB89_57
; %bb.50:
	v_mov_b32_e32 v6, 0
	v_cmp_gt_u32_e32 vcc_lo, 0x60, v0
	ds_store_b32 v5, v6 offset:64
	s_and_b32 exec_lo, exec_lo, vcc_lo
	s_cbranch_execz .LBB89_57
; %bb.51:
	v_cmp_gt_u32_e32 vcc_lo, 0x50, v0
	ds_store_b32 v5, v6 offset:128
	s_and_b32 exec_lo, exec_lo, vcc_lo
	s_cbranch_execz .LBB89_57
; %bb.52:
	v_mov_b32_e32 v6, 0
	v_cmp_gt_u32_e32 vcc_lo, 64, v0
	ds_store_b32 v5, v6 offset:192
	s_and_b32 exec_lo, exec_lo, vcc_lo
	s_cbranch_execz .LBB89_57
; %bb.53:
	v_cmp_gt_u32_e32 vcc_lo, 48, v0
	ds_store_b32 v5, v6 offset:256
	;; [unrolled: 11-line block ×3, first 2 shown]
	s_and_b32 exec_lo, exec_lo, vcc_lo
; %bb.56:
	v_mov_b32_e32 v6, 0
	ds_store_b32 v5, v6 offset:448
.LBB89_57:
	s_wait_alu 0xfffe
	s_or_b32 exec_lo, exec_lo, s7
	v_lshrrev_b16 v5, 4, v16
	s_min_u32 s7, s11, 4
	s_wait_alu 0xfffe
	s_lshl_b32 s7, -1, s7
	s_wait_alu 0xfffe
	s_not_b32 s7, s7
	v_and_b32_e32 v5, 15, v5
	s_delay_alu instid0(VALU_DEP_1) | instskip(SKIP_1) | instid1(VALU_DEP_1)
	v_and_b32_e32 v5, 0xffff, v5
	s_wait_alu 0xfffe
	v_and_b32_e32 v5, s7, v5
	s_delay_alu instid0(VALU_DEP_1) | instskip(SKIP_1) | instid1(VALU_DEP_2)
	v_lshlrev_b32_e32 v6, 4, v5
	v_lshrrev_b32_e32 v5, 2, v5
	v_and_or_b32 v6, 0x70, v6, v0
	s_delay_alu instid0(VALU_DEP_2) | instskip(NEXT) | instid1(VALU_DEP_1)
	v_and_b32_e32 v5, 2, v5
	v_lshl_or_b32 v19, v6, 2, v5
	v_lshrrev_b16 v5, 12, v16
	ds_load_u16 v24, v19
	v_and_b32_e32 v5, 0xffff, v5
	s_delay_alu instid0(VALU_DEP_1) | instskip(NEXT) | instid1(VALU_DEP_1)
	v_and_b32_e32 v5, s7, v5
	v_lshlrev_b32_e32 v6, 4, v5
	v_lshrrev_b32_e32 v5, 2, v5
	s_delay_alu instid0(VALU_DEP_2) | instskip(NEXT) | instid1(VALU_DEP_2)
	v_and_or_b32 v6, 0x70, v6, v0
	v_and_b32_e32 v5, 2, v5
	s_wait_dscnt 0x0
	v_add_nc_u16 v7, v24, 1
	s_delay_alu instid0(VALU_DEP_2)
	v_lshl_or_b32 v25, v6, 2, v5
	ds_store_b16 v19, v7
	ds_load_u16 v26, v25
	s_wait_dscnt 0x0
	v_add_nc_u16 v5, v26, 1
	ds_store_b16 v25, v5
	; wave barrier
	s_wait_loadcnt_dscnt 0x0
	global_inv scope:SCOPE_SE
	ds_load_b128 v[9:12], v18
	ds_load_b128 v[5:8], v18 offset:16
	s_wait_dscnt 0x1
	v_add_nc_u32_e32 v27, v10, v9
	s_delay_alu instid0(VALU_DEP_1) | instskip(SKIP_1) | instid1(VALU_DEP_1)
	v_add3_u32 v27, v27, v11, v12
	s_wait_dscnt 0x0
	v_add3_u32 v27, v27, v5, v6
	s_delay_alu instid0(VALU_DEP_1) | instskip(NEXT) | instid1(VALU_DEP_1)
	v_add3_u32 v8, v27, v7, v8
	v_mov_b32_dpp v27, v8 row_shr:1 row_mask:0xf bank_mask:0xf
	s_delay_alu instid0(VALU_DEP_1) | instskip(NEXT) | instid1(VALU_DEP_1)
	v_cndmask_b32_e64 v27, v27, 0, s2
	v_add_nc_u32_e32 v8, v27, v8
	s_delay_alu instid0(VALU_DEP_1) | instskip(NEXT) | instid1(VALU_DEP_1)
	v_mov_b32_dpp v27, v8 row_shr:2 row_mask:0xf bank_mask:0xf
	v_cndmask_b32_e64 v27, 0, v27, s3
	s_delay_alu instid0(VALU_DEP_1) | instskip(NEXT) | instid1(VALU_DEP_1)
	v_add_nc_u32_e32 v8, v8, v27
	v_mov_b32_dpp v27, v8 row_shr:4 row_mask:0xf bank_mask:0xf
	s_delay_alu instid0(VALU_DEP_1) | instskip(NEXT) | instid1(VALU_DEP_1)
	v_cndmask_b32_e64 v27, 0, v27, s5
	v_add_nc_u32_e32 v27, v8, v27
	s_delay_alu instid0(VALU_DEP_1) | instskip(NEXT) | instid1(VALU_DEP_1)
	v_mov_b32_dpp v8, v27 row_shr:8 row_mask:0xf bank_mask:0xf
	v_cndmask_b32_e64 v28, 0, v8, s6
	v_lshrrev_b16 v8, 8, v16
	s_delay_alu instid0(VALU_DEP_2)
	v_add_nc_u32_e32 v27, v27, v28
	s_and_saveexec_b32 s2, s4
; %bb.58:
	v_mov_b32_e32 v28, 0
	ds_store_b32 v28, v27 offset:512
; %bb.59:
	s_wait_alu 0xfffe
	s_or_b32 exec_lo, exec_lo, s2
	ds_bpermute_b32 v15, v15, v27
	v_mov_b32_e32 v27, 0
	; wave barrier
	s_wait_loadcnt_dscnt 0x0
	global_inv scope:SCOPE_SE
	ds_load_b32 v27, v27 offset:512
	v_cndmask_b32_e64 v15, v15, 0, s13
	s_wait_dscnt 0x0
	s_delay_alu instid0(VALU_DEP_1) | instskip(NEXT) | instid1(VALU_DEP_1)
	v_lshl_add_u32 v27, v27, 16, v15
	v_add_nc_u32_e32 v28, v27, v9
	s_delay_alu instid0(VALU_DEP_1) | instskip(NEXT) | instid1(VALU_DEP_1)
	v_add_nc_u32_e32 v29, v28, v10
	v_add_nc_u32_e32 v30, v29, v11
	s_delay_alu instid0(VALU_DEP_1) | instskip(NEXT) | instid1(VALU_DEP_1)
	v_add_nc_u32_e32 v9, v30, v12
	;; [unrolled: 3-line block ×3, first 2 shown]
	v_add_nc_u32_e32 v12, v11, v7
	v_and_b32_e32 v7, 0xffff, v24
	ds_store_b128 v18, v[27:30]
	ds_store_b128 v18, v[9:12] offset:16
	; wave barrier
	s_wait_loadcnt_dscnt 0x0
	global_inv scope:SCOPE_SE
	ds_load_u16 v5, v19
	ds_load_u16 v6, v25
	v_and_b32_e32 v9, 0xffff, v26
	; wave barrier
	s_wait_loadcnt_dscnt 0x0
	global_inv scope:SCOPE_SE
	v_add_nc_u32_e32 v5, v5, v7
	v_add_nc_u32_e32 v6, v6, v9
	ds_store_b8 v5, v16
	ds_store_b8 v6, v8
	; wave barrier
	s_wait_loadcnt_dscnt 0x0
	global_inv scope:SCOPE_SE
	ds_load_u16 v9, v14
	v_lshlrev_b32_e32 v5, 3, v5
	v_lshlrev_b32_e32 v6, 3, v6
	; wave barrier
	s_wait_loadcnt_dscnt 0x0
	global_inv scope:SCOPE_SE
	ds_store_b64 v5, v[1:2]
	ds_store_b64 v6, v[3:4]
	; wave barrier
	s_wait_loadcnt_dscnt 0x0
	global_inv scope:SCOPE_SE
	ds_load_b128 v[5:8], v13
	v_xor_b32_e32 v1, -1, v9
	s_delay_alu instid0(VALU_DEP_1)
	v_and_b32_e32 v9, 0xffff, v1
.LBB89_60:
	; wave barrier
	s_wait_loadcnt_dscnt 0x0
	global_inv scope:SCOPE_SE
	ds_store_b16 v21, v9
	; wave barrier
	s_wait_loadcnt_dscnt 0x0
	global_inv scope:SCOPE_SE
	ds_load_u8 v3, v0 offset:16
	v_add_co_u32 v1, s2, s14, v20
	s_wait_alu 0xf1ff
	v_add_co_ci_u32_e64 v2, null, s15, 0, s2
	s_and_saveexec_b32 s2, s0
	s_cbranch_execz .LBB89_62
; %bb.61:
	ds_load_u8 v0, v0
	s_wait_dscnt 0x0
	global_store_b8 v[1:2], v0, off
.LBB89_62:
	s_wait_alu 0xfffe
	s_or_b32 exec_lo, exec_lo, s2
	s_and_saveexec_b32 s2, s1
	s_cbranch_execz .LBB89_64
; %bb.63:
	s_lshl_b32 s3, s10, 4
	s_wait_alu 0xfffe
	v_add_co_u32 v0, vcc_lo, v1, s3
	s_wait_alu 0xfffd
	v_add_co_ci_u32_e64 v1, null, 0, v2, vcc_lo
	s_wait_dscnt 0x0
	global_store_b8 v[0:1], v3, off
.LBB89_64:
	s_wait_alu 0xfffe
	s_or_b32 exec_lo, exec_lo, s2
	s_wait_storecnt 0x0
	; wave barrier
	s_wait_loadcnt_dscnt 0x0
	global_inv scope:SCOPE_SE
	ds_store_2addr_b64 v23, v[5:6], v[7:8] offset1:1
	; wave barrier
	s_wait_loadcnt_dscnt 0x0
	global_inv scope:SCOPE_SE
	ds_load_b64 v[0:1], v22 offset:128
	v_mov_b32_e32 v18, 0
	s_delay_alu instid0(VALU_DEP_1) | instskip(NEXT) | instid1(VALU_DEP_1)
	v_lshlrev_b64_e32 v[2:3], 3, v[17:18]
	v_add_co_u32 v2, vcc_lo, s8, v2
	s_wait_alu 0xfffd
	s_delay_alu instid0(VALU_DEP_2)
	v_add_co_ci_u32_e64 v3, null, s9, v3, vcc_lo
	s_and_saveexec_b32 s2, s0
	s_cbranch_execz .LBB89_66
; %bb.65:
	ds_load_b64 v[4:5], v22
	s_wait_dscnt 0x0
	global_store_b64 v[2:3], v[4:5], off
.LBB89_66:
	s_wait_alu 0xfffe
	s_or_b32 exec_lo, exec_lo, s2
	s_and_saveexec_b32 s0, s1
	s_cbranch_execz .LBB89_68
; %bb.67:
	s_lshl_b32 s0, s12, 4
	s_mov_b32 s1, 0
	s_delay_alu instid0(SALU_CYCLE_1) | instskip(NEXT) | instid1(SALU_CYCLE_1)
	s_lshl_b64 s[0:1], s[0:1], 3
	v_add_co_u32 v2, vcc_lo, v2, s0
	s_wait_alu 0xfffd
	v_add_co_ci_u32_e64 v3, null, s1, v3, vcc_lo
	s_wait_dscnt 0x0
	global_store_b64 v[2:3], v[0:1], off
.LBB89_68:
	s_endpgm
	.section	.rodata,"a",@progbits
	.p2align	6, 0x0
	.amdhsa_kernel _ZN2at6native18radixSortKVInPlaceILi2ELin1ELi16ELi2EhljEEvNS_4cuda6detail10TensorInfoIT3_T5_EES6_S6_S6_NS4_IT4_S6_EES6_b
		.amdhsa_group_segment_fixed_size 528
		.amdhsa_private_segment_fixed_size 0
		.amdhsa_kernarg_size 712
		.amdhsa_user_sgpr_count 2
		.amdhsa_user_sgpr_dispatch_ptr 0
		.amdhsa_user_sgpr_queue_ptr 0
		.amdhsa_user_sgpr_kernarg_segment_ptr 1
		.amdhsa_user_sgpr_dispatch_id 0
		.amdhsa_user_sgpr_private_segment_size 0
		.amdhsa_wavefront_size32 1
		.amdhsa_uses_dynamic_stack 0
		.amdhsa_enable_private_segment 0
		.amdhsa_system_sgpr_workgroup_id_x 1
		.amdhsa_system_sgpr_workgroup_id_y 1
		.amdhsa_system_sgpr_workgroup_id_z 1
		.amdhsa_system_sgpr_workgroup_info 0
		.amdhsa_system_vgpr_workitem_id 0
		.amdhsa_next_free_vgpr 37
		.amdhsa_next_free_sgpr 24
		.amdhsa_reserve_vcc 1
		.amdhsa_float_round_mode_32 0
		.amdhsa_float_round_mode_16_64 0
		.amdhsa_float_denorm_mode_32 3
		.amdhsa_float_denorm_mode_16_64 3
		.amdhsa_fp16_overflow 0
		.amdhsa_workgroup_processor_mode 1
		.amdhsa_memory_ordered 1
		.amdhsa_forward_progress 1
		.amdhsa_inst_pref_size 44
		.amdhsa_round_robin_scheduling 0
		.amdhsa_exception_fp_ieee_invalid_op 0
		.amdhsa_exception_fp_denorm_src 0
		.amdhsa_exception_fp_ieee_div_zero 0
		.amdhsa_exception_fp_ieee_overflow 0
		.amdhsa_exception_fp_ieee_underflow 0
		.amdhsa_exception_fp_ieee_inexact 0
		.amdhsa_exception_int_div_zero 0
	.end_amdhsa_kernel
	.section	.text._ZN2at6native18radixSortKVInPlaceILi2ELin1ELi16ELi2EhljEEvNS_4cuda6detail10TensorInfoIT3_T5_EES6_S6_S6_NS4_IT4_S6_EES6_b,"axG",@progbits,_ZN2at6native18radixSortKVInPlaceILi2ELin1ELi16ELi2EhljEEvNS_4cuda6detail10TensorInfoIT3_T5_EES6_S6_S6_NS4_IT4_S6_EES6_b,comdat
.Lfunc_end89:
	.size	_ZN2at6native18radixSortKVInPlaceILi2ELin1ELi16ELi2EhljEEvNS_4cuda6detail10TensorInfoIT3_T5_EES6_S6_S6_NS4_IT4_S6_EES6_b, .Lfunc_end89-_ZN2at6native18radixSortKVInPlaceILi2ELin1ELi16ELi2EhljEEvNS_4cuda6detail10TensorInfoIT3_T5_EES6_S6_S6_NS4_IT4_S6_EES6_b
                                        ; -- End function
	.set _ZN2at6native18radixSortKVInPlaceILi2ELin1ELi16ELi2EhljEEvNS_4cuda6detail10TensorInfoIT3_T5_EES6_S6_S6_NS4_IT4_S6_EES6_b.num_vgpr, 37
	.set _ZN2at6native18radixSortKVInPlaceILi2ELin1ELi16ELi2EhljEEvNS_4cuda6detail10TensorInfoIT3_T5_EES6_S6_S6_NS4_IT4_S6_EES6_b.num_agpr, 0
	.set _ZN2at6native18radixSortKVInPlaceILi2ELin1ELi16ELi2EhljEEvNS_4cuda6detail10TensorInfoIT3_T5_EES6_S6_S6_NS4_IT4_S6_EES6_b.numbered_sgpr, 24
	.set _ZN2at6native18radixSortKVInPlaceILi2ELin1ELi16ELi2EhljEEvNS_4cuda6detail10TensorInfoIT3_T5_EES6_S6_S6_NS4_IT4_S6_EES6_b.num_named_barrier, 0
	.set _ZN2at6native18radixSortKVInPlaceILi2ELin1ELi16ELi2EhljEEvNS_4cuda6detail10TensorInfoIT3_T5_EES6_S6_S6_NS4_IT4_S6_EES6_b.private_seg_size, 0
	.set _ZN2at6native18radixSortKVInPlaceILi2ELin1ELi16ELi2EhljEEvNS_4cuda6detail10TensorInfoIT3_T5_EES6_S6_S6_NS4_IT4_S6_EES6_b.uses_vcc, 1
	.set _ZN2at6native18radixSortKVInPlaceILi2ELin1ELi16ELi2EhljEEvNS_4cuda6detail10TensorInfoIT3_T5_EES6_S6_S6_NS4_IT4_S6_EES6_b.uses_flat_scratch, 0
	.set _ZN2at6native18radixSortKVInPlaceILi2ELin1ELi16ELi2EhljEEvNS_4cuda6detail10TensorInfoIT3_T5_EES6_S6_S6_NS4_IT4_S6_EES6_b.has_dyn_sized_stack, 0
	.set _ZN2at6native18radixSortKVInPlaceILi2ELin1ELi16ELi2EhljEEvNS_4cuda6detail10TensorInfoIT3_T5_EES6_S6_S6_NS4_IT4_S6_EES6_b.has_recursion, 0
	.set _ZN2at6native18radixSortKVInPlaceILi2ELin1ELi16ELi2EhljEEvNS_4cuda6detail10TensorInfoIT3_T5_EES6_S6_S6_NS4_IT4_S6_EES6_b.has_indirect_call, 0
	.section	.AMDGPU.csdata,"",@progbits
; Kernel info:
; codeLenInByte = 5516
; TotalNumSgprs: 26
; NumVgprs: 37
; ScratchSize: 0
; MemoryBound: 0
; FloatMode: 240
; IeeeMode: 1
; LDSByteSize: 528 bytes/workgroup (compile time only)
; SGPRBlocks: 0
; VGPRBlocks: 4
; NumSGPRsForWavesPerEU: 26
; NumVGPRsForWavesPerEU: 37
; Occupancy: 16
; WaveLimiterHint : 1
; COMPUTE_PGM_RSRC2:SCRATCH_EN: 0
; COMPUTE_PGM_RSRC2:USER_SGPR: 2
; COMPUTE_PGM_RSRC2:TRAP_HANDLER: 0
; COMPUTE_PGM_RSRC2:TGID_X_EN: 1
; COMPUTE_PGM_RSRC2:TGID_Y_EN: 1
; COMPUTE_PGM_RSRC2:TGID_Z_EN: 1
; COMPUTE_PGM_RSRC2:TIDIG_COMP_CNT: 0
	.section	.text._ZN2at6native18radixSortKVInPlaceILin1ELin1ELi512ELi8EhljEEvNS_4cuda6detail10TensorInfoIT3_T5_EES6_S6_S6_NS4_IT4_S6_EES6_b,"axG",@progbits,_ZN2at6native18radixSortKVInPlaceILin1ELin1ELi512ELi8EhljEEvNS_4cuda6detail10TensorInfoIT3_T5_EES6_S6_S6_NS4_IT4_S6_EES6_b,comdat
	.protected	_ZN2at6native18radixSortKVInPlaceILin1ELin1ELi512ELi8EhljEEvNS_4cuda6detail10TensorInfoIT3_T5_EES6_S6_S6_NS4_IT4_S6_EES6_b ; -- Begin function _ZN2at6native18radixSortKVInPlaceILin1ELin1ELi512ELi8EhljEEvNS_4cuda6detail10TensorInfoIT3_T5_EES6_S6_S6_NS4_IT4_S6_EES6_b
	.globl	_ZN2at6native18radixSortKVInPlaceILin1ELin1ELi512ELi8EhljEEvNS_4cuda6detail10TensorInfoIT3_T5_EES6_S6_S6_NS4_IT4_S6_EES6_b
	.p2align	8
	.type	_ZN2at6native18radixSortKVInPlaceILin1ELin1ELi512ELi8EhljEEvNS_4cuda6detail10TensorInfoIT3_T5_EES6_S6_S6_NS4_IT4_S6_EES6_b,@function
_ZN2at6native18radixSortKVInPlaceILin1ELin1ELi512ELi8EhljEEvNS_4cuda6detail10TensorInfoIT3_T5_EES6_S6_S6_NS4_IT4_S6_EES6_b: ; @_ZN2at6native18radixSortKVInPlaceILin1ELin1ELi512ELi8EhljEEvNS_4cuda6detail10TensorInfoIT3_T5_EES6_S6_S6_NS4_IT4_S6_EES6_b
; %bb.0:
	s_clause 0x1
	s_load_b64 s[2:3], s[0:1], 0x1c8
	s_load_b96 s[12:14], s[0:1], 0xd8
	s_lshr_b32 s4, ttmp7, 16
	s_wait_kmcnt 0x0
	s_mul_i32 s3, s3, s4
	s_and_b32 s4, ttmp7, 0xffff
	s_delay_alu instid0(SALU_CYCLE_1) | instskip(NEXT) | instid1(SALU_CYCLE_1)
	s_add_co_i32 s3, s3, s4
	s_mul_i32 s2, s3, s2
	s_delay_alu instid0(SALU_CYCLE_1) | instskip(NEXT) | instid1(SALU_CYCLE_1)
	s_add_co_i32 s22, s2, ttmp9
	s_cmp_ge_u32 s22, s12
	s_cbranch_scc1 .LBB90_105
; %bb.1:
	s_load_b32 s4, s[0:1], 0xd0
	s_mov_b32 s3, 0
	s_mov_b32 s2, s22
	s_wait_kmcnt 0x0
	s_cmp_lt_i32 s4, 2
	s_cbranch_scc1 .LBB90_4
; %bb.2:
	s_add_co_i32 s2, s4, -1
	s_delay_alu instid0(SALU_CYCLE_1)
	s_lshl_b64 s[6:7], s[2:3], 2
	s_mov_b32 s2, s22
	s_add_nc_u64 s[8:9], s[0:1], s[6:7]
	s_add_co_i32 s6, s4, 1
	s_add_nc_u64 s[4:5], s[8:9], 8
.LBB90_3:                               ; =>This Inner Loop Header: Depth=1
	s_clause 0x1
	s_load_b32 s7, s[4:5], 0x0
	s_load_b32 s8, s[4:5], 0x64
	s_mov_b32 s11, s2
	s_add_nc_u64 s[4:5], s[4:5], -4
	s_wait_kmcnt 0x0
	s_cvt_f32_u32 s9, s7
	s_sub_co_i32 s10, 0, s7
	s_wait_alu 0xfffe
	s_delay_alu instid0(SALU_CYCLE_1) | instskip(NEXT) | instid1(TRANS32_DEP_1)
	v_rcp_iflag_f32_e32 v1, s9
	v_readfirstlane_b32 s9, v1
	s_mul_f32 s9, s9, 0x4f7ffffe
	s_wait_alu 0xfffe
	s_delay_alu instid0(SALU_CYCLE_2) | instskip(SKIP_1) | instid1(SALU_CYCLE_2)
	s_cvt_u32_f32 s9, s9
	s_wait_alu 0xfffe
	s_mul_i32 s10, s10, s9
	s_delay_alu instid0(SALU_CYCLE_1) | instskip(NEXT) | instid1(SALU_CYCLE_1)
	s_mul_hi_u32 s10, s9, s10
	s_add_co_i32 s9, s9, s10
	s_wait_alu 0xfffe
	s_mul_hi_u32 s2, s2, s9
	s_delay_alu instid0(SALU_CYCLE_1)
	s_mul_i32 s9, s2, s7
	s_add_co_i32 s10, s2, 1
	s_wait_alu 0xfffe
	s_sub_co_i32 s9, s11, s9
	s_wait_alu 0xfffe
	s_sub_co_i32 s12, s9, s7
	s_cmp_ge_u32 s9, s7
	s_cselect_b32 s2, s10, s2
	s_cselect_b32 s9, s12, s9
	s_add_co_i32 s10, s2, 1
	s_wait_alu 0xfffe
	s_cmp_ge_u32 s9, s7
	s_cselect_b32 s2, s10, s2
	s_add_co_i32 s6, s6, -1
	s_mul_i32 s7, s2, s7
	s_delay_alu instid0(SALU_CYCLE_1) | instskip(NEXT) | instid1(SALU_CYCLE_1)
	s_sub_co_i32 s7, s11, s7
	s_mul_i32 s7, s8, s7
	s_delay_alu instid0(SALU_CYCLE_1)
	s_add_co_i32 s3, s7, s3
	s_cmp_gt_u32 s6, 2
	s_cbranch_scc1 .LBB90_3
.LBB90_4:
	s_load_b32 s4, s[0:1], 0x1b8
	s_add_nc_u64 s[20:21], s[0:1], 0x1c8
	s_mov_b32 s9, 0
	s_wait_kmcnt 0x0
	s_cmp_lt_i32 s4, 2
	s_cbranch_scc1 .LBB90_7
; %bb.5:
	s_add_co_i32 s8, s4, -1
	s_wait_alu 0xfffe
	s_lshl_b64 s[6:7], s[8:9], 2
	s_delay_alu instid0(SALU_CYCLE_1)
	s_add_nc_u64 s[10:11], s[0:1], s[6:7]
	s_add_co_i32 s6, s4, 1
	s_add_nc_u64 s[4:5], s[10:11], 0xf0
.LBB90_6:                               ; =>This Inner Loop Header: Depth=1
	s_clause 0x1
	s_load_b32 s7, s[4:5], 0x0
	s_load_b32 s8, s[4:5], 0x64
	s_mov_b32 s12, s22
	s_add_nc_u64 s[4:5], s[4:5], -4
	s_wait_kmcnt 0x0
	s_cvt_f32_u32 s10, s7
	s_sub_co_i32 s11, 0, s7
	s_wait_alu 0xfffe
	s_delay_alu instid0(SALU_CYCLE_1) | instskip(NEXT) | instid1(TRANS32_DEP_1)
	v_rcp_iflag_f32_e32 v1, s10
	v_readfirstlane_b32 s10, v1
	s_mul_f32 s10, s10, 0x4f7ffffe
	s_wait_alu 0xfffe
	s_delay_alu instid0(SALU_CYCLE_2) | instskip(SKIP_1) | instid1(SALU_CYCLE_2)
	s_cvt_u32_f32 s10, s10
	s_wait_alu 0xfffe
	s_mul_i32 s11, s11, s10
	s_wait_alu 0xfffe
	s_mul_hi_u32 s11, s10, s11
	s_wait_alu 0xfffe
	s_add_co_i32 s10, s10, s11
	s_wait_alu 0xfffe
	s_mul_hi_u32 s10, s22, s10
	s_wait_alu 0xfffe
	s_mul_i32 s11, s10, s7
	s_add_co_i32 s15, s10, 1
	s_wait_alu 0xfffe
	s_sub_co_i32 s11, s22, s11
	s_wait_alu 0xfffe
	s_sub_co_i32 s16, s11, s7
	s_cmp_ge_u32 s11, s7
	s_cselect_b32 s10, s15, s10
	s_cselect_b32 s11, s16, s11
	s_wait_alu 0xfffe
	s_add_co_i32 s15, s10, 1
	s_cmp_ge_u32 s11, s7
	s_cselect_b32 s22, s15, s10
	s_add_co_i32 s6, s6, -1
	s_mul_i32 s7, s22, s7
	s_delay_alu instid0(SALU_CYCLE_1) | instskip(NEXT) | instid1(SALU_CYCLE_1)
	s_sub_co_i32 s7, s12, s7
	s_mul_i32 s7, s8, s7
	s_delay_alu instid0(SALU_CYCLE_1)
	s_add_co_i32 s9, s7, s9
	s_cmp_gt_u32 s6, 2
	s_cbranch_scc1 .LBB90_6
.LBB90_7:
	s_clause 0x1
	s_load_b32 s4, s[0:1], 0x6c
	s_load_b64 s[16:17], s[0:1], 0x1c0
	v_and_b32_e32 v44, 0x3ff, v0
	s_mov_b32 s7, 0
	s_delay_alu instid0(VALU_DEP_1)
	v_mul_lo_u32 v47, s14, v44
	s_wait_kmcnt 0x0
	s_mul_i32 s2, s4, s2
	s_load_b64 s[4:5], s[0:1], 0x0
	s_add_co_i32 s6, s2, s3
	s_bitcmp1_b32 s17, 0
	s_cselect_b32 s2, -1, 0
	s_delay_alu instid0(SALU_CYCLE_1) | instskip(SKIP_4) | instid1(VALU_DEP_2)
	s_xor_b32 s15, s2, -1
	v_cmp_gt_u32_e64 s2, s13, v44
	s_wait_alu 0xfffe
	v_cndmask_b32_e64 v1, 0, -1, s15
	v_cndmask_b32_e64 v3, 0, -1, s15
	v_lshlrev_b32_e32 v2, 8, v1
	v_and_b32_e32 v1, 0xff, v1
	s_delay_alu instid0(VALU_DEP_1) | instskip(SKIP_2) | instid1(VALU_DEP_1)
	v_or_b32_e32 v1, v1, v2
	s_wait_kmcnt 0x0
	s_add_nc_u64 s[18:19], s[4:5], s[6:7]
	v_and_b32_e32 v2, 0xffff, v1
	v_lshlrev_b32_e32 v1, 16, v1
	s_delay_alu instid0(VALU_DEP_1) | instskip(NEXT) | instid1(VALU_DEP_1)
	v_or_b32_e32 v1, v2, v1
	v_mov_b32_e32 v2, v1
	s_and_saveexec_b32 s3, s2
	s_cbranch_execz .LBB90_9
; %bb.8:
	global_load_u8 v3, v47, s[18:19]
	v_mov_b32_e32 v5, v1
	s_wait_loadcnt 0x0
	v_perm_b32 v4, v3, v1, 0x3020104
	s_delay_alu instid0(VALU_DEP_1)
	v_dual_mov_b32 v1, v4 :: v_dual_mov_b32 v2, v5
.LBB90_9:
	s_or_b32 exec_lo, exec_lo, s3
	v_add_nc_u32_e32 v28, 0x200, v44
	s_delay_alu instid0(VALU_DEP_1)
	v_cmp_gt_u32_e64 s3, s13, v28
	s_and_saveexec_b32 s4, s3
	s_cbranch_execz .LBB90_11
; %bb.10:
	v_mul_lo_u32 v4, s14, v28
	global_load_u8 v4, v4, s[18:19]
	s_wait_loadcnt 0x0
	v_perm_b32 v1, v1, v4, 0x7060004
.LBB90_11:
	s_or_b32 exec_lo, exec_lo, s4
	v_or_b32_e32 v24, 0x400, v44
	s_delay_alu instid0(VALU_DEP_1)
	v_cmp_gt_u32_e64 s4, s13, v24
	s_and_saveexec_b32 s5, s4
	s_cbranch_execz .LBB90_13
; %bb.12:
	v_mul_lo_u32 v4, s14, v24
	global_load_u8 v4, v4, s[18:19]
	s_wait_loadcnt 0x0
	v_perm_b32 v4, v4, v1, 0xc0c0304
	s_delay_alu instid0(VALU_DEP_1) | instskip(NEXT) | instid1(VALU_DEP_1)
	v_lshlrev_b32_e32 v4, 16, v4
	v_and_or_b32 v1, 0xffff, v1, v4
.LBB90_13:
	s_or_b32 exec_lo, exec_lo, s5
	v_add_nc_u32_e32 v21, 0x600, v44
	s_delay_alu instid0(VALU_DEP_1)
	v_cmp_gt_u32_e64 s5, s13, v21
	s_and_saveexec_b32 s6, s5
	s_cbranch_execz .LBB90_15
; %bb.14:
	v_mul_lo_u32 v4, s14, v21
	global_load_u8 v4, v4, s[18:19]
	s_wait_loadcnt 0x0
	v_perm_b32 v4, v1, v4, 0xc0c0006
	s_delay_alu instid0(VALU_DEP_1) | instskip(NEXT) | instid1(VALU_DEP_1)
	v_lshlrev_b32_e32 v4, 16, v4
	v_and_or_b32 v1, 0xffff, v1, v4
.LBB90_15:
	s_or_b32 exec_lo, exec_lo, s6
	v_or_b32_e32 v19, 0x800, v44
	s_delay_alu instid0(VALU_DEP_1)
	v_cmp_gt_u32_e64 s6, s13, v19
	s_and_saveexec_b32 s7, s6
	s_cbranch_execz .LBB90_17
; %bb.16:
	v_mul_lo_u32 v4, s14, v19
	global_load_u8 v4, v4, s[18:19]
	s_wait_loadcnt 0x0
	v_perm_b32 v2, v4, v2, 0x3020104
.LBB90_17:
	s_or_b32 exec_lo, exec_lo, s7
	v_add_nc_u32_e32 v17, 0xa00, v44
	s_delay_alu instid0(VALU_DEP_1)
	v_cmp_gt_u32_e64 s7, s13, v17
	s_and_saveexec_b32 s8, s7
	s_cbranch_execz .LBB90_19
; %bb.18:
	v_mul_lo_u32 v4, s14, v17
	global_load_u8 v4, v4, s[18:19]
	s_wait_loadcnt 0x0
	v_perm_b32 v2, v2, v4, 0x7060004
.LBB90_19:
	s_wait_alu 0xfffe
	s_or_b32 exec_lo, exec_lo, s8
	v_or_b32_e32 v16, 0xc00, v44
	s_delay_alu instid0(VALU_DEP_1)
	v_cmp_gt_u32_e64 s8, s13, v16
	s_and_saveexec_b32 s10, s8
	s_cbranch_execz .LBB90_21
; %bb.20:
	v_mul_lo_u32 v4, s14, v16
	global_load_u8 v4, v4, s[18:19]
	s_wait_loadcnt 0x0
	v_perm_b32 v2, v2, v4, 0x7000504
.LBB90_21:
	s_wait_alu 0xfffe
	s_or_b32 exec_lo, exec_lo, s10
	s_clause 0x1
	s_load_b32 s12, s[0:1], 0x154
	s_load_b64 s[10:11], s[0:1], 0xe8
	v_add_nc_u32_e32 v15, 0xe00, v44
	s_delay_alu instid0(VALU_DEP_1)
	v_cmp_gt_u32_e64 s0, s13, v15
	s_and_saveexec_b32 s1, s0
	s_cbranch_execz .LBB90_23
; %bb.22:
	v_mul_lo_u32 v4, s14, v15
	global_load_u8 v4, v4, s[18:19]
	s_wait_loadcnt 0x0
	v_perm_b32 v2, v2, v4, 0x60504
.LBB90_23:
	s_or_b32 exec_lo, exec_lo, s1
	v_lshrrev_b32_e32 v62, 5, v44
	v_lshrrev_b32_e32 v18, 5, v28
	;; [unrolled: 1-line block ×5, first 2 shown]
	s_delay_alu instid0(VALU_DEP_4) | instskip(SKIP_4) | instid1(VALU_DEP_4)
	v_dual_mov_b32 v42, 0 :: v_dual_and_b32 v5, 60, v18
	v_and_b32_e32 v4, 28, v62
	v_and_b32_e32 v7, 0x5c, v23
	v_lshrrev_b32_e32 v22, 5, v21
	v_lshrrev_b32_e32 v29, 2, v44
	v_dual_mov_b32 v43, v42 :: v_dual_add_nc_u32 v48, v4, v44
	v_dual_mov_b32 v11, v42 :: v_dual_and_b32 v4, 60, v20
	v_mov_b32_e32 v12, v42
	v_add_nc_u32_e32 v52, v7, v44
	v_and_b32_e32 v7, 0x7c, v26
	s_delay_alu instid0(VALU_DEP_4)
	v_add_nc_u32_e32 v50, v4, v44
	v_and_b32_e32 v4, 0x7c, v22
	v_lshrrev_b32_e32 v25, 5, v17
	v_lshrrev_b32_e32 v27, 5, v15
	v_dual_mov_b32 v13, 0 :: v_dual_add_nc_u32 v54, v7, v44
	v_lshlrev_b32_e32 v57, 3, v44
	v_and_b32_e32 v7, 0xfc, v29
	v_add_nc_u32_e32 v51, v4, v44
	v_and_b32_e32 v4, 0x7c, v25
	v_and_b32_e32 v9, 0xfc, v27
	v_lshrrev_b32_e32 v6, 8, v1
	v_add_nc_u32_e32 v56, v7, v57
	v_dual_mov_b32 v10, v42 :: v_dual_add_nc_u32 v49, v5, v44
	v_lshrrev_b32_e32 v5, 24, v1
	v_lshrrev_b32_e32 v8, 8, v2
	v_dual_mov_b32 v14, 0 :: v_dual_add_nc_u32 v53, v4, v44
	v_lshrrev_b32_e32 v4, 24, v2
	v_add_nc_u32_e32 v55, v9, v44
	v_mov_b32_e32 v9, v42
	v_mov_b32_e32 v7, v42
	ds_store_b8 v48, v3
	ds_store_b8 v49, v6 offset:512
	ds_store_b8_d16_hi v50, v1 offset:1024
	ds_store_b8 v51, v5 offset:1536
	ds_store_b8 v52, v2 offset:2048
	;; [unrolled: 1-line block ×3, first 2 shown]
	ds_store_b8_d16_hi v54, v2 offset:3072
	ds_store_b8 v55, v4 offset:3584
	s_wait_dscnt 0x0
	s_barrier_signal -1
	s_barrier_wait -1
	global_inv scope:SCOPE_SE
	ds_load_2addr_b32 v[45:46], v56 offset1:1
	s_wait_kmcnt 0x0
	s_mul_i32 s1, s12, s22
	v_mul_lo_u32 v41, s16, v44
	s_mov_b32 s13, 0
	s_add_co_i32 s12, s1, s9
	v_dual_mov_b32 v1, v42 :: v_dual_mov_b32 v2, v42
	v_dual_mov_b32 v3, v42 :: v_dual_mov_b32 v4, v42
	;; [unrolled: 1-line block ×3, first 2 shown]
	v_mov_b32_e32 v8, v42
	s_wait_alu 0xfffe
	s_lshl_b64 s[12:13], s[12:13], 3
	s_wait_loadcnt_dscnt 0x0
	s_wait_alu 0xfffe
	s_add_nc_u64 s[12:13], s[10:11], s[12:13]
	s_barrier_signal -1
	s_barrier_wait -1
	global_inv scope:SCOPE_SE
	s_and_saveexec_b32 s1, s2
	s_cbranch_execnz .LBB90_56
; %bb.24:
	s_or_b32 exec_lo, exec_lo, s1
	s_and_saveexec_b32 s1, s3
	s_cbranch_execnz .LBB90_57
.LBB90_25:
	s_or_b32 exec_lo, exec_lo, s1
	s_and_saveexec_b32 s1, s4
	s_cbranch_execnz .LBB90_58
.LBB90_26:
	s_or_b32 exec_lo, exec_lo, s1
	s_and_saveexec_b32 s1, s5
	s_cbranch_execnz .LBB90_59
.LBB90_27:
	s_or_b32 exec_lo, exec_lo, s1
	s_and_saveexec_b32 s1, s6
	s_cbranch_execnz .LBB90_60
.LBB90_28:
	s_or_b32 exec_lo, exec_lo, s1
	s_and_saveexec_b32 s1, s7
	s_cbranch_execnz .LBB90_61
.LBB90_29:
	s_or_b32 exec_lo, exec_lo, s1
	s_and_saveexec_b32 s1, s8
	s_cbranch_execnz .LBB90_62
.LBB90_30:
	s_or_b32 exec_lo, exec_lo, s1
	s_and_saveexec_b32 s1, s0
	s_cbranch_execz .LBB90_32
.LBB90_31:
	v_mul_lo_u32 v7, s16, v15
	v_mov_b32_e32 v8, 0
	s_delay_alu instid0(VALU_DEP_1) | instskip(SKIP_1) | instid1(VALU_DEP_1)
	v_lshlrev_b64_e32 v[7:8], 3, v[7:8]
	s_wait_alu 0xfffe
	v_add_co_u32 v7, vcc_lo, s12, v7
	s_wait_alu 0xfffd
	s_delay_alu instid0(VALU_DEP_2)
	v_add_co_ci_u32_e64 v8, null, s13, v8, vcc_lo
	global_load_b64 v[7:8], v[7:8], off
.LBB90_32:
	s_or_b32 exec_lo, exec_lo, s1
	v_lshl_add_u32 v58, v62, 3, v57
	v_lshl_add_u32 v59, v18, 3, v57
	;; [unrolled: 1-line block ×5, first 2 shown]
	s_wait_loadcnt 0x0
	ds_store_b64 v58, v[13:14]
	ds_store_b64 v59, v[42:43] offset:4096
	ds_store_b64 v60, v[9:10] offset:8192
	;; [unrolled: 1-line block ×3, first 2 shown]
	v_lshlrev_b32_e32 v9, 3, v57
	v_lshl_add_u32 v42, v23, 3, v57
	v_lshl_add_u32 v43, v25, 3, v57
	;; [unrolled: 1-line block ×3, first 2 shown]
	ds_store_b64 v42, v[1:2] offset:16384
	ds_store_b64 v43, v[3:4] offset:20480
	;; [unrolled: 1-line block ×4, first 2 shown]
	v_lshl_add_u32 v65, v29, 3, v9
	s_wait_dscnt 0x0
	s_barrier_signal -1
	s_barrier_wait -1
	global_inv scope:SCOPE_SE
	ds_load_2addr_b64 v[13:16], v65 offset1:1
	ds_load_2addr_b64 v[9:12], v65 offset0:2 offset1:3
	ds_load_2addr_b64 v[5:8], v65 offset0:4 offset1:5
	;; [unrolled: 1-line block ×3, first 2 shown]
	v_bfe_u32 v69, v0, 10, 10
	v_bfe_u32 v70, v0, 20, 10
	v_mbcnt_lo_u32_b32 v67, -1, 0
	v_and_b32_e32 v68, 0x3e0, v44
	v_lshlrev_b32_e32 v66, 2, v57
	s_and_b32 vcc_lo, exec_lo, s15
	s_wait_loadcnt_dscnt 0x0
	s_barrier_signal -1
	s_barrier_wait -1
	global_inv scope:SCOPE_SE
	s_wait_alu 0xfffe
	s_cbranch_vccz .LBB90_63
; %bb.33:
	s_getpc_b64 s[10:11]
	s_wait_alu 0xfffe
	s_sext_i32_i16 s11, s11
	s_add_co_u32 s10, s10, _ZN7rocprim17ROCPRIM_400000_NS16block_radix_sortIhLj512ELj8ElLj1ELj1ELj0ELNS0_26block_radix_rank_algorithmE1ELNS0_18block_padding_hintE2ELNS0_4arch9wavefront6targetE0EE19radix_bits_per_passE@rel32@lo+12
	s_wait_alu 0xfffe
	s_add_co_ci_u32 s11, s11, _ZN7rocprim17ROCPRIM_400000_NS16block_radix_sortIhLj512ELj8ElLj1ELj1ELj0ELNS0_26block_radix_rank_algorithmE1ELNS0_18block_padding_hintE2ELNS0_4arch9wavefront6targetE0EE19radix_bits_per_passE@rel32@hi+24
	v_or_b32_e32 v17, v67, v68
	s_load_b32 s1, s[10:11], 0x0
	s_mov_b32 s24, 0
	v_and_or_b32 v18, 0x1f00, v57, v67
	s_mov_b32 s25, s24
	s_mov_b32 s26, s24
	;; [unrolled: 1-line block ×3, first 2 shown]
	v_lshlrev_b32_e32 v19, 3, v17
	v_mad_u32_u24 v29, v18, 7, v18
	ds_store_b64 v19, v[45:46]
	; wave barrier
	ds_load_u8 v0, v18
	ds_load_u8 v71, v18 offset:32
	ds_load_u8 v72, v18 offset:64
	;; [unrolled: 1-line block ×7, first 2 shown]
	v_mad_u32_u24 v17, v17, 56, v19
	s_wait_loadcnt_dscnt 0x0
	s_barrier_signal -1
	s_barrier_wait -1
	global_inv scope:SCOPE_SE
	s_wait_kmcnt 0x0
	s_min_u32 s1, s1, 8
	ds_store_b128 v17, v[13:16]
	ds_store_b128 v17, v[9:12] offset:16
	s_lshl_b32 s1, -1, s1
	ds_store_b128 v17, v[5:8] offset:32
	ds_store_b128 v17, v[1:4] offset:48
	s_not_b32 s9, s1
	; wave barrier
	s_wait_alu 0xfffe
	v_and_b32_e32 v39, s9, v0
	ds_load_2addr_b64 v[25:28], v29 offset1:32
	ds_load_2addr_b64 v[21:24], v29 offset0:64 offset1:96
	ds_load_2addr_b64 v[17:20], v29 offset0:128 offset1:160
	;; [unrolled: 1-line block ×3, first 2 shown]
	s_wait_loadcnt_dscnt 0x0
	s_barrier_signal -1
	v_and_b32_e32 v33, 1, v39
	v_lshlrev_b32_e32 v34, 30, v39
	v_lshlrev_b32_e32 v36, 29, v39
	;; [unrolled: 1-line block ×3, first 2 shown]
	s_barrier_wait -1
	v_add_co_u32 v33, s1, v33, -1
	s_delay_alu instid0(VALU_DEP_1)
	v_cndmask_b32_e64 v35, 0, 1, s1
	v_not_b32_e32 v37, v34
	v_cmp_gt_i32_e64 s1, 0, v34
	v_not_b32_e32 v34, v36
	global_inv scope:SCOPE_SE
	v_cmp_ne_u32_e32 vcc_lo, 0, v35
	v_ashrrev_i32_e32 v35, 31, v37
	v_lshlrev_b32_e32 v37, 28, v39
	v_ashrrev_i32_e32 v34, 31, v34
	s_wait_alu 0xfffd
	v_xor_b32_e32 v33, vcc_lo, v33
	v_cmp_gt_i32_e32 vcc_lo, 0, v36
	s_wait_alu 0xf1ff
	v_xor_b32_e32 v35, s1, v35
	v_not_b32_e32 v36, v37
	s_load_b32 s1, s[20:21], 0xc
	v_and_b32_e32 v33, exec_lo, v33
	v_xor_b32_e32 v34, vcc_lo, v34
	v_cmp_gt_i32_e32 vcc_lo, 0, v37
	v_lshlrev_b32_e32 v37, 26, v39
	s_delay_alu instid0(VALU_DEP_4) | instskip(SKIP_2) | instid1(VALU_DEP_3)
	v_and_b32_e32 v33, v33, v35
	v_ashrrev_i32_e32 v35, 31, v36
	v_not_b32_e32 v36, v38
	v_and_b32_e32 v33, v33, v34
	s_wait_alu 0xfffd
	s_delay_alu instid0(VALU_DEP_3) | instskip(SKIP_3) | instid1(VALU_DEP_4)
	v_xor_b32_e32 v34, vcc_lo, v35
	v_cmp_gt_i32_e32 vcc_lo, 0, v38
	v_ashrrev_i32_e32 v35, 31, v36
	v_not_b32_e32 v36, v37
	v_and_b32_e32 v33, v33, v34
	v_lshlrev_b32_e32 v34, 25, v39
	s_wait_alu 0xfffd
	v_xor_b32_e32 v35, vcc_lo, v35
	v_cmp_gt_i32_e32 vcc_lo, 0, v37
	v_ashrrev_i32_e32 v36, 31, v36
	s_wait_kmcnt 0x0
	s_lshr_b32 s10, s1, 16
	v_not_b32_e32 v37, v34
	v_and_b32_e32 v33, v33, v35
	v_lshlrev_b32_e32 v35, 24, v39
	s_wait_alu 0xfffd
	v_xor_b32_e32 v36, vcc_lo, v36
	v_cmp_gt_i32_e32 vcc_lo, 0, v34
	v_ashrrev_i32_e32 v34, 31, v37
	s_wait_alu 0xfffe
	v_mad_u32_u24 v38, v70, s10, v69
	v_not_b32_e32 v37, v35
	v_and_b32_e32 v36, v33, v36
	s_and_b32 s1, s1, 0xffff
	s_wait_alu 0xfffd
	v_xor_b32_e32 v40, vcc_lo, v34
	v_cmp_gt_i32_e32 vcc_lo, 0, v35
	v_ashrrev_i32_e32 v35, 31, v37
	s_wait_alu 0xfffe
	v_mad_co_u64_u32 v[33:34], null, v38, s1, v[44:45]
	v_and_b32_e32 v34, v36, v40
	s_wait_alu 0xfffd
	v_xor_b32_e32 v40, vcc_lo, v35
	v_dual_mov_b32 v38, s27 :: v_dual_mov_b32 v37, s26
	v_dual_mov_b32 v36, s25 :: v_dual_mov_b32 v35, s24
	s_delay_alu instid0(VALU_DEP_3)
	v_and_b32_e32 v34, v34, v40
	v_and_b32_e32 v39, 0xff, v39
	v_lshrrev_b32_e32 v33, 3, v33
	ds_store_b128 v66, v[35:38] offset:64
	ds_store_b128 v66, v[35:38] offset:80
	v_mbcnt_lo_u32_b32 v78, v34, 0
	v_lshlrev_b32_e32 v35, 6, v39
	v_and_b32_e32 v33, 0x1ffffffc, v33
	v_cmp_ne_u32_e64 s1, 0, v34
	s_wait_loadcnt_dscnt 0x0
	v_cmp_eq_u32_e32 vcc_lo, 0, v78
	s_barrier_signal -1
	v_add_nc_u32_e32 v79, v33, v35
	s_barrier_wait -1
	global_inv scope:SCOPE_SE
	s_and_b32 s10, s1, vcc_lo
	; wave barrier
	s_wait_alu 0xfffe
	s_and_saveexec_b32 s1, s10
; %bb.34:
	v_bcnt_u32_b32 v34, v34, 0
	ds_store_b32 v79, v34 offset:64
; %bb.35:
	s_wait_alu 0xfffe
	s_or_b32 exec_lo, exec_lo, s1
	v_and_b32_e32 v34, s9, v71
	; wave barrier
	s_delay_alu instid0(VALU_DEP_1)
	v_and_b32_e32 v36, 1, v34
	v_lshlrev_b32_e32 v37, 30, v34
	v_lshlrev_b32_e32 v38, 29, v34
	;; [unrolled: 1-line block ×4, first 2 shown]
	v_add_co_u32 v36, s1, v36, -1
	s_wait_alu 0xf1ff
	v_cndmask_b32_e64 v40, 0, 1, s1
	v_not_b32_e32 v83, v37
	v_cmp_gt_i32_e64 s1, 0, v37
	v_not_b32_e32 v37, v38
	v_lshlrev_b32_e32 v81, 26, v34
	v_cmp_ne_u32_e32 vcc_lo, 0, v40
	v_ashrrev_i32_e32 v40, 31, v83
	v_lshlrev_b32_e32 v82, 25, v34
	v_ashrrev_i32_e32 v37, 31, v37
	v_and_b32_e32 v35, 0xff, v34
	s_wait_alu 0xfffd
	v_xor_b32_e32 v36, vcc_lo, v36
	v_cmp_gt_i32_e32 vcc_lo, 0, v38
	v_not_b32_e32 v38, v39
	s_wait_alu 0xf1ff
	v_xor_b32_e32 v40, s1, v40
	v_cmp_gt_i32_e64 s1, 0, v39
	v_and_b32_e32 v36, exec_lo, v36
	v_not_b32_e32 v39, v80
	v_ashrrev_i32_e32 v38, 31, v38
	s_wait_alu 0xfffd
	v_xor_b32_e32 v37, vcc_lo, v37
	v_cmp_gt_i32_e32 vcc_lo, 0, v80
	v_and_b32_e32 v36, v36, v40
	v_not_b32_e32 v40, v81
	v_ashrrev_i32_e32 v39, 31, v39
	s_wait_alu 0xf1ff
	v_xor_b32_e32 v38, s1, v38
	v_lshlrev_b32_e32 v34, 24, v34
	v_and_b32_e32 v36, v36, v37
	v_cmp_gt_i32_e64 s1, 0, v81
	v_not_b32_e32 v37, v82
	v_ashrrev_i32_e32 v40, 31, v40
	s_wait_alu 0xfffd
	v_xor_b32_e32 v39, vcc_lo, v39
	v_and_b32_e32 v36, v36, v38
	v_cmp_gt_i32_e32 vcc_lo, 0, v82
	v_not_b32_e32 v38, v34
	v_ashrrev_i32_e32 v37, 31, v37
	s_wait_alu 0xf1ff
	v_xor_b32_e32 v40, s1, v40
	v_and_b32_e32 v36, v36, v39
	v_lshlrev_b32_e32 v35, 6, v35
	v_cmp_gt_i32_e64 s1, 0, v34
	v_ashrrev_i32_e32 v34, 31, v38
	s_wait_alu 0xfffd
	v_xor_b32_e32 v37, vcc_lo, v37
	v_and_b32_e32 v36, v36, v40
	v_add_nc_u32_e32 v82, v33, v35
	s_wait_alu 0xf1ff
	v_xor_b32_e32 v34, s1, v34
	s_delay_alu instid0(VALU_DEP_3) | instskip(SKIP_2) | instid1(VALU_DEP_1)
	v_and_b32_e32 v35, v36, v37
	ds_load_b32 v80, v82 offset:64
	; wave barrier
	v_and_b32_e32 v34, v35, v34
	v_mbcnt_lo_u32_b32 v81, v34, 0
	v_cmp_ne_u32_e64 s1, 0, v34
	s_delay_alu instid0(VALU_DEP_2)
	v_cmp_eq_u32_e32 vcc_lo, 0, v81
	s_and_b32 s10, s1, vcc_lo
	s_wait_alu 0xfffe
	s_and_saveexec_b32 s1, s10
	s_cbranch_execz .LBB90_37
; %bb.36:
	s_wait_dscnt 0x0
	v_bcnt_u32_b32 v34, v34, v80
	ds_store_b32 v82, v34 offset:64
.LBB90_37:
	s_wait_alu 0xfffe
	s_or_b32 exec_lo, exec_lo, s1
	v_and_b32_e32 v34, s9, v72
	; wave barrier
	s_delay_alu instid0(VALU_DEP_1)
	v_and_b32_e32 v36, 1, v34
	v_lshlrev_b32_e32 v37, 30, v34
	v_lshlrev_b32_e32 v38, 29, v34
	;; [unrolled: 1-line block ×4, first 2 shown]
	v_add_co_u32 v36, s1, v36, -1
	s_wait_alu 0xf1ff
	v_cndmask_b32_e64 v40, 0, 1, s1
	v_not_b32_e32 v86, v37
	v_cmp_gt_i32_e64 s1, 0, v37
	v_not_b32_e32 v37, v38
	v_lshlrev_b32_e32 v84, 26, v34
	v_cmp_ne_u32_e32 vcc_lo, 0, v40
	v_ashrrev_i32_e32 v40, 31, v86
	v_lshlrev_b32_e32 v85, 25, v34
	v_ashrrev_i32_e32 v37, 31, v37
	v_and_b32_e32 v35, 0xff, v34
	s_wait_alu 0xfffd
	v_xor_b32_e32 v36, vcc_lo, v36
	v_cmp_gt_i32_e32 vcc_lo, 0, v38
	v_not_b32_e32 v38, v39
	s_wait_alu 0xf1ff
	v_xor_b32_e32 v40, s1, v40
	v_cmp_gt_i32_e64 s1, 0, v39
	v_and_b32_e32 v36, exec_lo, v36
	v_not_b32_e32 v39, v83
	v_ashrrev_i32_e32 v38, 31, v38
	s_wait_alu 0xfffd
	v_xor_b32_e32 v37, vcc_lo, v37
	v_cmp_gt_i32_e32 vcc_lo, 0, v83
	v_and_b32_e32 v36, v36, v40
	v_not_b32_e32 v40, v84
	v_ashrrev_i32_e32 v39, 31, v39
	s_wait_alu 0xf1ff
	v_xor_b32_e32 v38, s1, v38
	v_lshlrev_b32_e32 v34, 24, v34
	v_and_b32_e32 v36, v36, v37
	v_cmp_gt_i32_e64 s1, 0, v84
	v_not_b32_e32 v37, v85
	v_ashrrev_i32_e32 v40, 31, v40
	s_wait_alu 0xfffd
	v_xor_b32_e32 v39, vcc_lo, v39
	v_and_b32_e32 v36, v36, v38
	v_cmp_gt_i32_e32 vcc_lo, 0, v85
	v_not_b32_e32 v38, v34
	v_ashrrev_i32_e32 v37, 31, v37
	s_wait_alu 0xf1ff
	v_xor_b32_e32 v40, s1, v40
	v_and_b32_e32 v36, v36, v39
	v_lshlrev_b32_e32 v35, 6, v35
	v_cmp_gt_i32_e64 s1, 0, v34
	v_ashrrev_i32_e32 v34, 31, v38
	s_wait_alu 0xfffd
	v_xor_b32_e32 v37, vcc_lo, v37
	v_and_b32_e32 v36, v36, v40
	v_add_nc_u32_e32 v85, v33, v35
	s_wait_alu 0xf1ff
	v_xor_b32_e32 v34, s1, v34
	s_delay_alu instid0(VALU_DEP_3) | instskip(SKIP_2) | instid1(VALU_DEP_1)
	v_and_b32_e32 v35, v36, v37
	ds_load_b32 v83, v85 offset:64
	; wave barrier
	v_and_b32_e32 v34, v35, v34
	v_mbcnt_lo_u32_b32 v84, v34, 0
	v_cmp_ne_u32_e64 s1, 0, v34
	s_delay_alu instid0(VALU_DEP_2)
	v_cmp_eq_u32_e32 vcc_lo, 0, v84
	s_and_b32 s10, s1, vcc_lo
	s_wait_alu 0xfffe
	s_and_saveexec_b32 s1, s10
	s_cbranch_execz .LBB90_39
; %bb.38:
	s_wait_dscnt 0x0
	v_bcnt_u32_b32 v34, v34, v83
	ds_store_b32 v85, v34 offset:64
.LBB90_39:
	s_wait_alu 0xfffe
	s_or_b32 exec_lo, exec_lo, s1
	v_and_b32_e32 v34, s9, v73
	; wave barrier
	s_delay_alu instid0(VALU_DEP_1)
	v_and_b32_e32 v36, 1, v34
	v_lshlrev_b32_e32 v37, 30, v34
	v_lshlrev_b32_e32 v38, 29, v34
	;; [unrolled: 1-line block ×4, first 2 shown]
	v_add_co_u32 v36, s1, v36, -1
	s_wait_alu 0xf1ff
	v_cndmask_b32_e64 v40, 0, 1, s1
	v_not_b32_e32 v89, v37
	v_cmp_gt_i32_e64 s1, 0, v37
	v_not_b32_e32 v37, v38
	v_lshlrev_b32_e32 v87, 26, v34
	v_cmp_ne_u32_e32 vcc_lo, 0, v40
	v_ashrrev_i32_e32 v40, 31, v89
	v_lshlrev_b32_e32 v88, 25, v34
	v_ashrrev_i32_e32 v37, 31, v37
	v_and_b32_e32 v35, 0xff, v34
	s_wait_alu 0xfffd
	v_xor_b32_e32 v36, vcc_lo, v36
	v_cmp_gt_i32_e32 vcc_lo, 0, v38
	v_not_b32_e32 v38, v39
	s_wait_alu 0xf1ff
	v_xor_b32_e32 v40, s1, v40
	v_cmp_gt_i32_e64 s1, 0, v39
	v_and_b32_e32 v36, exec_lo, v36
	v_not_b32_e32 v39, v86
	v_ashrrev_i32_e32 v38, 31, v38
	s_wait_alu 0xfffd
	v_xor_b32_e32 v37, vcc_lo, v37
	v_cmp_gt_i32_e32 vcc_lo, 0, v86
	v_and_b32_e32 v36, v36, v40
	v_not_b32_e32 v40, v87
	v_ashrrev_i32_e32 v39, 31, v39
	s_wait_alu 0xf1ff
	v_xor_b32_e32 v38, s1, v38
	v_lshlrev_b32_e32 v34, 24, v34
	v_and_b32_e32 v36, v36, v37
	v_cmp_gt_i32_e64 s1, 0, v87
	v_not_b32_e32 v37, v88
	v_ashrrev_i32_e32 v40, 31, v40
	s_wait_alu 0xfffd
	v_xor_b32_e32 v39, vcc_lo, v39
	v_and_b32_e32 v36, v36, v38
	v_cmp_gt_i32_e32 vcc_lo, 0, v88
	v_not_b32_e32 v38, v34
	v_ashrrev_i32_e32 v37, 31, v37
	s_wait_alu 0xf1ff
	v_xor_b32_e32 v40, s1, v40
	v_and_b32_e32 v36, v36, v39
	v_lshlrev_b32_e32 v35, 6, v35
	v_cmp_gt_i32_e64 s1, 0, v34
	v_ashrrev_i32_e32 v34, 31, v38
	s_wait_alu 0xfffd
	v_xor_b32_e32 v37, vcc_lo, v37
	v_and_b32_e32 v36, v36, v40
	v_add_nc_u32_e32 v88, v33, v35
	s_wait_alu 0xf1ff
	v_xor_b32_e32 v34, s1, v34
	s_delay_alu instid0(VALU_DEP_3) | instskip(SKIP_2) | instid1(VALU_DEP_1)
	v_and_b32_e32 v35, v36, v37
	ds_load_b32 v86, v88 offset:64
	; wave barrier
	v_and_b32_e32 v34, v35, v34
	v_mbcnt_lo_u32_b32 v87, v34, 0
	v_cmp_ne_u32_e64 s1, 0, v34
	s_delay_alu instid0(VALU_DEP_2)
	v_cmp_eq_u32_e32 vcc_lo, 0, v87
	s_and_b32 s10, s1, vcc_lo
	s_wait_alu 0xfffe
	s_and_saveexec_b32 s1, s10
	s_cbranch_execz .LBB90_41
; %bb.40:
	s_wait_dscnt 0x0
	v_bcnt_u32_b32 v34, v34, v86
	ds_store_b32 v88, v34 offset:64
.LBB90_41:
	s_wait_alu 0xfffe
	s_or_b32 exec_lo, exec_lo, s1
	v_and_b32_e32 v34, s9, v74
	; wave barrier
	s_delay_alu instid0(VALU_DEP_1)
	v_and_b32_e32 v36, 1, v34
	v_lshlrev_b32_e32 v37, 30, v34
	v_lshlrev_b32_e32 v38, 29, v34
	;; [unrolled: 1-line block ×4, first 2 shown]
	v_add_co_u32 v36, s1, v36, -1
	s_wait_alu 0xf1ff
	v_cndmask_b32_e64 v40, 0, 1, s1
	v_not_b32_e32 v92, v37
	v_cmp_gt_i32_e64 s1, 0, v37
	v_not_b32_e32 v37, v38
	v_lshlrev_b32_e32 v90, 26, v34
	v_cmp_ne_u32_e32 vcc_lo, 0, v40
	v_ashrrev_i32_e32 v40, 31, v92
	v_lshlrev_b32_e32 v91, 25, v34
	v_ashrrev_i32_e32 v37, 31, v37
	v_and_b32_e32 v35, 0xff, v34
	s_wait_alu 0xfffd
	v_xor_b32_e32 v36, vcc_lo, v36
	v_cmp_gt_i32_e32 vcc_lo, 0, v38
	v_not_b32_e32 v38, v39
	s_wait_alu 0xf1ff
	v_xor_b32_e32 v40, s1, v40
	v_cmp_gt_i32_e64 s1, 0, v39
	v_and_b32_e32 v36, exec_lo, v36
	v_not_b32_e32 v39, v89
	v_ashrrev_i32_e32 v38, 31, v38
	s_wait_alu 0xfffd
	v_xor_b32_e32 v37, vcc_lo, v37
	v_cmp_gt_i32_e32 vcc_lo, 0, v89
	v_and_b32_e32 v36, v36, v40
	v_not_b32_e32 v40, v90
	v_ashrrev_i32_e32 v39, 31, v39
	s_wait_alu 0xf1ff
	v_xor_b32_e32 v38, s1, v38
	v_lshlrev_b32_e32 v34, 24, v34
	v_and_b32_e32 v36, v36, v37
	v_cmp_gt_i32_e64 s1, 0, v90
	v_not_b32_e32 v37, v91
	v_ashrrev_i32_e32 v40, 31, v40
	s_wait_alu 0xfffd
	v_xor_b32_e32 v39, vcc_lo, v39
	v_and_b32_e32 v36, v36, v38
	v_cmp_gt_i32_e32 vcc_lo, 0, v91
	v_not_b32_e32 v38, v34
	v_ashrrev_i32_e32 v37, 31, v37
	s_wait_alu 0xf1ff
	v_xor_b32_e32 v40, s1, v40
	v_and_b32_e32 v36, v36, v39
	v_lshlrev_b32_e32 v35, 6, v35
	v_cmp_gt_i32_e64 s1, 0, v34
	v_ashrrev_i32_e32 v34, 31, v38
	s_wait_alu 0xfffd
	v_xor_b32_e32 v37, vcc_lo, v37
	v_and_b32_e32 v36, v36, v40
	v_add_nc_u32_e32 v91, v33, v35
	s_wait_alu 0xf1ff
	v_xor_b32_e32 v34, s1, v34
	s_delay_alu instid0(VALU_DEP_3) | instskip(SKIP_2) | instid1(VALU_DEP_1)
	v_and_b32_e32 v35, v36, v37
	ds_load_b32 v89, v91 offset:64
	; wave barrier
	v_and_b32_e32 v34, v35, v34
	v_mbcnt_lo_u32_b32 v90, v34, 0
	v_cmp_ne_u32_e64 s1, 0, v34
	s_delay_alu instid0(VALU_DEP_2)
	v_cmp_eq_u32_e32 vcc_lo, 0, v90
	s_and_b32 s10, s1, vcc_lo
	s_wait_alu 0xfffe
	s_and_saveexec_b32 s1, s10
	s_cbranch_execz .LBB90_43
; %bb.42:
	s_wait_dscnt 0x0
	v_bcnt_u32_b32 v34, v34, v89
	ds_store_b32 v91, v34 offset:64
.LBB90_43:
	s_wait_alu 0xfffe
	s_or_b32 exec_lo, exec_lo, s1
	v_and_b32_e32 v34, s9, v75
	; wave barrier
	s_delay_alu instid0(VALU_DEP_1)
	v_and_b32_e32 v36, 1, v34
	v_lshlrev_b32_e32 v37, 30, v34
	v_lshlrev_b32_e32 v38, 29, v34
	;; [unrolled: 1-line block ×4, first 2 shown]
	v_add_co_u32 v36, s1, v36, -1
	s_wait_alu 0xf1ff
	v_cndmask_b32_e64 v40, 0, 1, s1
	v_not_b32_e32 v95, v37
	v_cmp_gt_i32_e64 s1, 0, v37
	v_not_b32_e32 v37, v38
	v_lshlrev_b32_e32 v93, 26, v34
	v_cmp_ne_u32_e32 vcc_lo, 0, v40
	v_ashrrev_i32_e32 v40, 31, v95
	v_lshlrev_b32_e32 v94, 25, v34
	v_ashrrev_i32_e32 v37, 31, v37
	v_and_b32_e32 v35, 0xff, v34
	s_wait_alu 0xfffd
	v_xor_b32_e32 v36, vcc_lo, v36
	v_cmp_gt_i32_e32 vcc_lo, 0, v38
	v_not_b32_e32 v38, v39
	s_wait_alu 0xf1ff
	v_xor_b32_e32 v40, s1, v40
	v_cmp_gt_i32_e64 s1, 0, v39
	v_and_b32_e32 v36, exec_lo, v36
	v_not_b32_e32 v39, v92
	v_ashrrev_i32_e32 v38, 31, v38
	s_wait_alu 0xfffd
	v_xor_b32_e32 v37, vcc_lo, v37
	v_cmp_gt_i32_e32 vcc_lo, 0, v92
	v_and_b32_e32 v36, v36, v40
	v_not_b32_e32 v40, v93
	v_ashrrev_i32_e32 v39, 31, v39
	s_wait_alu 0xf1ff
	v_xor_b32_e32 v38, s1, v38
	v_lshlrev_b32_e32 v34, 24, v34
	v_and_b32_e32 v36, v36, v37
	v_cmp_gt_i32_e64 s1, 0, v93
	v_not_b32_e32 v37, v94
	v_ashrrev_i32_e32 v40, 31, v40
	s_wait_alu 0xfffd
	v_xor_b32_e32 v39, vcc_lo, v39
	v_and_b32_e32 v36, v36, v38
	v_cmp_gt_i32_e32 vcc_lo, 0, v94
	v_not_b32_e32 v38, v34
	v_ashrrev_i32_e32 v37, 31, v37
	s_wait_alu 0xf1ff
	v_xor_b32_e32 v40, s1, v40
	v_and_b32_e32 v36, v36, v39
	v_lshlrev_b32_e32 v35, 6, v35
	v_cmp_gt_i32_e64 s1, 0, v34
	v_ashrrev_i32_e32 v34, 31, v38
	s_wait_alu 0xfffd
	v_xor_b32_e32 v37, vcc_lo, v37
	v_and_b32_e32 v36, v36, v40
	v_add_nc_u32_e32 v94, v33, v35
	s_wait_alu 0xf1ff
	v_xor_b32_e32 v34, s1, v34
	s_delay_alu instid0(VALU_DEP_3) | instskip(SKIP_2) | instid1(VALU_DEP_1)
	v_and_b32_e32 v35, v36, v37
	ds_load_b32 v92, v94 offset:64
	; wave barrier
	v_and_b32_e32 v34, v35, v34
	v_mbcnt_lo_u32_b32 v93, v34, 0
	v_cmp_ne_u32_e64 s1, 0, v34
	s_delay_alu instid0(VALU_DEP_2)
	v_cmp_eq_u32_e32 vcc_lo, 0, v93
	s_and_b32 s10, s1, vcc_lo
	s_wait_alu 0xfffe
	s_and_saveexec_b32 s1, s10
	s_cbranch_execz .LBB90_45
; %bb.44:
	s_wait_dscnt 0x0
	v_bcnt_u32_b32 v34, v34, v92
	ds_store_b32 v94, v34 offset:64
.LBB90_45:
	s_wait_alu 0xfffe
	s_or_b32 exec_lo, exec_lo, s1
	v_and_b32_e32 v34, s9, v76
	; wave barrier
	s_delay_alu instid0(VALU_DEP_1)
	v_and_b32_e32 v36, 1, v34
	v_lshlrev_b32_e32 v37, 30, v34
	v_lshlrev_b32_e32 v38, 29, v34
	;; [unrolled: 1-line block ×4, first 2 shown]
	v_add_co_u32 v36, s1, v36, -1
	s_wait_alu 0xf1ff
	v_cndmask_b32_e64 v40, 0, 1, s1
	v_not_b32_e32 v98, v37
	v_cmp_gt_i32_e64 s1, 0, v37
	v_not_b32_e32 v37, v38
	v_lshlrev_b32_e32 v96, 26, v34
	v_cmp_ne_u32_e32 vcc_lo, 0, v40
	v_ashrrev_i32_e32 v40, 31, v98
	v_lshlrev_b32_e32 v97, 25, v34
	v_ashrrev_i32_e32 v37, 31, v37
	v_and_b32_e32 v35, 0xff, v34
	s_wait_alu 0xfffd
	v_xor_b32_e32 v36, vcc_lo, v36
	v_cmp_gt_i32_e32 vcc_lo, 0, v38
	v_not_b32_e32 v38, v39
	s_wait_alu 0xf1ff
	v_xor_b32_e32 v40, s1, v40
	v_cmp_gt_i32_e64 s1, 0, v39
	v_and_b32_e32 v36, exec_lo, v36
	v_not_b32_e32 v39, v95
	v_ashrrev_i32_e32 v38, 31, v38
	s_wait_alu 0xfffd
	v_xor_b32_e32 v37, vcc_lo, v37
	v_cmp_gt_i32_e32 vcc_lo, 0, v95
	v_and_b32_e32 v36, v36, v40
	v_not_b32_e32 v40, v96
	v_ashrrev_i32_e32 v39, 31, v39
	s_wait_alu 0xf1ff
	v_xor_b32_e32 v38, s1, v38
	v_lshlrev_b32_e32 v34, 24, v34
	v_and_b32_e32 v36, v36, v37
	v_cmp_gt_i32_e64 s1, 0, v96
	v_not_b32_e32 v37, v97
	v_ashrrev_i32_e32 v40, 31, v40
	s_wait_alu 0xfffd
	v_xor_b32_e32 v39, vcc_lo, v39
	v_and_b32_e32 v36, v36, v38
	v_cmp_gt_i32_e32 vcc_lo, 0, v97
	v_not_b32_e32 v38, v34
	v_ashrrev_i32_e32 v37, 31, v37
	s_wait_alu 0xf1ff
	v_xor_b32_e32 v40, s1, v40
	v_and_b32_e32 v36, v36, v39
	v_lshlrev_b32_e32 v35, 6, v35
	v_cmp_gt_i32_e64 s1, 0, v34
	v_ashrrev_i32_e32 v34, 31, v38
	s_wait_alu 0xfffd
	v_xor_b32_e32 v37, vcc_lo, v37
	v_and_b32_e32 v36, v36, v40
	v_add_nc_u32_e32 v97, v33, v35
	s_wait_alu 0xf1ff
	v_xor_b32_e32 v34, s1, v34
	s_delay_alu instid0(VALU_DEP_3) | instskip(SKIP_2) | instid1(VALU_DEP_1)
	v_and_b32_e32 v35, v36, v37
	ds_load_b32 v95, v97 offset:64
	; wave barrier
	v_and_b32_e32 v34, v35, v34
	v_mbcnt_lo_u32_b32 v96, v34, 0
	v_cmp_ne_u32_e64 s1, 0, v34
	s_delay_alu instid0(VALU_DEP_2)
	v_cmp_eq_u32_e32 vcc_lo, 0, v96
	s_and_b32 s10, s1, vcc_lo
	s_wait_alu 0xfffe
	s_and_saveexec_b32 s1, s10
	s_cbranch_execz .LBB90_47
; %bb.46:
	s_wait_dscnt 0x0
	v_bcnt_u32_b32 v34, v34, v95
	ds_store_b32 v97, v34 offset:64
.LBB90_47:
	s_wait_alu 0xfffe
	s_or_b32 exec_lo, exec_lo, s1
	v_and_b32_e32 v34, s9, v77
	; wave barrier
	s_delay_alu instid0(VALU_DEP_1)
	v_and_b32_e32 v36, 1, v34
	v_lshlrev_b32_e32 v37, 30, v34
	v_lshlrev_b32_e32 v38, 29, v34
	;; [unrolled: 1-line block ×4, first 2 shown]
	v_add_co_u32 v36, s1, v36, -1
	s_wait_alu 0xf1ff
	v_cndmask_b32_e64 v40, 0, 1, s1
	v_not_b32_e32 v101, v37
	v_cmp_gt_i32_e64 s1, 0, v37
	v_not_b32_e32 v37, v38
	v_lshlrev_b32_e32 v99, 26, v34
	v_cmp_ne_u32_e32 vcc_lo, 0, v40
	v_ashrrev_i32_e32 v40, 31, v101
	v_lshlrev_b32_e32 v100, 25, v34
	v_ashrrev_i32_e32 v37, 31, v37
	v_and_b32_e32 v35, 0xff, v34
	s_wait_alu 0xfffd
	v_xor_b32_e32 v36, vcc_lo, v36
	v_cmp_gt_i32_e32 vcc_lo, 0, v38
	v_not_b32_e32 v38, v39
	s_wait_alu 0xf1ff
	v_xor_b32_e32 v40, s1, v40
	v_cmp_gt_i32_e64 s1, 0, v39
	v_and_b32_e32 v36, exec_lo, v36
	v_not_b32_e32 v39, v98
	v_ashrrev_i32_e32 v38, 31, v38
	s_wait_alu 0xfffd
	v_xor_b32_e32 v37, vcc_lo, v37
	v_cmp_gt_i32_e32 vcc_lo, 0, v98
	v_and_b32_e32 v36, v36, v40
	v_not_b32_e32 v40, v99
	v_ashrrev_i32_e32 v39, 31, v39
	s_wait_alu 0xf1ff
	v_xor_b32_e32 v38, s1, v38
	v_lshlrev_b32_e32 v34, 24, v34
	v_and_b32_e32 v36, v36, v37
	v_cmp_gt_i32_e64 s1, 0, v99
	v_not_b32_e32 v37, v100
	v_ashrrev_i32_e32 v40, 31, v40
	s_wait_alu 0xfffd
	v_xor_b32_e32 v39, vcc_lo, v39
	v_and_b32_e32 v36, v36, v38
	v_cmp_gt_i32_e32 vcc_lo, 0, v100
	v_not_b32_e32 v38, v34
	v_ashrrev_i32_e32 v37, 31, v37
	s_wait_alu 0xf1ff
	v_xor_b32_e32 v40, s1, v40
	v_and_b32_e32 v36, v36, v39
	v_lshlrev_b32_e32 v35, 6, v35
	v_cmp_gt_i32_e64 s1, 0, v34
	v_ashrrev_i32_e32 v34, 31, v38
	s_wait_alu 0xfffd
	v_xor_b32_e32 v37, vcc_lo, v37
	v_and_b32_e32 v36, v36, v40
	v_add_nc_u32_e32 v100, v33, v35
	s_wait_alu 0xf1ff
	v_xor_b32_e32 v33, s1, v34
	s_delay_alu instid0(VALU_DEP_3) | instskip(SKIP_2) | instid1(VALU_DEP_1)
	v_and_b32_e32 v34, v36, v37
	ds_load_b32 v98, v100 offset:64
	; wave barrier
	v_and_b32_e32 v33, v34, v33
	v_mbcnt_lo_u32_b32 v99, v33, 0
	v_cmp_ne_u32_e64 s1, 0, v33
	s_delay_alu instid0(VALU_DEP_2)
	v_cmp_eq_u32_e32 vcc_lo, 0, v99
	s_and_b32 s9, s1, vcc_lo
	s_wait_alu 0xfffe
	s_and_saveexec_b32 s1, s9
	s_cbranch_execz .LBB90_49
; %bb.48:
	s_wait_dscnt 0x0
	v_bcnt_u32_b32 v33, v33, v98
	ds_store_b32 v100, v33 offset:64
.LBB90_49:
	s_wait_alu 0xfffe
	s_or_b32 exec_lo, exec_lo, s1
	; wave barrier
	s_wait_loadcnt_dscnt 0x0
	s_barrier_signal -1
	s_barrier_wait -1
	global_inv scope:SCOPE_SE
	ds_load_b128 v[37:40], v66 offset:64
	ds_load_b128 v[33:36], v66 offset:80
	v_min_u32_e32 v103, 0x1e0, v68
	s_mov_b32 s15, exec_lo
	s_wait_dscnt 0x1
	v_add_nc_u32_e32 v101, v38, v37
	s_delay_alu instid0(VALU_DEP_1) | instskip(SKIP_1) | instid1(VALU_DEP_1)
	v_add3_u32 v101, v101, v39, v40
	s_wait_dscnt 0x0
	v_add3_u32 v101, v101, v33, v34
	s_delay_alu instid0(VALU_DEP_1) | instskip(SKIP_1) | instid1(VALU_DEP_2)
	v_add3_u32 v36, v101, v35, v36
	v_and_b32_e32 v101, 15, v67
	v_mov_b32_dpp v102, v36 row_shr:1 row_mask:0xf bank_mask:0xf
	s_delay_alu instid0(VALU_DEP_2)
	v_cmp_eq_u32_e32 vcc_lo, 0, v101
	v_cmp_lt_u32_e64 s1, 1, v101
	v_cmp_lt_u32_e64 s9, 3, v101
	;; [unrolled: 1-line block ×3, first 2 shown]
	s_wait_alu 0xfffd
	v_cndmask_b32_e64 v102, v102, 0, vcc_lo
	s_delay_alu instid0(VALU_DEP_1) | instskip(NEXT) | instid1(VALU_DEP_1)
	v_add_nc_u32_e32 v36, v102, v36
	v_mov_b32_dpp v102, v36 row_shr:2 row_mask:0xf bank_mask:0xf
	s_wait_alu 0xf1ff
	s_delay_alu instid0(VALU_DEP_1) | instskip(NEXT) | instid1(VALU_DEP_1)
	v_cndmask_b32_e64 v102, 0, v102, s1
	v_add_nc_u32_e32 v36, v36, v102
	s_delay_alu instid0(VALU_DEP_1) | instskip(NEXT) | instid1(VALU_DEP_1)
	v_mov_b32_dpp v102, v36 row_shr:4 row_mask:0xf bank_mask:0xf
	v_cndmask_b32_e64 v102, 0, v102, s9
	s_delay_alu instid0(VALU_DEP_1) | instskip(NEXT) | instid1(VALU_DEP_1)
	v_add_nc_u32_e32 v36, v36, v102
	v_mov_b32_dpp v102, v36 row_shr:8 row_mask:0xf bank_mask:0xf
	s_delay_alu instid0(VALU_DEP_1) | instskip(SKIP_1) | instid1(VALU_DEP_2)
	v_cndmask_b32_e64 v101, 0, v102, s10
	v_bfe_i32 v102, v67, 4, 1
	v_add_nc_u32_e32 v36, v36, v101
	ds_swizzle_b32 v101, v36 offset:swizzle(BROADCAST,32,15)
	s_wait_dscnt 0x0
	v_and_b32_e32 v101, v102, v101
	v_or_b32_e32 v102, 31, v103
	s_delay_alu instid0(VALU_DEP_2) | instskip(NEXT) | instid1(VALU_DEP_2)
	v_add_nc_u32_e32 v36, v36, v101
	v_cmpx_eq_u32_e64 v44, v102
; %bb.50:
	v_lshlrev_b32_e32 v101, 2, v62
	ds_store_b32 v101, v36
; %bb.51:
	s_wait_alu 0xfffe
	s_or_b32 exec_lo, exec_lo, s15
	s_delay_alu instid0(SALU_CYCLE_1)
	s_mov_b32 s15, exec_lo
	s_wait_loadcnt_dscnt 0x0
	s_barrier_signal -1
	s_barrier_wait -1
	global_inv scope:SCOPE_SE
	v_cmpx_gt_u32_e32 16, v44
	s_cbranch_execz .LBB90_53
; %bb.52:
	v_lshlrev_b32_e32 v101, 2, v44
	ds_load_b32 v102, v101
	s_wait_dscnt 0x0
	v_mov_b32_dpp v103, v102 row_shr:1 row_mask:0xf bank_mask:0xf
	s_delay_alu instid0(VALU_DEP_1) | instskip(NEXT) | instid1(VALU_DEP_1)
	v_cndmask_b32_e64 v103, v103, 0, vcc_lo
	v_add_nc_u32_e32 v102, v103, v102
	s_delay_alu instid0(VALU_DEP_1) | instskip(NEXT) | instid1(VALU_DEP_1)
	v_mov_b32_dpp v103, v102 row_shr:2 row_mask:0xf bank_mask:0xf
	v_cndmask_b32_e64 v103, 0, v103, s1
	s_delay_alu instid0(VALU_DEP_1) | instskip(NEXT) | instid1(VALU_DEP_1)
	v_add_nc_u32_e32 v102, v102, v103
	v_mov_b32_dpp v103, v102 row_shr:4 row_mask:0xf bank_mask:0xf
	s_delay_alu instid0(VALU_DEP_1) | instskip(NEXT) | instid1(VALU_DEP_1)
	v_cndmask_b32_e64 v103, 0, v103, s9
	v_add_nc_u32_e32 v102, v102, v103
	s_delay_alu instid0(VALU_DEP_1) | instskip(NEXT) | instid1(VALU_DEP_1)
	v_mov_b32_dpp v103, v102 row_shr:8 row_mask:0xf bank_mask:0xf
	v_cndmask_b32_e64 v103, 0, v103, s10
	s_delay_alu instid0(VALU_DEP_1)
	v_add_nc_u32_e32 v102, v102, v103
	ds_store_b32 v101, v102
.LBB90_53:
	s_wait_alu 0xfffe
	s_or_b32 exec_lo, exec_lo, s15
	v_mov_b32_e32 v101, 0
	s_mov_b32 s1, exec_lo
	s_wait_loadcnt_dscnt 0x0
	s_barrier_signal -1
	s_barrier_wait -1
	global_inv scope:SCOPE_SE
	v_cmpx_lt_u32_e32 31, v44
; %bb.54:
	v_lshl_add_u32 v101, v62, 2, -4
	ds_load_b32 v101, v101
; %bb.55:
	s_wait_alu 0xfffe
	s_or_b32 exec_lo, exec_lo, s1
	v_sub_co_u32 v102, vcc_lo, v67, 1
	s_wait_dscnt 0x0
	v_add_nc_u32_e32 v36, v101, v36
	s_delay_alu instid0(VALU_DEP_2) | instskip(SKIP_1) | instid1(VALU_DEP_1)
	v_cmp_gt_i32_e64 s1, 0, v102
	s_wait_alu 0xf1ff
	v_cndmask_b32_e64 v102, v102, v67, s1
	s_delay_alu instid0(VALU_DEP_1)
	v_lshlrev_b32_e32 v102, 2, v102
	ds_bpermute_b32 v36, v102, v36
	s_wait_dscnt 0x0
	s_wait_alu 0xfffd
	v_cndmask_b32_e32 v36, v36, v101, vcc_lo
	v_cmp_ne_u32_e32 vcc_lo, 0, v44
	s_wait_alu 0xfffd
	s_delay_alu instid0(VALU_DEP_2) | instskip(NEXT) | instid1(VALU_DEP_1)
	v_cndmask_b32_e32 v36, 0, v36, vcc_lo
	v_add_nc_u32_e32 v37, v36, v37
	s_delay_alu instid0(VALU_DEP_1) | instskip(NEXT) | instid1(VALU_DEP_1)
	v_add_nc_u32_e32 v38, v37, v38
	v_add_nc_u32_e32 v39, v38, v39
	s_delay_alu instid0(VALU_DEP_1) | instskip(NEXT) | instid1(VALU_DEP_1)
	v_add_nc_u32_e32 v101, v39, v40
	;; [unrolled: 3-line block ×3, first 2 shown]
	v_add_nc_u32_e32 v104, v103, v35
	ds_store_b128 v66, v[36:39] offset:64
	ds_store_b128 v66, v[101:104] offset:80
	s_wait_loadcnt_dscnt 0x0
	s_barrier_signal -1
	s_barrier_wait -1
	global_inv scope:SCOPE_SE
	ds_load_b32 v33, v79 offset:64
	ds_load_b32 v34, v82 offset:64
	;; [unrolled: 1-line block ×8, first 2 shown]
	v_mad_u32_u24 v79, v44, 56, v57
	s_wait_loadcnt_dscnt 0x0
	s_barrier_signal -1
	s_barrier_wait -1
	global_inv scope:SCOPE_SE
	v_add_nc_u32_e32 v78, v33, v78
	v_add3_u32 v80, v81, v80, v34
	v_add3_u32 v35, v84, v83, v35
	;; [unrolled: 1-line block ×7, first 2 shown]
	ds_store_b8 v78, v0
	ds_store_b8 v80, v71
	;; [unrolled: 1-line block ×8, first 2 shown]
	v_lshlrev_b32_e32 v0, 3, v78
	v_lshlrev_b32_e32 v71, 3, v80
	;; [unrolled: 1-line block ×5, first 2 shown]
	s_wait_loadcnt_dscnt 0x0
	s_barrier_signal -1
	s_barrier_wait -1
	global_inv scope:SCOPE_SE
	ds_load_b64 v[33:34], v57
	s_wait_loadcnt_dscnt 0x0
	s_barrier_signal -1
	s_barrier_wait -1
	global_inv scope:SCOPE_SE
	v_lshlrev_b32_e32 v38, 3, v38
	v_lshlrev_b32_e32 v39, 3, v39
	;; [unrolled: 1-line block ×3, first 2 shown]
	ds_store_b64 v0, v[25:26]
	ds_store_b64 v71, v[27:28]
	;; [unrolled: 1-line block ×8, first 2 shown]
	s_wait_loadcnt_dscnt 0x0
	s_barrier_signal -1
	s_barrier_wait -1
	global_inv scope:SCOPE_SE
	ds_load_b128 v[29:32], v79
	ds_load_b128 v[25:28], v79 offset:16
	ds_load_b128 v[21:24], v79 offset:32
	;; [unrolled: 1-line block ×3, first 2 shown]
	s_branch .LBB90_87
.LBB90_56:
	v_lshlrev_b64_e32 v[1:2], 3, v[41:42]
	v_dual_mov_b32 v43, v42 :: v_dual_mov_b32 v10, v42
	v_dual_mov_b32 v9, v42 :: v_dual_mov_b32 v12, v42
	v_mov_b32_e32 v11, v42
	s_wait_alu 0xfffe
	s_delay_alu instid0(VALU_DEP_4) | instskip(NEXT) | instid1(VALU_DEP_1)
	v_add_co_u32 v1, vcc_lo, s12, v1
	v_add_co_ci_u32_e64 v2, null, s13, v2, vcc_lo
	v_dual_mov_b32 v3, v42 :: v_dual_mov_b32 v6, v42
	v_dual_mov_b32 v5, v42 :: v_dual_mov_b32 v8, v42
	global_load_b64 v[13:14], v[1:2], off
	v_dual_mov_b32 v1, v42 :: v_dual_mov_b32 v4, v42
	v_dual_mov_b32 v2, v42 :: v_dual_mov_b32 v7, v42
	s_or_b32 exec_lo, exec_lo, s1
	s_and_saveexec_b32 s1, s3
	s_cbranch_execz .LBB90_25
.LBB90_57:
	v_mul_lo_u32 v30, s16, v28
	v_mov_b32_e32 v31, 0
	s_delay_alu instid0(VALU_DEP_1) | instskip(SKIP_1) | instid1(VALU_DEP_1)
	v_lshlrev_b64_e32 v[30:31], 3, v[30:31]
	s_wait_alu 0xfffe
	v_add_co_u32 v30, vcc_lo, s12, v30
	s_wait_alu 0xfffd
	s_delay_alu instid0(VALU_DEP_2)
	v_add_co_ci_u32_e64 v31, null, s13, v31, vcc_lo
	global_load_b64 v[42:43], v[30:31], off
	s_or_b32 exec_lo, exec_lo, s1
	s_and_saveexec_b32 s1, s4
	s_cbranch_execz .LBB90_26
.LBB90_58:
	v_mul_lo_u32 v9, s16, v24
	v_mov_b32_e32 v10, 0
	s_delay_alu instid0(VALU_DEP_1) | instskip(SKIP_1) | instid1(VALU_DEP_1)
	v_lshlrev_b64_e32 v[9:10], 3, v[9:10]
	s_wait_alu 0xfffe
	v_add_co_u32 v9, vcc_lo, s12, v9
	s_wait_alu 0xfffd
	s_delay_alu instid0(VALU_DEP_2)
	v_add_co_ci_u32_e64 v10, null, s13, v10, vcc_lo
	global_load_b64 v[9:10], v[9:10], off
	s_or_b32 exec_lo, exec_lo, s1
	s_and_saveexec_b32 s1, s5
	s_cbranch_execz .LBB90_27
.LBB90_59:
	v_mul_lo_u32 v11, s16, v21
	v_mov_b32_e32 v12, 0
	s_delay_alu instid0(VALU_DEP_1) | instskip(SKIP_1) | instid1(VALU_DEP_1)
	v_lshlrev_b64_e32 v[11:12], 3, v[11:12]
	s_wait_alu 0xfffe
	v_add_co_u32 v11, vcc_lo, s12, v11
	s_wait_alu 0xfffd
	s_delay_alu instid0(VALU_DEP_2)
	v_add_co_ci_u32_e64 v12, null, s13, v12, vcc_lo
	global_load_b64 v[11:12], v[11:12], off
	s_or_b32 exec_lo, exec_lo, s1
	s_and_saveexec_b32 s1, s6
	s_cbranch_execz .LBB90_28
.LBB90_60:
	v_mul_lo_u32 v1, s16, v19
	v_mov_b32_e32 v2, 0
	s_delay_alu instid0(VALU_DEP_1) | instskip(SKIP_1) | instid1(VALU_DEP_1)
	v_lshlrev_b64_e32 v[1:2], 3, v[1:2]
	s_wait_alu 0xfffe
	v_add_co_u32 v1, vcc_lo, s12, v1
	s_wait_alu 0xfffd
	s_delay_alu instid0(VALU_DEP_2)
	v_add_co_ci_u32_e64 v2, null, s13, v2, vcc_lo
	global_load_b64 v[1:2], v[1:2], off
	s_or_b32 exec_lo, exec_lo, s1
	s_and_saveexec_b32 s1, s7
	s_cbranch_execz .LBB90_29
.LBB90_61:
	v_mul_lo_u32 v3, s16, v17
	v_mov_b32_e32 v4, 0
	s_delay_alu instid0(VALU_DEP_1) | instskip(SKIP_1) | instid1(VALU_DEP_1)
	v_lshlrev_b64_e32 v[3:4], 3, v[3:4]
	s_wait_alu 0xfffe
	v_add_co_u32 v3, vcc_lo, s12, v3
	s_wait_alu 0xfffd
	s_delay_alu instid0(VALU_DEP_2)
	v_add_co_ci_u32_e64 v4, null, s13, v4, vcc_lo
	global_load_b64 v[3:4], v[3:4], off
	s_or_b32 exec_lo, exec_lo, s1
	s_and_saveexec_b32 s1, s8
	s_cbranch_execz .LBB90_30
.LBB90_62:
	v_mul_lo_u32 v5, s16, v16
	v_mov_b32_e32 v6, 0
	s_delay_alu instid0(VALU_DEP_1) | instskip(SKIP_1) | instid1(VALU_DEP_1)
	v_lshlrev_b64_e32 v[5:6], 3, v[5:6]
	s_wait_alu 0xfffe
	v_add_co_u32 v5, vcc_lo, s12, v5
	s_wait_alu 0xfffd
	s_delay_alu instid0(VALU_DEP_2)
	v_add_co_ci_u32_e64 v6, null, s13, v6, vcc_lo
	global_load_b64 v[5:6], v[5:6], off
	s_or_b32 exec_lo, exec_lo, s1
	s_and_saveexec_b32 s1, s0
	s_cbranch_execnz .LBB90_31
	s_branch .LBB90_32
.LBB90_63:
                                        ; implicit-def: $vgpr19_vgpr20
                                        ; implicit-def: $vgpr23_vgpr24
                                        ; implicit-def: $vgpr27_vgpr28
                                        ; implicit-def: $vgpr31_vgpr32
                                        ; implicit-def: $vgpr34
	s_cbranch_execz .LBB90_87
; %bb.64:
	v_or_b32_e32 v0, v67, v68
	s_getpc_b64 s[10:11]
	s_wait_alu 0xfffe
	s_sext_i32_i16 s11, s11
	s_add_co_u32 s10, s10, _ZN7rocprim17ROCPRIM_400000_NS16block_radix_sortIhLj512ELj8ElLj1ELj1ELj0ELNS0_26block_radix_rank_algorithmE1ELNS0_18block_padding_hintE2ELNS0_4arch9wavefront6targetE0EE19radix_bits_per_passE@rel32@lo+12
	s_wait_alu 0xfffe
	s_add_co_ci_u32 s11, s11, _ZN7rocprim17ROCPRIM_400000_NS16block_radix_sortIhLj512ELj8ElLj1ELj1ELj0ELNS0_26block_radix_rank_algorithmE1ELNS0_18block_padding_hintE2ELNS0_4arch9wavefront6targetE0EE19radix_bits_per_passE@rel32@hi+24
	s_wait_dscnt 0x0
	v_not_b32_e32 v18, v46
	s_load_b32 s1, s[10:11], 0x0
	v_not_b32_e32 v17, v45
	v_lshlrev_b32_e32 v19, 3, v0
	v_and_or_b32 v20, 0x1f00, v57, v67
	ds_store_b64 v19, v[17:18]
	; wave barrier
	ds_load_u8 v24, v20
	v_mad_u32_u24 v0, v0, 56, v19
	ds_load_u8 v25, v20 offset:32
	ds_load_u8 v26, v20 offset:64
	;; [unrolled: 1-line block ×7, first 2 shown]
	s_wait_loadcnt_dscnt 0x0
	s_barrier_signal -1
	s_barrier_wait -1
	global_inv scope:SCOPE_SE
	ds_store_b128 v0, v[13:16]
	ds_store_b128 v0, v[9:12] offset:16
	v_mad_u32_u24 v17, v20, 7, v20
	ds_store_b128 v0, v[5:8] offset:32
	ds_store_b128 v0, v[1:4] offset:48
	s_wait_kmcnt 0x0
	s_min_u32 s1, s1, 8
	s_delay_alu instid0(SALU_CYCLE_1) | instskip(NEXT) | instid1(SALU_CYCLE_1)
	s_lshl_b32 s1, -1, s1
	; wave barrier
	s_not_b32 s9, s1
	ds_load_2addr_b64 v[0:3], v17 offset1:32
	ds_load_2addr_b64 v[8:11], v17 offset0:64 offset1:96
	ds_load_2addr_b64 v[4:7], v17 offset0:128 offset1:160
	s_wait_alu 0xfffe
	v_and_b32_e32 v22, s9, v24
	s_delay_alu instid0(VALU_DEP_1) | instskip(SKIP_2) | instid1(VALU_DEP_3)
	v_and_b32_e32 v12, 1, v22
	v_lshlrev_b32_e32 v16, 30, v22
	v_lshlrev_b32_e32 v20, 28, v22
	v_add_co_u32 v18, s1, v12, -1
	s_delay_alu instid0(VALU_DEP_1)
	v_cndmask_b32_e64 v19, 0, 1, s1
	ds_load_2addr_b64 v[12:15], v17 offset0:192 offset1:224
	v_not_b32_e32 v17, v16
	v_cmp_gt_i32_e64 s1, 0, v16
	s_wait_loadcnt_dscnt 0x0
	v_cmp_ne_u32_e32 vcc_lo, 0, v19
	v_lshlrev_b32_e32 v19, 29, v22
	v_ashrrev_i32_e32 v16, 31, v17
	s_barrier_signal -1
	s_barrier_wait -1
	s_wait_alu 0xfffd
	v_xor_b32_e32 v17, vcc_lo, v18
	global_inv scope:SCOPE_SE
	s_wait_alu 0xf1ff
	v_xor_b32_e32 v16, s1, v16
	s_load_b32 s1, s[20:21], 0xc
	s_mov_b32 s20, 0
	v_not_b32_e32 v18, v19
	s_mov_b32 s21, s20
	s_mov_b32 s22, s20
	;; [unrolled: 1-line block ×3, first 2 shown]
	v_and_b32_e32 v17, exec_lo, v17
	v_cmp_gt_i32_e32 vcc_lo, 0, v19
	v_ashrrev_i32_e32 v18, 31, v18
	v_not_b32_e32 v19, v20
	s_delay_alu instid0(VALU_DEP_4)
	v_and_b32_e32 v16, v17, v16
	v_lshlrev_b32_e32 v17, 27, v22
	s_wait_alu 0xfffd
	v_xor_b32_e32 v18, vcc_lo, v18
	v_cmp_gt_i32_e32 vcc_lo, 0, v20
	v_ashrrev_i32_e32 v19, 31, v19
	v_not_b32_e32 v20, v17
	s_delay_alu instid0(VALU_DEP_4)
	v_and_b32_e32 v16, v16, v18
	v_lshlrev_b32_e32 v18, 26, v22
	s_wait_alu 0xfffd
	v_xor_b32_e32 v19, vcc_lo, v19
	v_cmp_gt_i32_e32 vcc_lo, 0, v17
	v_ashrrev_i32_e32 v17, 31, v20
	s_wait_kmcnt 0x0
	s_lshr_b32 s10, s1, 16
	v_not_b32_e32 v20, v18
	v_and_b32_e32 v16, v16, v19
	v_lshlrev_b32_e32 v19, 25, v22
	s_wait_alu 0xfffd
	v_xor_b32_e32 v17, vcc_lo, v17
	v_cmp_gt_i32_e32 vcc_lo, 0, v18
	v_ashrrev_i32_e32 v18, 31, v20
	s_wait_alu 0xfffe
	v_mad_u32_u24 v21, v70, s10, v69
	v_not_b32_e32 v20, v19
	v_and_b32_e32 v16, v16, v17
	v_lshlrev_b32_e32 v17, 24, v22
	s_wait_alu 0xfffd
	v_xor_b32_e32 v18, vcc_lo, v18
	v_cmp_gt_i32_e32 vcc_lo, 0, v19
	v_ashrrev_i32_e32 v19, 31, v20
	s_and_b32 s1, s1, 0xffff
	v_not_b32_e32 v20, v17
	v_and_b32_e32 v18, v16, v18
	s_wait_alu 0xfffd
	v_xor_b32_e32 v19, vcc_lo, v19
	v_cmp_gt_i32_e32 vcc_lo, 0, v17
	v_ashrrev_i32_e32 v20, 31, v20
	s_wait_alu 0xfffe
	v_mad_co_u64_u32 v[16:17], null, v21, s1, v[44:45]
	v_and_b32_e32 v17, v18, v19
	s_wait_alu 0xfffd
	v_xor_b32_e32 v23, vcc_lo, v20
	v_dual_mov_b32 v18, s20 :: v_dual_mov_b32 v19, s21
	v_dual_mov_b32 v20, s22 :: v_dual_mov_b32 v21, s23
	s_delay_alu instid0(VALU_DEP_3)
	v_and_b32_e32 v17, v17, v23
	v_and_b32_e32 v22, 0xff, v22
	v_lshrrev_b32_e32 v16, 3, v16
	ds_store_b128 v66, v[18:21] offset:64
	ds_store_b128 v66, v[18:21] offset:80
	v_mbcnt_lo_u32_b32 v32, v17, 0
	v_lshlrev_b32_e32 v18, 6, v22
	v_and_b32_e32 v16, 0x1ffffffc, v16
	v_cmp_ne_u32_e64 s1, 0, v17
	s_wait_loadcnt_dscnt 0x0
	v_cmp_eq_u32_e32 vcc_lo, 0, v32
	s_barrier_signal -1
	v_add_nc_u32_e32 v33, v16, v18
	s_barrier_wait -1
	global_inv scope:SCOPE_SE
	s_and_b32 s10, s1, vcc_lo
	; wave barrier
	s_wait_alu 0xfffe
	s_and_saveexec_b32 s1, s10
; %bb.65:
	v_bcnt_u32_b32 v17, v17, 0
	ds_store_b32 v33, v17 offset:64
; %bb.66:
	s_wait_alu 0xfffe
	s_or_b32 exec_lo, exec_lo, s1
	v_and_b32_e32 v17, s9, v25
	; wave barrier
	s_delay_alu instid0(VALU_DEP_1)
	v_and_b32_e32 v19, 1, v17
	v_lshlrev_b32_e32 v20, 30, v17
	v_lshlrev_b32_e32 v21, 29, v17
	v_lshlrev_b32_e32 v22, 28, v17
	v_lshlrev_b32_e32 v34, 27, v17
	v_add_co_u32 v19, s1, v19, -1
	s_wait_alu 0xf1ff
	v_cndmask_b32_e64 v23, 0, 1, s1
	v_not_b32_e32 v37, v20
	v_cmp_gt_i32_e64 s1, 0, v20
	v_not_b32_e32 v20, v21
	v_lshlrev_b32_e32 v35, 26, v17
	v_cmp_ne_u32_e32 vcc_lo, 0, v23
	v_ashrrev_i32_e32 v23, 31, v37
	v_lshlrev_b32_e32 v36, 25, v17
	v_ashrrev_i32_e32 v20, 31, v20
	v_and_b32_e32 v18, 0xff, v17
	s_wait_alu 0xfffd
	v_xor_b32_e32 v19, vcc_lo, v19
	v_cmp_gt_i32_e32 vcc_lo, 0, v21
	v_not_b32_e32 v21, v22
	s_wait_alu 0xf1ff
	v_xor_b32_e32 v23, s1, v23
	v_cmp_gt_i32_e64 s1, 0, v22
	v_and_b32_e32 v19, exec_lo, v19
	v_not_b32_e32 v22, v34
	v_ashrrev_i32_e32 v21, 31, v21
	s_wait_alu 0xfffd
	v_xor_b32_e32 v20, vcc_lo, v20
	v_cmp_gt_i32_e32 vcc_lo, 0, v34
	v_and_b32_e32 v19, v19, v23
	v_not_b32_e32 v23, v35
	v_ashrrev_i32_e32 v22, 31, v22
	s_wait_alu 0xf1ff
	v_xor_b32_e32 v21, s1, v21
	v_lshlrev_b32_e32 v17, 24, v17
	v_and_b32_e32 v19, v19, v20
	v_cmp_gt_i32_e64 s1, 0, v35
	v_not_b32_e32 v20, v36
	v_ashrrev_i32_e32 v23, 31, v23
	s_wait_alu 0xfffd
	v_xor_b32_e32 v22, vcc_lo, v22
	v_and_b32_e32 v19, v19, v21
	v_cmp_gt_i32_e32 vcc_lo, 0, v36
	v_not_b32_e32 v21, v17
	v_ashrrev_i32_e32 v20, 31, v20
	s_wait_alu 0xf1ff
	v_xor_b32_e32 v23, s1, v23
	v_and_b32_e32 v19, v19, v22
	v_lshlrev_b32_e32 v18, 6, v18
	v_cmp_gt_i32_e64 s1, 0, v17
	v_ashrrev_i32_e32 v17, 31, v21
	s_wait_alu 0xfffd
	v_xor_b32_e32 v20, vcc_lo, v20
	v_and_b32_e32 v19, v19, v23
	v_add_nc_u32_e32 v36, v16, v18
	s_wait_alu 0xf1ff
	v_xor_b32_e32 v17, s1, v17
	s_delay_alu instid0(VALU_DEP_3) | instskip(SKIP_2) | instid1(VALU_DEP_1)
	v_and_b32_e32 v18, v19, v20
	ds_load_b32 v34, v36 offset:64
	; wave barrier
	v_and_b32_e32 v17, v18, v17
	v_mbcnt_lo_u32_b32 v35, v17, 0
	v_cmp_ne_u32_e64 s1, 0, v17
	s_delay_alu instid0(VALU_DEP_2)
	v_cmp_eq_u32_e32 vcc_lo, 0, v35
	s_and_b32 s10, s1, vcc_lo
	s_wait_alu 0xfffe
	s_and_saveexec_b32 s1, s10
	s_cbranch_execz .LBB90_68
; %bb.67:
	s_wait_dscnt 0x0
	v_bcnt_u32_b32 v17, v17, v34
	ds_store_b32 v36, v17 offset:64
.LBB90_68:
	s_wait_alu 0xfffe
	s_or_b32 exec_lo, exec_lo, s1
	v_and_b32_e32 v17, s9, v26
	; wave barrier
	s_delay_alu instid0(VALU_DEP_1)
	v_and_b32_e32 v19, 1, v17
	v_lshlrev_b32_e32 v20, 30, v17
	v_lshlrev_b32_e32 v21, 29, v17
	;; [unrolled: 1-line block ×4, first 2 shown]
	v_add_co_u32 v19, s1, v19, -1
	s_wait_alu 0xf1ff
	v_cndmask_b32_e64 v23, 0, 1, s1
	v_not_b32_e32 v40, v20
	v_cmp_gt_i32_e64 s1, 0, v20
	v_not_b32_e32 v20, v21
	v_lshlrev_b32_e32 v38, 26, v17
	v_cmp_ne_u32_e32 vcc_lo, 0, v23
	v_ashrrev_i32_e32 v23, 31, v40
	v_lshlrev_b32_e32 v39, 25, v17
	v_ashrrev_i32_e32 v20, 31, v20
	v_and_b32_e32 v18, 0xff, v17
	s_wait_alu 0xfffd
	v_xor_b32_e32 v19, vcc_lo, v19
	v_cmp_gt_i32_e32 vcc_lo, 0, v21
	v_not_b32_e32 v21, v22
	s_wait_alu 0xf1ff
	v_xor_b32_e32 v23, s1, v23
	v_cmp_gt_i32_e64 s1, 0, v22
	v_and_b32_e32 v19, exec_lo, v19
	v_not_b32_e32 v22, v37
	v_ashrrev_i32_e32 v21, 31, v21
	s_wait_alu 0xfffd
	v_xor_b32_e32 v20, vcc_lo, v20
	v_cmp_gt_i32_e32 vcc_lo, 0, v37
	v_and_b32_e32 v19, v19, v23
	v_not_b32_e32 v23, v38
	v_ashrrev_i32_e32 v22, 31, v22
	s_wait_alu 0xf1ff
	v_xor_b32_e32 v21, s1, v21
	v_lshlrev_b32_e32 v17, 24, v17
	v_and_b32_e32 v19, v19, v20
	v_cmp_gt_i32_e64 s1, 0, v38
	v_not_b32_e32 v20, v39
	v_ashrrev_i32_e32 v23, 31, v23
	s_wait_alu 0xfffd
	v_xor_b32_e32 v22, vcc_lo, v22
	v_and_b32_e32 v19, v19, v21
	v_cmp_gt_i32_e32 vcc_lo, 0, v39
	v_not_b32_e32 v21, v17
	v_ashrrev_i32_e32 v20, 31, v20
	s_wait_alu 0xf1ff
	v_xor_b32_e32 v23, s1, v23
	v_and_b32_e32 v19, v19, v22
	v_lshlrev_b32_e32 v18, 6, v18
	v_cmp_gt_i32_e64 s1, 0, v17
	v_ashrrev_i32_e32 v17, 31, v21
	s_wait_alu 0xfffd
	v_xor_b32_e32 v20, vcc_lo, v20
	v_and_b32_e32 v19, v19, v23
	v_add_nc_u32_e32 v39, v16, v18
	s_wait_alu 0xf1ff
	v_xor_b32_e32 v17, s1, v17
	s_delay_alu instid0(VALU_DEP_3) | instskip(SKIP_2) | instid1(VALU_DEP_1)
	v_and_b32_e32 v18, v19, v20
	ds_load_b32 v37, v39 offset:64
	; wave barrier
	v_and_b32_e32 v17, v18, v17
	v_mbcnt_lo_u32_b32 v38, v17, 0
	v_cmp_ne_u32_e64 s1, 0, v17
	s_delay_alu instid0(VALU_DEP_2)
	v_cmp_eq_u32_e32 vcc_lo, 0, v38
	s_and_b32 s10, s1, vcc_lo
	s_wait_alu 0xfffe
	s_and_saveexec_b32 s1, s10
	s_cbranch_execz .LBB90_70
; %bb.69:
	s_wait_dscnt 0x0
	v_bcnt_u32_b32 v17, v17, v37
	ds_store_b32 v39, v17 offset:64
.LBB90_70:
	s_wait_alu 0xfffe
	s_or_b32 exec_lo, exec_lo, s1
	v_and_b32_e32 v17, s9, v27
	; wave barrier
	s_delay_alu instid0(VALU_DEP_1)
	v_and_b32_e32 v19, 1, v17
	v_lshlrev_b32_e32 v20, 30, v17
	v_lshlrev_b32_e32 v21, 29, v17
	;; [unrolled: 1-line block ×4, first 2 shown]
	v_add_co_u32 v19, s1, v19, -1
	s_wait_alu 0xf1ff
	v_cndmask_b32_e64 v23, 0, 1, s1
	v_not_b32_e32 v69, v20
	v_cmp_gt_i32_e64 s1, 0, v20
	v_not_b32_e32 v20, v21
	v_lshlrev_b32_e32 v45, 26, v17
	v_cmp_ne_u32_e32 vcc_lo, 0, v23
	v_ashrrev_i32_e32 v23, 31, v69
	v_lshlrev_b32_e32 v46, 25, v17
	v_ashrrev_i32_e32 v20, 31, v20
	v_and_b32_e32 v18, 0xff, v17
	s_wait_alu 0xfffd
	v_xor_b32_e32 v19, vcc_lo, v19
	v_cmp_gt_i32_e32 vcc_lo, 0, v21
	v_not_b32_e32 v21, v22
	s_wait_alu 0xf1ff
	v_xor_b32_e32 v23, s1, v23
	v_cmp_gt_i32_e64 s1, 0, v22
	v_and_b32_e32 v19, exec_lo, v19
	v_not_b32_e32 v22, v40
	v_ashrrev_i32_e32 v21, 31, v21
	s_wait_alu 0xfffd
	v_xor_b32_e32 v20, vcc_lo, v20
	v_cmp_gt_i32_e32 vcc_lo, 0, v40
	v_and_b32_e32 v19, v19, v23
	v_not_b32_e32 v23, v45
	v_ashrrev_i32_e32 v22, 31, v22
	s_wait_alu 0xf1ff
	v_xor_b32_e32 v21, s1, v21
	v_lshlrev_b32_e32 v17, 24, v17
	v_and_b32_e32 v19, v19, v20
	v_cmp_gt_i32_e64 s1, 0, v45
	v_not_b32_e32 v20, v46
	v_ashrrev_i32_e32 v23, 31, v23
	s_wait_alu 0xfffd
	v_xor_b32_e32 v22, vcc_lo, v22
	v_and_b32_e32 v19, v19, v21
	v_cmp_gt_i32_e32 vcc_lo, 0, v46
	v_not_b32_e32 v21, v17
	v_ashrrev_i32_e32 v20, 31, v20
	s_wait_alu 0xf1ff
	v_xor_b32_e32 v23, s1, v23
	v_and_b32_e32 v19, v19, v22
	v_lshlrev_b32_e32 v18, 6, v18
	v_cmp_gt_i32_e64 s1, 0, v17
	v_ashrrev_i32_e32 v17, 31, v21
	s_wait_alu 0xfffd
	v_xor_b32_e32 v20, vcc_lo, v20
	v_and_b32_e32 v19, v19, v23
	v_add_nc_u32_e32 v46, v16, v18
	s_wait_alu 0xf1ff
	v_xor_b32_e32 v17, s1, v17
	s_delay_alu instid0(VALU_DEP_3) | instskip(SKIP_2) | instid1(VALU_DEP_1)
	v_and_b32_e32 v18, v19, v20
	ds_load_b32 v40, v46 offset:64
	; wave barrier
	v_and_b32_e32 v17, v18, v17
	v_mbcnt_lo_u32_b32 v45, v17, 0
	v_cmp_ne_u32_e64 s1, 0, v17
	s_delay_alu instid0(VALU_DEP_2)
	v_cmp_eq_u32_e32 vcc_lo, 0, v45
	s_and_b32 s10, s1, vcc_lo
	s_wait_alu 0xfffe
	s_and_saveexec_b32 s1, s10
	s_cbranch_execz .LBB90_72
; %bb.71:
	s_wait_dscnt 0x0
	v_bcnt_u32_b32 v17, v17, v40
	ds_store_b32 v46, v17 offset:64
.LBB90_72:
	s_wait_alu 0xfffe
	s_or_b32 exec_lo, exec_lo, s1
	v_and_b32_e32 v17, s9, v28
	; wave barrier
	s_delay_alu instid0(VALU_DEP_1)
	v_and_b32_e32 v19, 1, v17
	v_lshlrev_b32_e32 v20, 30, v17
	v_lshlrev_b32_e32 v21, 29, v17
	;; [unrolled: 1-line block ×4, first 2 shown]
	v_add_co_u32 v19, s1, v19, -1
	s_wait_alu 0xf1ff
	v_cndmask_b32_e64 v23, 0, 1, s1
	v_not_b32_e32 v72, v20
	v_cmp_gt_i32_e64 s1, 0, v20
	v_not_b32_e32 v20, v21
	v_lshlrev_b32_e32 v70, 26, v17
	v_cmp_ne_u32_e32 vcc_lo, 0, v23
	v_ashrrev_i32_e32 v23, 31, v72
	v_lshlrev_b32_e32 v71, 25, v17
	v_ashrrev_i32_e32 v20, 31, v20
	v_and_b32_e32 v18, 0xff, v17
	s_wait_alu 0xfffd
	v_xor_b32_e32 v19, vcc_lo, v19
	v_cmp_gt_i32_e32 vcc_lo, 0, v21
	v_not_b32_e32 v21, v22
	s_wait_alu 0xf1ff
	v_xor_b32_e32 v23, s1, v23
	v_cmp_gt_i32_e64 s1, 0, v22
	v_and_b32_e32 v19, exec_lo, v19
	v_not_b32_e32 v22, v69
	v_ashrrev_i32_e32 v21, 31, v21
	s_wait_alu 0xfffd
	v_xor_b32_e32 v20, vcc_lo, v20
	v_cmp_gt_i32_e32 vcc_lo, 0, v69
	v_and_b32_e32 v19, v19, v23
	v_not_b32_e32 v23, v70
	v_ashrrev_i32_e32 v22, 31, v22
	s_wait_alu 0xf1ff
	v_xor_b32_e32 v21, s1, v21
	v_lshlrev_b32_e32 v17, 24, v17
	v_and_b32_e32 v19, v19, v20
	v_cmp_gt_i32_e64 s1, 0, v70
	v_not_b32_e32 v20, v71
	v_ashrrev_i32_e32 v23, 31, v23
	s_wait_alu 0xfffd
	v_xor_b32_e32 v22, vcc_lo, v22
	v_and_b32_e32 v19, v19, v21
	v_cmp_gt_i32_e32 vcc_lo, 0, v71
	v_not_b32_e32 v21, v17
	v_ashrrev_i32_e32 v20, 31, v20
	s_wait_alu 0xf1ff
	v_xor_b32_e32 v23, s1, v23
	v_and_b32_e32 v19, v19, v22
	v_lshlrev_b32_e32 v18, 6, v18
	v_cmp_gt_i32_e64 s1, 0, v17
	v_ashrrev_i32_e32 v17, 31, v21
	s_wait_alu 0xfffd
	v_xor_b32_e32 v20, vcc_lo, v20
	v_and_b32_e32 v19, v19, v23
	v_add_nc_u32_e32 v71, v16, v18
	s_wait_alu 0xf1ff
	v_xor_b32_e32 v17, s1, v17
	s_delay_alu instid0(VALU_DEP_3) | instskip(SKIP_2) | instid1(VALU_DEP_1)
	v_and_b32_e32 v18, v19, v20
	ds_load_b32 v69, v71 offset:64
	; wave barrier
	v_and_b32_e32 v17, v18, v17
	v_mbcnt_lo_u32_b32 v70, v17, 0
	v_cmp_ne_u32_e64 s1, 0, v17
	s_delay_alu instid0(VALU_DEP_2)
	v_cmp_eq_u32_e32 vcc_lo, 0, v70
	s_and_b32 s10, s1, vcc_lo
	s_wait_alu 0xfffe
	s_and_saveexec_b32 s1, s10
	s_cbranch_execz .LBB90_74
; %bb.73:
	s_wait_dscnt 0x0
	v_bcnt_u32_b32 v17, v17, v69
	ds_store_b32 v71, v17 offset:64
.LBB90_74:
	s_wait_alu 0xfffe
	s_or_b32 exec_lo, exec_lo, s1
	v_and_b32_e32 v17, s9, v29
	; wave barrier
	s_delay_alu instid0(VALU_DEP_1)
	v_and_b32_e32 v19, 1, v17
	v_lshlrev_b32_e32 v20, 30, v17
	v_lshlrev_b32_e32 v21, 29, v17
	;; [unrolled: 1-line block ×4, first 2 shown]
	v_add_co_u32 v19, s1, v19, -1
	s_wait_alu 0xf1ff
	v_cndmask_b32_e64 v23, 0, 1, s1
	v_not_b32_e32 v75, v20
	v_cmp_gt_i32_e64 s1, 0, v20
	v_not_b32_e32 v20, v21
	v_lshlrev_b32_e32 v73, 26, v17
	v_cmp_ne_u32_e32 vcc_lo, 0, v23
	v_ashrrev_i32_e32 v23, 31, v75
	v_lshlrev_b32_e32 v74, 25, v17
	v_ashrrev_i32_e32 v20, 31, v20
	v_and_b32_e32 v18, 0xff, v17
	s_wait_alu 0xfffd
	v_xor_b32_e32 v19, vcc_lo, v19
	v_cmp_gt_i32_e32 vcc_lo, 0, v21
	v_not_b32_e32 v21, v22
	s_wait_alu 0xf1ff
	v_xor_b32_e32 v23, s1, v23
	v_cmp_gt_i32_e64 s1, 0, v22
	v_and_b32_e32 v19, exec_lo, v19
	v_not_b32_e32 v22, v72
	v_ashrrev_i32_e32 v21, 31, v21
	s_wait_alu 0xfffd
	v_xor_b32_e32 v20, vcc_lo, v20
	v_cmp_gt_i32_e32 vcc_lo, 0, v72
	v_and_b32_e32 v19, v19, v23
	v_not_b32_e32 v23, v73
	v_ashrrev_i32_e32 v22, 31, v22
	s_wait_alu 0xf1ff
	v_xor_b32_e32 v21, s1, v21
	v_lshlrev_b32_e32 v17, 24, v17
	v_and_b32_e32 v19, v19, v20
	v_cmp_gt_i32_e64 s1, 0, v73
	v_not_b32_e32 v20, v74
	v_ashrrev_i32_e32 v23, 31, v23
	s_wait_alu 0xfffd
	v_xor_b32_e32 v22, vcc_lo, v22
	v_and_b32_e32 v19, v19, v21
	v_cmp_gt_i32_e32 vcc_lo, 0, v74
	v_not_b32_e32 v21, v17
	v_ashrrev_i32_e32 v20, 31, v20
	s_wait_alu 0xf1ff
	v_xor_b32_e32 v23, s1, v23
	v_and_b32_e32 v19, v19, v22
	v_lshlrev_b32_e32 v18, 6, v18
	v_cmp_gt_i32_e64 s1, 0, v17
	v_ashrrev_i32_e32 v17, 31, v21
	s_wait_alu 0xfffd
	v_xor_b32_e32 v20, vcc_lo, v20
	v_and_b32_e32 v19, v19, v23
	v_add_nc_u32_e32 v74, v16, v18
	s_wait_alu 0xf1ff
	v_xor_b32_e32 v17, s1, v17
	s_delay_alu instid0(VALU_DEP_3) | instskip(SKIP_2) | instid1(VALU_DEP_1)
	v_and_b32_e32 v18, v19, v20
	ds_load_b32 v72, v74 offset:64
	; wave barrier
	v_and_b32_e32 v17, v18, v17
	v_mbcnt_lo_u32_b32 v73, v17, 0
	v_cmp_ne_u32_e64 s1, 0, v17
	s_delay_alu instid0(VALU_DEP_2)
	v_cmp_eq_u32_e32 vcc_lo, 0, v73
	s_and_b32 s10, s1, vcc_lo
	s_wait_alu 0xfffe
	s_and_saveexec_b32 s1, s10
	s_cbranch_execz .LBB90_76
; %bb.75:
	s_wait_dscnt 0x0
	v_bcnt_u32_b32 v17, v17, v72
	ds_store_b32 v74, v17 offset:64
.LBB90_76:
	s_wait_alu 0xfffe
	s_or_b32 exec_lo, exec_lo, s1
	v_and_b32_e32 v17, s9, v30
	; wave barrier
	s_delay_alu instid0(VALU_DEP_1)
	v_and_b32_e32 v19, 1, v17
	v_lshlrev_b32_e32 v20, 30, v17
	v_lshlrev_b32_e32 v21, 29, v17
	;; [unrolled: 1-line block ×4, first 2 shown]
	v_add_co_u32 v19, s1, v19, -1
	s_wait_alu 0xf1ff
	v_cndmask_b32_e64 v23, 0, 1, s1
	v_not_b32_e32 v78, v20
	v_cmp_gt_i32_e64 s1, 0, v20
	v_not_b32_e32 v20, v21
	v_lshlrev_b32_e32 v76, 26, v17
	v_cmp_ne_u32_e32 vcc_lo, 0, v23
	v_ashrrev_i32_e32 v23, 31, v78
	v_lshlrev_b32_e32 v77, 25, v17
	v_ashrrev_i32_e32 v20, 31, v20
	v_and_b32_e32 v18, 0xff, v17
	s_wait_alu 0xfffd
	v_xor_b32_e32 v19, vcc_lo, v19
	v_cmp_gt_i32_e32 vcc_lo, 0, v21
	v_not_b32_e32 v21, v22
	s_wait_alu 0xf1ff
	v_xor_b32_e32 v23, s1, v23
	v_cmp_gt_i32_e64 s1, 0, v22
	v_and_b32_e32 v19, exec_lo, v19
	v_not_b32_e32 v22, v75
	v_ashrrev_i32_e32 v21, 31, v21
	s_wait_alu 0xfffd
	v_xor_b32_e32 v20, vcc_lo, v20
	v_cmp_gt_i32_e32 vcc_lo, 0, v75
	v_and_b32_e32 v19, v19, v23
	v_not_b32_e32 v23, v76
	v_ashrrev_i32_e32 v22, 31, v22
	s_wait_alu 0xf1ff
	v_xor_b32_e32 v21, s1, v21
	v_lshlrev_b32_e32 v17, 24, v17
	v_and_b32_e32 v19, v19, v20
	v_cmp_gt_i32_e64 s1, 0, v76
	v_not_b32_e32 v20, v77
	v_ashrrev_i32_e32 v23, 31, v23
	s_wait_alu 0xfffd
	v_xor_b32_e32 v22, vcc_lo, v22
	v_and_b32_e32 v19, v19, v21
	v_cmp_gt_i32_e32 vcc_lo, 0, v77
	v_not_b32_e32 v21, v17
	v_ashrrev_i32_e32 v20, 31, v20
	s_wait_alu 0xf1ff
	v_xor_b32_e32 v23, s1, v23
	v_and_b32_e32 v19, v19, v22
	v_lshlrev_b32_e32 v18, 6, v18
	v_cmp_gt_i32_e64 s1, 0, v17
	v_ashrrev_i32_e32 v17, 31, v21
	s_wait_alu 0xfffd
	v_xor_b32_e32 v20, vcc_lo, v20
	v_and_b32_e32 v19, v19, v23
	v_add_nc_u32_e32 v77, v16, v18
	s_wait_alu 0xf1ff
	v_xor_b32_e32 v17, s1, v17
	s_delay_alu instid0(VALU_DEP_3) | instskip(SKIP_2) | instid1(VALU_DEP_1)
	v_and_b32_e32 v18, v19, v20
	ds_load_b32 v75, v77 offset:64
	; wave barrier
	v_and_b32_e32 v17, v18, v17
	v_mbcnt_lo_u32_b32 v76, v17, 0
	v_cmp_ne_u32_e64 s1, 0, v17
	s_delay_alu instid0(VALU_DEP_2)
	v_cmp_eq_u32_e32 vcc_lo, 0, v76
	s_and_b32 s10, s1, vcc_lo
	s_wait_alu 0xfffe
	s_and_saveexec_b32 s1, s10
	s_cbranch_execz .LBB90_78
; %bb.77:
	s_wait_dscnt 0x0
	v_bcnt_u32_b32 v17, v17, v75
	ds_store_b32 v77, v17 offset:64
.LBB90_78:
	s_wait_alu 0xfffe
	s_or_b32 exec_lo, exec_lo, s1
	v_and_b32_e32 v17, s9, v31
	; wave barrier
	s_delay_alu instid0(VALU_DEP_1)
	v_and_b32_e32 v19, 1, v17
	v_lshlrev_b32_e32 v20, 30, v17
	v_lshlrev_b32_e32 v21, 29, v17
	;; [unrolled: 1-line block ×4, first 2 shown]
	v_add_co_u32 v19, s1, v19, -1
	s_wait_alu 0xf1ff
	v_cndmask_b32_e64 v23, 0, 1, s1
	v_not_b32_e32 v81, v20
	v_cmp_gt_i32_e64 s1, 0, v20
	v_not_b32_e32 v20, v21
	v_lshlrev_b32_e32 v79, 26, v17
	v_cmp_ne_u32_e32 vcc_lo, 0, v23
	v_ashrrev_i32_e32 v23, 31, v81
	v_lshlrev_b32_e32 v80, 25, v17
	v_ashrrev_i32_e32 v20, 31, v20
	v_and_b32_e32 v18, 0xff, v17
	s_wait_alu 0xfffd
	v_xor_b32_e32 v19, vcc_lo, v19
	v_cmp_gt_i32_e32 vcc_lo, 0, v21
	v_not_b32_e32 v21, v22
	s_wait_alu 0xf1ff
	v_xor_b32_e32 v23, s1, v23
	v_cmp_gt_i32_e64 s1, 0, v22
	v_and_b32_e32 v19, exec_lo, v19
	v_not_b32_e32 v22, v78
	v_ashrrev_i32_e32 v21, 31, v21
	s_wait_alu 0xfffd
	v_xor_b32_e32 v20, vcc_lo, v20
	v_cmp_gt_i32_e32 vcc_lo, 0, v78
	v_and_b32_e32 v19, v19, v23
	v_not_b32_e32 v23, v79
	v_ashrrev_i32_e32 v22, 31, v22
	s_wait_alu 0xf1ff
	v_xor_b32_e32 v21, s1, v21
	v_lshlrev_b32_e32 v17, 24, v17
	v_and_b32_e32 v19, v19, v20
	v_cmp_gt_i32_e64 s1, 0, v79
	v_not_b32_e32 v20, v80
	v_ashrrev_i32_e32 v23, 31, v23
	s_wait_alu 0xfffd
	v_xor_b32_e32 v22, vcc_lo, v22
	v_and_b32_e32 v19, v19, v21
	v_cmp_gt_i32_e32 vcc_lo, 0, v80
	v_not_b32_e32 v21, v17
	v_ashrrev_i32_e32 v20, 31, v20
	s_wait_alu 0xf1ff
	v_xor_b32_e32 v23, s1, v23
	v_and_b32_e32 v19, v19, v22
	v_lshlrev_b32_e32 v18, 6, v18
	v_cmp_gt_i32_e64 s1, 0, v17
	v_ashrrev_i32_e32 v17, 31, v21
	s_wait_alu 0xfffd
	v_xor_b32_e32 v20, vcc_lo, v20
	v_and_b32_e32 v19, v19, v23
	v_add_nc_u32_e32 v80, v16, v18
	s_wait_alu 0xf1ff
	v_xor_b32_e32 v16, s1, v17
	s_delay_alu instid0(VALU_DEP_3) | instskip(SKIP_2) | instid1(VALU_DEP_1)
	v_and_b32_e32 v17, v19, v20
	ds_load_b32 v78, v80 offset:64
	; wave barrier
	v_and_b32_e32 v16, v17, v16
	v_mbcnt_lo_u32_b32 v79, v16, 0
	v_cmp_ne_u32_e64 s1, 0, v16
	s_delay_alu instid0(VALU_DEP_2)
	v_cmp_eq_u32_e32 vcc_lo, 0, v79
	s_and_b32 s9, s1, vcc_lo
	s_wait_alu 0xfffe
	s_and_saveexec_b32 s1, s9
	s_cbranch_execz .LBB90_80
; %bb.79:
	s_wait_dscnt 0x0
	v_bcnt_u32_b32 v16, v16, v78
	ds_store_b32 v80, v16 offset:64
.LBB90_80:
	s_wait_alu 0xfffe
	s_or_b32 exec_lo, exec_lo, s1
	; wave barrier
	s_wait_loadcnt_dscnt 0x0
	s_barrier_signal -1
	s_barrier_wait -1
	global_inv scope:SCOPE_SE
	ds_load_b128 v[20:23], v66 offset:64
	ds_load_b128 v[16:19], v66 offset:80
	v_min_u32_e32 v68, 0x1e0, v68
	s_mov_b32 s15, exec_lo
	s_delay_alu instid0(VALU_DEP_1) | instskip(SKIP_2) | instid1(VALU_DEP_1)
	v_or_b32_e32 v68, 31, v68
	s_wait_dscnt 0x1
	v_add_nc_u32_e32 v81, v21, v20
	v_add3_u32 v81, v81, v22, v23
	s_wait_dscnt 0x0
	s_delay_alu instid0(VALU_DEP_1) | instskip(NEXT) | instid1(VALU_DEP_1)
	v_add3_u32 v81, v81, v16, v17
	v_add3_u32 v19, v81, v18, v19
	v_and_b32_e32 v81, 15, v67
	s_delay_alu instid0(VALU_DEP_2) | instskip(NEXT) | instid1(VALU_DEP_2)
	v_mov_b32_dpp v82, v19 row_shr:1 row_mask:0xf bank_mask:0xf
	v_cmp_eq_u32_e32 vcc_lo, 0, v81
	v_cmp_lt_u32_e64 s1, 1, v81
	v_cmp_lt_u32_e64 s9, 3, v81
	;; [unrolled: 1-line block ×3, first 2 shown]
	s_wait_alu 0xfffd
	v_cndmask_b32_e64 v82, v82, 0, vcc_lo
	s_delay_alu instid0(VALU_DEP_1) | instskip(NEXT) | instid1(VALU_DEP_1)
	v_add_nc_u32_e32 v19, v82, v19
	v_mov_b32_dpp v82, v19 row_shr:2 row_mask:0xf bank_mask:0xf
	s_wait_alu 0xf1ff
	s_delay_alu instid0(VALU_DEP_1) | instskip(NEXT) | instid1(VALU_DEP_1)
	v_cndmask_b32_e64 v82, 0, v82, s1
	v_add_nc_u32_e32 v19, v19, v82
	s_delay_alu instid0(VALU_DEP_1) | instskip(NEXT) | instid1(VALU_DEP_1)
	v_mov_b32_dpp v82, v19 row_shr:4 row_mask:0xf bank_mask:0xf
	v_cndmask_b32_e64 v82, 0, v82, s9
	s_delay_alu instid0(VALU_DEP_1) | instskip(NEXT) | instid1(VALU_DEP_1)
	v_add_nc_u32_e32 v19, v19, v82
	v_mov_b32_dpp v82, v19 row_shr:8 row_mask:0xf bank_mask:0xf
	s_delay_alu instid0(VALU_DEP_1) | instskip(SKIP_1) | instid1(VALU_DEP_2)
	v_cndmask_b32_e64 v81, 0, v82, s10
	v_bfe_i32 v82, v67, 4, 1
	v_add_nc_u32_e32 v19, v19, v81
	ds_swizzle_b32 v81, v19 offset:swizzle(BROADCAST,32,15)
	s_wait_dscnt 0x0
	v_and_b32_e32 v81, v82, v81
	s_delay_alu instid0(VALU_DEP_1)
	v_add_nc_u32_e32 v19, v19, v81
	v_cmpx_eq_u32_e64 v44, v68
; %bb.81:
	v_lshlrev_b32_e32 v68, 2, v62
	ds_store_b32 v68, v19
; %bb.82:
	s_wait_alu 0xfffe
	s_or_b32 exec_lo, exec_lo, s15
	s_delay_alu instid0(SALU_CYCLE_1)
	s_mov_b32 s15, exec_lo
	s_wait_loadcnt_dscnt 0x0
	s_barrier_signal -1
	s_barrier_wait -1
	global_inv scope:SCOPE_SE
	v_cmpx_gt_u32_e32 16, v44
	s_cbranch_execz .LBB90_84
; %bb.83:
	v_lshlrev_b32_e32 v68, 2, v44
	ds_load_b32 v81, v68
	s_wait_dscnt 0x0
	v_mov_b32_dpp v82, v81 row_shr:1 row_mask:0xf bank_mask:0xf
	s_delay_alu instid0(VALU_DEP_1) | instskip(NEXT) | instid1(VALU_DEP_1)
	v_cndmask_b32_e64 v82, v82, 0, vcc_lo
	v_add_nc_u32_e32 v81, v82, v81
	s_delay_alu instid0(VALU_DEP_1) | instskip(NEXT) | instid1(VALU_DEP_1)
	v_mov_b32_dpp v82, v81 row_shr:2 row_mask:0xf bank_mask:0xf
	v_cndmask_b32_e64 v82, 0, v82, s1
	s_delay_alu instid0(VALU_DEP_1) | instskip(NEXT) | instid1(VALU_DEP_1)
	v_add_nc_u32_e32 v81, v81, v82
	v_mov_b32_dpp v82, v81 row_shr:4 row_mask:0xf bank_mask:0xf
	s_delay_alu instid0(VALU_DEP_1) | instskip(NEXT) | instid1(VALU_DEP_1)
	v_cndmask_b32_e64 v82, 0, v82, s9
	v_add_nc_u32_e32 v81, v81, v82
	s_delay_alu instid0(VALU_DEP_1) | instskip(NEXT) | instid1(VALU_DEP_1)
	v_mov_b32_dpp v82, v81 row_shr:8 row_mask:0xf bank_mask:0xf
	v_cndmask_b32_e64 v82, 0, v82, s10
	s_delay_alu instid0(VALU_DEP_1)
	v_add_nc_u32_e32 v81, v81, v82
	ds_store_b32 v68, v81
.LBB90_84:
	s_wait_alu 0xfffe
	s_or_b32 exec_lo, exec_lo, s15
	v_mov_b32_e32 v68, 0
	s_mov_b32 s1, exec_lo
	s_wait_loadcnt_dscnt 0x0
	s_barrier_signal -1
	s_barrier_wait -1
	global_inv scope:SCOPE_SE
	v_cmpx_lt_u32_e32 31, v44
; %bb.85:
	v_lshl_add_u32 v62, v62, 2, -4
	ds_load_b32 v68, v62
; %bb.86:
	s_wait_alu 0xfffe
	s_or_b32 exec_lo, exec_lo, s1
	v_sub_co_u32 v62, vcc_lo, v67, 1
	s_wait_dscnt 0x0
	v_add_nc_u32_e32 v19, v68, v19
	s_delay_alu instid0(VALU_DEP_2) | instskip(SKIP_1) | instid1(VALU_DEP_1)
	v_cmp_gt_i32_e64 s1, 0, v62
	s_wait_alu 0xf1ff
	v_cndmask_b32_e64 v62, v62, v67, s1
	s_delay_alu instid0(VALU_DEP_1)
	v_lshlrev_b32_e32 v62, 2, v62
	ds_bpermute_b32 v19, v62, v19
	s_wait_dscnt 0x0
	s_wait_alu 0xfffd
	v_cndmask_b32_e32 v19, v19, v68, vcc_lo
	v_cmp_ne_u32_e32 vcc_lo, 0, v44
	s_wait_alu 0xfffd
	s_delay_alu instid0(VALU_DEP_2) | instskip(NEXT) | instid1(VALU_DEP_1)
	v_cndmask_b32_e32 v19, 0, v19, vcc_lo
	v_add_nc_u32_e32 v20, v19, v20
	s_delay_alu instid0(VALU_DEP_1) | instskip(NEXT) | instid1(VALU_DEP_1)
	v_add_nc_u32_e32 v21, v20, v21
	v_add_nc_u32_e32 v22, v21, v22
	s_delay_alu instid0(VALU_DEP_1) | instskip(NEXT) | instid1(VALU_DEP_1)
	v_add_nc_u32_e32 v81, v22, v23
	;; [unrolled: 3-line block ×3, first 2 shown]
	v_add_nc_u32_e32 v84, v83, v18
	ds_store_b128 v66, v[19:22] offset:64
	ds_store_b128 v66, v[81:84] offset:80
	s_wait_loadcnt_dscnt 0x0
	s_barrier_signal -1
	s_barrier_wait -1
	global_inv scope:SCOPE_SE
	ds_load_b32 v16, v33 offset:64
	ds_load_b32 v17, v36 offset:64
	;; [unrolled: 1-line block ×8, first 2 shown]
	v_mad_u32_u24 v36, v44, 56, v57
	s_wait_loadcnt_dscnt 0x0
	s_barrier_signal -1
	s_barrier_wait -1
	global_inv scope:SCOPE_SE
	v_add_nc_u32_e32 v16, v16, v32
	v_add3_u32 v17, v35, v34, v17
	v_add3_u32 v18, v38, v37, v18
	;; [unrolled: 1-line block ×7, first 2 shown]
	ds_store_b8 v16, v24
	ds_store_b8 v17, v25
	;; [unrolled: 1-line block ×8, first 2 shown]
	v_lshlrev_b32_e32 v16, 3, v16
	v_lshlrev_b32_e32 v17, 3, v17
	;; [unrolled: 1-line block ×8, first 2 shown]
	s_wait_loadcnt_dscnt 0x0
	s_barrier_signal -1
	s_barrier_wait -1
	global_inv scope:SCOPE_SE
	ds_load_b64 v[33:34], v57
	s_wait_loadcnt_dscnt 0x0
	s_barrier_signal -1
	s_barrier_wait -1
	global_inv scope:SCOPE_SE
	ds_store_b64 v16, v[0:1]
	ds_store_b64 v17, v[2:3]
	;; [unrolled: 1-line block ×8, first 2 shown]
	s_wait_loadcnt_dscnt 0x0
	s_barrier_signal -1
	s_barrier_wait -1
	global_inv scope:SCOPE_SE
	ds_load_b128 v[29:32], v36
	ds_load_b128 v[25:28], v36 offset:16
	ds_load_b128 v[21:24], v36 offset:32
	;; [unrolled: 1-line block ×3, first 2 shown]
	v_not_b32_e32 v33, v33
	v_not_b32_e32 v34, v34
.LBB90_87:
	s_wait_loadcnt_dscnt 0x0
	s_barrier_signal -1
	s_barrier_wait -1
	global_inv scope:SCOPE_SE
	ds_store_2addr_b32 v56, v33, v34 offset1:1
	s_wait_loadcnt_dscnt 0x0
	s_barrier_signal -1
	s_barrier_wait -1
	global_inv scope:SCOPE_SE
	ds_load_u8 v8, v49 offset:512
	ds_load_u8 v7, v50 offset:1024
	;; [unrolled: 1-line block ×7, first 2 shown]
	v_add_co_u32 v0, s1, s18, v47
	s_wait_alu 0xf1ff
	v_add_co_ci_u32_e64 v1, null, s19, 0, s1
	s_and_saveexec_b32 s1, s2
	s_cbranch_execnz .LBB90_106
; %bb.88:
	s_wait_alu 0xfffe
	s_or_b32 exec_lo, exec_lo, s1
	s_and_saveexec_b32 s1, s3
	s_cbranch_execnz .LBB90_107
.LBB90_89:
	s_wait_alu 0xfffe
	s_or_b32 exec_lo, exec_lo, s1
	s_and_saveexec_b32 s1, s4
	s_cbranch_execnz .LBB90_108
.LBB90_90:
	s_wait_alu 0xfffe
	s_or_b32 exec_lo, exec_lo, s1
	s_and_saveexec_b32 s1, s5
	s_cbranch_execnz .LBB90_109
.LBB90_91:
	s_wait_alu 0xfffe
	s_or_b32 exec_lo, exec_lo, s1
	s_and_saveexec_b32 s1, s6
	s_cbranch_execnz .LBB90_110
.LBB90_92:
	s_wait_alu 0xfffe
	s_or_b32 exec_lo, exec_lo, s1
	s_and_saveexec_b32 s1, s7
	s_cbranch_execnz .LBB90_111
.LBB90_93:
	s_wait_alu 0xfffe
	s_or_b32 exec_lo, exec_lo, s1
	s_and_saveexec_b32 s1, s8
	s_cbranch_execnz .LBB90_112
.LBB90_94:
	s_wait_alu 0xfffe
	s_or_b32 exec_lo, exec_lo, s1
	s_and_saveexec_b32 s1, s0
	s_cbranch_execz .LBB90_96
.LBB90_95:
	s_mul_i32 s9, s14, 0xe00
	s_wait_alu 0xfffe
	v_add_co_u32 v0, vcc_lo, v0, s9
	s_wait_alu 0xfffd
	v_add_co_ci_u32_e64 v1, null, 0, v1, vcc_lo
	s_wait_dscnt 0x0
	global_store_b8 v[0:1], v2, off
.LBB90_96:
	s_wait_alu 0xfffe
	s_or_b32 exec_lo, exec_lo, s1
	s_wait_storecnt 0x0
	s_wait_loadcnt_dscnt 0x0
	s_barrier_signal -1
	s_barrier_wait -1
	global_inv scope:SCOPE_SE
	ds_store_2addr_b64 v65, v[29:30], v[31:32] offset1:1
	ds_store_2addr_b64 v65, v[25:26], v[27:28] offset0:2 offset1:3
	ds_store_2addr_b64 v65, v[21:22], v[23:24] offset0:4 offset1:5
	;; [unrolled: 1-line block ×3, first 2 shown]
	s_wait_loadcnt_dscnt 0x0
	s_barrier_signal -1
	s_barrier_wait -1
	global_inv scope:SCOPE_SE
	ds_load_b64 v[14:15], v59 offset:4096
	ds_load_b64 v[12:13], v60 offset:8192
	;; [unrolled: 1-line block ×7, first 2 shown]
	v_mov_b32_e32 v42, 0
	s_delay_alu instid0(VALU_DEP_1) | instskip(NEXT) | instid1(VALU_DEP_1)
	v_lshlrev_b64_e32 v[2:3], 3, v[41:42]
	v_add_co_u32 v2, vcc_lo, s12, v2
	s_wait_alu 0xfffd
	s_delay_alu instid0(VALU_DEP_2)
	v_add_co_ci_u32_e64 v3, null, s13, v3, vcc_lo
	s_and_saveexec_b32 s1, s2
	s_cbranch_execnz .LBB90_113
; %bb.97:
	s_wait_alu 0xfffe
	s_or_b32 exec_lo, exec_lo, s1
	s_and_saveexec_b32 s1, s3
	s_cbranch_execnz .LBB90_114
.LBB90_98:
	s_wait_alu 0xfffe
	s_or_b32 exec_lo, exec_lo, s1
	s_and_saveexec_b32 s1, s4
	s_cbranch_execnz .LBB90_115
.LBB90_99:
	s_wait_alu 0xfffe
	s_or_b32 exec_lo, exec_lo, s1
	s_and_saveexec_b32 s1, s5
	s_cbranch_execnz .LBB90_116
.LBB90_100:
	s_wait_alu 0xfffe
	s_or_b32 exec_lo, exec_lo, s1
	s_and_saveexec_b32 s1, s6
	s_cbranch_execnz .LBB90_117
.LBB90_101:
	s_wait_alu 0xfffe
	s_or_b32 exec_lo, exec_lo, s1
	s_and_saveexec_b32 s1, s7
	s_cbranch_execnz .LBB90_118
.LBB90_102:
	s_wait_alu 0xfffe
	s_or_b32 exec_lo, exec_lo, s1
	s_and_saveexec_b32 s1, s8
	s_cbranch_execnz .LBB90_119
.LBB90_103:
	s_wait_alu 0xfffe
	s_or_b32 exec_lo, exec_lo, s1
	s_and_saveexec_b32 s1, s0
	s_cbranch_execz .LBB90_105
.LBB90_104:
	s_mul_i32 s0, s16, 0xe00
	s_mov_b32 s1, 0
	s_wait_alu 0xfffe
	s_lshl_b64 s[0:1], s[0:1], 3
	s_wait_alu 0xfffe
	v_add_co_u32 v2, vcc_lo, v2, s0
	s_wait_alu 0xfffd
	v_add_co_ci_u32_e64 v3, null, s1, v3, vcc_lo
	s_wait_dscnt 0x0
	global_store_b64 v[2:3], v[0:1], off
.LBB90_105:
	s_nop 0
	s_sendmsg sendmsg(MSG_DEALLOC_VGPRS)
	s_endpgm
.LBB90_106:
	ds_load_u8 v9, v48
	s_wait_dscnt 0x0
	global_store_b8 v[0:1], v9, off
	s_wait_alu 0xfffe
	s_or_b32 exec_lo, exec_lo, s1
	s_and_saveexec_b32 s1, s3
	s_cbranch_execz .LBB90_89
.LBB90_107:
	s_lshl_b32 s9, s14, 9
	s_wait_alu 0xfffe
	v_add_co_u32 v9, vcc_lo, v0, s9
	s_wait_alu 0xfffd
	v_add_co_ci_u32_e64 v10, null, 0, v1, vcc_lo
	s_wait_dscnt 0x6
	global_store_b8 v[9:10], v8, off
	s_or_b32 exec_lo, exec_lo, s1
	s_and_saveexec_b32 s1, s4
	s_cbranch_execz .LBB90_90
.LBB90_108:
	s_lshl_b32 s9, s14, 10
	s_wait_dscnt 0x6
	s_wait_alu 0xfffe
	v_add_co_u32 v8, vcc_lo, v0, s9
	s_wait_alu 0xfffd
	v_add_co_ci_u32_e64 v9, null, 0, v1, vcc_lo
	s_wait_dscnt 0x5
	global_store_b8 v[8:9], v7, off
	s_or_b32 exec_lo, exec_lo, s1
	s_and_saveexec_b32 s1, s5
	s_cbranch_execz .LBB90_91
.LBB90_109:
	s_mul_i32 s9, s14, 0x600
	s_wait_dscnt 0x5
	s_wait_alu 0xfffe
	v_add_co_u32 v7, vcc_lo, v0, s9
	s_wait_alu 0xfffd
	v_add_co_ci_u32_e64 v8, null, 0, v1, vcc_lo
	s_wait_dscnt 0x4
	global_store_b8 v[7:8], v6, off
	s_or_b32 exec_lo, exec_lo, s1
	s_and_saveexec_b32 s1, s6
	s_cbranch_execz .LBB90_92
.LBB90_110:
	s_lshl_b32 s9, s14, 11
	s_wait_dscnt 0x4
	s_wait_alu 0xfffe
	v_add_co_u32 v6, vcc_lo, v0, s9
	s_wait_alu 0xfffd
	v_add_co_ci_u32_e64 v7, null, 0, v1, vcc_lo
	s_wait_dscnt 0x3
	global_store_b8 v[6:7], v5, off
	s_or_b32 exec_lo, exec_lo, s1
	s_and_saveexec_b32 s1, s7
	s_cbranch_execz .LBB90_93
.LBB90_111:
	s_mul_i32 s9, s14, 0xa00
	s_wait_dscnt 0x3
	s_wait_alu 0xfffe
	v_add_co_u32 v5, vcc_lo, v0, s9
	s_wait_alu 0xfffd
	v_add_co_ci_u32_e64 v6, null, 0, v1, vcc_lo
	s_wait_dscnt 0x2
	global_store_b8 v[5:6], v4, off
	s_or_b32 exec_lo, exec_lo, s1
	s_and_saveexec_b32 s1, s8
	s_cbranch_execz .LBB90_94
.LBB90_112:
	s_mul_i32 s9, s14, 0xc00
	s_wait_dscnt 0x2
	s_wait_alu 0xfffe
	v_add_co_u32 v4, vcc_lo, v0, s9
	s_wait_alu 0xfffd
	v_add_co_ci_u32_e64 v5, null, 0, v1, vcc_lo
	s_wait_dscnt 0x1
	global_store_b8 v[4:5], v3, off
	s_or_b32 exec_lo, exec_lo, s1
	s_and_saveexec_b32 s1, s0
	s_cbranch_execnz .LBB90_95
	s_branch .LBB90_96
.LBB90_113:
	ds_load_b64 v[16:17], v58
	s_wait_dscnt 0x0
	global_store_b64 v[2:3], v[16:17], off
	s_wait_alu 0xfffe
	s_or_b32 exec_lo, exec_lo, s1
	s_and_saveexec_b32 s1, s3
	s_cbranch_execz .LBB90_98
.LBB90_114:
	s_lshl_b32 s2, s16, 9
	s_mov_b32 s3, 0
	s_delay_alu instid0(SALU_CYCLE_1) | instskip(NEXT) | instid1(SALU_CYCLE_1)
	s_lshl_b64 s[2:3], s[2:3], 3
	v_add_co_u32 v16, vcc_lo, v2, s2
	s_wait_alu 0xfffd
	v_add_co_ci_u32_e64 v17, null, s3, v3, vcc_lo
	s_wait_dscnt 0x6
	global_store_b64 v[16:17], v[14:15], off
	s_wait_alu 0xfffe
	s_or_b32 exec_lo, exec_lo, s1
	s_and_saveexec_b32 s1, s4
	s_cbranch_execz .LBB90_99
.LBB90_115:
	s_lshl_b32 s2, s16, 10
	s_mov_b32 s3, 0
	s_wait_alu 0xfffe
	s_lshl_b64 s[2:3], s[2:3], 3
	s_wait_dscnt 0x6
	s_wait_alu 0xfffe
	v_add_co_u32 v14, vcc_lo, v2, s2
	s_wait_alu 0xfffd
	v_add_co_ci_u32_e64 v15, null, s3, v3, vcc_lo
	s_wait_dscnt 0x5
	global_store_b64 v[14:15], v[12:13], off
	s_or_b32 exec_lo, exec_lo, s1
	s_and_saveexec_b32 s1, s5
	s_cbranch_execz .LBB90_100
.LBB90_116:
	s_mul_i32 s2, s16, 0x600
	s_mov_b32 s3, 0
	s_wait_alu 0xfffe
	s_lshl_b64 s[2:3], s[2:3], 3
	s_wait_dscnt 0x5
	s_wait_alu 0xfffe
	v_add_co_u32 v12, vcc_lo, v2, s2
	s_wait_alu 0xfffd
	v_add_co_ci_u32_e64 v13, null, s3, v3, vcc_lo
	s_wait_dscnt 0x4
	global_store_b64 v[12:13], v[10:11], off
	s_or_b32 exec_lo, exec_lo, s1
	s_and_saveexec_b32 s1, s6
	s_cbranch_execz .LBB90_101
.LBB90_117:
	s_lshl_b32 s2, s16, 11
	s_mov_b32 s3, 0
	s_wait_alu 0xfffe
	s_lshl_b64 s[2:3], s[2:3], 3
	s_wait_dscnt 0x4
	s_wait_alu 0xfffe
	v_add_co_u32 v10, vcc_lo, v2, s2
	s_wait_alu 0xfffd
	v_add_co_ci_u32_e64 v11, null, s3, v3, vcc_lo
	s_wait_dscnt 0x3
	global_store_b64 v[10:11], v[8:9], off
	s_or_b32 exec_lo, exec_lo, s1
	s_and_saveexec_b32 s1, s7
	s_cbranch_execz .LBB90_102
.LBB90_118:
	s_mul_i32 s2, s16, 0xa00
	s_mov_b32 s3, 0
	s_wait_alu 0xfffe
	s_lshl_b64 s[2:3], s[2:3], 3
	s_wait_dscnt 0x3
	s_wait_alu 0xfffe
	v_add_co_u32 v8, vcc_lo, v2, s2
	s_wait_alu 0xfffd
	v_add_co_ci_u32_e64 v9, null, s3, v3, vcc_lo
	s_wait_dscnt 0x2
	global_store_b64 v[8:9], v[6:7], off
	s_or_b32 exec_lo, exec_lo, s1
	s_and_saveexec_b32 s1, s8
	s_cbranch_execz .LBB90_103
.LBB90_119:
	s_mul_i32 s2, s16, 0xc00
	s_mov_b32 s3, 0
	s_wait_alu 0xfffe
	s_lshl_b64 s[2:3], s[2:3], 3
	s_wait_dscnt 0x2
	s_wait_alu 0xfffe
	v_add_co_u32 v6, vcc_lo, v2, s2
	s_wait_alu 0xfffd
	v_add_co_ci_u32_e64 v7, null, s3, v3, vcc_lo
	s_wait_dscnt 0x1
	global_store_b64 v[6:7], v[4:5], off
	s_or_b32 exec_lo, exec_lo, s1
	s_and_saveexec_b32 s1, s0
	s_cbranch_execnz .LBB90_104
	s_branch .LBB90_105
	.section	.rodata,"a",@progbits
	.p2align	6, 0x0
	.amdhsa_kernel _ZN2at6native18radixSortKVInPlaceILin1ELin1ELi512ELi8EhljEEvNS_4cuda6detail10TensorInfoIT3_T5_EES6_S6_S6_NS4_IT4_S6_EES6_b
		.amdhsa_group_segment_fixed_size 33792
		.amdhsa_private_segment_fixed_size 0
		.amdhsa_kernarg_size 712
		.amdhsa_user_sgpr_count 2
		.amdhsa_user_sgpr_dispatch_ptr 0
		.amdhsa_user_sgpr_queue_ptr 0
		.amdhsa_user_sgpr_kernarg_segment_ptr 1
		.amdhsa_user_sgpr_dispatch_id 0
		.amdhsa_user_sgpr_private_segment_size 0
		.amdhsa_wavefront_size32 1
		.amdhsa_uses_dynamic_stack 0
		.amdhsa_enable_private_segment 0
		.amdhsa_system_sgpr_workgroup_id_x 1
		.amdhsa_system_sgpr_workgroup_id_y 1
		.amdhsa_system_sgpr_workgroup_id_z 1
		.amdhsa_system_sgpr_workgroup_info 0
		.amdhsa_system_vgpr_workitem_id 2
		.amdhsa_next_free_vgpr 105
		.amdhsa_next_free_sgpr 28
		.amdhsa_reserve_vcc 1
		.amdhsa_float_round_mode_32 0
		.amdhsa_float_round_mode_16_64 0
		.amdhsa_float_denorm_mode_32 3
		.amdhsa_float_denorm_mode_16_64 3
		.amdhsa_fp16_overflow 0
		.amdhsa_workgroup_processor_mode 1
		.amdhsa_memory_ordered 1
		.amdhsa_forward_progress 1
		.amdhsa_inst_pref_size 102
		.amdhsa_round_robin_scheduling 0
		.amdhsa_exception_fp_ieee_invalid_op 0
		.amdhsa_exception_fp_denorm_src 0
		.amdhsa_exception_fp_ieee_div_zero 0
		.amdhsa_exception_fp_ieee_overflow 0
		.amdhsa_exception_fp_ieee_underflow 0
		.amdhsa_exception_fp_ieee_inexact 0
		.amdhsa_exception_int_div_zero 0
	.end_amdhsa_kernel
	.section	.text._ZN2at6native18radixSortKVInPlaceILin1ELin1ELi512ELi8EhljEEvNS_4cuda6detail10TensorInfoIT3_T5_EES6_S6_S6_NS4_IT4_S6_EES6_b,"axG",@progbits,_ZN2at6native18radixSortKVInPlaceILin1ELin1ELi512ELi8EhljEEvNS_4cuda6detail10TensorInfoIT3_T5_EES6_S6_S6_NS4_IT4_S6_EES6_b,comdat
.Lfunc_end90:
	.size	_ZN2at6native18radixSortKVInPlaceILin1ELin1ELi512ELi8EhljEEvNS_4cuda6detail10TensorInfoIT3_T5_EES6_S6_S6_NS4_IT4_S6_EES6_b, .Lfunc_end90-_ZN2at6native18radixSortKVInPlaceILin1ELin1ELi512ELi8EhljEEvNS_4cuda6detail10TensorInfoIT3_T5_EES6_S6_S6_NS4_IT4_S6_EES6_b
                                        ; -- End function
	.set _ZN2at6native18radixSortKVInPlaceILin1ELin1ELi512ELi8EhljEEvNS_4cuda6detail10TensorInfoIT3_T5_EES6_S6_S6_NS4_IT4_S6_EES6_b.num_vgpr, 105
	.set _ZN2at6native18radixSortKVInPlaceILin1ELin1ELi512ELi8EhljEEvNS_4cuda6detail10TensorInfoIT3_T5_EES6_S6_S6_NS4_IT4_S6_EES6_b.num_agpr, 0
	.set _ZN2at6native18radixSortKVInPlaceILin1ELin1ELi512ELi8EhljEEvNS_4cuda6detail10TensorInfoIT3_T5_EES6_S6_S6_NS4_IT4_S6_EES6_b.numbered_sgpr, 28
	.set _ZN2at6native18radixSortKVInPlaceILin1ELin1ELi512ELi8EhljEEvNS_4cuda6detail10TensorInfoIT3_T5_EES6_S6_S6_NS4_IT4_S6_EES6_b.num_named_barrier, 0
	.set _ZN2at6native18radixSortKVInPlaceILin1ELin1ELi512ELi8EhljEEvNS_4cuda6detail10TensorInfoIT3_T5_EES6_S6_S6_NS4_IT4_S6_EES6_b.private_seg_size, 0
	.set _ZN2at6native18radixSortKVInPlaceILin1ELin1ELi512ELi8EhljEEvNS_4cuda6detail10TensorInfoIT3_T5_EES6_S6_S6_NS4_IT4_S6_EES6_b.uses_vcc, 1
	.set _ZN2at6native18radixSortKVInPlaceILin1ELin1ELi512ELi8EhljEEvNS_4cuda6detail10TensorInfoIT3_T5_EES6_S6_S6_NS4_IT4_S6_EES6_b.uses_flat_scratch, 0
	.set _ZN2at6native18radixSortKVInPlaceILin1ELin1ELi512ELi8EhljEEvNS_4cuda6detail10TensorInfoIT3_T5_EES6_S6_S6_NS4_IT4_S6_EES6_b.has_dyn_sized_stack, 0
	.set _ZN2at6native18radixSortKVInPlaceILin1ELin1ELi512ELi8EhljEEvNS_4cuda6detail10TensorInfoIT3_T5_EES6_S6_S6_NS4_IT4_S6_EES6_b.has_recursion, 0
	.set _ZN2at6native18radixSortKVInPlaceILin1ELin1ELi512ELi8EhljEEvNS_4cuda6detail10TensorInfoIT3_T5_EES6_S6_S6_NS4_IT4_S6_EES6_b.has_indirect_call, 0
	.section	.AMDGPU.csdata,"",@progbits
; Kernel info:
; codeLenInByte = 13028
; TotalNumSgprs: 30
; NumVgprs: 105
; ScratchSize: 0
; MemoryBound: 0
; FloatMode: 240
; IeeeMode: 1
; LDSByteSize: 33792 bytes/workgroup (compile time only)
; SGPRBlocks: 0
; VGPRBlocks: 13
; NumSGPRsForWavesPerEU: 30
; NumVGPRsForWavesPerEU: 105
; Occupancy: 12
; WaveLimiterHint : 1
; COMPUTE_PGM_RSRC2:SCRATCH_EN: 0
; COMPUTE_PGM_RSRC2:USER_SGPR: 2
; COMPUTE_PGM_RSRC2:TRAP_HANDLER: 0
; COMPUTE_PGM_RSRC2:TGID_X_EN: 1
; COMPUTE_PGM_RSRC2:TGID_Y_EN: 1
; COMPUTE_PGM_RSRC2:TGID_Z_EN: 1
; COMPUTE_PGM_RSRC2:TIDIG_COMP_CNT: 2
	.section	.text._ZN2at6native18radixSortKVInPlaceILin1ELin1ELi256ELi8EhljEEvNS_4cuda6detail10TensorInfoIT3_T5_EES6_S6_S6_NS4_IT4_S6_EES6_b,"axG",@progbits,_ZN2at6native18radixSortKVInPlaceILin1ELin1ELi256ELi8EhljEEvNS_4cuda6detail10TensorInfoIT3_T5_EES6_S6_S6_NS4_IT4_S6_EES6_b,comdat
	.protected	_ZN2at6native18radixSortKVInPlaceILin1ELin1ELi256ELi8EhljEEvNS_4cuda6detail10TensorInfoIT3_T5_EES6_S6_S6_NS4_IT4_S6_EES6_b ; -- Begin function _ZN2at6native18radixSortKVInPlaceILin1ELin1ELi256ELi8EhljEEvNS_4cuda6detail10TensorInfoIT3_T5_EES6_S6_S6_NS4_IT4_S6_EES6_b
	.globl	_ZN2at6native18radixSortKVInPlaceILin1ELin1ELi256ELi8EhljEEvNS_4cuda6detail10TensorInfoIT3_T5_EES6_S6_S6_NS4_IT4_S6_EES6_b
	.p2align	8
	.type	_ZN2at6native18radixSortKVInPlaceILin1ELin1ELi256ELi8EhljEEvNS_4cuda6detail10TensorInfoIT3_T5_EES6_S6_S6_NS4_IT4_S6_EES6_b,@function
_ZN2at6native18radixSortKVInPlaceILin1ELin1ELi256ELi8EhljEEvNS_4cuda6detail10TensorInfoIT3_T5_EES6_S6_S6_NS4_IT4_S6_EES6_b: ; @_ZN2at6native18radixSortKVInPlaceILin1ELin1ELi256ELi8EhljEEvNS_4cuda6detail10TensorInfoIT3_T5_EES6_S6_S6_NS4_IT4_S6_EES6_b
; %bb.0:
	s_clause 0x1
	s_load_b64 s[2:3], s[0:1], 0x1c8
	s_load_b96 s[8:10], s[0:1], 0xd8
	s_lshr_b32 s4, ttmp7, 16
	s_wait_kmcnt 0x0
	s_mul_i32 s3, s3, s4
	s_and_b32 s4, ttmp7, 0xffff
	s_delay_alu instid0(SALU_CYCLE_1) | instskip(NEXT) | instid1(SALU_CYCLE_1)
	s_add_co_i32 s3, s3, s4
	s_mul_i32 s2, s3, s2
	s_delay_alu instid0(SALU_CYCLE_1) | instskip(NEXT) | instid1(SALU_CYCLE_1)
	s_add_co_i32 s22, s2, ttmp9
	s_cmp_ge_u32 s22, s8
	s_cbranch_scc1 .LBB91_105
; %bb.1:
	s_load_b32 s4, s[0:1], 0xd0
	s_mov_b32 s3, 0
	s_mov_b32 s2, s22
	s_wait_kmcnt 0x0
	s_cmp_lt_i32 s4, 2
	s_cbranch_scc1 .LBB91_4
; %bb.2:
	s_add_co_i32 s2, s4, -1
	s_delay_alu instid0(SALU_CYCLE_1)
	s_lshl_b64 s[6:7], s[2:3], 2
	s_mov_b32 s2, s22
	s_add_nc_u64 s[12:13], s[0:1], s[6:7]
	s_add_co_i32 s6, s4, 1
	s_add_nc_u64 s[4:5], s[12:13], 8
.LBB91_3:                               ; =>This Inner Loop Header: Depth=1
	s_clause 0x1
	s_load_b32 s7, s[4:5], 0x0
	s_load_b32 s8, s[4:5], 0x64
	s_mov_b32 s13, s2
	s_add_nc_u64 s[4:5], s[4:5], -4
	s_wait_kmcnt 0x0
	s_cvt_f32_u32 s11, s7
	s_sub_co_i32 s12, 0, s7
	s_wait_alu 0xfffe
	s_delay_alu instid0(SALU_CYCLE_1) | instskip(NEXT) | instid1(TRANS32_DEP_1)
	v_rcp_iflag_f32_e32 v1, s11
	v_readfirstlane_b32 s11, v1
	s_mul_f32 s11, s11, 0x4f7ffffe
	s_wait_alu 0xfffe
	s_delay_alu instid0(SALU_CYCLE_2) | instskip(SKIP_1) | instid1(SALU_CYCLE_2)
	s_cvt_u32_f32 s11, s11
	s_wait_alu 0xfffe
	s_mul_i32 s12, s12, s11
	s_delay_alu instid0(SALU_CYCLE_1) | instskip(NEXT) | instid1(SALU_CYCLE_1)
	s_mul_hi_u32 s12, s11, s12
	s_add_co_i32 s11, s11, s12
	s_wait_alu 0xfffe
	s_mul_hi_u32 s2, s2, s11
	s_delay_alu instid0(SALU_CYCLE_1)
	s_mul_i32 s11, s2, s7
	s_add_co_i32 s12, s2, 1
	s_wait_alu 0xfffe
	s_sub_co_i32 s11, s13, s11
	s_wait_alu 0xfffe
	s_sub_co_i32 s14, s11, s7
	s_cmp_ge_u32 s11, s7
	s_cselect_b32 s2, s12, s2
	s_cselect_b32 s11, s14, s11
	s_add_co_i32 s12, s2, 1
	s_wait_alu 0xfffe
	s_cmp_ge_u32 s11, s7
	s_cselect_b32 s2, s12, s2
	s_add_co_i32 s6, s6, -1
	s_mul_i32 s7, s2, s7
	s_delay_alu instid0(SALU_CYCLE_1) | instskip(NEXT) | instid1(SALU_CYCLE_1)
	s_sub_co_i32 s7, s13, s7
	s_mul_i32 s7, s8, s7
	s_delay_alu instid0(SALU_CYCLE_1)
	s_add_co_i32 s3, s7, s3
	s_cmp_gt_u32 s6, 2
	s_cbranch_scc1 .LBB91_3
.LBB91_4:
	s_load_b32 s4, s[0:1], 0x1b8
	s_add_nc_u64 s[18:19], s[0:1], 0x1c8
	s_mov_b32 s17, 0
	s_wait_kmcnt 0x0
	s_cmp_lt_i32 s4, 2
	s_cbranch_scc1 .LBB91_7
; %bb.5:
	s_add_co_i32 s16, s4, -1
	s_delay_alu instid0(SALU_CYCLE_1) | instskip(NEXT) | instid1(SALU_CYCLE_1)
	s_lshl_b64 s[6:7], s[16:17], 2
	s_add_nc_u64 s[12:13], s[0:1], s[6:7]
	s_add_co_i32 s6, s4, 1
	s_add_nc_u64 s[4:5], s[12:13], 0xf0
.LBB91_6:                               ; =>This Inner Loop Header: Depth=1
	s_clause 0x1
	s_load_b32 s7, s[4:5], 0x0
	s_load_b32 s8, s[4:5], 0x64
	s_mov_b32 s13, s22
	s_add_nc_u64 s[4:5], s[4:5], -4
	s_wait_kmcnt 0x0
	s_cvt_f32_u32 s11, s7
	s_sub_co_i32 s12, 0, s7
	s_wait_alu 0xfffe
	s_delay_alu instid0(SALU_CYCLE_1) | instskip(NEXT) | instid1(TRANS32_DEP_1)
	v_rcp_iflag_f32_e32 v1, s11
	v_readfirstlane_b32 s11, v1
	s_mul_f32 s11, s11, 0x4f7ffffe
	s_wait_alu 0xfffe
	s_delay_alu instid0(SALU_CYCLE_2) | instskip(SKIP_1) | instid1(SALU_CYCLE_2)
	s_cvt_u32_f32 s11, s11
	s_wait_alu 0xfffe
	s_mul_i32 s12, s12, s11
	s_delay_alu instid0(SALU_CYCLE_1) | instskip(NEXT) | instid1(SALU_CYCLE_1)
	s_mul_hi_u32 s12, s11, s12
	s_add_co_i32 s11, s11, s12
	s_wait_alu 0xfffe
	s_mul_hi_u32 s11, s22, s11
	s_wait_alu 0xfffe
	s_mul_i32 s12, s11, s7
	s_add_co_i32 s14, s11, 1
	s_sub_co_i32 s12, s22, s12
	s_delay_alu instid0(SALU_CYCLE_1)
	s_sub_co_i32 s15, s12, s7
	s_cmp_ge_u32 s12, s7
	s_cselect_b32 s11, s14, s11
	s_cselect_b32 s12, s15, s12
	s_wait_alu 0xfffe
	s_add_co_i32 s14, s11, 1
	s_cmp_ge_u32 s12, s7
	s_cselect_b32 s22, s14, s11
	s_add_co_i32 s6, s6, -1
	s_mul_i32 s7, s22, s7
	s_delay_alu instid0(SALU_CYCLE_1) | instskip(NEXT) | instid1(SALU_CYCLE_1)
	s_sub_co_i32 s7, s13, s7
	s_mul_i32 s7, s8, s7
	s_delay_alu instid0(SALU_CYCLE_1)
	s_add_co_i32 s17, s7, s17
	s_cmp_gt_u32 s6, 2
	s_cbranch_scc1 .LBB91_6
.LBB91_7:
	s_clause 0x1
	s_load_b32 s4, s[0:1], 0x6c
	s_load_b64 s[12:13], s[0:1], 0x1c0
	v_and_b32_e32 v44, 0x3ff, v0
	s_mov_b32 s7, 0
	s_delay_alu instid0(VALU_DEP_1)
	v_mul_lo_u32 v47, s10, v44
	s_wait_kmcnt 0x0
	s_mul_i32 s2, s4, s2
	s_load_b64 s[4:5], s[0:1], 0x0
	s_add_co_i32 s6, s2, s3
	s_bitcmp1_b32 s13, 0
	s_cselect_b32 s2, -1, 0
	s_delay_alu instid0(SALU_CYCLE_1) | instskip(SKIP_4) | instid1(VALU_DEP_2)
	s_xor_b32 s11, s2, -1
	v_cmp_gt_u32_e64 s2, s9, v44
	s_wait_alu 0xfffe
	v_cndmask_b32_e64 v1, 0, -1, s11
	v_cndmask_b32_e64 v3, 0, -1, s11
	v_lshlrev_b32_e32 v2, 8, v1
	v_and_b32_e32 v1, 0xff, v1
	s_delay_alu instid0(VALU_DEP_1) | instskip(SKIP_2) | instid1(VALU_DEP_1)
	v_or_b32_e32 v1, v1, v2
	s_wait_kmcnt 0x0
	s_add_nc_u64 s[14:15], s[4:5], s[6:7]
	v_and_b32_e32 v2, 0xffff, v1
	v_lshlrev_b32_e32 v1, 16, v1
	s_delay_alu instid0(VALU_DEP_1) | instskip(NEXT) | instid1(VALU_DEP_1)
	v_or_b32_e32 v1, v2, v1
	v_mov_b32_e32 v2, v1
	s_and_saveexec_b32 s3, s2
	s_cbranch_execz .LBB91_9
; %bb.8:
	global_load_u8 v3, v47, s[14:15]
	v_mov_b32_e32 v5, v1
	s_wait_loadcnt 0x0
	v_perm_b32 v4, v3, v1, 0x3020104
	s_delay_alu instid0(VALU_DEP_1)
	v_dual_mov_b32 v1, v4 :: v_dual_mov_b32 v2, v5
.LBB91_9:
	s_or_b32 exec_lo, exec_lo, s3
	v_add_nc_u32_e32 v28, 0x100, v44
	s_delay_alu instid0(VALU_DEP_1)
	v_cmp_gt_u32_e64 s3, s9, v28
	s_and_saveexec_b32 s4, s3
	s_cbranch_execz .LBB91_11
; %bb.10:
	v_mul_lo_u32 v4, s10, v28
	global_load_u8 v4, v4, s[14:15]
	s_wait_loadcnt 0x0
	v_perm_b32 v1, v1, v4, 0x7060004
.LBB91_11:
	s_or_b32 exec_lo, exec_lo, s4
	v_add_nc_u32_e32 v24, 0x200, v44
	s_delay_alu instid0(VALU_DEP_1)
	v_cmp_gt_u32_e64 s4, s9, v24
	s_and_saveexec_b32 s5, s4
	s_cbranch_execz .LBB91_13
; %bb.12:
	v_mul_lo_u32 v4, s10, v24
	global_load_u8 v4, v4, s[14:15]
	s_wait_loadcnt 0x0
	v_perm_b32 v4, v4, v1, 0xc0c0304
	s_delay_alu instid0(VALU_DEP_1) | instskip(NEXT) | instid1(VALU_DEP_1)
	v_lshlrev_b32_e32 v4, 16, v4
	v_and_or_b32 v1, 0xffff, v1, v4
.LBB91_13:
	s_or_b32 exec_lo, exec_lo, s5
	v_add_nc_u32_e32 v21, 0x300, v44
	s_delay_alu instid0(VALU_DEP_1)
	v_cmp_gt_u32_e64 s5, s9, v21
	s_and_saveexec_b32 s6, s5
	s_cbranch_execz .LBB91_15
; %bb.14:
	v_mul_lo_u32 v4, s10, v21
	global_load_u8 v4, v4, s[14:15]
	s_wait_loadcnt 0x0
	v_perm_b32 v4, v1, v4, 0xc0c0006
	s_delay_alu instid0(VALU_DEP_1) | instskip(NEXT) | instid1(VALU_DEP_1)
	v_lshlrev_b32_e32 v4, 16, v4
	v_and_or_b32 v1, 0xffff, v1, v4
.LBB91_15:
	s_or_b32 exec_lo, exec_lo, s6
	v_or_b32_e32 v19, 0x400, v44
	s_delay_alu instid0(VALU_DEP_1)
	v_cmp_gt_u32_e64 s6, s9, v19
	s_and_saveexec_b32 s7, s6
	s_cbranch_execz .LBB91_17
; %bb.16:
	v_mul_lo_u32 v4, s10, v19
	global_load_u8 v4, v4, s[14:15]
	s_wait_loadcnt 0x0
	v_perm_b32 v2, v4, v2, 0x3020104
.LBB91_17:
	s_or_b32 exec_lo, exec_lo, s7
	v_add_nc_u32_e32 v17, 0x500, v44
	s_delay_alu instid0(VALU_DEP_1)
	v_cmp_gt_u32_e64 s7, s9, v17
	s_and_saveexec_b32 s8, s7
	s_cbranch_execz .LBB91_19
; %bb.18:
	v_mul_lo_u32 v4, s10, v17
	global_load_u8 v4, v4, s[14:15]
	s_wait_loadcnt 0x0
	v_perm_b32 v2, v2, v4, 0x7060004
.LBB91_19:
	s_wait_alu 0xfffe
	s_or_b32 exec_lo, exec_lo, s8
	v_add_nc_u32_e32 v16, 0x600, v44
	s_delay_alu instid0(VALU_DEP_1)
	v_cmp_gt_u32_e64 s8, s9, v16
	s_and_saveexec_b32 s13, s8
	s_cbranch_execz .LBB91_21
; %bb.20:
	v_mul_lo_u32 v4, s10, v16
	global_load_u8 v4, v4, s[14:15]
	s_wait_loadcnt 0x0
	v_perm_b32 v2, v2, v4, 0x7000504
.LBB91_21:
	s_or_b32 exec_lo, exec_lo, s13
	s_clause 0x1
	s_load_b32 s13, s[0:1], 0x154
	s_load_b64 s[20:21], s[0:1], 0xe8
	v_add_nc_u32_e32 v15, 0x700, v44
	s_delay_alu instid0(VALU_DEP_1)
	v_cmp_gt_u32_e64 s0, s9, v15
	s_and_saveexec_b32 s1, s0
	s_cbranch_execz .LBB91_23
; %bb.22:
	v_mul_lo_u32 v4, s10, v15
	global_load_u8 v4, v4, s[14:15]
	s_wait_loadcnt 0x0
	v_perm_b32 v2, v2, v4, 0x60504
.LBB91_23:
	s_or_b32 exec_lo, exec_lo, s1
	v_lshrrev_b32_e32 v62, 5, v44
	v_lshrrev_b32_e32 v18, 5, v28
	;; [unrolled: 1-line block ×5, first 2 shown]
	s_delay_alu instid0(VALU_DEP_4) | instskip(SKIP_4) | instid1(VALU_DEP_4)
	v_dual_mov_b32 v42, 0 :: v_dual_and_b32 v5, 60, v18
	v_and_b32_e32 v4, 28, v62
	v_and_b32_e32 v7, 60, v23
	v_lshrrev_b32_e32 v22, 5, v21
	v_lshrrev_b32_e32 v29, 2, v44
	v_dual_mov_b32 v43, v42 :: v_dual_add_nc_u32 v48, v4, v44
	v_dual_mov_b32 v11, v42 :: v_dual_and_b32 v4, 60, v20
	v_mov_b32_e32 v12, v42
	v_add_nc_u32_e32 v52, v7, v44
	v_and_b32_e32 v7, 0x7c, v26
	s_delay_alu instid0(VALU_DEP_4)
	v_add_nc_u32_e32 v50, v4, v44
	v_and_b32_e32 v4, 60, v22
	v_lshrrev_b32_e32 v25, 5, v17
	v_lshrrev_b32_e32 v27, 5, v15
	v_dual_mov_b32 v13, 0 :: v_dual_add_nc_u32 v54, v7, v44
	v_lshlrev_b32_e32 v57, 3, v44
	v_and_b32_e32 v7, 0xfc, v29
	v_add_nc_u32_e32 v51, v4, v44
	v_and_b32_e32 v4, 0x7c, v25
	v_and_b32_e32 v9, 0x7c, v27
	v_lshrrev_b32_e32 v6, 8, v1
	v_add_nc_u32_e32 v56, v7, v57
	v_dual_mov_b32 v10, v42 :: v_dual_add_nc_u32 v49, v5, v44
	v_lshrrev_b32_e32 v5, 24, v1
	v_lshrrev_b32_e32 v8, 8, v2
	v_dual_mov_b32 v14, 0 :: v_dual_add_nc_u32 v53, v4, v44
	v_lshrrev_b32_e32 v4, 24, v2
	v_add_nc_u32_e32 v55, v9, v44
	v_mov_b32_e32 v9, v42
	v_mov_b32_e32 v7, v42
	ds_store_b8 v48, v3
	ds_store_b8 v49, v6 offset:256
	ds_store_b8_d16_hi v50, v1 offset:512
	ds_store_b8 v51, v5 offset:768
	ds_store_b8 v52, v2 offset:1024
	;; [unrolled: 1-line block ×3, first 2 shown]
	ds_store_b8_d16_hi v54, v2 offset:1536
	ds_store_b8 v55, v4 offset:1792
	s_wait_dscnt 0x0
	s_barrier_signal -1
	s_barrier_wait -1
	global_inv scope:SCOPE_SE
	ds_load_2addr_b32 v[45:46], v56 offset1:1
	s_wait_kmcnt 0x0
	s_mul_i32 s1, s13, s22
	v_mul_lo_u32 v41, s12, v44
	s_mov_b32 s23, 0
	s_add_co_i32 s22, s1, s17
	v_dual_mov_b32 v1, v42 :: v_dual_mov_b32 v2, v42
	v_dual_mov_b32 v3, v42 :: v_dual_mov_b32 v4, v42
	;; [unrolled: 1-line block ×3, first 2 shown]
	v_mov_b32_e32 v8, v42
	s_lshl_b64 s[16:17], s[22:23], 3
	s_wait_loadcnt_dscnt 0x0
	s_add_nc_u64 s[16:17], s[20:21], s[16:17]
	s_barrier_signal -1
	s_barrier_wait -1
	global_inv scope:SCOPE_SE
	s_and_saveexec_b32 s1, s2
	s_cbranch_execnz .LBB91_56
; %bb.24:
	s_or_b32 exec_lo, exec_lo, s1
	s_and_saveexec_b32 s1, s3
	s_cbranch_execnz .LBB91_57
.LBB91_25:
	s_or_b32 exec_lo, exec_lo, s1
	s_and_saveexec_b32 s1, s4
	s_cbranch_execnz .LBB91_58
.LBB91_26:
	s_or_b32 exec_lo, exec_lo, s1
	s_and_saveexec_b32 s1, s5
	s_cbranch_execnz .LBB91_59
.LBB91_27:
	s_or_b32 exec_lo, exec_lo, s1
	s_and_saveexec_b32 s1, s6
	s_cbranch_execnz .LBB91_60
.LBB91_28:
	s_or_b32 exec_lo, exec_lo, s1
	s_and_saveexec_b32 s1, s7
	s_cbranch_execnz .LBB91_61
.LBB91_29:
	s_or_b32 exec_lo, exec_lo, s1
	s_and_saveexec_b32 s1, s8
	s_cbranch_execnz .LBB91_62
.LBB91_30:
	s_or_b32 exec_lo, exec_lo, s1
	s_and_saveexec_b32 s1, s0
	s_cbranch_execz .LBB91_32
.LBB91_31:
	v_mul_lo_u32 v7, s12, v15
	v_mov_b32_e32 v8, 0
	s_delay_alu instid0(VALU_DEP_1) | instskip(NEXT) | instid1(VALU_DEP_1)
	v_lshlrev_b64_e32 v[7:8], 3, v[7:8]
	v_add_co_u32 v7, vcc_lo, s16, v7
	s_wait_alu 0xfffd
	s_delay_alu instid0(VALU_DEP_2)
	v_add_co_ci_u32_e64 v8, null, s17, v8, vcc_lo
	global_load_b64 v[7:8], v[7:8], off
.LBB91_32:
	s_or_b32 exec_lo, exec_lo, s1
	v_lshl_add_u32 v58, v62, 3, v57
	v_lshl_add_u32 v59, v18, 3, v57
	;; [unrolled: 1-line block ×5, first 2 shown]
	s_wait_loadcnt 0x0
	ds_store_b64 v58, v[13:14]
	ds_store_b64 v59, v[42:43] offset:2048
	ds_store_b64 v60, v[9:10] offset:4096
	;; [unrolled: 1-line block ×3, first 2 shown]
	v_lshlrev_b32_e32 v9, 3, v57
	v_lshl_add_u32 v42, v23, 3, v57
	v_lshl_add_u32 v43, v25, 3, v57
	;; [unrolled: 1-line block ×3, first 2 shown]
	ds_store_b64 v42, v[1:2] offset:8192
	ds_store_b64 v43, v[3:4] offset:10240
	;; [unrolled: 1-line block ×4, first 2 shown]
	v_lshl_add_u32 v65, v29, 3, v9
	s_wait_dscnt 0x0
	s_barrier_signal -1
	s_barrier_wait -1
	global_inv scope:SCOPE_SE
	ds_load_2addr_b64 v[13:16], v65 offset1:1
	ds_load_2addr_b64 v[9:12], v65 offset0:2 offset1:3
	ds_load_2addr_b64 v[5:8], v65 offset0:4 offset1:5
	;; [unrolled: 1-line block ×3, first 2 shown]
	v_bfe_u32 v69, v0, 10, 10
	v_bfe_u32 v70, v0, 20, 10
	v_mbcnt_lo_u32_b32 v67, -1, 0
	v_and_b32_e32 v68, 0x3e0, v44
	v_lshlrev_b32_e32 v66, 2, v57
	s_and_b32 vcc_lo, exec_lo, s11
	s_wait_loadcnt_dscnt 0x0
	s_barrier_signal -1
	s_barrier_wait -1
	global_inv scope:SCOPE_SE
	s_wait_alu 0xfffe
	s_cbranch_vccz .LBB91_63
; %bb.33:
	s_getpc_b64 s[20:21]
	s_sext_i32_i16 s21, s21
	s_add_co_u32 s20, s20, _ZN7rocprim17ROCPRIM_400000_NS16block_radix_sortIhLj256ELj8ElLj1ELj1ELj0ELNS0_26block_radix_rank_algorithmE1ELNS0_18block_padding_hintE2ELNS0_4arch9wavefront6targetE0EE19radix_bits_per_passE@rel32@lo+8
	s_add_co_ci_u32 s21, s21, _ZN7rocprim17ROCPRIM_400000_NS16block_radix_sortIhLj256ELj8ElLj1ELj1ELj0ELNS0_26block_radix_rank_algorithmE1ELNS0_18block_padding_hintE2ELNS0_4arch9wavefront6targetE0EE19radix_bits_per_passE@rel32@hi+16
	v_or_b32_e32 v17, v67, v68
	s_load_b32 s1, s[20:21], 0x0
	s_mov_b32 s20, 0
	v_and_or_b32 v18, 0x1f00, v57, v67
	s_mov_b32 s21, s20
	s_mov_b32 s22, s20
	;; [unrolled: 1-line block ×3, first 2 shown]
	v_lshlrev_b32_e32 v19, 3, v17
	v_mad_u32_u24 v29, v18, 7, v18
	ds_store_b64 v19, v[45:46]
	; wave barrier
	ds_load_u8 v0, v18
	ds_load_u8 v71, v18 offset:32
	ds_load_u8 v72, v18 offset:64
	;; [unrolled: 1-line block ×7, first 2 shown]
	v_mad_u32_u24 v17, v17, 56, v19
	s_wait_loadcnt_dscnt 0x0
	s_barrier_signal -1
	s_barrier_wait -1
	global_inv scope:SCOPE_SE
	s_wait_kmcnt 0x0
	s_min_u32 s1, s1, 8
	ds_store_b128 v17, v[13:16]
	ds_store_b128 v17, v[9:12] offset:16
	s_lshl_b32 s1, -1, s1
	ds_store_b128 v17, v[5:8] offset:32
	ds_store_b128 v17, v[1:4] offset:48
	s_not_b32 s9, s1
	; wave barrier
	s_wait_alu 0xfffe
	v_and_b32_e32 v39, s9, v0
	ds_load_2addr_b64 v[25:28], v29 offset1:32
	ds_load_2addr_b64 v[21:24], v29 offset0:64 offset1:96
	ds_load_2addr_b64 v[17:20], v29 offset0:128 offset1:160
	;; [unrolled: 1-line block ×3, first 2 shown]
	s_wait_loadcnt_dscnt 0x0
	s_barrier_signal -1
	v_and_b32_e32 v33, 1, v39
	v_lshlrev_b32_e32 v34, 30, v39
	v_lshlrev_b32_e32 v36, 29, v39
	;; [unrolled: 1-line block ×3, first 2 shown]
	s_barrier_wait -1
	v_add_co_u32 v33, s1, v33, -1
	s_delay_alu instid0(VALU_DEP_1)
	v_cndmask_b32_e64 v35, 0, 1, s1
	v_not_b32_e32 v37, v34
	v_cmp_gt_i32_e64 s1, 0, v34
	v_not_b32_e32 v34, v36
	global_inv scope:SCOPE_SE
	v_cmp_ne_u32_e32 vcc_lo, 0, v35
	v_ashrrev_i32_e32 v35, 31, v37
	v_lshlrev_b32_e32 v37, 28, v39
	v_ashrrev_i32_e32 v34, 31, v34
	s_wait_alu 0xfffd
	v_xor_b32_e32 v33, vcc_lo, v33
	v_cmp_gt_i32_e32 vcc_lo, 0, v36
	s_wait_alu 0xf1ff
	v_xor_b32_e32 v35, s1, v35
	v_not_b32_e32 v36, v37
	s_load_b32 s1, s[18:19], 0xc
	v_and_b32_e32 v33, exec_lo, v33
	v_xor_b32_e32 v34, vcc_lo, v34
	v_cmp_gt_i32_e32 vcc_lo, 0, v37
	v_lshlrev_b32_e32 v37, 26, v39
	s_delay_alu instid0(VALU_DEP_4) | instskip(SKIP_2) | instid1(VALU_DEP_3)
	v_and_b32_e32 v33, v33, v35
	v_ashrrev_i32_e32 v35, 31, v36
	v_not_b32_e32 v36, v38
	v_and_b32_e32 v33, v33, v34
	s_wait_alu 0xfffd
	s_delay_alu instid0(VALU_DEP_3) | instskip(SKIP_3) | instid1(VALU_DEP_4)
	v_xor_b32_e32 v34, vcc_lo, v35
	v_cmp_gt_i32_e32 vcc_lo, 0, v38
	v_ashrrev_i32_e32 v35, 31, v36
	v_not_b32_e32 v36, v37
	v_and_b32_e32 v33, v33, v34
	v_lshlrev_b32_e32 v34, 25, v39
	s_wait_alu 0xfffd
	v_xor_b32_e32 v35, vcc_lo, v35
	v_cmp_gt_i32_e32 vcc_lo, 0, v37
	v_ashrrev_i32_e32 v36, 31, v36
	s_wait_kmcnt 0x0
	s_lshr_b32 s11, s1, 16
	v_not_b32_e32 v37, v34
	v_and_b32_e32 v33, v33, v35
	v_lshlrev_b32_e32 v35, 24, v39
	s_wait_alu 0xfffd
	v_xor_b32_e32 v36, vcc_lo, v36
	v_cmp_gt_i32_e32 vcc_lo, 0, v34
	v_ashrrev_i32_e32 v34, 31, v37
	s_wait_alu 0xfffe
	v_mad_u32_u24 v38, v70, s11, v69
	v_not_b32_e32 v37, v35
	v_and_b32_e32 v36, v33, v36
	s_and_b32 s1, s1, 0xffff
	s_wait_alu 0xfffd
	v_xor_b32_e32 v40, vcc_lo, v34
	v_cmp_gt_i32_e32 vcc_lo, 0, v35
	v_ashrrev_i32_e32 v35, 31, v37
	s_wait_alu 0xfffe
	v_mad_co_u64_u32 v[33:34], null, v38, s1, v[44:45]
	v_and_b32_e32 v34, v36, v40
	s_wait_alu 0xfffd
	v_xor_b32_e32 v40, vcc_lo, v35
	v_dual_mov_b32 v38, s23 :: v_dual_mov_b32 v37, s22
	v_dual_mov_b32 v36, s21 :: v_dual_mov_b32 v35, s20
	s_delay_alu instid0(VALU_DEP_3)
	v_and_b32_e32 v34, v34, v40
	v_and_b32_e32 v39, 0xff, v39
	v_lshrrev_b32_e32 v33, 3, v33
	ds_store_b128 v66, v[35:38] offset:32
	ds_store_b128 v66, v[35:38] offset:48
	v_mbcnt_lo_u32_b32 v78, v34, 0
	v_lshlrev_b32_e32 v35, 5, v39
	v_and_b32_e32 v33, 0x1ffffffc, v33
	v_cmp_ne_u32_e64 s1, 0, v34
	s_wait_loadcnt_dscnt 0x0
	v_cmp_eq_u32_e32 vcc_lo, 0, v78
	s_barrier_signal -1
	v_add_nc_u32_e32 v79, v33, v35
	s_barrier_wait -1
	global_inv scope:SCOPE_SE
	s_and_b32 s11, s1, vcc_lo
	; wave barrier
	s_wait_alu 0xfffe
	s_and_saveexec_b32 s1, s11
; %bb.34:
	v_bcnt_u32_b32 v34, v34, 0
	ds_store_b32 v79, v34 offset:32
; %bb.35:
	s_wait_alu 0xfffe
	s_or_b32 exec_lo, exec_lo, s1
	v_and_b32_e32 v34, s9, v71
	; wave barrier
	s_delay_alu instid0(VALU_DEP_1)
	v_and_b32_e32 v36, 1, v34
	v_lshlrev_b32_e32 v37, 30, v34
	v_lshlrev_b32_e32 v38, 29, v34
	;; [unrolled: 1-line block ×4, first 2 shown]
	v_add_co_u32 v36, s1, v36, -1
	s_wait_alu 0xf1ff
	v_cndmask_b32_e64 v40, 0, 1, s1
	v_not_b32_e32 v83, v37
	v_cmp_gt_i32_e64 s1, 0, v37
	v_not_b32_e32 v37, v38
	v_lshlrev_b32_e32 v81, 26, v34
	v_cmp_ne_u32_e32 vcc_lo, 0, v40
	v_ashrrev_i32_e32 v40, 31, v83
	v_lshlrev_b32_e32 v82, 25, v34
	v_ashrrev_i32_e32 v37, 31, v37
	v_and_b32_e32 v35, 0xff, v34
	s_wait_alu 0xfffd
	v_xor_b32_e32 v36, vcc_lo, v36
	v_cmp_gt_i32_e32 vcc_lo, 0, v38
	v_not_b32_e32 v38, v39
	s_wait_alu 0xf1ff
	v_xor_b32_e32 v40, s1, v40
	v_cmp_gt_i32_e64 s1, 0, v39
	v_and_b32_e32 v36, exec_lo, v36
	v_not_b32_e32 v39, v80
	v_ashrrev_i32_e32 v38, 31, v38
	s_wait_alu 0xfffd
	v_xor_b32_e32 v37, vcc_lo, v37
	v_cmp_gt_i32_e32 vcc_lo, 0, v80
	v_and_b32_e32 v36, v36, v40
	v_not_b32_e32 v40, v81
	v_ashrrev_i32_e32 v39, 31, v39
	s_wait_alu 0xf1ff
	v_xor_b32_e32 v38, s1, v38
	v_lshlrev_b32_e32 v34, 24, v34
	v_and_b32_e32 v36, v36, v37
	v_cmp_gt_i32_e64 s1, 0, v81
	v_not_b32_e32 v37, v82
	v_ashrrev_i32_e32 v40, 31, v40
	s_wait_alu 0xfffd
	v_xor_b32_e32 v39, vcc_lo, v39
	v_and_b32_e32 v36, v36, v38
	v_cmp_gt_i32_e32 vcc_lo, 0, v82
	v_not_b32_e32 v38, v34
	v_ashrrev_i32_e32 v37, 31, v37
	s_wait_alu 0xf1ff
	v_xor_b32_e32 v40, s1, v40
	v_and_b32_e32 v36, v36, v39
	v_lshlrev_b32_e32 v35, 5, v35
	v_cmp_gt_i32_e64 s1, 0, v34
	v_ashrrev_i32_e32 v34, 31, v38
	s_wait_alu 0xfffd
	v_xor_b32_e32 v37, vcc_lo, v37
	v_and_b32_e32 v36, v36, v40
	v_add_nc_u32_e32 v82, v33, v35
	s_wait_alu 0xf1ff
	v_xor_b32_e32 v34, s1, v34
	s_delay_alu instid0(VALU_DEP_3) | instskip(SKIP_2) | instid1(VALU_DEP_1)
	v_and_b32_e32 v35, v36, v37
	ds_load_b32 v80, v82 offset:32
	; wave barrier
	v_and_b32_e32 v34, v35, v34
	v_mbcnt_lo_u32_b32 v81, v34, 0
	v_cmp_ne_u32_e64 s1, 0, v34
	s_delay_alu instid0(VALU_DEP_2)
	v_cmp_eq_u32_e32 vcc_lo, 0, v81
	s_and_b32 s11, s1, vcc_lo
	s_wait_alu 0xfffe
	s_and_saveexec_b32 s1, s11
	s_cbranch_execz .LBB91_37
; %bb.36:
	s_wait_dscnt 0x0
	v_bcnt_u32_b32 v34, v34, v80
	ds_store_b32 v82, v34 offset:32
.LBB91_37:
	s_wait_alu 0xfffe
	s_or_b32 exec_lo, exec_lo, s1
	v_and_b32_e32 v34, s9, v72
	; wave barrier
	s_delay_alu instid0(VALU_DEP_1)
	v_and_b32_e32 v36, 1, v34
	v_lshlrev_b32_e32 v37, 30, v34
	v_lshlrev_b32_e32 v38, 29, v34
	v_lshlrev_b32_e32 v39, 28, v34
	v_lshlrev_b32_e32 v83, 27, v34
	v_add_co_u32 v36, s1, v36, -1
	s_wait_alu 0xf1ff
	v_cndmask_b32_e64 v40, 0, 1, s1
	v_not_b32_e32 v86, v37
	v_cmp_gt_i32_e64 s1, 0, v37
	v_not_b32_e32 v37, v38
	v_lshlrev_b32_e32 v84, 26, v34
	v_cmp_ne_u32_e32 vcc_lo, 0, v40
	v_ashrrev_i32_e32 v40, 31, v86
	v_lshlrev_b32_e32 v85, 25, v34
	v_ashrrev_i32_e32 v37, 31, v37
	v_and_b32_e32 v35, 0xff, v34
	s_wait_alu 0xfffd
	v_xor_b32_e32 v36, vcc_lo, v36
	v_cmp_gt_i32_e32 vcc_lo, 0, v38
	v_not_b32_e32 v38, v39
	s_wait_alu 0xf1ff
	v_xor_b32_e32 v40, s1, v40
	v_cmp_gt_i32_e64 s1, 0, v39
	v_and_b32_e32 v36, exec_lo, v36
	v_not_b32_e32 v39, v83
	v_ashrrev_i32_e32 v38, 31, v38
	s_wait_alu 0xfffd
	v_xor_b32_e32 v37, vcc_lo, v37
	v_cmp_gt_i32_e32 vcc_lo, 0, v83
	v_and_b32_e32 v36, v36, v40
	v_not_b32_e32 v40, v84
	v_ashrrev_i32_e32 v39, 31, v39
	s_wait_alu 0xf1ff
	v_xor_b32_e32 v38, s1, v38
	v_lshlrev_b32_e32 v34, 24, v34
	v_and_b32_e32 v36, v36, v37
	v_cmp_gt_i32_e64 s1, 0, v84
	v_not_b32_e32 v37, v85
	v_ashrrev_i32_e32 v40, 31, v40
	s_wait_alu 0xfffd
	v_xor_b32_e32 v39, vcc_lo, v39
	v_and_b32_e32 v36, v36, v38
	v_cmp_gt_i32_e32 vcc_lo, 0, v85
	v_not_b32_e32 v38, v34
	v_ashrrev_i32_e32 v37, 31, v37
	s_wait_alu 0xf1ff
	v_xor_b32_e32 v40, s1, v40
	v_and_b32_e32 v36, v36, v39
	v_lshlrev_b32_e32 v35, 5, v35
	v_cmp_gt_i32_e64 s1, 0, v34
	v_ashrrev_i32_e32 v34, 31, v38
	s_wait_alu 0xfffd
	v_xor_b32_e32 v37, vcc_lo, v37
	v_and_b32_e32 v36, v36, v40
	v_add_nc_u32_e32 v85, v33, v35
	s_wait_alu 0xf1ff
	v_xor_b32_e32 v34, s1, v34
	s_delay_alu instid0(VALU_DEP_3) | instskip(SKIP_2) | instid1(VALU_DEP_1)
	v_and_b32_e32 v35, v36, v37
	ds_load_b32 v83, v85 offset:32
	; wave barrier
	v_and_b32_e32 v34, v35, v34
	v_mbcnt_lo_u32_b32 v84, v34, 0
	v_cmp_ne_u32_e64 s1, 0, v34
	s_delay_alu instid0(VALU_DEP_2)
	v_cmp_eq_u32_e32 vcc_lo, 0, v84
	s_and_b32 s11, s1, vcc_lo
	s_wait_alu 0xfffe
	s_and_saveexec_b32 s1, s11
	s_cbranch_execz .LBB91_39
; %bb.38:
	s_wait_dscnt 0x0
	v_bcnt_u32_b32 v34, v34, v83
	ds_store_b32 v85, v34 offset:32
.LBB91_39:
	s_wait_alu 0xfffe
	s_or_b32 exec_lo, exec_lo, s1
	v_and_b32_e32 v34, s9, v73
	; wave barrier
	s_delay_alu instid0(VALU_DEP_1)
	v_and_b32_e32 v36, 1, v34
	v_lshlrev_b32_e32 v37, 30, v34
	v_lshlrev_b32_e32 v38, 29, v34
	;; [unrolled: 1-line block ×4, first 2 shown]
	v_add_co_u32 v36, s1, v36, -1
	s_wait_alu 0xf1ff
	v_cndmask_b32_e64 v40, 0, 1, s1
	v_not_b32_e32 v89, v37
	v_cmp_gt_i32_e64 s1, 0, v37
	v_not_b32_e32 v37, v38
	v_lshlrev_b32_e32 v87, 26, v34
	v_cmp_ne_u32_e32 vcc_lo, 0, v40
	v_ashrrev_i32_e32 v40, 31, v89
	v_lshlrev_b32_e32 v88, 25, v34
	v_ashrrev_i32_e32 v37, 31, v37
	v_and_b32_e32 v35, 0xff, v34
	s_wait_alu 0xfffd
	v_xor_b32_e32 v36, vcc_lo, v36
	v_cmp_gt_i32_e32 vcc_lo, 0, v38
	v_not_b32_e32 v38, v39
	s_wait_alu 0xf1ff
	v_xor_b32_e32 v40, s1, v40
	v_cmp_gt_i32_e64 s1, 0, v39
	v_and_b32_e32 v36, exec_lo, v36
	v_not_b32_e32 v39, v86
	v_ashrrev_i32_e32 v38, 31, v38
	s_wait_alu 0xfffd
	v_xor_b32_e32 v37, vcc_lo, v37
	v_cmp_gt_i32_e32 vcc_lo, 0, v86
	v_and_b32_e32 v36, v36, v40
	v_not_b32_e32 v40, v87
	v_ashrrev_i32_e32 v39, 31, v39
	s_wait_alu 0xf1ff
	v_xor_b32_e32 v38, s1, v38
	v_lshlrev_b32_e32 v34, 24, v34
	v_and_b32_e32 v36, v36, v37
	v_cmp_gt_i32_e64 s1, 0, v87
	v_not_b32_e32 v37, v88
	v_ashrrev_i32_e32 v40, 31, v40
	s_wait_alu 0xfffd
	v_xor_b32_e32 v39, vcc_lo, v39
	v_and_b32_e32 v36, v36, v38
	v_cmp_gt_i32_e32 vcc_lo, 0, v88
	v_not_b32_e32 v38, v34
	v_ashrrev_i32_e32 v37, 31, v37
	s_wait_alu 0xf1ff
	v_xor_b32_e32 v40, s1, v40
	v_and_b32_e32 v36, v36, v39
	v_lshlrev_b32_e32 v35, 5, v35
	v_cmp_gt_i32_e64 s1, 0, v34
	v_ashrrev_i32_e32 v34, 31, v38
	s_wait_alu 0xfffd
	v_xor_b32_e32 v37, vcc_lo, v37
	v_and_b32_e32 v36, v36, v40
	v_add_nc_u32_e32 v88, v33, v35
	s_wait_alu 0xf1ff
	v_xor_b32_e32 v34, s1, v34
	s_delay_alu instid0(VALU_DEP_3) | instskip(SKIP_2) | instid1(VALU_DEP_1)
	v_and_b32_e32 v35, v36, v37
	ds_load_b32 v86, v88 offset:32
	; wave barrier
	v_and_b32_e32 v34, v35, v34
	v_mbcnt_lo_u32_b32 v87, v34, 0
	v_cmp_ne_u32_e64 s1, 0, v34
	s_delay_alu instid0(VALU_DEP_2)
	v_cmp_eq_u32_e32 vcc_lo, 0, v87
	s_and_b32 s11, s1, vcc_lo
	s_wait_alu 0xfffe
	s_and_saveexec_b32 s1, s11
	s_cbranch_execz .LBB91_41
; %bb.40:
	s_wait_dscnt 0x0
	v_bcnt_u32_b32 v34, v34, v86
	ds_store_b32 v88, v34 offset:32
.LBB91_41:
	s_wait_alu 0xfffe
	s_or_b32 exec_lo, exec_lo, s1
	v_and_b32_e32 v34, s9, v74
	; wave barrier
	s_delay_alu instid0(VALU_DEP_1)
	v_and_b32_e32 v36, 1, v34
	v_lshlrev_b32_e32 v37, 30, v34
	v_lshlrev_b32_e32 v38, 29, v34
	;; [unrolled: 1-line block ×4, first 2 shown]
	v_add_co_u32 v36, s1, v36, -1
	s_wait_alu 0xf1ff
	v_cndmask_b32_e64 v40, 0, 1, s1
	v_not_b32_e32 v92, v37
	v_cmp_gt_i32_e64 s1, 0, v37
	v_not_b32_e32 v37, v38
	v_lshlrev_b32_e32 v90, 26, v34
	v_cmp_ne_u32_e32 vcc_lo, 0, v40
	v_ashrrev_i32_e32 v40, 31, v92
	v_lshlrev_b32_e32 v91, 25, v34
	v_ashrrev_i32_e32 v37, 31, v37
	v_and_b32_e32 v35, 0xff, v34
	s_wait_alu 0xfffd
	v_xor_b32_e32 v36, vcc_lo, v36
	v_cmp_gt_i32_e32 vcc_lo, 0, v38
	v_not_b32_e32 v38, v39
	s_wait_alu 0xf1ff
	v_xor_b32_e32 v40, s1, v40
	v_cmp_gt_i32_e64 s1, 0, v39
	v_and_b32_e32 v36, exec_lo, v36
	v_not_b32_e32 v39, v89
	v_ashrrev_i32_e32 v38, 31, v38
	s_wait_alu 0xfffd
	v_xor_b32_e32 v37, vcc_lo, v37
	v_cmp_gt_i32_e32 vcc_lo, 0, v89
	v_and_b32_e32 v36, v36, v40
	v_not_b32_e32 v40, v90
	v_ashrrev_i32_e32 v39, 31, v39
	s_wait_alu 0xf1ff
	v_xor_b32_e32 v38, s1, v38
	v_lshlrev_b32_e32 v34, 24, v34
	v_and_b32_e32 v36, v36, v37
	v_cmp_gt_i32_e64 s1, 0, v90
	v_not_b32_e32 v37, v91
	v_ashrrev_i32_e32 v40, 31, v40
	s_wait_alu 0xfffd
	v_xor_b32_e32 v39, vcc_lo, v39
	v_and_b32_e32 v36, v36, v38
	v_cmp_gt_i32_e32 vcc_lo, 0, v91
	v_not_b32_e32 v38, v34
	v_ashrrev_i32_e32 v37, 31, v37
	s_wait_alu 0xf1ff
	v_xor_b32_e32 v40, s1, v40
	v_and_b32_e32 v36, v36, v39
	v_lshlrev_b32_e32 v35, 5, v35
	v_cmp_gt_i32_e64 s1, 0, v34
	v_ashrrev_i32_e32 v34, 31, v38
	s_wait_alu 0xfffd
	v_xor_b32_e32 v37, vcc_lo, v37
	v_and_b32_e32 v36, v36, v40
	v_add_nc_u32_e32 v91, v33, v35
	s_wait_alu 0xf1ff
	v_xor_b32_e32 v34, s1, v34
	s_delay_alu instid0(VALU_DEP_3) | instskip(SKIP_2) | instid1(VALU_DEP_1)
	v_and_b32_e32 v35, v36, v37
	ds_load_b32 v89, v91 offset:32
	; wave barrier
	v_and_b32_e32 v34, v35, v34
	v_mbcnt_lo_u32_b32 v90, v34, 0
	v_cmp_ne_u32_e64 s1, 0, v34
	s_delay_alu instid0(VALU_DEP_2)
	v_cmp_eq_u32_e32 vcc_lo, 0, v90
	s_and_b32 s11, s1, vcc_lo
	s_wait_alu 0xfffe
	s_and_saveexec_b32 s1, s11
	s_cbranch_execz .LBB91_43
; %bb.42:
	s_wait_dscnt 0x0
	v_bcnt_u32_b32 v34, v34, v89
	ds_store_b32 v91, v34 offset:32
.LBB91_43:
	s_wait_alu 0xfffe
	s_or_b32 exec_lo, exec_lo, s1
	v_and_b32_e32 v34, s9, v75
	; wave barrier
	s_delay_alu instid0(VALU_DEP_1)
	v_and_b32_e32 v36, 1, v34
	v_lshlrev_b32_e32 v37, 30, v34
	v_lshlrev_b32_e32 v38, 29, v34
	v_lshlrev_b32_e32 v39, 28, v34
	v_lshlrev_b32_e32 v92, 27, v34
	v_add_co_u32 v36, s1, v36, -1
	s_wait_alu 0xf1ff
	v_cndmask_b32_e64 v40, 0, 1, s1
	v_not_b32_e32 v95, v37
	v_cmp_gt_i32_e64 s1, 0, v37
	v_not_b32_e32 v37, v38
	v_lshlrev_b32_e32 v93, 26, v34
	v_cmp_ne_u32_e32 vcc_lo, 0, v40
	v_ashrrev_i32_e32 v40, 31, v95
	v_lshlrev_b32_e32 v94, 25, v34
	v_ashrrev_i32_e32 v37, 31, v37
	v_and_b32_e32 v35, 0xff, v34
	s_wait_alu 0xfffd
	v_xor_b32_e32 v36, vcc_lo, v36
	v_cmp_gt_i32_e32 vcc_lo, 0, v38
	v_not_b32_e32 v38, v39
	s_wait_alu 0xf1ff
	v_xor_b32_e32 v40, s1, v40
	v_cmp_gt_i32_e64 s1, 0, v39
	v_and_b32_e32 v36, exec_lo, v36
	v_not_b32_e32 v39, v92
	v_ashrrev_i32_e32 v38, 31, v38
	s_wait_alu 0xfffd
	v_xor_b32_e32 v37, vcc_lo, v37
	v_cmp_gt_i32_e32 vcc_lo, 0, v92
	v_and_b32_e32 v36, v36, v40
	v_not_b32_e32 v40, v93
	v_ashrrev_i32_e32 v39, 31, v39
	s_wait_alu 0xf1ff
	v_xor_b32_e32 v38, s1, v38
	v_lshlrev_b32_e32 v34, 24, v34
	v_and_b32_e32 v36, v36, v37
	v_cmp_gt_i32_e64 s1, 0, v93
	v_not_b32_e32 v37, v94
	v_ashrrev_i32_e32 v40, 31, v40
	s_wait_alu 0xfffd
	v_xor_b32_e32 v39, vcc_lo, v39
	v_and_b32_e32 v36, v36, v38
	v_cmp_gt_i32_e32 vcc_lo, 0, v94
	v_not_b32_e32 v38, v34
	v_ashrrev_i32_e32 v37, 31, v37
	s_wait_alu 0xf1ff
	v_xor_b32_e32 v40, s1, v40
	v_and_b32_e32 v36, v36, v39
	v_lshlrev_b32_e32 v35, 5, v35
	v_cmp_gt_i32_e64 s1, 0, v34
	v_ashrrev_i32_e32 v34, 31, v38
	s_wait_alu 0xfffd
	v_xor_b32_e32 v37, vcc_lo, v37
	v_and_b32_e32 v36, v36, v40
	v_add_nc_u32_e32 v94, v33, v35
	s_wait_alu 0xf1ff
	v_xor_b32_e32 v34, s1, v34
	s_delay_alu instid0(VALU_DEP_3) | instskip(SKIP_2) | instid1(VALU_DEP_1)
	v_and_b32_e32 v35, v36, v37
	ds_load_b32 v92, v94 offset:32
	; wave barrier
	v_and_b32_e32 v34, v35, v34
	v_mbcnt_lo_u32_b32 v93, v34, 0
	v_cmp_ne_u32_e64 s1, 0, v34
	s_delay_alu instid0(VALU_DEP_2)
	v_cmp_eq_u32_e32 vcc_lo, 0, v93
	s_and_b32 s11, s1, vcc_lo
	s_wait_alu 0xfffe
	s_and_saveexec_b32 s1, s11
	s_cbranch_execz .LBB91_45
; %bb.44:
	s_wait_dscnt 0x0
	v_bcnt_u32_b32 v34, v34, v92
	ds_store_b32 v94, v34 offset:32
.LBB91_45:
	s_wait_alu 0xfffe
	s_or_b32 exec_lo, exec_lo, s1
	v_and_b32_e32 v34, s9, v76
	; wave barrier
	s_delay_alu instid0(VALU_DEP_1)
	v_and_b32_e32 v36, 1, v34
	v_lshlrev_b32_e32 v37, 30, v34
	v_lshlrev_b32_e32 v38, 29, v34
	v_lshlrev_b32_e32 v39, 28, v34
	v_lshlrev_b32_e32 v95, 27, v34
	v_add_co_u32 v36, s1, v36, -1
	s_wait_alu 0xf1ff
	v_cndmask_b32_e64 v40, 0, 1, s1
	v_not_b32_e32 v98, v37
	v_cmp_gt_i32_e64 s1, 0, v37
	v_not_b32_e32 v37, v38
	v_lshlrev_b32_e32 v96, 26, v34
	v_cmp_ne_u32_e32 vcc_lo, 0, v40
	v_ashrrev_i32_e32 v40, 31, v98
	v_lshlrev_b32_e32 v97, 25, v34
	v_ashrrev_i32_e32 v37, 31, v37
	v_and_b32_e32 v35, 0xff, v34
	s_wait_alu 0xfffd
	v_xor_b32_e32 v36, vcc_lo, v36
	v_cmp_gt_i32_e32 vcc_lo, 0, v38
	v_not_b32_e32 v38, v39
	s_wait_alu 0xf1ff
	v_xor_b32_e32 v40, s1, v40
	v_cmp_gt_i32_e64 s1, 0, v39
	v_and_b32_e32 v36, exec_lo, v36
	v_not_b32_e32 v39, v95
	v_ashrrev_i32_e32 v38, 31, v38
	s_wait_alu 0xfffd
	v_xor_b32_e32 v37, vcc_lo, v37
	v_cmp_gt_i32_e32 vcc_lo, 0, v95
	v_and_b32_e32 v36, v36, v40
	v_not_b32_e32 v40, v96
	v_ashrrev_i32_e32 v39, 31, v39
	s_wait_alu 0xf1ff
	v_xor_b32_e32 v38, s1, v38
	v_lshlrev_b32_e32 v34, 24, v34
	v_and_b32_e32 v36, v36, v37
	v_cmp_gt_i32_e64 s1, 0, v96
	v_not_b32_e32 v37, v97
	v_ashrrev_i32_e32 v40, 31, v40
	s_wait_alu 0xfffd
	v_xor_b32_e32 v39, vcc_lo, v39
	v_and_b32_e32 v36, v36, v38
	v_cmp_gt_i32_e32 vcc_lo, 0, v97
	v_not_b32_e32 v38, v34
	v_ashrrev_i32_e32 v37, 31, v37
	s_wait_alu 0xf1ff
	v_xor_b32_e32 v40, s1, v40
	v_and_b32_e32 v36, v36, v39
	v_lshlrev_b32_e32 v35, 5, v35
	v_cmp_gt_i32_e64 s1, 0, v34
	v_ashrrev_i32_e32 v34, 31, v38
	s_wait_alu 0xfffd
	v_xor_b32_e32 v37, vcc_lo, v37
	v_and_b32_e32 v36, v36, v40
	v_add_nc_u32_e32 v97, v33, v35
	s_wait_alu 0xf1ff
	v_xor_b32_e32 v34, s1, v34
	s_delay_alu instid0(VALU_DEP_3) | instskip(SKIP_2) | instid1(VALU_DEP_1)
	v_and_b32_e32 v35, v36, v37
	ds_load_b32 v95, v97 offset:32
	; wave barrier
	v_and_b32_e32 v34, v35, v34
	v_mbcnt_lo_u32_b32 v96, v34, 0
	v_cmp_ne_u32_e64 s1, 0, v34
	s_delay_alu instid0(VALU_DEP_2)
	v_cmp_eq_u32_e32 vcc_lo, 0, v96
	s_and_b32 s11, s1, vcc_lo
	s_wait_alu 0xfffe
	s_and_saveexec_b32 s1, s11
	s_cbranch_execz .LBB91_47
; %bb.46:
	s_wait_dscnt 0x0
	v_bcnt_u32_b32 v34, v34, v95
	ds_store_b32 v97, v34 offset:32
.LBB91_47:
	s_wait_alu 0xfffe
	s_or_b32 exec_lo, exec_lo, s1
	v_and_b32_e32 v34, s9, v77
	; wave barrier
	s_delay_alu instid0(VALU_DEP_1)
	v_and_b32_e32 v36, 1, v34
	v_lshlrev_b32_e32 v37, 30, v34
	v_lshlrev_b32_e32 v38, 29, v34
	;; [unrolled: 1-line block ×4, first 2 shown]
	v_add_co_u32 v36, s1, v36, -1
	s_wait_alu 0xf1ff
	v_cndmask_b32_e64 v40, 0, 1, s1
	v_not_b32_e32 v101, v37
	v_cmp_gt_i32_e64 s1, 0, v37
	v_not_b32_e32 v37, v38
	v_lshlrev_b32_e32 v99, 26, v34
	v_cmp_ne_u32_e32 vcc_lo, 0, v40
	v_ashrrev_i32_e32 v40, 31, v101
	v_lshlrev_b32_e32 v100, 25, v34
	v_ashrrev_i32_e32 v37, 31, v37
	v_and_b32_e32 v35, 0xff, v34
	s_wait_alu 0xfffd
	v_xor_b32_e32 v36, vcc_lo, v36
	v_cmp_gt_i32_e32 vcc_lo, 0, v38
	v_not_b32_e32 v38, v39
	s_wait_alu 0xf1ff
	v_xor_b32_e32 v40, s1, v40
	v_cmp_gt_i32_e64 s1, 0, v39
	v_and_b32_e32 v36, exec_lo, v36
	v_not_b32_e32 v39, v98
	v_ashrrev_i32_e32 v38, 31, v38
	s_wait_alu 0xfffd
	v_xor_b32_e32 v37, vcc_lo, v37
	v_cmp_gt_i32_e32 vcc_lo, 0, v98
	v_and_b32_e32 v36, v36, v40
	v_not_b32_e32 v40, v99
	v_ashrrev_i32_e32 v39, 31, v39
	s_wait_alu 0xf1ff
	v_xor_b32_e32 v38, s1, v38
	v_lshlrev_b32_e32 v34, 24, v34
	v_and_b32_e32 v36, v36, v37
	v_cmp_gt_i32_e64 s1, 0, v99
	v_not_b32_e32 v37, v100
	v_ashrrev_i32_e32 v40, 31, v40
	s_wait_alu 0xfffd
	v_xor_b32_e32 v39, vcc_lo, v39
	v_and_b32_e32 v36, v36, v38
	v_cmp_gt_i32_e32 vcc_lo, 0, v100
	v_not_b32_e32 v38, v34
	v_ashrrev_i32_e32 v37, 31, v37
	s_wait_alu 0xf1ff
	v_xor_b32_e32 v40, s1, v40
	v_and_b32_e32 v36, v36, v39
	v_lshlrev_b32_e32 v35, 5, v35
	v_cmp_gt_i32_e64 s1, 0, v34
	v_ashrrev_i32_e32 v34, 31, v38
	s_wait_alu 0xfffd
	v_xor_b32_e32 v37, vcc_lo, v37
	v_and_b32_e32 v36, v36, v40
	v_add_nc_u32_e32 v100, v33, v35
	s_wait_alu 0xf1ff
	v_xor_b32_e32 v33, s1, v34
	s_delay_alu instid0(VALU_DEP_3) | instskip(SKIP_2) | instid1(VALU_DEP_1)
	v_and_b32_e32 v34, v36, v37
	ds_load_b32 v98, v100 offset:32
	; wave barrier
	v_and_b32_e32 v33, v34, v33
	v_mbcnt_lo_u32_b32 v99, v33, 0
	v_cmp_ne_u32_e64 s1, 0, v33
	s_delay_alu instid0(VALU_DEP_2)
	v_cmp_eq_u32_e32 vcc_lo, 0, v99
	s_and_b32 s9, s1, vcc_lo
	s_wait_alu 0xfffe
	s_and_saveexec_b32 s1, s9
	s_cbranch_execz .LBB91_49
; %bb.48:
	s_wait_dscnt 0x0
	v_bcnt_u32_b32 v33, v33, v98
	ds_store_b32 v100, v33 offset:32
.LBB91_49:
	s_wait_alu 0xfffe
	s_or_b32 exec_lo, exec_lo, s1
	; wave barrier
	s_wait_loadcnt_dscnt 0x0
	s_barrier_signal -1
	s_barrier_wait -1
	global_inv scope:SCOPE_SE
	ds_load_b128 v[37:40], v66 offset:32
	ds_load_b128 v[33:36], v66 offset:48
	v_min_u32_e32 v103, 0xe0, v68
	s_mov_b32 s1, exec_lo
	s_wait_dscnt 0x1
	v_add_nc_u32_e32 v101, v38, v37
	s_delay_alu instid0(VALU_DEP_1) | instskip(SKIP_1) | instid1(VALU_DEP_1)
	v_add3_u32 v101, v101, v39, v40
	s_wait_dscnt 0x0
	v_add3_u32 v101, v101, v33, v34
	s_delay_alu instid0(VALU_DEP_1) | instskip(SKIP_1) | instid1(VALU_DEP_2)
	v_add3_u32 v36, v101, v35, v36
	v_and_b32_e32 v101, 15, v67
	v_mov_b32_dpp v102, v36 row_shr:1 row_mask:0xf bank_mask:0xf
	s_delay_alu instid0(VALU_DEP_2) | instskip(SKIP_1) | instid1(VALU_DEP_2)
	v_cmp_ne_u32_e32 vcc_lo, 0, v101
	s_wait_alu 0xfffd
	v_cndmask_b32_e32 v102, 0, v102, vcc_lo
	v_cmp_lt_u32_e32 vcc_lo, 1, v101
	s_delay_alu instid0(VALU_DEP_2) | instskip(NEXT) | instid1(VALU_DEP_1)
	v_add_nc_u32_e32 v36, v102, v36
	v_mov_b32_dpp v102, v36 row_shr:2 row_mask:0xf bank_mask:0xf
	s_wait_alu 0xfffd
	s_delay_alu instid0(VALU_DEP_1) | instskip(SKIP_1) | instid1(VALU_DEP_2)
	v_cndmask_b32_e32 v102, 0, v102, vcc_lo
	v_cmp_lt_u32_e32 vcc_lo, 3, v101
	v_add_nc_u32_e32 v36, v36, v102
	s_delay_alu instid0(VALU_DEP_1) | instskip(SKIP_1) | instid1(VALU_DEP_1)
	v_mov_b32_dpp v102, v36 row_shr:4 row_mask:0xf bank_mask:0xf
	s_wait_alu 0xfffd
	v_cndmask_b32_e32 v102, 0, v102, vcc_lo
	v_cmp_lt_u32_e32 vcc_lo, 7, v101
	s_delay_alu instid0(VALU_DEP_2) | instskip(NEXT) | instid1(VALU_DEP_1)
	v_add_nc_u32_e32 v36, v36, v102
	v_mov_b32_dpp v102, v36 row_shr:8 row_mask:0xf bank_mask:0xf
	s_wait_alu 0xfffd
	s_delay_alu instid0(VALU_DEP_1) | instskip(SKIP_1) | instid1(VALU_DEP_2)
	v_cndmask_b32_e32 v101, 0, v102, vcc_lo
	v_bfe_i32 v102, v67, 4, 1
	v_add_nc_u32_e32 v36, v36, v101
	ds_swizzle_b32 v101, v36 offset:swizzle(BROADCAST,32,15)
	s_wait_dscnt 0x0
	v_and_b32_e32 v101, v102, v101
	v_or_b32_e32 v102, 31, v103
	s_delay_alu instid0(VALU_DEP_2) | instskip(NEXT) | instid1(VALU_DEP_2)
	v_add_nc_u32_e32 v36, v36, v101
	v_cmpx_eq_u32_e64 v44, v102
; %bb.50:
	v_lshlrev_b32_e32 v101, 2, v62
	ds_store_b32 v101, v36
; %bb.51:
	s_wait_alu 0xfffe
	s_or_b32 exec_lo, exec_lo, s1
	s_delay_alu instid0(SALU_CYCLE_1)
	s_mov_b32 s1, exec_lo
	s_wait_loadcnt_dscnt 0x0
	s_barrier_signal -1
	s_barrier_wait -1
	global_inv scope:SCOPE_SE
	v_cmpx_gt_u32_e32 8, v44
	s_cbranch_execz .LBB91_53
; %bb.52:
	v_lshlrev_b32_e32 v101, 2, v44
	ds_load_b32 v102, v101
	s_wait_dscnt 0x0
	v_mov_b32_dpp v104, v102 row_shr:1 row_mask:0xf bank_mask:0xf
	v_and_b32_e32 v103, 7, v67
	s_delay_alu instid0(VALU_DEP_1) | instskip(SKIP_1) | instid1(VALU_DEP_3)
	v_cmp_ne_u32_e32 vcc_lo, 0, v103
	s_wait_alu 0xfffd
	v_cndmask_b32_e32 v104, 0, v104, vcc_lo
	v_cmp_lt_u32_e32 vcc_lo, 1, v103
	s_delay_alu instid0(VALU_DEP_2) | instskip(NEXT) | instid1(VALU_DEP_1)
	v_add_nc_u32_e32 v102, v104, v102
	v_mov_b32_dpp v104, v102 row_shr:2 row_mask:0xf bank_mask:0xf
	s_wait_alu 0xfffd
	s_delay_alu instid0(VALU_DEP_1) | instskip(SKIP_1) | instid1(VALU_DEP_2)
	v_cndmask_b32_e32 v104, 0, v104, vcc_lo
	v_cmp_lt_u32_e32 vcc_lo, 3, v103
	v_add_nc_u32_e32 v102, v102, v104
	s_delay_alu instid0(VALU_DEP_1) | instskip(SKIP_1) | instid1(VALU_DEP_1)
	v_mov_b32_dpp v104, v102 row_shr:4 row_mask:0xf bank_mask:0xf
	s_wait_alu 0xfffd
	v_cndmask_b32_e32 v103, 0, v104, vcc_lo
	s_delay_alu instid0(VALU_DEP_1)
	v_add_nc_u32_e32 v102, v102, v103
	ds_store_b32 v101, v102
.LBB91_53:
	s_wait_alu 0xfffe
	s_or_b32 exec_lo, exec_lo, s1
	v_mov_b32_e32 v101, 0
	s_mov_b32 s1, exec_lo
	s_wait_loadcnt_dscnt 0x0
	s_barrier_signal -1
	s_barrier_wait -1
	global_inv scope:SCOPE_SE
	v_cmpx_lt_u32_e32 31, v44
; %bb.54:
	v_lshl_add_u32 v101, v62, 2, -4
	ds_load_b32 v101, v101
; %bb.55:
	s_wait_alu 0xfffe
	s_or_b32 exec_lo, exec_lo, s1
	v_sub_co_u32 v102, vcc_lo, v67, 1
	s_wait_dscnt 0x0
	v_add_nc_u32_e32 v36, v101, v36
	s_delay_alu instid0(VALU_DEP_2) | instskip(SKIP_1) | instid1(VALU_DEP_1)
	v_cmp_gt_i32_e64 s1, 0, v102
	s_wait_alu 0xf1ff
	v_cndmask_b32_e64 v102, v102, v67, s1
	s_delay_alu instid0(VALU_DEP_1)
	v_lshlrev_b32_e32 v102, 2, v102
	ds_bpermute_b32 v36, v102, v36
	s_wait_dscnt 0x0
	s_wait_alu 0xfffd
	v_cndmask_b32_e32 v36, v36, v101, vcc_lo
	v_cmp_ne_u32_e32 vcc_lo, 0, v44
	s_wait_alu 0xfffd
	s_delay_alu instid0(VALU_DEP_2) | instskip(NEXT) | instid1(VALU_DEP_1)
	v_cndmask_b32_e32 v36, 0, v36, vcc_lo
	v_add_nc_u32_e32 v37, v36, v37
	s_delay_alu instid0(VALU_DEP_1) | instskip(NEXT) | instid1(VALU_DEP_1)
	v_add_nc_u32_e32 v38, v37, v38
	v_add_nc_u32_e32 v39, v38, v39
	s_delay_alu instid0(VALU_DEP_1) | instskip(NEXT) | instid1(VALU_DEP_1)
	v_add_nc_u32_e32 v101, v39, v40
	v_add_nc_u32_e32 v102, v101, v33
	s_delay_alu instid0(VALU_DEP_1) | instskip(NEXT) | instid1(VALU_DEP_1)
	v_add_nc_u32_e32 v103, v102, v34
	v_add_nc_u32_e32 v104, v103, v35
	ds_store_b128 v66, v[36:39] offset:32
	ds_store_b128 v66, v[101:104] offset:48
	s_wait_loadcnt_dscnt 0x0
	s_barrier_signal -1
	s_barrier_wait -1
	global_inv scope:SCOPE_SE
	ds_load_b32 v33, v79 offset:32
	ds_load_b32 v34, v82 offset:32
	;; [unrolled: 1-line block ×8, first 2 shown]
	v_mad_u32_u24 v79, v44, 56, v57
	s_wait_loadcnt_dscnt 0x0
	s_barrier_signal -1
	s_barrier_wait -1
	global_inv scope:SCOPE_SE
	v_add_nc_u32_e32 v78, v33, v78
	v_add3_u32 v80, v81, v80, v34
	v_add3_u32 v35, v84, v83, v35
	;; [unrolled: 1-line block ×7, first 2 shown]
	ds_store_b8 v78, v0
	ds_store_b8 v80, v71
	;; [unrolled: 1-line block ×8, first 2 shown]
	v_lshlrev_b32_e32 v0, 3, v78
	v_lshlrev_b32_e32 v71, 3, v80
	;; [unrolled: 1-line block ×5, first 2 shown]
	s_wait_loadcnt_dscnt 0x0
	s_barrier_signal -1
	s_barrier_wait -1
	global_inv scope:SCOPE_SE
	ds_load_b64 v[33:34], v57
	s_wait_loadcnt_dscnt 0x0
	s_barrier_signal -1
	s_barrier_wait -1
	global_inv scope:SCOPE_SE
	v_lshlrev_b32_e32 v38, 3, v38
	v_lshlrev_b32_e32 v39, 3, v39
	;; [unrolled: 1-line block ×3, first 2 shown]
	ds_store_b64 v0, v[25:26]
	ds_store_b64 v71, v[27:28]
	;; [unrolled: 1-line block ×8, first 2 shown]
	s_wait_loadcnt_dscnt 0x0
	s_barrier_signal -1
	s_barrier_wait -1
	global_inv scope:SCOPE_SE
	ds_load_b128 v[29:32], v79
	ds_load_b128 v[25:28], v79 offset:16
	ds_load_b128 v[21:24], v79 offset:32
	;; [unrolled: 1-line block ×3, first 2 shown]
	s_branch .LBB91_87
.LBB91_56:
	v_lshlrev_b64_e32 v[1:2], 3, v[41:42]
	v_dual_mov_b32 v43, v42 :: v_dual_mov_b32 v10, v42
	v_dual_mov_b32 v9, v42 :: v_dual_mov_b32 v12, v42
	v_mov_b32_e32 v11, v42
	s_delay_alu instid0(VALU_DEP_4) | instskip(NEXT) | instid1(VALU_DEP_1)
	v_add_co_u32 v1, vcc_lo, s16, v1
	v_add_co_ci_u32_e64 v2, null, s17, v2, vcc_lo
	v_dual_mov_b32 v3, v42 :: v_dual_mov_b32 v6, v42
	v_dual_mov_b32 v5, v42 :: v_dual_mov_b32 v8, v42
	global_load_b64 v[13:14], v[1:2], off
	v_dual_mov_b32 v1, v42 :: v_dual_mov_b32 v4, v42
	v_dual_mov_b32 v2, v42 :: v_dual_mov_b32 v7, v42
	s_or_b32 exec_lo, exec_lo, s1
	s_and_saveexec_b32 s1, s3
	s_cbranch_execz .LBB91_25
.LBB91_57:
	v_mul_lo_u32 v30, s12, v28
	v_mov_b32_e32 v31, 0
	s_delay_alu instid0(VALU_DEP_1) | instskip(NEXT) | instid1(VALU_DEP_1)
	v_lshlrev_b64_e32 v[30:31], 3, v[30:31]
	v_add_co_u32 v30, vcc_lo, s16, v30
	s_wait_alu 0xfffd
	s_delay_alu instid0(VALU_DEP_2)
	v_add_co_ci_u32_e64 v31, null, s17, v31, vcc_lo
	global_load_b64 v[42:43], v[30:31], off
	s_or_b32 exec_lo, exec_lo, s1
	s_and_saveexec_b32 s1, s4
	s_cbranch_execz .LBB91_26
.LBB91_58:
	v_mul_lo_u32 v9, s12, v24
	v_mov_b32_e32 v10, 0
	s_delay_alu instid0(VALU_DEP_1) | instskip(NEXT) | instid1(VALU_DEP_1)
	v_lshlrev_b64_e32 v[9:10], 3, v[9:10]
	v_add_co_u32 v9, vcc_lo, s16, v9
	s_wait_alu 0xfffd
	s_delay_alu instid0(VALU_DEP_2)
	v_add_co_ci_u32_e64 v10, null, s17, v10, vcc_lo
	global_load_b64 v[9:10], v[9:10], off
	s_or_b32 exec_lo, exec_lo, s1
	s_and_saveexec_b32 s1, s5
	s_cbranch_execz .LBB91_27
.LBB91_59:
	v_mul_lo_u32 v11, s12, v21
	v_mov_b32_e32 v12, 0
	s_delay_alu instid0(VALU_DEP_1) | instskip(NEXT) | instid1(VALU_DEP_1)
	v_lshlrev_b64_e32 v[11:12], 3, v[11:12]
	v_add_co_u32 v11, vcc_lo, s16, v11
	s_wait_alu 0xfffd
	s_delay_alu instid0(VALU_DEP_2)
	v_add_co_ci_u32_e64 v12, null, s17, v12, vcc_lo
	global_load_b64 v[11:12], v[11:12], off
	s_or_b32 exec_lo, exec_lo, s1
	s_and_saveexec_b32 s1, s6
	s_cbranch_execz .LBB91_28
.LBB91_60:
	v_mul_lo_u32 v1, s12, v19
	v_mov_b32_e32 v2, 0
	s_delay_alu instid0(VALU_DEP_1) | instskip(NEXT) | instid1(VALU_DEP_1)
	v_lshlrev_b64_e32 v[1:2], 3, v[1:2]
	v_add_co_u32 v1, vcc_lo, s16, v1
	s_wait_alu 0xfffd
	s_delay_alu instid0(VALU_DEP_2)
	v_add_co_ci_u32_e64 v2, null, s17, v2, vcc_lo
	global_load_b64 v[1:2], v[1:2], off
	s_or_b32 exec_lo, exec_lo, s1
	s_and_saveexec_b32 s1, s7
	s_cbranch_execz .LBB91_29
.LBB91_61:
	v_mul_lo_u32 v3, s12, v17
	v_mov_b32_e32 v4, 0
	s_delay_alu instid0(VALU_DEP_1) | instskip(NEXT) | instid1(VALU_DEP_1)
	v_lshlrev_b64_e32 v[3:4], 3, v[3:4]
	v_add_co_u32 v3, vcc_lo, s16, v3
	s_wait_alu 0xfffd
	s_delay_alu instid0(VALU_DEP_2)
	v_add_co_ci_u32_e64 v4, null, s17, v4, vcc_lo
	global_load_b64 v[3:4], v[3:4], off
	s_or_b32 exec_lo, exec_lo, s1
	s_and_saveexec_b32 s1, s8
	s_cbranch_execz .LBB91_30
.LBB91_62:
	v_mul_lo_u32 v5, s12, v16
	v_mov_b32_e32 v6, 0
	s_delay_alu instid0(VALU_DEP_1) | instskip(NEXT) | instid1(VALU_DEP_1)
	v_lshlrev_b64_e32 v[5:6], 3, v[5:6]
	v_add_co_u32 v5, vcc_lo, s16, v5
	s_wait_alu 0xfffd
	s_delay_alu instid0(VALU_DEP_2)
	v_add_co_ci_u32_e64 v6, null, s17, v6, vcc_lo
	global_load_b64 v[5:6], v[5:6], off
	s_or_b32 exec_lo, exec_lo, s1
	s_and_saveexec_b32 s1, s0
	s_cbranch_execnz .LBB91_31
	s_branch .LBB91_32
.LBB91_63:
                                        ; implicit-def: $vgpr19_vgpr20
                                        ; implicit-def: $vgpr23_vgpr24
                                        ; implicit-def: $vgpr27_vgpr28
                                        ; implicit-def: $vgpr31_vgpr32
                                        ; implicit-def: $vgpr34
	s_cbranch_execz .LBB91_87
; %bb.64:
	v_or_b32_e32 v0, v67, v68
	s_getpc_b64 s[20:21]
	s_sext_i32_i16 s21, s21
	s_add_co_u32 s20, s20, _ZN7rocprim17ROCPRIM_400000_NS16block_radix_sortIhLj256ELj8ElLj1ELj1ELj0ELNS0_26block_radix_rank_algorithmE1ELNS0_18block_padding_hintE2ELNS0_4arch9wavefront6targetE0EE19radix_bits_per_passE@rel32@lo+8
	s_add_co_ci_u32 s21, s21, _ZN7rocprim17ROCPRIM_400000_NS16block_radix_sortIhLj256ELj8ElLj1ELj1ELj0ELNS0_26block_radix_rank_algorithmE1ELNS0_18block_padding_hintE2ELNS0_4arch9wavefront6targetE0EE19radix_bits_per_passE@rel32@hi+16
	s_wait_dscnt 0x0
	v_not_b32_e32 v18, v46
	s_load_b32 s1, s[20:21], 0x0
	s_mov_b32 s20, 0
	v_not_b32_e32 v17, v45
	v_and_or_b32 v20, 0x1f00, v57, v67
	s_mov_b32 s21, s20
	s_mov_b32 s22, s20
	;; [unrolled: 1-line block ×3, first 2 shown]
	v_lshlrev_b32_e32 v19, 3, v0
	ds_store_b64 v19, v[17:18]
	; wave barrier
	ds_load_u8 v24, v20
	v_mad_u32_u24 v0, v0, 56, v19
	ds_load_u8 v25, v20 offset:32
	ds_load_u8 v26, v20 offset:64
	;; [unrolled: 1-line block ×7, first 2 shown]
	s_wait_loadcnt_dscnt 0x0
	s_barrier_signal -1
	s_wait_kmcnt 0x0
	s_min_u32 s1, s1, 8
	s_barrier_wait -1
	s_lshl_b32 s1, -1, s1
	global_inv scope:SCOPE_SE
	s_not_b32 s9, s1
	ds_store_b128 v0, v[13:16]
	ds_store_b128 v0, v[9:12] offset:16
	v_mad_u32_u24 v17, v20, 7, v20
	ds_store_b128 v0, v[5:8] offset:32
	ds_store_b128 v0, v[1:4] offset:48
	; wave barrier
	ds_load_2addr_b64 v[0:3], v17 offset1:32
	ds_load_2addr_b64 v[8:11], v17 offset0:64 offset1:96
	ds_load_2addr_b64 v[4:7], v17 offset0:128 offset1:160
	s_wait_alu 0xfffe
	v_and_b32_e32 v22, s9, v24
	s_delay_alu instid0(VALU_DEP_1) | instskip(SKIP_2) | instid1(VALU_DEP_3)
	v_and_b32_e32 v12, 1, v22
	v_lshlrev_b32_e32 v16, 30, v22
	v_lshlrev_b32_e32 v20, 28, v22
	v_add_co_u32 v18, s1, v12, -1
	s_delay_alu instid0(VALU_DEP_1)
	v_cndmask_b32_e64 v19, 0, 1, s1
	ds_load_2addr_b64 v[12:15], v17 offset0:192 offset1:224
	v_not_b32_e32 v17, v16
	v_cmp_gt_i32_e64 s1, 0, v16
	s_wait_loadcnt_dscnt 0x0
	v_cmp_ne_u32_e32 vcc_lo, 0, v19
	v_lshlrev_b32_e32 v19, 29, v22
	v_ashrrev_i32_e32 v16, 31, v17
	s_barrier_signal -1
	s_barrier_wait -1
	s_wait_alu 0xfffd
	v_xor_b32_e32 v17, vcc_lo, v18
	v_not_b32_e32 v18, v19
	s_wait_alu 0xf1ff
	v_xor_b32_e32 v16, s1, v16
	v_cmp_gt_i32_e32 vcc_lo, 0, v19
	v_not_b32_e32 v19, v20
	v_and_b32_e32 v17, exec_lo, v17
	v_ashrrev_i32_e32 v18, 31, v18
	global_inv scope:SCOPE_SE
	s_load_b32 s1, s[18:19], 0xc
	v_ashrrev_i32_e32 v19, 31, v19
	v_and_b32_e32 v16, v17, v16
	v_lshlrev_b32_e32 v17, 27, v22
	v_xor_b32_e32 v18, vcc_lo, v18
	v_cmp_gt_i32_e32 vcc_lo, 0, v20
	s_delay_alu instid0(VALU_DEP_3) | instskip(NEXT) | instid1(VALU_DEP_3)
	v_not_b32_e32 v20, v17
	v_and_b32_e32 v16, v16, v18
	v_lshlrev_b32_e32 v18, 26, v22
	s_wait_alu 0xfffd
	v_xor_b32_e32 v19, vcc_lo, v19
	v_cmp_gt_i32_e32 vcc_lo, 0, v17
	v_ashrrev_i32_e32 v17, 31, v20
	v_not_b32_e32 v20, v18
	s_delay_alu instid0(VALU_DEP_4)
	v_and_b32_e32 v16, v16, v19
	v_lshlrev_b32_e32 v19, 25, v22
	s_wait_alu 0xfffd
	v_xor_b32_e32 v17, vcc_lo, v17
	v_cmp_gt_i32_e32 vcc_lo, 0, v18
	v_ashrrev_i32_e32 v18, 31, v20
	s_wait_kmcnt 0x0
	s_lshr_b32 s11, s1, 16
	v_not_b32_e32 v20, v19
	v_and_b32_e32 v16, v16, v17
	v_lshlrev_b32_e32 v17, 24, v22
	s_wait_alu 0xfffd
	v_xor_b32_e32 v18, vcc_lo, v18
	v_cmp_gt_i32_e32 vcc_lo, 0, v19
	v_ashrrev_i32_e32 v19, 31, v20
	s_wait_alu 0xfffe
	v_mad_u32_u24 v21, v70, s11, v69
	v_not_b32_e32 v20, v17
	v_and_b32_e32 v18, v16, v18
	s_and_b32 s1, s1, 0xffff
	s_wait_alu 0xfffd
	v_xor_b32_e32 v19, vcc_lo, v19
	v_cmp_gt_i32_e32 vcc_lo, 0, v17
	v_ashrrev_i32_e32 v20, 31, v20
	s_wait_alu 0xfffe
	v_mad_co_u64_u32 v[16:17], null, v21, s1, v[44:45]
	v_and_b32_e32 v17, v18, v19
	s_wait_alu 0xfffd
	v_xor_b32_e32 v23, vcc_lo, v20
	v_dual_mov_b32 v18, s20 :: v_dual_mov_b32 v19, s21
	v_dual_mov_b32 v20, s22 :: v_dual_mov_b32 v21, s23
	s_delay_alu instid0(VALU_DEP_3)
	v_and_b32_e32 v17, v17, v23
	v_and_b32_e32 v22, 0xff, v22
	v_lshrrev_b32_e32 v16, 3, v16
	ds_store_b128 v66, v[18:21] offset:32
	ds_store_b128 v66, v[18:21] offset:48
	v_mbcnt_lo_u32_b32 v32, v17, 0
	v_lshlrev_b32_e32 v18, 5, v22
	v_and_b32_e32 v16, 0x1ffffffc, v16
	v_cmp_ne_u32_e64 s1, 0, v17
	s_wait_loadcnt_dscnt 0x0
	v_cmp_eq_u32_e32 vcc_lo, 0, v32
	s_barrier_signal -1
	v_add_nc_u32_e32 v33, v16, v18
	s_barrier_wait -1
	global_inv scope:SCOPE_SE
	s_and_b32 s11, s1, vcc_lo
	; wave barrier
	s_wait_alu 0xfffe
	s_and_saveexec_b32 s1, s11
; %bb.65:
	v_bcnt_u32_b32 v17, v17, 0
	ds_store_b32 v33, v17 offset:32
; %bb.66:
	s_wait_alu 0xfffe
	s_or_b32 exec_lo, exec_lo, s1
	v_and_b32_e32 v17, s9, v25
	; wave barrier
	s_delay_alu instid0(VALU_DEP_1)
	v_and_b32_e32 v19, 1, v17
	v_lshlrev_b32_e32 v20, 30, v17
	v_lshlrev_b32_e32 v21, 29, v17
	;; [unrolled: 1-line block ×4, first 2 shown]
	v_add_co_u32 v19, s1, v19, -1
	s_wait_alu 0xf1ff
	v_cndmask_b32_e64 v23, 0, 1, s1
	v_not_b32_e32 v37, v20
	v_cmp_gt_i32_e64 s1, 0, v20
	v_not_b32_e32 v20, v21
	v_lshlrev_b32_e32 v35, 26, v17
	v_cmp_ne_u32_e32 vcc_lo, 0, v23
	v_ashrrev_i32_e32 v23, 31, v37
	v_lshlrev_b32_e32 v36, 25, v17
	v_ashrrev_i32_e32 v20, 31, v20
	v_and_b32_e32 v18, 0xff, v17
	s_wait_alu 0xfffd
	v_xor_b32_e32 v19, vcc_lo, v19
	v_cmp_gt_i32_e32 vcc_lo, 0, v21
	v_not_b32_e32 v21, v22
	s_wait_alu 0xf1ff
	v_xor_b32_e32 v23, s1, v23
	v_cmp_gt_i32_e64 s1, 0, v22
	v_and_b32_e32 v19, exec_lo, v19
	v_not_b32_e32 v22, v34
	v_ashrrev_i32_e32 v21, 31, v21
	s_wait_alu 0xfffd
	v_xor_b32_e32 v20, vcc_lo, v20
	v_cmp_gt_i32_e32 vcc_lo, 0, v34
	v_and_b32_e32 v19, v19, v23
	v_not_b32_e32 v23, v35
	v_ashrrev_i32_e32 v22, 31, v22
	s_wait_alu 0xf1ff
	v_xor_b32_e32 v21, s1, v21
	v_lshlrev_b32_e32 v17, 24, v17
	v_and_b32_e32 v19, v19, v20
	v_cmp_gt_i32_e64 s1, 0, v35
	v_not_b32_e32 v20, v36
	v_ashrrev_i32_e32 v23, 31, v23
	s_wait_alu 0xfffd
	v_xor_b32_e32 v22, vcc_lo, v22
	v_and_b32_e32 v19, v19, v21
	v_cmp_gt_i32_e32 vcc_lo, 0, v36
	v_not_b32_e32 v21, v17
	v_ashrrev_i32_e32 v20, 31, v20
	s_wait_alu 0xf1ff
	v_xor_b32_e32 v23, s1, v23
	v_and_b32_e32 v19, v19, v22
	v_lshlrev_b32_e32 v18, 5, v18
	v_cmp_gt_i32_e64 s1, 0, v17
	v_ashrrev_i32_e32 v17, 31, v21
	s_wait_alu 0xfffd
	v_xor_b32_e32 v20, vcc_lo, v20
	v_and_b32_e32 v19, v19, v23
	v_add_nc_u32_e32 v36, v16, v18
	s_wait_alu 0xf1ff
	v_xor_b32_e32 v17, s1, v17
	s_delay_alu instid0(VALU_DEP_3) | instskip(SKIP_2) | instid1(VALU_DEP_1)
	v_and_b32_e32 v18, v19, v20
	ds_load_b32 v34, v36 offset:32
	; wave barrier
	v_and_b32_e32 v17, v18, v17
	v_mbcnt_lo_u32_b32 v35, v17, 0
	v_cmp_ne_u32_e64 s1, 0, v17
	s_delay_alu instid0(VALU_DEP_2)
	v_cmp_eq_u32_e32 vcc_lo, 0, v35
	s_and_b32 s11, s1, vcc_lo
	s_wait_alu 0xfffe
	s_and_saveexec_b32 s1, s11
	s_cbranch_execz .LBB91_68
; %bb.67:
	s_wait_dscnt 0x0
	v_bcnt_u32_b32 v17, v17, v34
	ds_store_b32 v36, v17 offset:32
.LBB91_68:
	s_wait_alu 0xfffe
	s_or_b32 exec_lo, exec_lo, s1
	v_and_b32_e32 v17, s9, v26
	; wave barrier
	s_delay_alu instid0(VALU_DEP_1)
	v_and_b32_e32 v19, 1, v17
	v_lshlrev_b32_e32 v20, 30, v17
	v_lshlrev_b32_e32 v21, 29, v17
	;; [unrolled: 1-line block ×4, first 2 shown]
	v_add_co_u32 v19, s1, v19, -1
	s_wait_alu 0xf1ff
	v_cndmask_b32_e64 v23, 0, 1, s1
	v_not_b32_e32 v40, v20
	v_cmp_gt_i32_e64 s1, 0, v20
	v_not_b32_e32 v20, v21
	v_lshlrev_b32_e32 v38, 26, v17
	v_cmp_ne_u32_e32 vcc_lo, 0, v23
	v_ashrrev_i32_e32 v23, 31, v40
	v_lshlrev_b32_e32 v39, 25, v17
	v_ashrrev_i32_e32 v20, 31, v20
	v_and_b32_e32 v18, 0xff, v17
	s_wait_alu 0xfffd
	v_xor_b32_e32 v19, vcc_lo, v19
	v_cmp_gt_i32_e32 vcc_lo, 0, v21
	v_not_b32_e32 v21, v22
	s_wait_alu 0xf1ff
	v_xor_b32_e32 v23, s1, v23
	v_cmp_gt_i32_e64 s1, 0, v22
	v_and_b32_e32 v19, exec_lo, v19
	v_not_b32_e32 v22, v37
	v_ashrrev_i32_e32 v21, 31, v21
	s_wait_alu 0xfffd
	v_xor_b32_e32 v20, vcc_lo, v20
	v_cmp_gt_i32_e32 vcc_lo, 0, v37
	v_and_b32_e32 v19, v19, v23
	v_not_b32_e32 v23, v38
	v_ashrrev_i32_e32 v22, 31, v22
	s_wait_alu 0xf1ff
	v_xor_b32_e32 v21, s1, v21
	v_lshlrev_b32_e32 v17, 24, v17
	v_and_b32_e32 v19, v19, v20
	v_cmp_gt_i32_e64 s1, 0, v38
	v_not_b32_e32 v20, v39
	v_ashrrev_i32_e32 v23, 31, v23
	s_wait_alu 0xfffd
	v_xor_b32_e32 v22, vcc_lo, v22
	v_and_b32_e32 v19, v19, v21
	v_cmp_gt_i32_e32 vcc_lo, 0, v39
	v_not_b32_e32 v21, v17
	v_ashrrev_i32_e32 v20, 31, v20
	s_wait_alu 0xf1ff
	v_xor_b32_e32 v23, s1, v23
	v_and_b32_e32 v19, v19, v22
	v_lshlrev_b32_e32 v18, 5, v18
	v_cmp_gt_i32_e64 s1, 0, v17
	v_ashrrev_i32_e32 v17, 31, v21
	s_wait_alu 0xfffd
	v_xor_b32_e32 v20, vcc_lo, v20
	v_and_b32_e32 v19, v19, v23
	v_add_nc_u32_e32 v39, v16, v18
	s_wait_alu 0xf1ff
	v_xor_b32_e32 v17, s1, v17
	s_delay_alu instid0(VALU_DEP_3) | instskip(SKIP_2) | instid1(VALU_DEP_1)
	v_and_b32_e32 v18, v19, v20
	ds_load_b32 v37, v39 offset:32
	; wave barrier
	v_and_b32_e32 v17, v18, v17
	v_mbcnt_lo_u32_b32 v38, v17, 0
	v_cmp_ne_u32_e64 s1, 0, v17
	s_delay_alu instid0(VALU_DEP_2)
	v_cmp_eq_u32_e32 vcc_lo, 0, v38
	s_and_b32 s11, s1, vcc_lo
	s_wait_alu 0xfffe
	s_and_saveexec_b32 s1, s11
	s_cbranch_execz .LBB91_70
; %bb.69:
	s_wait_dscnt 0x0
	v_bcnt_u32_b32 v17, v17, v37
	ds_store_b32 v39, v17 offset:32
.LBB91_70:
	s_wait_alu 0xfffe
	s_or_b32 exec_lo, exec_lo, s1
	v_and_b32_e32 v17, s9, v27
	; wave barrier
	s_delay_alu instid0(VALU_DEP_1)
	v_and_b32_e32 v19, 1, v17
	v_lshlrev_b32_e32 v20, 30, v17
	v_lshlrev_b32_e32 v21, 29, v17
	;; [unrolled: 1-line block ×4, first 2 shown]
	v_add_co_u32 v19, s1, v19, -1
	s_wait_alu 0xf1ff
	v_cndmask_b32_e64 v23, 0, 1, s1
	v_not_b32_e32 v69, v20
	v_cmp_gt_i32_e64 s1, 0, v20
	v_not_b32_e32 v20, v21
	v_lshlrev_b32_e32 v45, 26, v17
	v_cmp_ne_u32_e32 vcc_lo, 0, v23
	v_ashrrev_i32_e32 v23, 31, v69
	v_lshlrev_b32_e32 v46, 25, v17
	v_ashrrev_i32_e32 v20, 31, v20
	v_and_b32_e32 v18, 0xff, v17
	s_wait_alu 0xfffd
	v_xor_b32_e32 v19, vcc_lo, v19
	v_cmp_gt_i32_e32 vcc_lo, 0, v21
	v_not_b32_e32 v21, v22
	s_wait_alu 0xf1ff
	v_xor_b32_e32 v23, s1, v23
	v_cmp_gt_i32_e64 s1, 0, v22
	v_and_b32_e32 v19, exec_lo, v19
	v_not_b32_e32 v22, v40
	v_ashrrev_i32_e32 v21, 31, v21
	s_wait_alu 0xfffd
	v_xor_b32_e32 v20, vcc_lo, v20
	v_cmp_gt_i32_e32 vcc_lo, 0, v40
	v_and_b32_e32 v19, v19, v23
	v_not_b32_e32 v23, v45
	v_ashrrev_i32_e32 v22, 31, v22
	s_wait_alu 0xf1ff
	v_xor_b32_e32 v21, s1, v21
	v_lshlrev_b32_e32 v17, 24, v17
	v_and_b32_e32 v19, v19, v20
	v_cmp_gt_i32_e64 s1, 0, v45
	v_not_b32_e32 v20, v46
	v_ashrrev_i32_e32 v23, 31, v23
	s_wait_alu 0xfffd
	v_xor_b32_e32 v22, vcc_lo, v22
	v_and_b32_e32 v19, v19, v21
	v_cmp_gt_i32_e32 vcc_lo, 0, v46
	v_not_b32_e32 v21, v17
	v_ashrrev_i32_e32 v20, 31, v20
	s_wait_alu 0xf1ff
	v_xor_b32_e32 v23, s1, v23
	v_and_b32_e32 v19, v19, v22
	v_lshlrev_b32_e32 v18, 5, v18
	v_cmp_gt_i32_e64 s1, 0, v17
	v_ashrrev_i32_e32 v17, 31, v21
	s_wait_alu 0xfffd
	v_xor_b32_e32 v20, vcc_lo, v20
	v_and_b32_e32 v19, v19, v23
	v_add_nc_u32_e32 v46, v16, v18
	s_wait_alu 0xf1ff
	v_xor_b32_e32 v17, s1, v17
	s_delay_alu instid0(VALU_DEP_3) | instskip(SKIP_2) | instid1(VALU_DEP_1)
	v_and_b32_e32 v18, v19, v20
	ds_load_b32 v40, v46 offset:32
	; wave barrier
	v_and_b32_e32 v17, v18, v17
	v_mbcnt_lo_u32_b32 v45, v17, 0
	v_cmp_ne_u32_e64 s1, 0, v17
	s_delay_alu instid0(VALU_DEP_2)
	v_cmp_eq_u32_e32 vcc_lo, 0, v45
	s_and_b32 s11, s1, vcc_lo
	s_wait_alu 0xfffe
	s_and_saveexec_b32 s1, s11
	s_cbranch_execz .LBB91_72
; %bb.71:
	s_wait_dscnt 0x0
	v_bcnt_u32_b32 v17, v17, v40
	ds_store_b32 v46, v17 offset:32
.LBB91_72:
	s_wait_alu 0xfffe
	s_or_b32 exec_lo, exec_lo, s1
	v_and_b32_e32 v17, s9, v28
	; wave barrier
	s_delay_alu instid0(VALU_DEP_1)
	v_and_b32_e32 v19, 1, v17
	v_lshlrev_b32_e32 v20, 30, v17
	v_lshlrev_b32_e32 v21, 29, v17
	;; [unrolled: 1-line block ×4, first 2 shown]
	v_add_co_u32 v19, s1, v19, -1
	s_wait_alu 0xf1ff
	v_cndmask_b32_e64 v23, 0, 1, s1
	v_not_b32_e32 v72, v20
	v_cmp_gt_i32_e64 s1, 0, v20
	v_not_b32_e32 v20, v21
	v_lshlrev_b32_e32 v70, 26, v17
	v_cmp_ne_u32_e32 vcc_lo, 0, v23
	v_ashrrev_i32_e32 v23, 31, v72
	v_lshlrev_b32_e32 v71, 25, v17
	v_ashrrev_i32_e32 v20, 31, v20
	v_and_b32_e32 v18, 0xff, v17
	s_wait_alu 0xfffd
	v_xor_b32_e32 v19, vcc_lo, v19
	v_cmp_gt_i32_e32 vcc_lo, 0, v21
	v_not_b32_e32 v21, v22
	s_wait_alu 0xf1ff
	v_xor_b32_e32 v23, s1, v23
	v_cmp_gt_i32_e64 s1, 0, v22
	v_and_b32_e32 v19, exec_lo, v19
	v_not_b32_e32 v22, v69
	v_ashrrev_i32_e32 v21, 31, v21
	s_wait_alu 0xfffd
	v_xor_b32_e32 v20, vcc_lo, v20
	v_cmp_gt_i32_e32 vcc_lo, 0, v69
	v_and_b32_e32 v19, v19, v23
	v_not_b32_e32 v23, v70
	v_ashrrev_i32_e32 v22, 31, v22
	s_wait_alu 0xf1ff
	v_xor_b32_e32 v21, s1, v21
	v_lshlrev_b32_e32 v17, 24, v17
	v_and_b32_e32 v19, v19, v20
	v_cmp_gt_i32_e64 s1, 0, v70
	v_not_b32_e32 v20, v71
	v_ashrrev_i32_e32 v23, 31, v23
	s_wait_alu 0xfffd
	v_xor_b32_e32 v22, vcc_lo, v22
	v_and_b32_e32 v19, v19, v21
	v_cmp_gt_i32_e32 vcc_lo, 0, v71
	v_not_b32_e32 v21, v17
	v_ashrrev_i32_e32 v20, 31, v20
	s_wait_alu 0xf1ff
	v_xor_b32_e32 v23, s1, v23
	v_and_b32_e32 v19, v19, v22
	v_lshlrev_b32_e32 v18, 5, v18
	v_cmp_gt_i32_e64 s1, 0, v17
	v_ashrrev_i32_e32 v17, 31, v21
	s_wait_alu 0xfffd
	v_xor_b32_e32 v20, vcc_lo, v20
	v_and_b32_e32 v19, v19, v23
	v_add_nc_u32_e32 v71, v16, v18
	s_wait_alu 0xf1ff
	v_xor_b32_e32 v17, s1, v17
	s_delay_alu instid0(VALU_DEP_3) | instskip(SKIP_2) | instid1(VALU_DEP_1)
	v_and_b32_e32 v18, v19, v20
	ds_load_b32 v69, v71 offset:32
	; wave barrier
	v_and_b32_e32 v17, v18, v17
	v_mbcnt_lo_u32_b32 v70, v17, 0
	v_cmp_ne_u32_e64 s1, 0, v17
	s_delay_alu instid0(VALU_DEP_2)
	v_cmp_eq_u32_e32 vcc_lo, 0, v70
	s_and_b32 s11, s1, vcc_lo
	s_wait_alu 0xfffe
	s_and_saveexec_b32 s1, s11
	s_cbranch_execz .LBB91_74
; %bb.73:
	s_wait_dscnt 0x0
	v_bcnt_u32_b32 v17, v17, v69
	ds_store_b32 v71, v17 offset:32
.LBB91_74:
	s_wait_alu 0xfffe
	s_or_b32 exec_lo, exec_lo, s1
	v_and_b32_e32 v17, s9, v29
	; wave barrier
	s_delay_alu instid0(VALU_DEP_1)
	v_and_b32_e32 v19, 1, v17
	v_lshlrev_b32_e32 v20, 30, v17
	v_lshlrev_b32_e32 v21, 29, v17
	;; [unrolled: 1-line block ×4, first 2 shown]
	v_add_co_u32 v19, s1, v19, -1
	s_wait_alu 0xf1ff
	v_cndmask_b32_e64 v23, 0, 1, s1
	v_not_b32_e32 v75, v20
	v_cmp_gt_i32_e64 s1, 0, v20
	v_not_b32_e32 v20, v21
	v_lshlrev_b32_e32 v73, 26, v17
	v_cmp_ne_u32_e32 vcc_lo, 0, v23
	v_ashrrev_i32_e32 v23, 31, v75
	v_lshlrev_b32_e32 v74, 25, v17
	v_ashrrev_i32_e32 v20, 31, v20
	v_and_b32_e32 v18, 0xff, v17
	s_wait_alu 0xfffd
	v_xor_b32_e32 v19, vcc_lo, v19
	v_cmp_gt_i32_e32 vcc_lo, 0, v21
	v_not_b32_e32 v21, v22
	s_wait_alu 0xf1ff
	v_xor_b32_e32 v23, s1, v23
	v_cmp_gt_i32_e64 s1, 0, v22
	v_and_b32_e32 v19, exec_lo, v19
	v_not_b32_e32 v22, v72
	v_ashrrev_i32_e32 v21, 31, v21
	s_wait_alu 0xfffd
	v_xor_b32_e32 v20, vcc_lo, v20
	v_cmp_gt_i32_e32 vcc_lo, 0, v72
	v_and_b32_e32 v19, v19, v23
	v_not_b32_e32 v23, v73
	v_ashrrev_i32_e32 v22, 31, v22
	s_wait_alu 0xf1ff
	v_xor_b32_e32 v21, s1, v21
	v_lshlrev_b32_e32 v17, 24, v17
	v_and_b32_e32 v19, v19, v20
	v_cmp_gt_i32_e64 s1, 0, v73
	v_not_b32_e32 v20, v74
	v_ashrrev_i32_e32 v23, 31, v23
	s_wait_alu 0xfffd
	v_xor_b32_e32 v22, vcc_lo, v22
	v_and_b32_e32 v19, v19, v21
	v_cmp_gt_i32_e32 vcc_lo, 0, v74
	v_not_b32_e32 v21, v17
	v_ashrrev_i32_e32 v20, 31, v20
	s_wait_alu 0xf1ff
	v_xor_b32_e32 v23, s1, v23
	v_and_b32_e32 v19, v19, v22
	v_lshlrev_b32_e32 v18, 5, v18
	v_cmp_gt_i32_e64 s1, 0, v17
	v_ashrrev_i32_e32 v17, 31, v21
	s_wait_alu 0xfffd
	v_xor_b32_e32 v20, vcc_lo, v20
	v_and_b32_e32 v19, v19, v23
	v_add_nc_u32_e32 v74, v16, v18
	s_wait_alu 0xf1ff
	v_xor_b32_e32 v17, s1, v17
	s_delay_alu instid0(VALU_DEP_3) | instskip(SKIP_2) | instid1(VALU_DEP_1)
	v_and_b32_e32 v18, v19, v20
	ds_load_b32 v72, v74 offset:32
	; wave barrier
	v_and_b32_e32 v17, v18, v17
	v_mbcnt_lo_u32_b32 v73, v17, 0
	v_cmp_ne_u32_e64 s1, 0, v17
	s_delay_alu instid0(VALU_DEP_2)
	v_cmp_eq_u32_e32 vcc_lo, 0, v73
	s_and_b32 s11, s1, vcc_lo
	s_wait_alu 0xfffe
	s_and_saveexec_b32 s1, s11
	s_cbranch_execz .LBB91_76
; %bb.75:
	s_wait_dscnt 0x0
	v_bcnt_u32_b32 v17, v17, v72
	ds_store_b32 v74, v17 offset:32
.LBB91_76:
	s_wait_alu 0xfffe
	s_or_b32 exec_lo, exec_lo, s1
	v_and_b32_e32 v17, s9, v30
	; wave barrier
	s_delay_alu instid0(VALU_DEP_1)
	v_and_b32_e32 v19, 1, v17
	v_lshlrev_b32_e32 v20, 30, v17
	v_lshlrev_b32_e32 v21, 29, v17
	;; [unrolled: 1-line block ×4, first 2 shown]
	v_add_co_u32 v19, s1, v19, -1
	s_wait_alu 0xf1ff
	v_cndmask_b32_e64 v23, 0, 1, s1
	v_not_b32_e32 v78, v20
	v_cmp_gt_i32_e64 s1, 0, v20
	v_not_b32_e32 v20, v21
	v_lshlrev_b32_e32 v76, 26, v17
	v_cmp_ne_u32_e32 vcc_lo, 0, v23
	v_ashrrev_i32_e32 v23, 31, v78
	v_lshlrev_b32_e32 v77, 25, v17
	v_ashrrev_i32_e32 v20, 31, v20
	v_and_b32_e32 v18, 0xff, v17
	s_wait_alu 0xfffd
	v_xor_b32_e32 v19, vcc_lo, v19
	v_cmp_gt_i32_e32 vcc_lo, 0, v21
	v_not_b32_e32 v21, v22
	s_wait_alu 0xf1ff
	v_xor_b32_e32 v23, s1, v23
	v_cmp_gt_i32_e64 s1, 0, v22
	v_and_b32_e32 v19, exec_lo, v19
	v_not_b32_e32 v22, v75
	v_ashrrev_i32_e32 v21, 31, v21
	s_wait_alu 0xfffd
	v_xor_b32_e32 v20, vcc_lo, v20
	v_cmp_gt_i32_e32 vcc_lo, 0, v75
	v_and_b32_e32 v19, v19, v23
	v_not_b32_e32 v23, v76
	v_ashrrev_i32_e32 v22, 31, v22
	s_wait_alu 0xf1ff
	v_xor_b32_e32 v21, s1, v21
	v_lshlrev_b32_e32 v17, 24, v17
	v_and_b32_e32 v19, v19, v20
	v_cmp_gt_i32_e64 s1, 0, v76
	v_not_b32_e32 v20, v77
	v_ashrrev_i32_e32 v23, 31, v23
	s_wait_alu 0xfffd
	v_xor_b32_e32 v22, vcc_lo, v22
	v_and_b32_e32 v19, v19, v21
	v_cmp_gt_i32_e32 vcc_lo, 0, v77
	v_not_b32_e32 v21, v17
	v_ashrrev_i32_e32 v20, 31, v20
	s_wait_alu 0xf1ff
	v_xor_b32_e32 v23, s1, v23
	v_and_b32_e32 v19, v19, v22
	v_lshlrev_b32_e32 v18, 5, v18
	v_cmp_gt_i32_e64 s1, 0, v17
	v_ashrrev_i32_e32 v17, 31, v21
	s_wait_alu 0xfffd
	v_xor_b32_e32 v20, vcc_lo, v20
	v_and_b32_e32 v19, v19, v23
	v_add_nc_u32_e32 v77, v16, v18
	s_wait_alu 0xf1ff
	v_xor_b32_e32 v17, s1, v17
	s_delay_alu instid0(VALU_DEP_3) | instskip(SKIP_2) | instid1(VALU_DEP_1)
	v_and_b32_e32 v18, v19, v20
	ds_load_b32 v75, v77 offset:32
	; wave barrier
	v_and_b32_e32 v17, v18, v17
	v_mbcnt_lo_u32_b32 v76, v17, 0
	v_cmp_ne_u32_e64 s1, 0, v17
	s_delay_alu instid0(VALU_DEP_2)
	v_cmp_eq_u32_e32 vcc_lo, 0, v76
	s_and_b32 s11, s1, vcc_lo
	s_wait_alu 0xfffe
	s_and_saveexec_b32 s1, s11
	s_cbranch_execz .LBB91_78
; %bb.77:
	s_wait_dscnt 0x0
	v_bcnt_u32_b32 v17, v17, v75
	ds_store_b32 v77, v17 offset:32
.LBB91_78:
	s_wait_alu 0xfffe
	s_or_b32 exec_lo, exec_lo, s1
	v_and_b32_e32 v17, s9, v31
	; wave barrier
	s_delay_alu instid0(VALU_DEP_1)
	v_and_b32_e32 v19, 1, v17
	v_lshlrev_b32_e32 v20, 30, v17
	v_lshlrev_b32_e32 v21, 29, v17
	;; [unrolled: 1-line block ×4, first 2 shown]
	v_add_co_u32 v19, s1, v19, -1
	s_wait_alu 0xf1ff
	v_cndmask_b32_e64 v23, 0, 1, s1
	v_not_b32_e32 v81, v20
	v_cmp_gt_i32_e64 s1, 0, v20
	v_not_b32_e32 v20, v21
	v_lshlrev_b32_e32 v79, 26, v17
	v_cmp_ne_u32_e32 vcc_lo, 0, v23
	v_ashrrev_i32_e32 v23, 31, v81
	v_lshlrev_b32_e32 v80, 25, v17
	v_ashrrev_i32_e32 v20, 31, v20
	v_and_b32_e32 v18, 0xff, v17
	s_wait_alu 0xfffd
	v_xor_b32_e32 v19, vcc_lo, v19
	v_cmp_gt_i32_e32 vcc_lo, 0, v21
	v_not_b32_e32 v21, v22
	s_wait_alu 0xf1ff
	v_xor_b32_e32 v23, s1, v23
	v_cmp_gt_i32_e64 s1, 0, v22
	v_and_b32_e32 v19, exec_lo, v19
	v_not_b32_e32 v22, v78
	v_ashrrev_i32_e32 v21, 31, v21
	s_wait_alu 0xfffd
	v_xor_b32_e32 v20, vcc_lo, v20
	v_cmp_gt_i32_e32 vcc_lo, 0, v78
	v_and_b32_e32 v19, v19, v23
	v_not_b32_e32 v23, v79
	v_ashrrev_i32_e32 v22, 31, v22
	s_wait_alu 0xf1ff
	v_xor_b32_e32 v21, s1, v21
	v_lshlrev_b32_e32 v17, 24, v17
	v_and_b32_e32 v19, v19, v20
	v_cmp_gt_i32_e64 s1, 0, v79
	v_not_b32_e32 v20, v80
	v_ashrrev_i32_e32 v23, 31, v23
	s_wait_alu 0xfffd
	v_xor_b32_e32 v22, vcc_lo, v22
	v_and_b32_e32 v19, v19, v21
	v_cmp_gt_i32_e32 vcc_lo, 0, v80
	v_not_b32_e32 v21, v17
	v_ashrrev_i32_e32 v20, 31, v20
	s_wait_alu 0xf1ff
	v_xor_b32_e32 v23, s1, v23
	v_and_b32_e32 v19, v19, v22
	v_lshlrev_b32_e32 v18, 5, v18
	v_cmp_gt_i32_e64 s1, 0, v17
	v_ashrrev_i32_e32 v17, 31, v21
	s_wait_alu 0xfffd
	v_xor_b32_e32 v20, vcc_lo, v20
	v_and_b32_e32 v19, v19, v23
	v_add_nc_u32_e32 v80, v16, v18
	s_wait_alu 0xf1ff
	v_xor_b32_e32 v16, s1, v17
	s_delay_alu instid0(VALU_DEP_3) | instskip(SKIP_2) | instid1(VALU_DEP_1)
	v_and_b32_e32 v17, v19, v20
	ds_load_b32 v78, v80 offset:32
	; wave barrier
	v_and_b32_e32 v16, v17, v16
	v_mbcnt_lo_u32_b32 v79, v16, 0
	v_cmp_ne_u32_e64 s1, 0, v16
	s_delay_alu instid0(VALU_DEP_2)
	v_cmp_eq_u32_e32 vcc_lo, 0, v79
	s_and_b32 s9, s1, vcc_lo
	s_wait_alu 0xfffe
	s_and_saveexec_b32 s1, s9
	s_cbranch_execz .LBB91_80
; %bb.79:
	s_wait_dscnt 0x0
	v_bcnt_u32_b32 v16, v16, v78
	ds_store_b32 v80, v16 offset:32
.LBB91_80:
	s_wait_alu 0xfffe
	s_or_b32 exec_lo, exec_lo, s1
	; wave barrier
	s_wait_loadcnt_dscnt 0x0
	s_barrier_signal -1
	s_barrier_wait -1
	global_inv scope:SCOPE_SE
	ds_load_b128 v[20:23], v66 offset:32
	ds_load_b128 v[16:19], v66 offset:48
	v_min_u32_e32 v68, 0xe0, v68
	s_mov_b32 s1, exec_lo
	s_delay_alu instid0(VALU_DEP_1) | instskip(SKIP_2) | instid1(VALU_DEP_1)
	v_or_b32_e32 v68, 31, v68
	s_wait_dscnt 0x1
	v_add_nc_u32_e32 v81, v21, v20
	v_add3_u32 v81, v81, v22, v23
	s_wait_dscnt 0x0
	s_delay_alu instid0(VALU_DEP_1) | instskip(NEXT) | instid1(VALU_DEP_1)
	v_add3_u32 v81, v81, v16, v17
	v_add3_u32 v19, v81, v18, v19
	v_and_b32_e32 v81, 15, v67
	s_delay_alu instid0(VALU_DEP_2) | instskip(NEXT) | instid1(VALU_DEP_2)
	v_mov_b32_dpp v82, v19 row_shr:1 row_mask:0xf bank_mask:0xf
	v_cmp_ne_u32_e32 vcc_lo, 0, v81
	s_wait_alu 0xfffd
	s_delay_alu instid0(VALU_DEP_2) | instskip(SKIP_1) | instid1(VALU_DEP_2)
	v_cndmask_b32_e32 v82, 0, v82, vcc_lo
	v_cmp_lt_u32_e32 vcc_lo, 1, v81
	v_add_nc_u32_e32 v19, v82, v19
	s_delay_alu instid0(VALU_DEP_1) | instskip(SKIP_1) | instid1(VALU_DEP_1)
	v_mov_b32_dpp v82, v19 row_shr:2 row_mask:0xf bank_mask:0xf
	s_wait_alu 0xfffd
	v_cndmask_b32_e32 v82, 0, v82, vcc_lo
	v_cmp_lt_u32_e32 vcc_lo, 3, v81
	s_delay_alu instid0(VALU_DEP_2) | instskip(NEXT) | instid1(VALU_DEP_1)
	v_add_nc_u32_e32 v19, v19, v82
	v_mov_b32_dpp v82, v19 row_shr:4 row_mask:0xf bank_mask:0xf
	s_wait_alu 0xfffd
	s_delay_alu instid0(VALU_DEP_1) | instskip(SKIP_1) | instid1(VALU_DEP_2)
	v_cndmask_b32_e32 v82, 0, v82, vcc_lo
	v_cmp_lt_u32_e32 vcc_lo, 7, v81
	v_add_nc_u32_e32 v19, v19, v82
	s_delay_alu instid0(VALU_DEP_1) | instskip(SKIP_1) | instid1(VALU_DEP_1)
	v_mov_b32_dpp v82, v19 row_shr:8 row_mask:0xf bank_mask:0xf
	s_wait_alu 0xfffd
	v_cndmask_b32_e32 v81, 0, v82, vcc_lo
	v_bfe_i32 v82, v67, 4, 1
	s_delay_alu instid0(VALU_DEP_2) | instskip(SKIP_3) | instid1(VALU_DEP_1)
	v_add_nc_u32_e32 v19, v19, v81
	ds_swizzle_b32 v81, v19 offset:swizzle(BROADCAST,32,15)
	s_wait_dscnt 0x0
	v_and_b32_e32 v81, v82, v81
	v_add_nc_u32_e32 v19, v19, v81
	v_cmpx_eq_u32_e64 v44, v68
; %bb.81:
	v_lshlrev_b32_e32 v68, 2, v62
	ds_store_b32 v68, v19
; %bb.82:
	s_wait_alu 0xfffe
	s_or_b32 exec_lo, exec_lo, s1
	s_delay_alu instid0(SALU_CYCLE_1)
	s_mov_b32 s1, exec_lo
	s_wait_loadcnt_dscnt 0x0
	s_barrier_signal -1
	s_barrier_wait -1
	global_inv scope:SCOPE_SE
	v_cmpx_gt_u32_e32 8, v44
	s_cbranch_execz .LBB91_84
; %bb.83:
	v_and_b32_e32 v82, 7, v67
	s_delay_alu instid0(VALU_DEP_1)
	v_cmp_ne_u32_e32 vcc_lo, 0, v82
	v_lshlrev_b32_e32 v68, 2, v44
	ds_load_b32 v81, v68
	s_wait_dscnt 0x0
	v_mov_b32_dpp v83, v81 row_shr:1 row_mask:0xf bank_mask:0xf
	s_wait_alu 0xfffd
	s_delay_alu instid0(VALU_DEP_1) | instskip(SKIP_1) | instid1(VALU_DEP_2)
	v_cndmask_b32_e32 v83, 0, v83, vcc_lo
	v_cmp_lt_u32_e32 vcc_lo, 1, v82
	v_add_nc_u32_e32 v81, v83, v81
	s_delay_alu instid0(VALU_DEP_1) | instskip(SKIP_1) | instid1(VALU_DEP_1)
	v_mov_b32_dpp v83, v81 row_shr:2 row_mask:0xf bank_mask:0xf
	s_wait_alu 0xfffd
	v_cndmask_b32_e32 v83, 0, v83, vcc_lo
	v_cmp_lt_u32_e32 vcc_lo, 3, v82
	s_delay_alu instid0(VALU_DEP_2) | instskip(NEXT) | instid1(VALU_DEP_1)
	v_add_nc_u32_e32 v81, v81, v83
	v_mov_b32_dpp v83, v81 row_shr:4 row_mask:0xf bank_mask:0xf
	s_wait_alu 0xfffd
	s_delay_alu instid0(VALU_DEP_1) | instskip(NEXT) | instid1(VALU_DEP_1)
	v_cndmask_b32_e32 v82, 0, v83, vcc_lo
	v_add_nc_u32_e32 v81, v81, v82
	ds_store_b32 v68, v81
.LBB91_84:
	s_wait_alu 0xfffe
	s_or_b32 exec_lo, exec_lo, s1
	v_mov_b32_e32 v68, 0
	s_mov_b32 s1, exec_lo
	s_wait_loadcnt_dscnt 0x0
	s_barrier_signal -1
	s_barrier_wait -1
	global_inv scope:SCOPE_SE
	v_cmpx_lt_u32_e32 31, v44
; %bb.85:
	v_lshl_add_u32 v62, v62, 2, -4
	ds_load_b32 v68, v62
; %bb.86:
	s_wait_alu 0xfffe
	s_or_b32 exec_lo, exec_lo, s1
	v_sub_co_u32 v62, vcc_lo, v67, 1
	s_wait_dscnt 0x0
	v_add_nc_u32_e32 v19, v68, v19
	s_delay_alu instid0(VALU_DEP_2) | instskip(SKIP_1) | instid1(VALU_DEP_1)
	v_cmp_gt_i32_e64 s1, 0, v62
	s_wait_alu 0xf1ff
	v_cndmask_b32_e64 v62, v62, v67, s1
	s_delay_alu instid0(VALU_DEP_1)
	v_lshlrev_b32_e32 v62, 2, v62
	ds_bpermute_b32 v19, v62, v19
	s_wait_dscnt 0x0
	s_wait_alu 0xfffd
	v_cndmask_b32_e32 v19, v19, v68, vcc_lo
	v_cmp_ne_u32_e32 vcc_lo, 0, v44
	s_wait_alu 0xfffd
	s_delay_alu instid0(VALU_DEP_2) | instskip(NEXT) | instid1(VALU_DEP_1)
	v_cndmask_b32_e32 v19, 0, v19, vcc_lo
	v_add_nc_u32_e32 v20, v19, v20
	s_delay_alu instid0(VALU_DEP_1) | instskip(NEXT) | instid1(VALU_DEP_1)
	v_add_nc_u32_e32 v21, v20, v21
	v_add_nc_u32_e32 v22, v21, v22
	s_delay_alu instid0(VALU_DEP_1) | instskip(NEXT) | instid1(VALU_DEP_1)
	v_add_nc_u32_e32 v81, v22, v23
	;; [unrolled: 3-line block ×3, first 2 shown]
	v_add_nc_u32_e32 v84, v83, v18
	ds_store_b128 v66, v[19:22] offset:32
	ds_store_b128 v66, v[81:84] offset:48
	s_wait_loadcnt_dscnt 0x0
	s_barrier_signal -1
	s_barrier_wait -1
	global_inv scope:SCOPE_SE
	ds_load_b32 v16, v33 offset:32
	ds_load_b32 v17, v36 offset:32
	;; [unrolled: 1-line block ×8, first 2 shown]
	v_mad_u32_u24 v36, v44, 56, v57
	s_wait_loadcnt_dscnt 0x0
	s_barrier_signal -1
	s_barrier_wait -1
	global_inv scope:SCOPE_SE
	v_add_nc_u32_e32 v16, v16, v32
	v_add3_u32 v17, v35, v34, v17
	v_add3_u32 v18, v38, v37, v18
	;; [unrolled: 1-line block ×7, first 2 shown]
	ds_store_b8 v16, v24
	ds_store_b8 v17, v25
	;; [unrolled: 1-line block ×8, first 2 shown]
	v_lshlrev_b32_e32 v16, 3, v16
	v_lshlrev_b32_e32 v17, 3, v17
	;; [unrolled: 1-line block ×8, first 2 shown]
	s_wait_loadcnt_dscnt 0x0
	s_barrier_signal -1
	s_barrier_wait -1
	global_inv scope:SCOPE_SE
	ds_load_b64 v[33:34], v57
	s_wait_loadcnt_dscnt 0x0
	s_barrier_signal -1
	s_barrier_wait -1
	global_inv scope:SCOPE_SE
	ds_store_b64 v16, v[0:1]
	ds_store_b64 v17, v[2:3]
	;; [unrolled: 1-line block ×8, first 2 shown]
	s_wait_loadcnt_dscnt 0x0
	s_barrier_signal -1
	s_barrier_wait -1
	global_inv scope:SCOPE_SE
	ds_load_b128 v[29:32], v36
	ds_load_b128 v[25:28], v36 offset:16
	ds_load_b128 v[21:24], v36 offset:32
	;; [unrolled: 1-line block ×3, first 2 shown]
	v_not_b32_e32 v33, v33
	v_not_b32_e32 v34, v34
.LBB91_87:
	s_wait_loadcnt_dscnt 0x0
	s_barrier_signal -1
	s_barrier_wait -1
	global_inv scope:SCOPE_SE
	ds_store_2addr_b32 v56, v33, v34 offset1:1
	s_wait_loadcnt_dscnt 0x0
	s_barrier_signal -1
	s_barrier_wait -1
	global_inv scope:SCOPE_SE
	ds_load_u8 v8, v49 offset:256
	ds_load_u8 v7, v50 offset:512
	;; [unrolled: 1-line block ×7, first 2 shown]
	v_add_co_u32 v0, s1, s14, v47
	s_wait_alu 0xf1ff
	v_add_co_ci_u32_e64 v1, null, s15, 0, s1
	s_and_saveexec_b32 s1, s2
	s_cbranch_execnz .LBB91_106
; %bb.88:
	s_wait_alu 0xfffe
	s_or_b32 exec_lo, exec_lo, s1
	s_and_saveexec_b32 s1, s3
	s_cbranch_execnz .LBB91_107
.LBB91_89:
	s_wait_alu 0xfffe
	s_or_b32 exec_lo, exec_lo, s1
	s_and_saveexec_b32 s1, s4
	s_cbranch_execnz .LBB91_108
.LBB91_90:
	s_wait_alu 0xfffe
	s_or_b32 exec_lo, exec_lo, s1
	s_and_saveexec_b32 s1, s5
	s_cbranch_execnz .LBB91_109
.LBB91_91:
	s_wait_alu 0xfffe
	s_or_b32 exec_lo, exec_lo, s1
	s_and_saveexec_b32 s1, s6
	s_cbranch_execnz .LBB91_110
.LBB91_92:
	s_wait_alu 0xfffe
	s_or_b32 exec_lo, exec_lo, s1
	s_and_saveexec_b32 s1, s7
	s_cbranch_execnz .LBB91_111
.LBB91_93:
	s_wait_alu 0xfffe
	s_or_b32 exec_lo, exec_lo, s1
	s_and_saveexec_b32 s1, s8
	s_cbranch_execnz .LBB91_112
.LBB91_94:
	s_wait_alu 0xfffe
	s_or_b32 exec_lo, exec_lo, s1
	s_and_saveexec_b32 s1, s0
	s_cbranch_execz .LBB91_96
.LBB91_95:
	s_mul_i32 s9, s10, 0x700
	s_wait_alu 0xfffe
	v_add_co_u32 v0, vcc_lo, v0, s9
	s_wait_alu 0xfffd
	v_add_co_ci_u32_e64 v1, null, 0, v1, vcc_lo
	s_wait_dscnt 0x0
	global_store_b8 v[0:1], v2, off
.LBB91_96:
	s_wait_alu 0xfffe
	s_or_b32 exec_lo, exec_lo, s1
	s_wait_storecnt 0x0
	s_wait_loadcnt_dscnt 0x0
	s_barrier_signal -1
	s_barrier_wait -1
	global_inv scope:SCOPE_SE
	ds_store_2addr_b64 v65, v[29:30], v[31:32] offset1:1
	ds_store_2addr_b64 v65, v[25:26], v[27:28] offset0:2 offset1:3
	ds_store_2addr_b64 v65, v[21:22], v[23:24] offset0:4 offset1:5
	ds_store_2addr_b64 v65, v[17:18], v[19:20] offset0:6 offset1:7
	s_wait_loadcnt_dscnt 0x0
	s_barrier_signal -1
	s_barrier_wait -1
	global_inv scope:SCOPE_SE
	ds_load_b64 v[14:15], v59 offset:2048
	ds_load_b64 v[12:13], v60 offset:4096
	;; [unrolled: 1-line block ×7, first 2 shown]
	v_mov_b32_e32 v42, 0
	s_delay_alu instid0(VALU_DEP_1) | instskip(NEXT) | instid1(VALU_DEP_1)
	v_lshlrev_b64_e32 v[2:3], 3, v[41:42]
	v_add_co_u32 v2, vcc_lo, s16, v2
	s_wait_alu 0xfffd
	s_delay_alu instid0(VALU_DEP_2)
	v_add_co_ci_u32_e64 v3, null, s17, v3, vcc_lo
	s_and_saveexec_b32 s1, s2
	s_cbranch_execnz .LBB91_113
; %bb.97:
	s_wait_alu 0xfffe
	s_or_b32 exec_lo, exec_lo, s1
	s_and_saveexec_b32 s1, s3
	s_cbranch_execnz .LBB91_114
.LBB91_98:
	s_wait_alu 0xfffe
	s_or_b32 exec_lo, exec_lo, s1
	s_and_saveexec_b32 s1, s4
	s_cbranch_execnz .LBB91_115
.LBB91_99:
	s_wait_alu 0xfffe
	s_or_b32 exec_lo, exec_lo, s1
	s_and_saveexec_b32 s1, s5
	s_cbranch_execnz .LBB91_116
.LBB91_100:
	s_wait_alu 0xfffe
	s_or_b32 exec_lo, exec_lo, s1
	s_and_saveexec_b32 s1, s6
	s_cbranch_execnz .LBB91_117
.LBB91_101:
	s_wait_alu 0xfffe
	s_or_b32 exec_lo, exec_lo, s1
	s_and_saveexec_b32 s1, s7
	s_cbranch_execnz .LBB91_118
.LBB91_102:
	s_wait_alu 0xfffe
	s_or_b32 exec_lo, exec_lo, s1
	s_and_saveexec_b32 s1, s8
	s_cbranch_execnz .LBB91_119
.LBB91_103:
	s_wait_alu 0xfffe
	s_or_b32 exec_lo, exec_lo, s1
	s_and_saveexec_b32 s1, s0
	s_cbranch_execz .LBB91_105
.LBB91_104:
	s_mul_i32 s0, s12, 0x700
	s_mov_b32 s1, 0
	s_wait_alu 0xfffe
	s_lshl_b64 s[0:1], s[0:1], 3
	s_wait_alu 0xfffe
	v_add_co_u32 v2, vcc_lo, v2, s0
	s_wait_alu 0xfffd
	v_add_co_ci_u32_e64 v3, null, s1, v3, vcc_lo
	s_wait_dscnt 0x0
	global_store_b64 v[2:3], v[0:1], off
.LBB91_105:
	s_nop 0
	s_sendmsg sendmsg(MSG_DEALLOC_VGPRS)
	s_endpgm
.LBB91_106:
	ds_load_u8 v9, v48
	s_wait_dscnt 0x0
	global_store_b8 v[0:1], v9, off
	s_wait_alu 0xfffe
	s_or_b32 exec_lo, exec_lo, s1
	s_and_saveexec_b32 s1, s3
	s_cbranch_execz .LBB91_89
.LBB91_107:
	s_lshl_b32 s9, s10, 8
	s_wait_alu 0xfffe
	v_add_co_u32 v9, vcc_lo, v0, s9
	s_wait_alu 0xfffd
	v_add_co_ci_u32_e64 v10, null, 0, v1, vcc_lo
	s_wait_dscnt 0x6
	global_store_b8 v[9:10], v8, off
	s_or_b32 exec_lo, exec_lo, s1
	s_and_saveexec_b32 s1, s4
	s_cbranch_execz .LBB91_90
.LBB91_108:
	s_lshl_b32 s9, s10, 9
	s_wait_dscnt 0x6
	s_wait_alu 0xfffe
	v_add_co_u32 v8, vcc_lo, v0, s9
	s_wait_alu 0xfffd
	v_add_co_ci_u32_e64 v9, null, 0, v1, vcc_lo
	s_wait_dscnt 0x5
	global_store_b8 v[8:9], v7, off
	s_or_b32 exec_lo, exec_lo, s1
	s_and_saveexec_b32 s1, s5
	s_cbranch_execz .LBB91_91
.LBB91_109:
	s_mul_i32 s9, s10, 0x300
	s_wait_dscnt 0x5
	s_wait_alu 0xfffe
	v_add_co_u32 v7, vcc_lo, v0, s9
	s_wait_alu 0xfffd
	v_add_co_ci_u32_e64 v8, null, 0, v1, vcc_lo
	s_wait_dscnt 0x4
	global_store_b8 v[7:8], v6, off
	s_or_b32 exec_lo, exec_lo, s1
	s_and_saveexec_b32 s1, s6
	s_cbranch_execz .LBB91_92
.LBB91_110:
	s_lshl_b32 s9, s10, 10
	s_wait_dscnt 0x4
	s_wait_alu 0xfffe
	v_add_co_u32 v6, vcc_lo, v0, s9
	s_wait_alu 0xfffd
	v_add_co_ci_u32_e64 v7, null, 0, v1, vcc_lo
	s_wait_dscnt 0x3
	global_store_b8 v[6:7], v5, off
	s_or_b32 exec_lo, exec_lo, s1
	s_and_saveexec_b32 s1, s7
	s_cbranch_execz .LBB91_93
.LBB91_111:
	s_mul_i32 s9, s10, 0x500
	s_wait_dscnt 0x3
	s_wait_alu 0xfffe
	v_add_co_u32 v5, vcc_lo, v0, s9
	s_wait_alu 0xfffd
	v_add_co_ci_u32_e64 v6, null, 0, v1, vcc_lo
	s_wait_dscnt 0x2
	global_store_b8 v[5:6], v4, off
	s_or_b32 exec_lo, exec_lo, s1
	s_and_saveexec_b32 s1, s8
	s_cbranch_execz .LBB91_94
.LBB91_112:
	s_mul_i32 s9, s10, 0x600
	s_wait_dscnt 0x2
	s_wait_alu 0xfffe
	v_add_co_u32 v4, vcc_lo, v0, s9
	s_wait_alu 0xfffd
	v_add_co_ci_u32_e64 v5, null, 0, v1, vcc_lo
	s_wait_dscnt 0x1
	global_store_b8 v[4:5], v3, off
	s_or_b32 exec_lo, exec_lo, s1
	s_and_saveexec_b32 s1, s0
	s_cbranch_execnz .LBB91_95
	s_branch .LBB91_96
.LBB91_113:
	ds_load_b64 v[16:17], v58
	s_wait_dscnt 0x0
	global_store_b64 v[2:3], v[16:17], off
	s_wait_alu 0xfffe
	s_or_b32 exec_lo, exec_lo, s1
	s_and_saveexec_b32 s1, s3
	s_cbranch_execz .LBB91_98
.LBB91_114:
	s_lshl_b32 s2, s12, 8
	s_mov_b32 s3, 0
	s_delay_alu instid0(SALU_CYCLE_1) | instskip(NEXT) | instid1(SALU_CYCLE_1)
	s_lshl_b64 s[2:3], s[2:3], 3
	v_add_co_u32 v16, vcc_lo, v2, s2
	s_wait_alu 0xfffd
	v_add_co_ci_u32_e64 v17, null, s3, v3, vcc_lo
	s_wait_dscnt 0x6
	global_store_b64 v[16:17], v[14:15], off
	s_wait_alu 0xfffe
	s_or_b32 exec_lo, exec_lo, s1
	s_and_saveexec_b32 s1, s4
	s_cbranch_execz .LBB91_99
.LBB91_115:
	s_lshl_b32 s2, s12, 9
	s_mov_b32 s3, 0
	s_wait_alu 0xfffe
	s_lshl_b64 s[2:3], s[2:3], 3
	s_wait_dscnt 0x6
	s_wait_alu 0xfffe
	v_add_co_u32 v14, vcc_lo, v2, s2
	s_wait_alu 0xfffd
	v_add_co_ci_u32_e64 v15, null, s3, v3, vcc_lo
	s_wait_dscnt 0x5
	global_store_b64 v[14:15], v[12:13], off
	s_or_b32 exec_lo, exec_lo, s1
	s_and_saveexec_b32 s1, s5
	s_cbranch_execz .LBB91_100
.LBB91_116:
	s_mul_i32 s2, s12, 0x300
	s_mov_b32 s3, 0
	s_wait_alu 0xfffe
	s_lshl_b64 s[2:3], s[2:3], 3
	s_wait_dscnt 0x5
	s_wait_alu 0xfffe
	v_add_co_u32 v12, vcc_lo, v2, s2
	s_wait_alu 0xfffd
	v_add_co_ci_u32_e64 v13, null, s3, v3, vcc_lo
	s_wait_dscnt 0x4
	global_store_b64 v[12:13], v[10:11], off
	s_or_b32 exec_lo, exec_lo, s1
	s_and_saveexec_b32 s1, s6
	s_cbranch_execz .LBB91_101
.LBB91_117:
	s_lshl_b32 s2, s12, 10
	s_mov_b32 s3, 0
	s_wait_alu 0xfffe
	s_lshl_b64 s[2:3], s[2:3], 3
	s_wait_dscnt 0x4
	s_wait_alu 0xfffe
	v_add_co_u32 v10, vcc_lo, v2, s2
	s_wait_alu 0xfffd
	v_add_co_ci_u32_e64 v11, null, s3, v3, vcc_lo
	s_wait_dscnt 0x3
	global_store_b64 v[10:11], v[8:9], off
	s_or_b32 exec_lo, exec_lo, s1
	s_and_saveexec_b32 s1, s7
	s_cbranch_execz .LBB91_102
.LBB91_118:
	s_mul_i32 s2, s12, 0x500
	s_mov_b32 s3, 0
	s_wait_alu 0xfffe
	s_lshl_b64 s[2:3], s[2:3], 3
	s_wait_dscnt 0x3
	s_wait_alu 0xfffe
	v_add_co_u32 v8, vcc_lo, v2, s2
	s_wait_alu 0xfffd
	v_add_co_ci_u32_e64 v9, null, s3, v3, vcc_lo
	s_wait_dscnt 0x2
	global_store_b64 v[8:9], v[6:7], off
	s_or_b32 exec_lo, exec_lo, s1
	s_and_saveexec_b32 s1, s8
	s_cbranch_execz .LBB91_103
.LBB91_119:
	s_mul_i32 s2, s12, 0x600
	s_mov_b32 s3, 0
	s_wait_alu 0xfffe
	s_lshl_b64 s[2:3], s[2:3], 3
	s_wait_dscnt 0x2
	s_wait_alu 0xfffe
	v_add_co_u32 v6, vcc_lo, v2, s2
	s_wait_alu 0xfffd
	v_add_co_ci_u32_e64 v7, null, s3, v3, vcc_lo
	s_wait_dscnt 0x1
	global_store_b64 v[6:7], v[4:5], off
	s_or_b32 exec_lo, exec_lo, s1
	s_and_saveexec_b32 s1, s0
	s_cbranch_execnz .LBB91_104
	s_branch .LBB91_105
	.section	.rodata,"a",@progbits
	.p2align	6, 0x0
	.amdhsa_kernel _ZN2at6native18radixSortKVInPlaceILin1ELin1ELi256ELi8EhljEEvNS_4cuda6detail10TensorInfoIT3_T5_EES6_S6_S6_NS4_IT4_S6_EES6_b
		.amdhsa_group_segment_fixed_size 16896
		.amdhsa_private_segment_fixed_size 0
		.amdhsa_kernarg_size 712
		.amdhsa_user_sgpr_count 2
		.amdhsa_user_sgpr_dispatch_ptr 0
		.amdhsa_user_sgpr_queue_ptr 0
		.amdhsa_user_sgpr_kernarg_segment_ptr 1
		.amdhsa_user_sgpr_dispatch_id 0
		.amdhsa_user_sgpr_private_segment_size 0
		.amdhsa_wavefront_size32 1
		.amdhsa_uses_dynamic_stack 0
		.amdhsa_enable_private_segment 0
		.amdhsa_system_sgpr_workgroup_id_x 1
		.amdhsa_system_sgpr_workgroup_id_y 1
		.amdhsa_system_sgpr_workgroup_id_z 1
		.amdhsa_system_sgpr_workgroup_info 0
		.amdhsa_system_vgpr_workitem_id 2
		.amdhsa_next_free_vgpr 105
		.amdhsa_next_free_sgpr 24
		.amdhsa_reserve_vcc 1
		.amdhsa_float_round_mode_32 0
		.amdhsa_float_round_mode_16_64 0
		.amdhsa_float_denorm_mode_32 3
		.amdhsa_float_denorm_mode_16_64 3
		.amdhsa_fp16_overflow 0
		.amdhsa_workgroup_processor_mode 1
		.amdhsa_memory_ordered 1
		.amdhsa_forward_progress 1
		.amdhsa_inst_pref_size 101
		.amdhsa_round_robin_scheduling 0
		.amdhsa_exception_fp_ieee_invalid_op 0
		.amdhsa_exception_fp_denorm_src 0
		.amdhsa_exception_fp_ieee_div_zero 0
		.amdhsa_exception_fp_ieee_overflow 0
		.amdhsa_exception_fp_ieee_underflow 0
		.amdhsa_exception_fp_ieee_inexact 0
		.amdhsa_exception_int_div_zero 0
	.end_amdhsa_kernel
	.section	.text._ZN2at6native18radixSortKVInPlaceILin1ELin1ELi256ELi8EhljEEvNS_4cuda6detail10TensorInfoIT3_T5_EES6_S6_S6_NS4_IT4_S6_EES6_b,"axG",@progbits,_ZN2at6native18radixSortKVInPlaceILin1ELin1ELi256ELi8EhljEEvNS_4cuda6detail10TensorInfoIT3_T5_EES6_S6_S6_NS4_IT4_S6_EES6_b,comdat
.Lfunc_end91:
	.size	_ZN2at6native18radixSortKVInPlaceILin1ELin1ELi256ELi8EhljEEvNS_4cuda6detail10TensorInfoIT3_T5_EES6_S6_S6_NS4_IT4_S6_EES6_b, .Lfunc_end91-_ZN2at6native18radixSortKVInPlaceILin1ELin1ELi256ELi8EhljEEvNS_4cuda6detail10TensorInfoIT3_T5_EES6_S6_S6_NS4_IT4_S6_EES6_b
                                        ; -- End function
	.set _ZN2at6native18radixSortKVInPlaceILin1ELin1ELi256ELi8EhljEEvNS_4cuda6detail10TensorInfoIT3_T5_EES6_S6_S6_NS4_IT4_S6_EES6_b.num_vgpr, 105
	.set _ZN2at6native18radixSortKVInPlaceILin1ELin1ELi256ELi8EhljEEvNS_4cuda6detail10TensorInfoIT3_T5_EES6_S6_S6_NS4_IT4_S6_EES6_b.num_agpr, 0
	.set _ZN2at6native18radixSortKVInPlaceILin1ELin1ELi256ELi8EhljEEvNS_4cuda6detail10TensorInfoIT3_T5_EES6_S6_S6_NS4_IT4_S6_EES6_b.numbered_sgpr, 24
	.set _ZN2at6native18radixSortKVInPlaceILin1ELin1ELi256ELi8EhljEEvNS_4cuda6detail10TensorInfoIT3_T5_EES6_S6_S6_NS4_IT4_S6_EES6_b.num_named_barrier, 0
	.set _ZN2at6native18radixSortKVInPlaceILin1ELin1ELi256ELi8EhljEEvNS_4cuda6detail10TensorInfoIT3_T5_EES6_S6_S6_NS4_IT4_S6_EES6_b.private_seg_size, 0
	.set _ZN2at6native18radixSortKVInPlaceILin1ELin1ELi256ELi8EhljEEvNS_4cuda6detail10TensorInfoIT3_T5_EES6_S6_S6_NS4_IT4_S6_EES6_b.uses_vcc, 1
	.set _ZN2at6native18radixSortKVInPlaceILin1ELin1ELi256ELi8EhljEEvNS_4cuda6detail10TensorInfoIT3_T5_EES6_S6_S6_NS4_IT4_S6_EES6_b.uses_flat_scratch, 0
	.set _ZN2at6native18radixSortKVInPlaceILin1ELin1ELi256ELi8EhljEEvNS_4cuda6detail10TensorInfoIT3_T5_EES6_S6_S6_NS4_IT4_S6_EES6_b.has_dyn_sized_stack, 0
	.set _ZN2at6native18radixSortKVInPlaceILin1ELin1ELi256ELi8EhljEEvNS_4cuda6detail10TensorInfoIT3_T5_EES6_S6_S6_NS4_IT4_S6_EES6_b.has_recursion, 0
	.set _ZN2at6native18radixSortKVInPlaceILin1ELin1ELi256ELi8EhljEEvNS_4cuda6detail10TensorInfoIT3_T5_EES6_S6_S6_NS4_IT4_S6_EES6_b.has_indirect_call, 0
	.section	.AMDGPU.csdata,"",@progbits
; Kernel info:
; codeLenInByte = 12884
; TotalNumSgprs: 26
; NumVgprs: 105
; ScratchSize: 0
; MemoryBound: 0
; FloatMode: 240
; IeeeMode: 1
; LDSByteSize: 16896 bytes/workgroup (compile time only)
; SGPRBlocks: 0
; VGPRBlocks: 13
; NumSGPRsForWavesPerEU: 26
; NumVGPRsForWavesPerEU: 105
; Occupancy: 12
; WaveLimiterHint : 1
; COMPUTE_PGM_RSRC2:SCRATCH_EN: 0
; COMPUTE_PGM_RSRC2:USER_SGPR: 2
; COMPUTE_PGM_RSRC2:TRAP_HANDLER: 0
; COMPUTE_PGM_RSRC2:TGID_X_EN: 1
; COMPUTE_PGM_RSRC2:TGID_Y_EN: 1
; COMPUTE_PGM_RSRC2:TGID_Z_EN: 1
; COMPUTE_PGM_RSRC2:TIDIG_COMP_CNT: 2
	.section	.text._ZN2at6native18radixSortKVInPlaceILin1ELin1ELi128ELi8EhljEEvNS_4cuda6detail10TensorInfoIT3_T5_EES6_S6_S6_NS4_IT4_S6_EES6_b,"axG",@progbits,_ZN2at6native18radixSortKVInPlaceILin1ELin1ELi128ELi8EhljEEvNS_4cuda6detail10TensorInfoIT3_T5_EES6_S6_S6_NS4_IT4_S6_EES6_b,comdat
	.protected	_ZN2at6native18radixSortKVInPlaceILin1ELin1ELi128ELi8EhljEEvNS_4cuda6detail10TensorInfoIT3_T5_EES6_S6_S6_NS4_IT4_S6_EES6_b ; -- Begin function _ZN2at6native18radixSortKVInPlaceILin1ELin1ELi128ELi8EhljEEvNS_4cuda6detail10TensorInfoIT3_T5_EES6_S6_S6_NS4_IT4_S6_EES6_b
	.globl	_ZN2at6native18radixSortKVInPlaceILin1ELin1ELi128ELi8EhljEEvNS_4cuda6detail10TensorInfoIT3_T5_EES6_S6_S6_NS4_IT4_S6_EES6_b
	.p2align	8
	.type	_ZN2at6native18radixSortKVInPlaceILin1ELin1ELi128ELi8EhljEEvNS_4cuda6detail10TensorInfoIT3_T5_EES6_S6_S6_NS4_IT4_S6_EES6_b,@function
_ZN2at6native18radixSortKVInPlaceILin1ELin1ELi128ELi8EhljEEvNS_4cuda6detail10TensorInfoIT3_T5_EES6_S6_S6_NS4_IT4_S6_EES6_b: ; @_ZN2at6native18radixSortKVInPlaceILin1ELin1ELi128ELi8EhljEEvNS_4cuda6detail10TensorInfoIT3_T5_EES6_S6_S6_NS4_IT4_S6_EES6_b
; %bb.0:
	s_clause 0x1
	s_load_b64 s[2:3], s[0:1], 0x1c8
	s_load_b96 s[8:10], s[0:1], 0xd8
	s_lshr_b32 s4, ttmp7, 16
	s_wait_kmcnt 0x0
	s_mul_i32 s3, s3, s4
	s_and_b32 s4, ttmp7, 0xffff
	s_delay_alu instid0(SALU_CYCLE_1) | instskip(NEXT) | instid1(SALU_CYCLE_1)
	s_add_co_i32 s3, s3, s4
	s_mul_i32 s2, s3, s2
	s_delay_alu instid0(SALU_CYCLE_1) | instskip(NEXT) | instid1(SALU_CYCLE_1)
	s_add_co_i32 s22, s2, ttmp9
	s_cmp_ge_u32 s22, s8
	s_cbranch_scc1 .LBB92_105
; %bb.1:
	s_load_b32 s4, s[0:1], 0xd0
	s_mov_b32 s3, 0
	s_mov_b32 s2, s22
	s_wait_kmcnt 0x0
	s_cmp_lt_i32 s4, 2
	s_cbranch_scc1 .LBB92_4
; %bb.2:
	s_add_co_i32 s2, s4, -1
	s_delay_alu instid0(SALU_CYCLE_1)
	s_lshl_b64 s[6:7], s[2:3], 2
	s_mov_b32 s2, s22
	s_add_nc_u64 s[12:13], s[0:1], s[6:7]
	s_add_co_i32 s6, s4, 1
	s_add_nc_u64 s[4:5], s[12:13], 8
.LBB92_3:                               ; =>This Inner Loop Header: Depth=1
	s_clause 0x1
	s_load_b32 s7, s[4:5], 0x0
	s_load_b32 s8, s[4:5], 0x64
	s_mov_b32 s13, s2
	s_add_nc_u64 s[4:5], s[4:5], -4
	s_wait_kmcnt 0x0
	s_cvt_f32_u32 s11, s7
	s_sub_co_i32 s12, 0, s7
	s_wait_alu 0xfffe
	s_delay_alu instid0(SALU_CYCLE_1) | instskip(NEXT) | instid1(TRANS32_DEP_1)
	v_rcp_iflag_f32_e32 v1, s11
	v_readfirstlane_b32 s11, v1
	s_mul_f32 s11, s11, 0x4f7ffffe
	s_wait_alu 0xfffe
	s_delay_alu instid0(SALU_CYCLE_2) | instskip(SKIP_1) | instid1(SALU_CYCLE_2)
	s_cvt_u32_f32 s11, s11
	s_wait_alu 0xfffe
	s_mul_i32 s12, s12, s11
	s_delay_alu instid0(SALU_CYCLE_1) | instskip(NEXT) | instid1(SALU_CYCLE_1)
	s_mul_hi_u32 s12, s11, s12
	s_add_co_i32 s11, s11, s12
	s_wait_alu 0xfffe
	s_mul_hi_u32 s2, s2, s11
	s_delay_alu instid0(SALU_CYCLE_1)
	s_mul_i32 s11, s2, s7
	s_add_co_i32 s12, s2, 1
	s_wait_alu 0xfffe
	s_sub_co_i32 s11, s13, s11
	s_wait_alu 0xfffe
	s_sub_co_i32 s14, s11, s7
	s_cmp_ge_u32 s11, s7
	s_cselect_b32 s2, s12, s2
	s_cselect_b32 s11, s14, s11
	s_add_co_i32 s12, s2, 1
	s_wait_alu 0xfffe
	s_cmp_ge_u32 s11, s7
	s_cselect_b32 s2, s12, s2
	s_add_co_i32 s6, s6, -1
	s_mul_i32 s7, s2, s7
	s_delay_alu instid0(SALU_CYCLE_1) | instskip(NEXT) | instid1(SALU_CYCLE_1)
	s_sub_co_i32 s7, s13, s7
	s_mul_i32 s7, s8, s7
	s_delay_alu instid0(SALU_CYCLE_1)
	s_add_co_i32 s3, s7, s3
	s_cmp_gt_u32 s6, 2
	s_cbranch_scc1 .LBB92_3
.LBB92_4:
	s_load_b32 s4, s[0:1], 0x1b8
	s_add_nc_u64 s[18:19], s[0:1], 0x1c8
	s_mov_b32 s17, 0
	s_wait_kmcnt 0x0
	s_cmp_lt_i32 s4, 2
	s_cbranch_scc1 .LBB92_7
; %bb.5:
	s_add_co_i32 s16, s4, -1
	s_delay_alu instid0(SALU_CYCLE_1) | instskip(NEXT) | instid1(SALU_CYCLE_1)
	s_lshl_b64 s[6:7], s[16:17], 2
	s_add_nc_u64 s[12:13], s[0:1], s[6:7]
	s_add_co_i32 s6, s4, 1
	s_add_nc_u64 s[4:5], s[12:13], 0xf0
.LBB92_6:                               ; =>This Inner Loop Header: Depth=1
	s_clause 0x1
	s_load_b32 s7, s[4:5], 0x0
	s_load_b32 s8, s[4:5], 0x64
	s_mov_b32 s13, s22
	s_add_nc_u64 s[4:5], s[4:5], -4
	s_wait_kmcnt 0x0
	s_cvt_f32_u32 s11, s7
	s_sub_co_i32 s12, 0, s7
	s_wait_alu 0xfffe
	s_delay_alu instid0(SALU_CYCLE_1) | instskip(NEXT) | instid1(TRANS32_DEP_1)
	v_rcp_iflag_f32_e32 v1, s11
	v_readfirstlane_b32 s11, v1
	s_mul_f32 s11, s11, 0x4f7ffffe
	s_wait_alu 0xfffe
	s_delay_alu instid0(SALU_CYCLE_2) | instskip(SKIP_1) | instid1(SALU_CYCLE_2)
	s_cvt_u32_f32 s11, s11
	s_wait_alu 0xfffe
	s_mul_i32 s12, s12, s11
	s_delay_alu instid0(SALU_CYCLE_1) | instskip(NEXT) | instid1(SALU_CYCLE_1)
	s_mul_hi_u32 s12, s11, s12
	s_add_co_i32 s11, s11, s12
	s_wait_alu 0xfffe
	s_mul_hi_u32 s11, s22, s11
	s_wait_alu 0xfffe
	s_mul_i32 s12, s11, s7
	s_add_co_i32 s14, s11, 1
	s_sub_co_i32 s12, s22, s12
	s_delay_alu instid0(SALU_CYCLE_1)
	s_sub_co_i32 s15, s12, s7
	s_cmp_ge_u32 s12, s7
	s_cselect_b32 s11, s14, s11
	s_cselect_b32 s12, s15, s12
	s_wait_alu 0xfffe
	s_add_co_i32 s14, s11, 1
	s_cmp_ge_u32 s12, s7
	s_cselect_b32 s22, s14, s11
	s_add_co_i32 s6, s6, -1
	s_mul_i32 s7, s22, s7
	s_delay_alu instid0(SALU_CYCLE_1) | instskip(NEXT) | instid1(SALU_CYCLE_1)
	s_sub_co_i32 s7, s13, s7
	s_mul_i32 s7, s8, s7
	s_delay_alu instid0(SALU_CYCLE_1)
	s_add_co_i32 s17, s7, s17
	s_cmp_gt_u32 s6, 2
	s_cbranch_scc1 .LBB92_6
.LBB92_7:
	s_clause 0x1
	s_load_b32 s4, s[0:1], 0x6c
	s_load_b64 s[12:13], s[0:1], 0x1c0
	v_and_b32_e32 v44, 0x3ff, v0
	s_mov_b32 s7, 0
	s_delay_alu instid0(VALU_DEP_1)
	v_mul_lo_u32 v47, s10, v44
	s_wait_kmcnt 0x0
	s_mul_i32 s2, s4, s2
	s_load_b64 s[4:5], s[0:1], 0x0
	s_add_co_i32 s6, s2, s3
	s_bitcmp1_b32 s13, 0
	s_cselect_b32 s2, -1, 0
	s_delay_alu instid0(SALU_CYCLE_1) | instskip(SKIP_4) | instid1(VALU_DEP_2)
	s_xor_b32 s11, s2, -1
	v_cmp_gt_u32_e64 s2, s9, v44
	s_wait_alu 0xfffe
	v_cndmask_b32_e64 v1, 0, -1, s11
	v_cndmask_b32_e64 v3, 0, -1, s11
	v_lshlrev_b32_e32 v2, 8, v1
	v_and_b32_e32 v1, 0xff, v1
	s_delay_alu instid0(VALU_DEP_1) | instskip(SKIP_2) | instid1(VALU_DEP_1)
	v_or_b32_e32 v1, v1, v2
	s_wait_kmcnt 0x0
	s_add_nc_u64 s[14:15], s[4:5], s[6:7]
	v_and_b32_e32 v2, 0xffff, v1
	v_lshlrev_b32_e32 v1, 16, v1
	s_delay_alu instid0(VALU_DEP_1) | instskip(NEXT) | instid1(VALU_DEP_1)
	v_or_b32_e32 v1, v2, v1
	v_mov_b32_e32 v2, v1
	s_and_saveexec_b32 s3, s2
	s_cbranch_execz .LBB92_9
; %bb.8:
	global_load_u8 v3, v47, s[14:15]
	v_mov_b32_e32 v5, v1
	s_wait_loadcnt 0x0
	v_perm_b32 v4, v3, v1, 0x3020104
	s_delay_alu instid0(VALU_DEP_1)
	v_dual_mov_b32 v1, v4 :: v_dual_mov_b32 v2, v5
.LBB92_9:
	s_or_b32 exec_lo, exec_lo, s3
	v_add_nc_u32_e32 v28, 0x80, v44
	s_delay_alu instid0(VALU_DEP_1)
	v_cmp_gt_u32_e64 s3, s9, v28
	s_and_saveexec_b32 s4, s3
	s_cbranch_execz .LBB92_11
; %bb.10:
	v_mul_lo_u32 v4, s10, v28
	global_load_u8 v4, v4, s[14:15]
	s_wait_loadcnt 0x0
	v_perm_b32 v1, v1, v4, 0x7060004
.LBB92_11:
	s_or_b32 exec_lo, exec_lo, s4
	v_add_nc_u32_e32 v24, 0x100, v44
	s_delay_alu instid0(VALU_DEP_1)
	v_cmp_gt_u32_e64 s4, s9, v24
	s_and_saveexec_b32 s5, s4
	s_cbranch_execz .LBB92_13
; %bb.12:
	v_mul_lo_u32 v4, s10, v24
	global_load_u8 v4, v4, s[14:15]
	s_wait_loadcnt 0x0
	v_perm_b32 v4, v4, v1, 0xc0c0304
	s_delay_alu instid0(VALU_DEP_1) | instskip(NEXT) | instid1(VALU_DEP_1)
	v_lshlrev_b32_e32 v4, 16, v4
	v_and_or_b32 v1, 0xffff, v1, v4
.LBB92_13:
	s_or_b32 exec_lo, exec_lo, s5
	v_add_nc_u32_e32 v21, 0x180, v44
	s_delay_alu instid0(VALU_DEP_1)
	v_cmp_gt_u32_e64 s5, s9, v21
	s_and_saveexec_b32 s6, s5
	s_cbranch_execz .LBB92_15
; %bb.14:
	v_mul_lo_u32 v4, s10, v21
	global_load_u8 v4, v4, s[14:15]
	s_wait_loadcnt 0x0
	v_perm_b32 v4, v1, v4, 0xc0c0006
	s_delay_alu instid0(VALU_DEP_1) | instskip(NEXT) | instid1(VALU_DEP_1)
	v_lshlrev_b32_e32 v4, 16, v4
	v_and_or_b32 v1, 0xffff, v1, v4
.LBB92_15:
	s_or_b32 exec_lo, exec_lo, s6
	v_add_nc_u32_e32 v19, 0x200, v44
	s_delay_alu instid0(VALU_DEP_1)
	v_cmp_gt_u32_e64 s6, s9, v19
	s_and_saveexec_b32 s7, s6
	s_cbranch_execz .LBB92_17
; %bb.16:
	v_mul_lo_u32 v4, s10, v19
	global_load_u8 v4, v4, s[14:15]
	s_wait_loadcnt 0x0
	v_perm_b32 v2, v4, v2, 0x3020104
.LBB92_17:
	s_or_b32 exec_lo, exec_lo, s7
	v_add_nc_u32_e32 v17, 0x280, v44
	s_delay_alu instid0(VALU_DEP_1)
	v_cmp_gt_u32_e64 s7, s9, v17
	s_and_saveexec_b32 s8, s7
	s_cbranch_execz .LBB92_19
; %bb.18:
	v_mul_lo_u32 v4, s10, v17
	global_load_u8 v4, v4, s[14:15]
	s_wait_loadcnt 0x0
	v_perm_b32 v2, v2, v4, 0x7060004
.LBB92_19:
	s_wait_alu 0xfffe
	s_or_b32 exec_lo, exec_lo, s8
	v_add_nc_u32_e32 v16, 0x300, v44
	s_delay_alu instid0(VALU_DEP_1)
	v_cmp_gt_u32_e64 s8, s9, v16
	s_and_saveexec_b32 s13, s8
	s_cbranch_execz .LBB92_21
; %bb.20:
	v_mul_lo_u32 v4, s10, v16
	global_load_u8 v4, v4, s[14:15]
	s_wait_loadcnt 0x0
	v_perm_b32 v2, v2, v4, 0x7000504
.LBB92_21:
	s_or_b32 exec_lo, exec_lo, s13
	s_clause 0x1
	s_load_b32 s13, s[0:1], 0x154
	s_load_b64 s[20:21], s[0:1], 0xe8
	v_add_nc_u32_e32 v15, 0x380, v44
	s_delay_alu instid0(VALU_DEP_1)
	v_cmp_gt_u32_e64 s0, s9, v15
	s_and_saveexec_b32 s1, s0
	s_cbranch_execz .LBB92_23
; %bb.22:
	v_mul_lo_u32 v4, s10, v15
	global_load_u8 v4, v4, s[14:15]
	s_wait_loadcnt 0x0
	v_perm_b32 v2, v2, v4, 0x60504
.LBB92_23:
	s_or_b32 exec_lo, exec_lo, s1
	v_lshrrev_b32_e32 v62, 5, v44
	v_lshrrev_b32_e32 v18, 5, v28
	;; [unrolled: 1-line block ×5, first 2 shown]
	s_delay_alu instid0(VALU_DEP_4) | instskip(SKIP_4) | instid1(VALU_DEP_4)
	v_dual_mov_b32 v42, 0 :: v_dual_and_b32 v5, 60, v18
	v_and_b32_e32 v4, 28, v62
	v_and_b32_e32 v7, 60, v23
	v_lshrrev_b32_e32 v22, 5, v21
	v_lshrrev_b32_e32 v29, 2, v44
	v_dual_mov_b32 v43, v42 :: v_dual_add_nc_u32 v48, v4, v44
	v_dual_mov_b32 v11, v42 :: v_dual_and_b32 v4, 60, v20
	v_mov_b32_e32 v12, v42
	v_add_nc_u32_e32 v52, v7, v44
	v_and_b32_e32 v7, 60, v26
	s_delay_alu instid0(VALU_DEP_4)
	v_add_nc_u32_e32 v50, v4, v44
	v_and_b32_e32 v4, 60, v22
	v_lshrrev_b32_e32 v25, 5, v17
	v_lshrrev_b32_e32 v27, 5, v15
	v_dual_mov_b32 v13, 0 :: v_dual_add_nc_u32 v54, v7, v44
	v_lshlrev_b32_e32 v57, 3, v44
	v_and_b32_e32 v7, 0xfc, v29
	v_add_nc_u32_e32 v51, v4, v44
	v_and_b32_e32 v4, 60, v25
	v_and_b32_e32 v9, 60, v27
	v_lshrrev_b32_e32 v6, 8, v1
	v_add_nc_u32_e32 v56, v7, v57
	v_dual_mov_b32 v10, v42 :: v_dual_add_nc_u32 v49, v5, v44
	v_lshrrev_b32_e32 v5, 24, v1
	v_lshrrev_b32_e32 v8, 8, v2
	v_dual_mov_b32 v14, 0 :: v_dual_add_nc_u32 v53, v4, v44
	v_lshrrev_b32_e32 v4, 24, v2
	v_add_nc_u32_e32 v55, v9, v44
	v_mov_b32_e32 v9, v42
	v_mov_b32_e32 v7, v42
	ds_store_b8 v48, v3
	ds_store_b8 v49, v6 offset:128
	ds_store_b8_d16_hi v50, v1 offset:256
	ds_store_b8 v51, v5 offset:384
	ds_store_b8 v52, v2 offset:512
	;; [unrolled: 1-line block ×3, first 2 shown]
	ds_store_b8_d16_hi v54, v2 offset:768
	ds_store_b8 v55, v4 offset:896
	s_wait_dscnt 0x0
	s_barrier_signal -1
	s_barrier_wait -1
	global_inv scope:SCOPE_SE
	ds_load_2addr_b32 v[45:46], v56 offset1:1
	s_wait_kmcnt 0x0
	s_mul_i32 s1, s13, s22
	v_mul_lo_u32 v41, s12, v44
	s_mov_b32 s23, 0
	s_add_co_i32 s22, s1, s17
	v_dual_mov_b32 v1, v42 :: v_dual_mov_b32 v2, v42
	v_dual_mov_b32 v3, v42 :: v_dual_mov_b32 v4, v42
	;; [unrolled: 1-line block ×3, first 2 shown]
	v_mov_b32_e32 v8, v42
	s_lshl_b64 s[16:17], s[22:23], 3
	s_wait_loadcnt_dscnt 0x0
	s_add_nc_u64 s[16:17], s[20:21], s[16:17]
	s_barrier_signal -1
	s_barrier_wait -1
	global_inv scope:SCOPE_SE
	s_and_saveexec_b32 s1, s2
	s_cbranch_execnz .LBB92_56
; %bb.24:
	s_or_b32 exec_lo, exec_lo, s1
	s_and_saveexec_b32 s1, s3
	s_cbranch_execnz .LBB92_57
.LBB92_25:
	s_or_b32 exec_lo, exec_lo, s1
	s_and_saveexec_b32 s1, s4
	s_cbranch_execnz .LBB92_58
.LBB92_26:
	s_or_b32 exec_lo, exec_lo, s1
	s_and_saveexec_b32 s1, s5
	s_cbranch_execnz .LBB92_59
.LBB92_27:
	s_or_b32 exec_lo, exec_lo, s1
	s_and_saveexec_b32 s1, s6
	s_cbranch_execnz .LBB92_60
.LBB92_28:
	s_or_b32 exec_lo, exec_lo, s1
	s_and_saveexec_b32 s1, s7
	s_cbranch_execnz .LBB92_61
.LBB92_29:
	s_or_b32 exec_lo, exec_lo, s1
	s_and_saveexec_b32 s1, s8
	s_cbranch_execnz .LBB92_62
.LBB92_30:
	s_or_b32 exec_lo, exec_lo, s1
	s_and_saveexec_b32 s1, s0
	s_cbranch_execz .LBB92_32
.LBB92_31:
	v_mul_lo_u32 v7, s12, v15
	v_mov_b32_e32 v8, 0
	s_delay_alu instid0(VALU_DEP_1) | instskip(NEXT) | instid1(VALU_DEP_1)
	v_lshlrev_b64_e32 v[7:8], 3, v[7:8]
	v_add_co_u32 v7, vcc_lo, s16, v7
	s_wait_alu 0xfffd
	s_delay_alu instid0(VALU_DEP_2)
	v_add_co_ci_u32_e64 v8, null, s17, v8, vcc_lo
	global_load_b64 v[7:8], v[7:8], off
.LBB92_32:
	s_or_b32 exec_lo, exec_lo, s1
	v_lshl_add_u32 v58, v62, 3, v57
	v_lshl_add_u32 v59, v18, 3, v57
	;; [unrolled: 1-line block ×5, first 2 shown]
	s_wait_loadcnt 0x0
	ds_store_b64 v58, v[13:14]
	ds_store_b64 v59, v[42:43] offset:1024
	ds_store_b64 v60, v[9:10] offset:2048
	;; [unrolled: 1-line block ×3, first 2 shown]
	v_lshlrev_b32_e32 v9, 3, v57
	v_lshl_add_u32 v42, v23, 3, v57
	v_lshl_add_u32 v43, v25, 3, v57
	;; [unrolled: 1-line block ×3, first 2 shown]
	ds_store_b64 v42, v[1:2] offset:4096
	ds_store_b64 v43, v[3:4] offset:5120
	;; [unrolled: 1-line block ×4, first 2 shown]
	v_lshl_add_u32 v65, v29, 3, v9
	s_wait_dscnt 0x0
	s_barrier_signal -1
	s_barrier_wait -1
	global_inv scope:SCOPE_SE
	ds_load_2addr_b64 v[13:16], v65 offset1:1
	ds_load_2addr_b64 v[9:12], v65 offset0:2 offset1:3
	ds_load_2addr_b64 v[5:8], v65 offset0:4 offset1:5
	;; [unrolled: 1-line block ×3, first 2 shown]
	v_bfe_u32 v69, v0, 10, 10
	v_bfe_u32 v70, v0, 20, 10
	v_mbcnt_lo_u32_b32 v67, -1, 0
	v_and_b32_e32 v68, 0x3e0, v44
	v_lshlrev_b32_e32 v66, 2, v57
	s_and_b32 vcc_lo, exec_lo, s11
	s_wait_loadcnt_dscnt 0x0
	s_barrier_signal -1
	s_barrier_wait -1
	global_inv scope:SCOPE_SE
	s_wait_alu 0xfffe
	s_cbranch_vccz .LBB92_63
; %bb.33:
	s_getpc_b64 s[20:21]
	s_sext_i32_i16 s21, s21
	s_add_co_u32 s20, s20, _ZN7rocprim17ROCPRIM_400000_NS16block_radix_sortIhLj128ELj8ElLj1ELj1ELj0ELNS0_26block_radix_rank_algorithmE1ELNS0_18block_padding_hintE2ELNS0_4arch9wavefront6targetE0EE19radix_bits_per_passE@rel32@lo+8
	s_add_co_ci_u32 s21, s21, _ZN7rocprim17ROCPRIM_400000_NS16block_radix_sortIhLj128ELj8ElLj1ELj1ELj0ELNS0_26block_radix_rank_algorithmE1ELNS0_18block_padding_hintE2ELNS0_4arch9wavefront6targetE0EE19radix_bits_per_passE@rel32@hi+16
	v_or_b32_e32 v17, v67, v68
	s_load_b32 s1, s[20:21], 0x0
	s_mov_b32 s20, 0
	v_and_or_b32 v18, 0x1f00, v57, v67
	s_mov_b32 s21, s20
	s_mov_b32 s22, s20
	;; [unrolled: 1-line block ×3, first 2 shown]
	v_lshlrev_b32_e32 v19, 3, v17
	v_mad_u32_u24 v29, v18, 7, v18
	ds_store_b64 v19, v[45:46]
	; wave barrier
	ds_load_u8 v0, v18
	ds_load_u8 v71, v18 offset:32
	ds_load_u8 v72, v18 offset:64
	;; [unrolled: 1-line block ×7, first 2 shown]
	v_mad_u32_u24 v17, v17, 56, v19
	s_wait_loadcnt_dscnt 0x0
	s_barrier_signal -1
	s_barrier_wait -1
	global_inv scope:SCOPE_SE
	s_wait_kmcnt 0x0
	s_min_u32 s1, s1, 8
	ds_store_b128 v17, v[13:16]
	ds_store_b128 v17, v[9:12] offset:16
	s_lshl_b32 s1, -1, s1
	ds_store_b128 v17, v[5:8] offset:32
	ds_store_b128 v17, v[1:4] offset:48
	s_not_b32 s9, s1
	; wave barrier
	s_wait_alu 0xfffe
	v_and_b32_e32 v39, s9, v0
	ds_load_2addr_b64 v[25:28], v29 offset1:32
	ds_load_2addr_b64 v[21:24], v29 offset0:64 offset1:96
	ds_load_2addr_b64 v[17:20], v29 offset0:128 offset1:160
	;; [unrolled: 1-line block ×3, first 2 shown]
	s_wait_loadcnt_dscnt 0x0
	s_barrier_signal -1
	v_and_b32_e32 v33, 1, v39
	v_lshlrev_b32_e32 v34, 30, v39
	v_lshlrev_b32_e32 v36, 29, v39
	v_lshlrev_b32_e32 v38, 27, v39
	s_barrier_wait -1
	v_add_co_u32 v33, s1, v33, -1
	s_delay_alu instid0(VALU_DEP_1)
	v_cndmask_b32_e64 v35, 0, 1, s1
	v_not_b32_e32 v37, v34
	v_cmp_gt_i32_e64 s1, 0, v34
	v_not_b32_e32 v34, v36
	global_inv scope:SCOPE_SE
	v_cmp_ne_u32_e32 vcc_lo, 0, v35
	v_ashrrev_i32_e32 v35, 31, v37
	v_lshlrev_b32_e32 v37, 28, v39
	v_ashrrev_i32_e32 v34, 31, v34
	s_wait_alu 0xfffd
	v_xor_b32_e32 v33, vcc_lo, v33
	v_cmp_gt_i32_e32 vcc_lo, 0, v36
	s_wait_alu 0xf1ff
	v_xor_b32_e32 v35, s1, v35
	v_not_b32_e32 v36, v37
	s_load_b32 s1, s[18:19], 0xc
	v_and_b32_e32 v33, exec_lo, v33
	v_xor_b32_e32 v34, vcc_lo, v34
	v_cmp_gt_i32_e32 vcc_lo, 0, v37
	v_lshlrev_b32_e32 v37, 26, v39
	s_delay_alu instid0(VALU_DEP_4) | instskip(SKIP_2) | instid1(VALU_DEP_3)
	v_and_b32_e32 v33, v33, v35
	v_ashrrev_i32_e32 v35, 31, v36
	v_not_b32_e32 v36, v38
	v_and_b32_e32 v33, v33, v34
	s_wait_alu 0xfffd
	s_delay_alu instid0(VALU_DEP_3) | instskip(SKIP_3) | instid1(VALU_DEP_4)
	v_xor_b32_e32 v34, vcc_lo, v35
	v_cmp_gt_i32_e32 vcc_lo, 0, v38
	v_ashrrev_i32_e32 v35, 31, v36
	v_not_b32_e32 v36, v37
	v_and_b32_e32 v33, v33, v34
	v_lshlrev_b32_e32 v34, 25, v39
	s_wait_alu 0xfffd
	v_xor_b32_e32 v35, vcc_lo, v35
	v_cmp_gt_i32_e32 vcc_lo, 0, v37
	v_ashrrev_i32_e32 v36, 31, v36
	s_wait_kmcnt 0x0
	s_lshr_b32 s11, s1, 16
	v_not_b32_e32 v37, v34
	v_and_b32_e32 v33, v33, v35
	v_lshlrev_b32_e32 v35, 24, v39
	s_wait_alu 0xfffd
	v_xor_b32_e32 v36, vcc_lo, v36
	v_cmp_gt_i32_e32 vcc_lo, 0, v34
	v_ashrrev_i32_e32 v34, 31, v37
	s_wait_alu 0xfffe
	v_mad_u32_u24 v38, v70, s11, v69
	v_not_b32_e32 v37, v35
	v_and_b32_e32 v36, v33, v36
	s_and_b32 s1, s1, 0xffff
	s_wait_alu 0xfffd
	v_xor_b32_e32 v40, vcc_lo, v34
	v_cmp_gt_i32_e32 vcc_lo, 0, v35
	v_ashrrev_i32_e32 v35, 31, v37
	s_wait_alu 0xfffe
	v_mad_co_u64_u32 v[33:34], null, v38, s1, v[44:45]
	v_and_b32_e32 v34, v36, v40
	s_wait_alu 0xfffd
	v_xor_b32_e32 v40, vcc_lo, v35
	v_dual_mov_b32 v38, s23 :: v_dual_mov_b32 v37, s22
	v_dual_mov_b32 v36, s21 :: v_dual_mov_b32 v35, s20
	s_delay_alu instid0(VALU_DEP_3)
	v_and_b32_e32 v34, v34, v40
	v_and_b32_e32 v39, 0xff, v39
	v_lshrrev_b32_e32 v33, 3, v33
	ds_store_b128 v66, v[35:38] offset:16
	ds_store_b128 v66, v[35:38] offset:32
	v_mbcnt_lo_u32_b32 v78, v34, 0
	v_lshlrev_b32_e32 v35, 4, v39
	v_and_b32_e32 v33, 0x1ffffffc, v33
	v_cmp_ne_u32_e64 s1, 0, v34
	s_wait_loadcnt_dscnt 0x0
	v_cmp_eq_u32_e32 vcc_lo, 0, v78
	s_barrier_signal -1
	v_add_nc_u32_e32 v79, v33, v35
	s_barrier_wait -1
	global_inv scope:SCOPE_SE
	s_and_b32 s11, s1, vcc_lo
	; wave barrier
	s_wait_alu 0xfffe
	s_and_saveexec_b32 s1, s11
; %bb.34:
	v_bcnt_u32_b32 v34, v34, 0
	ds_store_b32 v79, v34 offset:16
; %bb.35:
	s_wait_alu 0xfffe
	s_or_b32 exec_lo, exec_lo, s1
	v_and_b32_e32 v34, s9, v71
	; wave barrier
	s_delay_alu instid0(VALU_DEP_1)
	v_and_b32_e32 v36, 1, v34
	v_lshlrev_b32_e32 v37, 30, v34
	v_lshlrev_b32_e32 v38, 29, v34
	;; [unrolled: 1-line block ×4, first 2 shown]
	v_add_co_u32 v36, s1, v36, -1
	s_wait_alu 0xf1ff
	v_cndmask_b32_e64 v40, 0, 1, s1
	v_not_b32_e32 v83, v37
	v_cmp_gt_i32_e64 s1, 0, v37
	v_not_b32_e32 v37, v38
	v_lshlrev_b32_e32 v81, 26, v34
	v_cmp_ne_u32_e32 vcc_lo, 0, v40
	v_ashrrev_i32_e32 v40, 31, v83
	v_lshlrev_b32_e32 v82, 25, v34
	v_ashrrev_i32_e32 v37, 31, v37
	v_and_b32_e32 v35, 0xff, v34
	s_wait_alu 0xfffd
	v_xor_b32_e32 v36, vcc_lo, v36
	v_cmp_gt_i32_e32 vcc_lo, 0, v38
	v_not_b32_e32 v38, v39
	s_wait_alu 0xf1ff
	v_xor_b32_e32 v40, s1, v40
	v_cmp_gt_i32_e64 s1, 0, v39
	v_and_b32_e32 v36, exec_lo, v36
	v_not_b32_e32 v39, v80
	v_ashrrev_i32_e32 v38, 31, v38
	s_wait_alu 0xfffd
	v_xor_b32_e32 v37, vcc_lo, v37
	v_cmp_gt_i32_e32 vcc_lo, 0, v80
	v_and_b32_e32 v36, v36, v40
	v_not_b32_e32 v40, v81
	v_ashrrev_i32_e32 v39, 31, v39
	s_wait_alu 0xf1ff
	v_xor_b32_e32 v38, s1, v38
	v_lshlrev_b32_e32 v34, 24, v34
	v_and_b32_e32 v36, v36, v37
	v_cmp_gt_i32_e64 s1, 0, v81
	v_not_b32_e32 v37, v82
	v_ashrrev_i32_e32 v40, 31, v40
	s_wait_alu 0xfffd
	v_xor_b32_e32 v39, vcc_lo, v39
	v_and_b32_e32 v36, v36, v38
	v_cmp_gt_i32_e32 vcc_lo, 0, v82
	v_not_b32_e32 v38, v34
	v_ashrrev_i32_e32 v37, 31, v37
	s_wait_alu 0xf1ff
	v_xor_b32_e32 v40, s1, v40
	v_and_b32_e32 v36, v36, v39
	v_lshlrev_b32_e32 v35, 4, v35
	v_cmp_gt_i32_e64 s1, 0, v34
	v_ashrrev_i32_e32 v34, 31, v38
	s_wait_alu 0xfffd
	v_xor_b32_e32 v37, vcc_lo, v37
	v_and_b32_e32 v36, v36, v40
	v_add_nc_u32_e32 v82, v33, v35
	s_wait_alu 0xf1ff
	v_xor_b32_e32 v34, s1, v34
	s_delay_alu instid0(VALU_DEP_3) | instskip(SKIP_2) | instid1(VALU_DEP_1)
	v_and_b32_e32 v35, v36, v37
	ds_load_b32 v80, v82 offset:16
	; wave barrier
	v_and_b32_e32 v34, v35, v34
	v_mbcnt_lo_u32_b32 v81, v34, 0
	v_cmp_ne_u32_e64 s1, 0, v34
	s_delay_alu instid0(VALU_DEP_2)
	v_cmp_eq_u32_e32 vcc_lo, 0, v81
	s_and_b32 s11, s1, vcc_lo
	s_wait_alu 0xfffe
	s_and_saveexec_b32 s1, s11
	s_cbranch_execz .LBB92_37
; %bb.36:
	s_wait_dscnt 0x0
	v_bcnt_u32_b32 v34, v34, v80
	ds_store_b32 v82, v34 offset:16
.LBB92_37:
	s_wait_alu 0xfffe
	s_or_b32 exec_lo, exec_lo, s1
	v_and_b32_e32 v34, s9, v72
	; wave barrier
	s_delay_alu instid0(VALU_DEP_1)
	v_and_b32_e32 v36, 1, v34
	v_lshlrev_b32_e32 v37, 30, v34
	v_lshlrev_b32_e32 v38, 29, v34
	;; [unrolled: 1-line block ×4, first 2 shown]
	v_add_co_u32 v36, s1, v36, -1
	s_wait_alu 0xf1ff
	v_cndmask_b32_e64 v40, 0, 1, s1
	v_not_b32_e32 v86, v37
	v_cmp_gt_i32_e64 s1, 0, v37
	v_not_b32_e32 v37, v38
	v_lshlrev_b32_e32 v84, 26, v34
	v_cmp_ne_u32_e32 vcc_lo, 0, v40
	v_ashrrev_i32_e32 v40, 31, v86
	v_lshlrev_b32_e32 v85, 25, v34
	v_ashrrev_i32_e32 v37, 31, v37
	v_and_b32_e32 v35, 0xff, v34
	s_wait_alu 0xfffd
	v_xor_b32_e32 v36, vcc_lo, v36
	v_cmp_gt_i32_e32 vcc_lo, 0, v38
	v_not_b32_e32 v38, v39
	s_wait_alu 0xf1ff
	v_xor_b32_e32 v40, s1, v40
	v_cmp_gt_i32_e64 s1, 0, v39
	v_and_b32_e32 v36, exec_lo, v36
	v_not_b32_e32 v39, v83
	v_ashrrev_i32_e32 v38, 31, v38
	s_wait_alu 0xfffd
	v_xor_b32_e32 v37, vcc_lo, v37
	v_cmp_gt_i32_e32 vcc_lo, 0, v83
	v_and_b32_e32 v36, v36, v40
	v_not_b32_e32 v40, v84
	v_ashrrev_i32_e32 v39, 31, v39
	s_wait_alu 0xf1ff
	v_xor_b32_e32 v38, s1, v38
	v_lshlrev_b32_e32 v34, 24, v34
	v_and_b32_e32 v36, v36, v37
	v_cmp_gt_i32_e64 s1, 0, v84
	v_not_b32_e32 v37, v85
	v_ashrrev_i32_e32 v40, 31, v40
	s_wait_alu 0xfffd
	v_xor_b32_e32 v39, vcc_lo, v39
	v_and_b32_e32 v36, v36, v38
	v_cmp_gt_i32_e32 vcc_lo, 0, v85
	v_not_b32_e32 v38, v34
	v_ashrrev_i32_e32 v37, 31, v37
	s_wait_alu 0xf1ff
	v_xor_b32_e32 v40, s1, v40
	v_and_b32_e32 v36, v36, v39
	v_lshlrev_b32_e32 v35, 4, v35
	v_cmp_gt_i32_e64 s1, 0, v34
	v_ashrrev_i32_e32 v34, 31, v38
	s_wait_alu 0xfffd
	v_xor_b32_e32 v37, vcc_lo, v37
	v_and_b32_e32 v36, v36, v40
	v_add_nc_u32_e32 v85, v33, v35
	s_wait_alu 0xf1ff
	v_xor_b32_e32 v34, s1, v34
	s_delay_alu instid0(VALU_DEP_3) | instskip(SKIP_2) | instid1(VALU_DEP_1)
	v_and_b32_e32 v35, v36, v37
	ds_load_b32 v83, v85 offset:16
	; wave barrier
	v_and_b32_e32 v34, v35, v34
	v_mbcnt_lo_u32_b32 v84, v34, 0
	v_cmp_ne_u32_e64 s1, 0, v34
	s_delay_alu instid0(VALU_DEP_2)
	v_cmp_eq_u32_e32 vcc_lo, 0, v84
	s_and_b32 s11, s1, vcc_lo
	s_wait_alu 0xfffe
	s_and_saveexec_b32 s1, s11
	s_cbranch_execz .LBB92_39
; %bb.38:
	s_wait_dscnt 0x0
	v_bcnt_u32_b32 v34, v34, v83
	ds_store_b32 v85, v34 offset:16
.LBB92_39:
	s_wait_alu 0xfffe
	s_or_b32 exec_lo, exec_lo, s1
	v_and_b32_e32 v34, s9, v73
	; wave barrier
	s_delay_alu instid0(VALU_DEP_1)
	v_and_b32_e32 v36, 1, v34
	v_lshlrev_b32_e32 v37, 30, v34
	v_lshlrev_b32_e32 v38, 29, v34
	;; [unrolled: 1-line block ×4, first 2 shown]
	v_add_co_u32 v36, s1, v36, -1
	s_wait_alu 0xf1ff
	v_cndmask_b32_e64 v40, 0, 1, s1
	v_not_b32_e32 v89, v37
	v_cmp_gt_i32_e64 s1, 0, v37
	v_not_b32_e32 v37, v38
	v_lshlrev_b32_e32 v87, 26, v34
	v_cmp_ne_u32_e32 vcc_lo, 0, v40
	v_ashrrev_i32_e32 v40, 31, v89
	v_lshlrev_b32_e32 v88, 25, v34
	v_ashrrev_i32_e32 v37, 31, v37
	v_and_b32_e32 v35, 0xff, v34
	s_wait_alu 0xfffd
	v_xor_b32_e32 v36, vcc_lo, v36
	v_cmp_gt_i32_e32 vcc_lo, 0, v38
	v_not_b32_e32 v38, v39
	s_wait_alu 0xf1ff
	v_xor_b32_e32 v40, s1, v40
	v_cmp_gt_i32_e64 s1, 0, v39
	v_and_b32_e32 v36, exec_lo, v36
	v_not_b32_e32 v39, v86
	v_ashrrev_i32_e32 v38, 31, v38
	s_wait_alu 0xfffd
	v_xor_b32_e32 v37, vcc_lo, v37
	v_cmp_gt_i32_e32 vcc_lo, 0, v86
	v_and_b32_e32 v36, v36, v40
	v_not_b32_e32 v40, v87
	v_ashrrev_i32_e32 v39, 31, v39
	s_wait_alu 0xf1ff
	v_xor_b32_e32 v38, s1, v38
	v_lshlrev_b32_e32 v34, 24, v34
	v_and_b32_e32 v36, v36, v37
	v_cmp_gt_i32_e64 s1, 0, v87
	v_not_b32_e32 v37, v88
	v_ashrrev_i32_e32 v40, 31, v40
	s_wait_alu 0xfffd
	v_xor_b32_e32 v39, vcc_lo, v39
	v_and_b32_e32 v36, v36, v38
	v_cmp_gt_i32_e32 vcc_lo, 0, v88
	v_not_b32_e32 v38, v34
	v_ashrrev_i32_e32 v37, 31, v37
	s_wait_alu 0xf1ff
	v_xor_b32_e32 v40, s1, v40
	v_and_b32_e32 v36, v36, v39
	v_lshlrev_b32_e32 v35, 4, v35
	v_cmp_gt_i32_e64 s1, 0, v34
	v_ashrrev_i32_e32 v34, 31, v38
	s_wait_alu 0xfffd
	v_xor_b32_e32 v37, vcc_lo, v37
	v_and_b32_e32 v36, v36, v40
	v_add_nc_u32_e32 v88, v33, v35
	s_wait_alu 0xf1ff
	v_xor_b32_e32 v34, s1, v34
	s_delay_alu instid0(VALU_DEP_3) | instskip(SKIP_2) | instid1(VALU_DEP_1)
	v_and_b32_e32 v35, v36, v37
	ds_load_b32 v86, v88 offset:16
	; wave barrier
	v_and_b32_e32 v34, v35, v34
	v_mbcnt_lo_u32_b32 v87, v34, 0
	v_cmp_ne_u32_e64 s1, 0, v34
	s_delay_alu instid0(VALU_DEP_2)
	v_cmp_eq_u32_e32 vcc_lo, 0, v87
	s_and_b32 s11, s1, vcc_lo
	s_wait_alu 0xfffe
	s_and_saveexec_b32 s1, s11
	s_cbranch_execz .LBB92_41
; %bb.40:
	s_wait_dscnt 0x0
	v_bcnt_u32_b32 v34, v34, v86
	ds_store_b32 v88, v34 offset:16
.LBB92_41:
	s_wait_alu 0xfffe
	s_or_b32 exec_lo, exec_lo, s1
	v_and_b32_e32 v34, s9, v74
	; wave barrier
	s_delay_alu instid0(VALU_DEP_1)
	v_and_b32_e32 v36, 1, v34
	v_lshlrev_b32_e32 v37, 30, v34
	v_lshlrev_b32_e32 v38, 29, v34
	v_lshlrev_b32_e32 v39, 28, v34
	v_lshlrev_b32_e32 v89, 27, v34
	v_add_co_u32 v36, s1, v36, -1
	s_wait_alu 0xf1ff
	v_cndmask_b32_e64 v40, 0, 1, s1
	v_not_b32_e32 v92, v37
	v_cmp_gt_i32_e64 s1, 0, v37
	v_not_b32_e32 v37, v38
	v_lshlrev_b32_e32 v90, 26, v34
	v_cmp_ne_u32_e32 vcc_lo, 0, v40
	v_ashrrev_i32_e32 v40, 31, v92
	v_lshlrev_b32_e32 v91, 25, v34
	v_ashrrev_i32_e32 v37, 31, v37
	v_and_b32_e32 v35, 0xff, v34
	s_wait_alu 0xfffd
	v_xor_b32_e32 v36, vcc_lo, v36
	v_cmp_gt_i32_e32 vcc_lo, 0, v38
	v_not_b32_e32 v38, v39
	s_wait_alu 0xf1ff
	v_xor_b32_e32 v40, s1, v40
	v_cmp_gt_i32_e64 s1, 0, v39
	v_and_b32_e32 v36, exec_lo, v36
	v_not_b32_e32 v39, v89
	v_ashrrev_i32_e32 v38, 31, v38
	s_wait_alu 0xfffd
	v_xor_b32_e32 v37, vcc_lo, v37
	v_cmp_gt_i32_e32 vcc_lo, 0, v89
	v_and_b32_e32 v36, v36, v40
	v_not_b32_e32 v40, v90
	v_ashrrev_i32_e32 v39, 31, v39
	s_wait_alu 0xf1ff
	v_xor_b32_e32 v38, s1, v38
	v_lshlrev_b32_e32 v34, 24, v34
	v_and_b32_e32 v36, v36, v37
	v_cmp_gt_i32_e64 s1, 0, v90
	v_not_b32_e32 v37, v91
	v_ashrrev_i32_e32 v40, 31, v40
	s_wait_alu 0xfffd
	v_xor_b32_e32 v39, vcc_lo, v39
	v_and_b32_e32 v36, v36, v38
	v_cmp_gt_i32_e32 vcc_lo, 0, v91
	v_not_b32_e32 v38, v34
	v_ashrrev_i32_e32 v37, 31, v37
	s_wait_alu 0xf1ff
	v_xor_b32_e32 v40, s1, v40
	v_and_b32_e32 v36, v36, v39
	v_lshlrev_b32_e32 v35, 4, v35
	v_cmp_gt_i32_e64 s1, 0, v34
	v_ashrrev_i32_e32 v34, 31, v38
	s_wait_alu 0xfffd
	v_xor_b32_e32 v37, vcc_lo, v37
	v_and_b32_e32 v36, v36, v40
	v_add_nc_u32_e32 v91, v33, v35
	s_wait_alu 0xf1ff
	v_xor_b32_e32 v34, s1, v34
	s_delay_alu instid0(VALU_DEP_3) | instskip(SKIP_2) | instid1(VALU_DEP_1)
	v_and_b32_e32 v35, v36, v37
	ds_load_b32 v89, v91 offset:16
	; wave barrier
	v_and_b32_e32 v34, v35, v34
	v_mbcnt_lo_u32_b32 v90, v34, 0
	v_cmp_ne_u32_e64 s1, 0, v34
	s_delay_alu instid0(VALU_DEP_2)
	v_cmp_eq_u32_e32 vcc_lo, 0, v90
	s_and_b32 s11, s1, vcc_lo
	s_wait_alu 0xfffe
	s_and_saveexec_b32 s1, s11
	s_cbranch_execz .LBB92_43
; %bb.42:
	s_wait_dscnt 0x0
	v_bcnt_u32_b32 v34, v34, v89
	ds_store_b32 v91, v34 offset:16
.LBB92_43:
	s_wait_alu 0xfffe
	s_or_b32 exec_lo, exec_lo, s1
	v_and_b32_e32 v34, s9, v75
	; wave barrier
	s_delay_alu instid0(VALU_DEP_1)
	v_and_b32_e32 v36, 1, v34
	v_lshlrev_b32_e32 v37, 30, v34
	v_lshlrev_b32_e32 v38, 29, v34
	;; [unrolled: 1-line block ×4, first 2 shown]
	v_add_co_u32 v36, s1, v36, -1
	s_wait_alu 0xf1ff
	v_cndmask_b32_e64 v40, 0, 1, s1
	v_not_b32_e32 v95, v37
	v_cmp_gt_i32_e64 s1, 0, v37
	v_not_b32_e32 v37, v38
	v_lshlrev_b32_e32 v93, 26, v34
	v_cmp_ne_u32_e32 vcc_lo, 0, v40
	v_ashrrev_i32_e32 v40, 31, v95
	v_lshlrev_b32_e32 v94, 25, v34
	v_ashrrev_i32_e32 v37, 31, v37
	v_and_b32_e32 v35, 0xff, v34
	s_wait_alu 0xfffd
	v_xor_b32_e32 v36, vcc_lo, v36
	v_cmp_gt_i32_e32 vcc_lo, 0, v38
	v_not_b32_e32 v38, v39
	s_wait_alu 0xf1ff
	v_xor_b32_e32 v40, s1, v40
	v_cmp_gt_i32_e64 s1, 0, v39
	v_and_b32_e32 v36, exec_lo, v36
	v_not_b32_e32 v39, v92
	v_ashrrev_i32_e32 v38, 31, v38
	s_wait_alu 0xfffd
	v_xor_b32_e32 v37, vcc_lo, v37
	v_cmp_gt_i32_e32 vcc_lo, 0, v92
	v_and_b32_e32 v36, v36, v40
	v_not_b32_e32 v40, v93
	v_ashrrev_i32_e32 v39, 31, v39
	s_wait_alu 0xf1ff
	v_xor_b32_e32 v38, s1, v38
	v_lshlrev_b32_e32 v34, 24, v34
	v_and_b32_e32 v36, v36, v37
	v_cmp_gt_i32_e64 s1, 0, v93
	v_not_b32_e32 v37, v94
	v_ashrrev_i32_e32 v40, 31, v40
	s_wait_alu 0xfffd
	v_xor_b32_e32 v39, vcc_lo, v39
	v_and_b32_e32 v36, v36, v38
	v_cmp_gt_i32_e32 vcc_lo, 0, v94
	v_not_b32_e32 v38, v34
	v_ashrrev_i32_e32 v37, 31, v37
	s_wait_alu 0xf1ff
	v_xor_b32_e32 v40, s1, v40
	v_and_b32_e32 v36, v36, v39
	v_lshlrev_b32_e32 v35, 4, v35
	v_cmp_gt_i32_e64 s1, 0, v34
	v_ashrrev_i32_e32 v34, 31, v38
	s_wait_alu 0xfffd
	v_xor_b32_e32 v37, vcc_lo, v37
	v_and_b32_e32 v36, v36, v40
	v_add_nc_u32_e32 v94, v33, v35
	s_wait_alu 0xf1ff
	v_xor_b32_e32 v34, s1, v34
	s_delay_alu instid0(VALU_DEP_3) | instskip(SKIP_2) | instid1(VALU_DEP_1)
	v_and_b32_e32 v35, v36, v37
	ds_load_b32 v92, v94 offset:16
	; wave barrier
	v_and_b32_e32 v34, v35, v34
	v_mbcnt_lo_u32_b32 v93, v34, 0
	v_cmp_ne_u32_e64 s1, 0, v34
	s_delay_alu instid0(VALU_DEP_2)
	v_cmp_eq_u32_e32 vcc_lo, 0, v93
	s_and_b32 s11, s1, vcc_lo
	s_wait_alu 0xfffe
	s_and_saveexec_b32 s1, s11
	s_cbranch_execz .LBB92_45
; %bb.44:
	s_wait_dscnt 0x0
	v_bcnt_u32_b32 v34, v34, v92
	ds_store_b32 v94, v34 offset:16
.LBB92_45:
	s_wait_alu 0xfffe
	s_or_b32 exec_lo, exec_lo, s1
	v_and_b32_e32 v34, s9, v76
	; wave barrier
	s_delay_alu instid0(VALU_DEP_1)
	v_and_b32_e32 v36, 1, v34
	v_lshlrev_b32_e32 v37, 30, v34
	v_lshlrev_b32_e32 v38, 29, v34
	;; [unrolled: 1-line block ×4, first 2 shown]
	v_add_co_u32 v36, s1, v36, -1
	s_wait_alu 0xf1ff
	v_cndmask_b32_e64 v40, 0, 1, s1
	v_not_b32_e32 v98, v37
	v_cmp_gt_i32_e64 s1, 0, v37
	v_not_b32_e32 v37, v38
	v_lshlrev_b32_e32 v96, 26, v34
	v_cmp_ne_u32_e32 vcc_lo, 0, v40
	v_ashrrev_i32_e32 v40, 31, v98
	v_lshlrev_b32_e32 v97, 25, v34
	v_ashrrev_i32_e32 v37, 31, v37
	v_and_b32_e32 v35, 0xff, v34
	s_wait_alu 0xfffd
	v_xor_b32_e32 v36, vcc_lo, v36
	v_cmp_gt_i32_e32 vcc_lo, 0, v38
	v_not_b32_e32 v38, v39
	s_wait_alu 0xf1ff
	v_xor_b32_e32 v40, s1, v40
	v_cmp_gt_i32_e64 s1, 0, v39
	v_and_b32_e32 v36, exec_lo, v36
	v_not_b32_e32 v39, v95
	v_ashrrev_i32_e32 v38, 31, v38
	s_wait_alu 0xfffd
	v_xor_b32_e32 v37, vcc_lo, v37
	v_cmp_gt_i32_e32 vcc_lo, 0, v95
	v_and_b32_e32 v36, v36, v40
	v_not_b32_e32 v40, v96
	v_ashrrev_i32_e32 v39, 31, v39
	s_wait_alu 0xf1ff
	v_xor_b32_e32 v38, s1, v38
	v_lshlrev_b32_e32 v34, 24, v34
	v_and_b32_e32 v36, v36, v37
	v_cmp_gt_i32_e64 s1, 0, v96
	v_not_b32_e32 v37, v97
	v_ashrrev_i32_e32 v40, 31, v40
	s_wait_alu 0xfffd
	v_xor_b32_e32 v39, vcc_lo, v39
	v_and_b32_e32 v36, v36, v38
	v_cmp_gt_i32_e32 vcc_lo, 0, v97
	v_not_b32_e32 v38, v34
	v_ashrrev_i32_e32 v37, 31, v37
	s_wait_alu 0xf1ff
	v_xor_b32_e32 v40, s1, v40
	v_and_b32_e32 v36, v36, v39
	v_lshlrev_b32_e32 v35, 4, v35
	v_cmp_gt_i32_e64 s1, 0, v34
	v_ashrrev_i32_e32 v34, 31, v38
	s_wait_alu 0xfffd
	v_xor_b32_e32 v37, vcc_lo, v37
	v_and_b32_e32 v36, v36, v40
	v_add_nc_u32_e32 v97, v33, v35
	s_wait_alu 0xf1ff
	v_xor_b32_e32 v34, s1, v34
	s_delay_alu instid0(VALU_DEP_3) | instskip(SKIP_2) | instid1(VALU_DEP_1)
	v_and_b32_e32 v35, v36, v37
	ds_load_b32 v95, v97 offset:16
	; wave barrier
	v_and_b32_e32 v34, v35, v34
	v_mbcnt_lo_u32_b32 v96, v34, 0
	v_cmp_ne_u32_e64 s1, 0, v34
	s_delay_alu instid0(VALU_DEP_2)
	v_cmp_eq_u32_e32 vcc_lo, 0, v96
	s_and_b32 s11, s1, vcc_lo
	s_wait_alu 0xfffe
	s_and_saveexec_b32 s1, s11
	s_cbranch_execz .LBB92_47
; %bb.46:
	s_wait_dscnt 0x0
	v_bcnt_u32_b32 v34, v34, v95
	ds_store_b32 v97, v34 offset:16
.LBB92_47:
	s_wait_alu 0xfffe
	s_or_b32 exec_lo, exec_lo, s1
	v_and_b32_e32 v34, s9, v77
	; wave barrier
	s_delay_alu instid0(VALU_DEP_1)
	v_and_b32_e32 v36, 1, v34
	v_lshlrev_b32_e32 v37, 30, v34
	v_lshlrev_b32_e32 v38, 29, v34
	;; [unrolled: 1-line block ×4, first 2 shown]
	v_add_co_u32 v36, s1, v36, -1
	s_wait_alu 0xf1ff
	v_cndmask_b32_e64 v40, 0, 1, s1
	v_not_b32_e32 v101, v37
	v_cmp_gt_i32_e64 s1, 0, v37
	v_not_b32_e32 v37, v38
	v_lshlrev_b32_e32 v99, 26, v34
	v_cmp_ne_u32_e32 vcc_lo, 0, v40
	v_ashrrev_i32_e32 v40, 31, v101
	v_lshlrev_b32_e32 v100, 25, v34
	v_ashrrev_i32_e32 v37, 31, v37
	v_and_b32_e32 v35, 0xff, v34
	s_wait_alu 0xfffd
	v_xor_b32_e32 v36, vcc_lo, v36
	v_cmp_gt_i32_e32 vcc_lo, 0, v38
	v_not_b32_e32 v38, v39
	s_wait_alu 0xf1ff
	v_xor_b32_e32 v40, s1, v40
	v_cmp_gt_i32_e64 s1, 0, v39
	v_and_b32_e32 v36, exec_lo, v36
	v_not_b32_e32 v39, v98
	v_ashrrev_i32_e32 v38, 31, v38
	s_wait_alu 0xfffd
	v_xor_b32_e32 v37, vcc_lo, v37
	v_cmp_gt_i32_e32 vcc_lo, 0, v98
	v_and_b32_e32 v36, v36, v40
	v_not_b32_e32 v40, v99
	v_ashrrev_i32_e32 v39, 31, v39
	s_wait_alu 0xf1ff
	v_xor_b32_e32 v38, s1, v38
	v_lshlrev_b32_e32 v34, 24, v34
	v_and_b32_e32 v36, v36, v37
	v_cmp_gt_i32_e64 s1, 0, v99
	v_not_b32_e32 v37, v100
	v_ashrrev_i32_e32 v40, 31, v40
	s_wait_alu 0xfffd
	v_xor_b32_e32 v39, vcc_lo, v39
	v_and_b32_e32 v36, v36, v38
	v_cmp_gt_i32_e32 vcc_lo, 0, v100
	v_not_b32_e32 v38, v34
	v_ashrrev_i32_e32 v37, 31, v37
	s_wait_alu 0xf1ff
	v_xor_b32_e32 v40, s1, v40
	v_and_b32_e32 v36, v36, v39
	v_lshlrev_b32_e32 v35, 4, v35
	v_cmp_gt_i32_e64 s1, 0, v34
	v_ashrrev_i32_e32 v34, 31, v38
	s_wait_alu 0xfffd
	v_xor_b32_e32 v37, vcc_lo, v37
	v_and_b32_e32 v36, v36, v40
	v_add_nc_u32_e32 v100, v33, v35
	s_wait_alu 0xf1ff
	v_xor_b32_e32 v33, s1, v34
	s_delay_alu instid0(VALU_DEP_3) | instskip(SKIP_2) | instid1(VALU_DEP_1)
	v_and_b32_e32 v34, v36, v37
	ds_load_b32 v98, v100 offset:16
	; wave barrier
	v_and_b32_e32 v33, v34, v33
	v_mbcnt_lo_u32_b32 v99, v33, 0
	v_cmp_ne_u32_e64 s1, 0, v33
	s_delay_alu instid0(VALU_DEP_2)
	v_cmp_eq_u32_e32 vcc_lo, 0, v99
	s_and_b32 s9, s1, vcc_lo
	s_wait_alu 0xfffe
	s_and_saveexec_b32 s1, s9
	s_cbranch_execz .LBB92_49
; %bb.48:
	s_wait_dscnt 0x0
	v_bcnt_u32_b32 v33, v33, v98
	ds_store_b32 v100, v33 offset:16
.LBB92_49:
	s_wait_alu 0xfffe
	s_or_b32 exec_lo, exec_lo, s1
	; wave barrier
	s_wait_loadcnt_dscnt 0x0
	s_barrier_signal -1
	s_barrier_wait -1
	global_inv scope:SCOPE_SE
	ds_load_b128 v[37:40], v66 offset:16
	ds_load_b128 v[33:36], v66 offset:32
	v_min_u32_e32 v103, 0x60, v68
	s_mov_b32 s1, exec_lo
	s_wait_dscnt 0x1
	v_add_nc_u32_e32 v101, v38, v37
	s_delay_alu instid0(VALU_DEP_1) | instskip(SKIP_1) | instid1(VALU_DEP_1)
	v_add3_u32 v101, v101, v39, v40
	s_wait_dscnt 0x0
	v_add3_u32 v101, v101, v33, v34
	s_delay_alu instid0(VALU_DEP_1) | instskip(SKIP_1) | instid1(VALU_DEP_2)
	v_add3_u32 v36, v101, v35, v36
	v_and_b32_e32 v101, 15, v67
	v_mov_b32_dpp v102, v36 row_shr:1 row_mask:0xf bank_mask:0xf
	s_delay_alu instid0(VALU_DEP_2) | instskip(SKIP_1) | instid1(VALU_DEP_2)
	v_cmp_ne_u32_e32 vcc_lo, 0, v101
	s_wait_alu 0xfffd
	v_cndmask_b32_e32 v102, 0, v102, vcc_lo
	v_cmp_lt_u32_e32 vcc_lo, 1, v101
	s_delay_alu instid0(VALU_DEP_2) | instskip(NEXT) | instid1(VALU_DEP_1)
	v_add_nc_u32_e32 v36, v102, v36
	v_mov_b32_dpp v102, v36 row_shr:2 row_mask:0xf bank_mask:0xf
	s_wait_alu 0xfffd
	s_delay_alu instid0(VALU_DEP_1) | instskip(SKIP_1) | instid1(VALU_DEP_2)
	v_cndmask_b32_e32 v102, 0, v102, vcc_lo
	v_cmp_lt_u32_e32 vcc_lo, 3, v101
	v_add_nc_u32_e32 v36, v36, v102
	s_delay_alu instid0(VALU_DEP_1) | instskip(SKIP_1) | instid1(VALU_DEP_1)
	v_mov_b32_dpp v102, v36 row_shr:4 row_mask:0xf bank_mask:0xf
	s_wait_alu 0xfffd
	v_cndmask_b32_e32 v102, 0, v102, vcc_lo
	v_cmp_lt_u32_e32 vcc_lo, 7, v101
	s_delay_alu instid0(VALU_DEP_2) | instskip(NEXT) | instid1(VALU_DEP_1)
	v_add_nc_u32_e32 v36, v36, v102
	v_mov_b32_dpp v102, v36 row_shr:8 row_mask:0xf bank_mask:0xf
	s_wait_alu 0xfffd
	s_delay_alu instid0(VALU_DEP_1) | instskip(SKIP_1) | instid1(VALU_DEP_2)
	v_cndmask_b32_e32 v101, 0, v102, vcc_lo
	v_bfe_i32 v102, v67, 4, 1
	v_add_nc_u32_e32 v36, v36, v101
	ds_swizzle_b32 v101, v36 offset:swizzle(BROADCAST,32,15)
	s_wait_dscnt 0x0
	v_and_b32_e32 v101, v102, v101
	v_or_b32_e32 v102, 31, v103
	s_delay_alu instid0(VALU_DEP_2) | instskip(NEXT) | instid1(VALU_DEP_2)
	v_add_nc_u32_e32 v36, v36, v101
	v_cmpx_eq_u32_e64 v44, v102
; %bb.50:
	v_lshlrev_b32_e32 v101, 2, v62
	ds_store_b32 v101, v36
; %bb.51:
	s_wait_alu 0xfffe
	s_or_b32 exec_lo, exec_lo, s1
	s_delay_alu instid0(SALU_CYCLE_1)
	s_mov_b32 s1, exec_lo
	s_wait_loadcnt_dscnt 0x0
	s_barrier_signal -1
	s_barrier_wait -1
	global_inv scope:SCOPE_SE
	v_cmpx_gt_u32_e32 4, v44
	s_cbranch_execz .LBB92_53
; %bb.52:
	v_lshlrev_b32_e32 v101, 2, v44
	ds_load_b32 v102, v101
	s_wait_dscnt 0x0
	v_mov_b32_dpp v104, v102 row_shr:1 row_mask:0xf bank_mask:0xf
	v_and_b32_e32 v103, 3, v67
	s_delay_alu instid0(VALU_DEP_1) | instskip(SKIP_1) | instid1(VALU_DEP_3)
	v_cmp_ne_u32_e32 vcc_lo, 0, v103
	s_wait_alu 0xfffd
	v_cndmask_b32_e32 v104, 0, v104, vcc_lo
	v_cmp_lt_u32_e32 vcc_lo, 1, v103
	s_delay_alu instid0(VALU_DEP_2) | instskip(NEXT) | instid1(VALU_DEP_1)
	v_add_nc_u32_e32 v102, v104, v102
	v_mov_b32_dpp v104, v102 row_shr:2 row_mask:0xf bank_mask:0xf
	s_wait_alu 0xfffd
	s_delay_alu instid0(VALU_DEP_1) | instskip(NEXT) | instid1(VALU_DEP_1)
	v_cndmask_b32_e32 v103, 0, v104, vcc_lo
	v_add_nc_u32_e32 v102, v102, v103
	ds_store_b32 v101, v102
.LBB92_53:
	s_wait_alu 0xfffe
	s_or_b32 exec_lo, exec_lo, s1
	v_mov_b32_e32 v101, 0
	s_mov_b32 s1, exec_lo
	s_wait_loadcnt_dscnt 0x0
	s_barrier_signal -1
	s_barrier_wait -1
	global_inv scope:SCOPE_SE
	v_cmpx_lt_u32_e32 31, v44
; %bb.54:
	v_lshl_add_u32 v101, v62, 2, -4
	ds_load_b32 v101, v101
; %bb.55:
	s_wait_alu 0xfffe
	s_or_b32 exec_lo, exec_lo, s1
	v_sub_co_u32 v102, vcc_lo, v67, 1
	s_wait_dscnt 0x0
	v_add_nc_u32_e32 v36, v101, v36
	s_delay_alu instid0(VALU_DEP_2) | instskip(SKIP_1) | instid1(VALU_DEP_1)
	v_cmp_gt_i32_e64 s1, 0, v102
	s_wait_alu 0xf1ff
	v_cndmask_b32_e64 v102, v102, v67, s1
	s_delay_alu instid0(VALU_DEP_1)
	v_lshlrev_b32_e32 v102, 2, v102
	ds_bpermute_b32 v36, v102, v36
	s_wait_dscnt 0x0
	s_wait_alu 0xfffd
	v_cndmask_b32_e32 v36, v36, v101, vcc_lo
	v_cmp_ne_u32_e32 vcc_lo, 0, v44
	s_wait_alu 0xfffd
	s_delay_alu instid0(VALU_DEP_2) | instskip(NEXT) | instid1(VALU_DEP_1)
	v_cndmask_b32_e32 v36, 0, v36, vcc_lo
	v_add_nc_u32_e32 v37, v36, v37
	s_delay_alu instid0(VALU_DEP_1) | instskip(NEXT) | instid1(VALU_DEP_1)
	v_add_nc_u32_e32 v38, v37, v38
	v_add_nc_u32_e32 v39, v38, v39
	s_delay_alu instid0(VALU_DEP_1) | instskip(NEXT) | instid1(VALU_DEP_1)
	v_add_nc_u32_e32 v101, v39, v40
	;; [unrolled: 3-line block ×3, first 2 shown]
	v_add_nc_u32_e32 v104, v103, v35
	ds_store_b128 v66, v[36:39] offset:16
	ds_store_b128 v66, v[101:104] offset:32
	s_wait_loadcnt_dscnt 0x0
	s_barrier_signal -1
	s_barrier_wait -1
	global_inv scope:SCOPE_SE
	ds_load_b32 v33, v79 offset:16
	ds_load_b32 v34, v82 offset:16
	;; [unrolled: 1-line block ×8, first 2 shown]
	v_mad_u32_u24 v79, v44, 56, v57
	s_wait_loadcnt_dscnt 0x0
	s_barrier_signal -1
	s_barrier_wait -1
	global_inv scope:SCOPE_SE
	v_add_nc_u32_e32 v78, v33, v78
	v_add3_u32 v80, v81, v80, v34
	v_add3_u32 v35, v84, v83, v35
	;; [unrolled: 1-line block ×7, first 2 shown]
	ds_store_b8 v78, v0
	ds_store_b8 v80, v71
	;; [unrolled: 1-line block ×8, first 2 shown]
	v_lshlrev_b32_e32 v0, 3, v78
	v_lshlrev_b32_e32 v71, 3, v80
	;; [unrolled: 1-line block ×5, first 2 shown]
	s_wait_loadcnt_dscnt 0x0
	s_barrier_signal -1
	s_barrier_wait -1
	global_inv scope:SCOPE_SE
	ds_load_b64 v[33:34], v57
	s_wait_loadcnt_dscnt 0x0
	s_barrier_signal -1
	s_barrier_wait -1
	global_inv scope:SCOPE_SE
	v_lshlrev_b32_e32 v38, 3, v38
	v_lshlrev_b32_e32 v39, 3, v39
	;; [unrolled: 1-line block ×3, first 2 shown]
	ds_store_b64 v0, v[25:26]
	ds_store_b64 v71, v[27:28]
	;; [unrolled: 1-line block ×8, first 2 shown]
	s_wait_loadcnt_dscnt 0x0
	s_barrier_signal -1
	s_barrier_wait -1
	global_inv scope:SCOPE_SE
	ds_load_b128 v[29:32], v79
	ds_load_b128 v[25:28], v79 offset:16
	ds_load_b128 v[21:24], v79 offset:32
	;; [unrolled: 1-line block ×3, first 2 shown]
	s_branch .LBB92_87
.LBB92_56:
	v_lshlrev_b64_e32 v[1:2], 3, v[41:42]
	v_dual_mov_b32 v43, v42 :: v_dual_mov_b32 v10, v42
	v_dual_mov_b32 v9, v42 :: v_dual_mov_b32 v12, v42
	v_mov_b32_e32 v11, v42
	s_delay_alu instid0(VALU_DEP_4) | instskip(NEXT) | instid1(VALU_DEP_1)
	v_add_co_u32 v1, vcc_lo, s16, v1
	v_add_co_ci_u32_e64 v2, null, s17, v2, vcc_lo
	v_dual_mov_b32 v3, v42 :: v_dual_mov_b32 v6, v42
	v_dual_mov_b32 v5, v42 :: v_dual_mov_b32 v8, v42
	global_load_b64 v[13:14], v[1:2], off
	v_dual_mov_b32 v1, v42 :: v_dual_mov_b32 v4, v42
	v_dual_mov_b32 v2, v42 :: v_dual_mov_b32 v7, v42
	s_or_b32 exec_lo, exec_lo, s1
	s_and_saveexec_b32 s1, s3
	s_cbranch_execz .LBB92_25
.LBB92_57:
	v_mul_lo_u32 v30, s12, v28
	v_mov_b32_e32 v31, 0
	s_delay_alu instid0(VALU_DEP_1) | instskip(NEXT) | instid1(VALU_DEP_1)
	v_lshlrev_b64_e32 v[30:31], 3, v[30:31]
	v_add_co_u32 v30, vcc_lo, s16, v30
	s_wait_alu 0xfffd
	s_delay_alu instid0(VALU_DEP_2)
	v_add_co_ci_u32_e64 v31, null, s17, v31, vcc_lo
	global_load_b64 v[42:43], v[30:31], off
	s_or_b32 exec_lo, exec_lo, s1
	s_and_saveexec_b32 s1, s4
	s_cbranch_execz .LBB92_26
.LBB92_58:
	v_mul_lo_u32 v9, s12, v24
	v_mov_b32_e32 v10, 0
	s_delay_alu instid0(VALU_DEP_1) | instskip(NEXT) | instid1(VALU_DEP_1)
	v_lshlrev_b64_e32 v[9:10], 3, v[9:10]
	v_add_co_u32 v9, vcc_lo, s16, v9
	s_wait_alu 0xfffd
	s_delay_alu instid0(VALU_DEP_2)
	v_add_co_ci_u32_e64 v10, null, s17, v10, vcc_lo
	global_load_b64 v[9:10], v[9:10], off
	s_or_b32 exec_lo, exec_lo, s1
	s_and_saveexec_b32 s1, s5
	s_cbranch_execz .LBB92_27
.LBB92_59:
	v_mul_lo_u32 v11, s12, v21
	v_mov_b32_e32 v12, 0
	s_delay_alu instid0(VALU_DEP_1) | instskip(NEXT) | instid1(VALU_DEP_1)
	v_lshlrev_b64_e32 v[11:12], 3, v[11:12]
	v_add_co_u32 v11, vcc_lo, s16, v11
	s_wait_alu 0xfffd
	s_delay_alu instid0(VALU_DEP_2)
	v_add_co_ci_u32_e64 v12, null, s17, v12, vcc_lo
	global_load_b64 v[11:12], v[11:12], off
	s_or_b32 exec_lo, exec_lo, s1
	s_and_saveexec_b32 s1, s6
	s_cbranch_execz .LBB92_28
.LBB92_60:
	v_mul_lo_u32 v1, s12, v19
	v_mov_b32_e32 v2, 0
	s_delay_alu instid0(VALU_DEP_1) | instskip(NEXT) | instid1(VALU_DEP_1)
	v_lshlrev_b64_e32 v[1:2], 3, v[1:2]
	v_add_co_u32 v1, vcc_lo, s16, v1
	s_wait_alu 0xfffd
	s_delay_alu instid0(VALU_DEP_2)
	v_add_co_ci_u32_e64 v2, null, s17, v2, vcc_lo
	global_load_b64 v[1:2], v[1:2], off
	s_or_b32 exec_lo, exec_lo, s1
	s_and_saveexec_b32 s1, s7
	s_cbranch_execz .LBB92_29
.LBB92_61:
	v_mul_lo_u32 v3, s12, v17
	v_mov_b32_e32 v4, 0
	s_delay_alu instid0(VALU_DEP_1) | instskip(NEXT) | instid1(VALU_DEP_1)
	v_lshlrev_b64_e32 v[3:4], 3, v[3:4]
	v_add_co_u32 v3, vcc_lo, s16, v3
	s_wait_alu 0xfffd
	s_delay_alu instid0(VALU_DEP_2)
	v_add_co_ci_u32_e64 v4, null, s17, v4, vcc_lo
	global_load_b64 v[3:4], v[3:4], off
	s_or_b32 exec_lo, exec_lo, s1
	s_and_saveexec_b32 s1, s8
	s_cbranch_execz .LBB92_30
.LBB92_62:
	v_mul_lo_u32 v5, s12, v16
	v_mov_b32_e32 v6, 0
	s_delay_alu instid0(VALU_DEP_1) | instskip(NEXT) | instid1(VALU_DEP_1)
	v_lshlrev_b64_e32 v[5:6], 3, v[5:6]
	v_add_co_u32 v5, vcc_lo, s16, v5
	s_wait_alu 0xfffd
	s_delay_alu instid0(VALU_DEP_2)
	v_add_co_ci_u32_e64 v6, null, s17, v6, vcc_lo
	global_load_b64 v[5:6], v[5:6], off
	s_or_b32 exec_lo, exec_lo, s1
	s_and_saveexec_b32 s1, s0
	s_cbranch_execnz .LBB92_31
	s_branch .LBB92_32
.LBB92_63:
                                        ; implicit-def: $vgpr19_vgpr20
                                        ; implicit-def: $vgpr23_vgpr24
                                        ; implicit-def: $vgpr27_vgpr28
                                        ; implicit-def: $vgpr31_vgpr32
                                        ; implicit-def: $vgpr34
	s_cbranch_execz .LBB92_87
; %bb.64:
	v_or_b32_e32 v0, v67, v68
	s_getpc_b64 s[20:21]
	s_sext_i32_i16 s21, s21
	s_add_co_u32 s20, s20, _ZN7rocprim17ROCPRIM_400000_NS16block_radix_sortIhLj128ELj8ElLj1ELj1ELj0ELNS0_26block_radix_rank_algorithmE1ELNS0_18block_padding_hintE2ELNS0_4arch9wavefront6targetE0EE19radix_bits_per_passE@rel32@lo+8
	s_add_co_ci_u32 s21, s21, _ZN7rocprim17ROCPRIM_400000_NS16block_radix_sortIhLj128ELj8ElLj1ELj1ELj0ELNS0_26block_radix_rank_algorithmE1ELNS0_18block_padding_hintE2ELNS0_4arch9wavefront6targetE0EE19radix_bits_per_passE@rel32@hi+16
	s_wait_dscnt 0x0
	v_not_b32_e32 v18, v46
	s_load_b32 s1, s[20:21], 0x0
	s_mov_b32 s20, 0
	v_not_b32_e32 v17, v45
	v_and_or_b32 v20, 0x1f00, v57, v67
	s_mov_b32 s21, s20
	s_mov_b32 s22, s20
	;; [unrolled: 1-line block ×3, first 2 shown]
	v_lshlrev_b32_e32 v19, 3, v0
	ds_store_b64 v19, v[17:18]
	; wave barrier
	ds_load_u8 v24, v20
	v_mad_u32_u24 v0, v0, 56, v19
	ds_load_u8 v25, v20 offset:32
	ds_load_u8 v26, v20 offset:64
	;; [unrolled: 1-line block ×7, first 2 shown]
	s_wait_loadcnt_dscnt 0x0
	s_barrier_signal -1
	s_wait_kmcnt 0x0
	s_min_u32 s1, s1, 8
	s_barrier_wait -1
	s_lshl_b32 s1, -1, s1
	global_inv scope:SCOPE_SE
	s_not_b32 s9, s1
	ds_store_b128 v0, v[13:16]
	ds_store_b128 v0, v[9:12] offset:16
	v_mad_u32_u24 v17, v20, 7, v20
	ds_store_b128 v0, v[5:8] offset:32
	ds_store_b128 v0, v[1:4] offset:48
	; wave barrier
	ds_load_2addr_b64 v[0:3], v17 offset1:32
	ds_load_2addr_b64 v[8:11], v17 offset0:64 offset1:96
	ds_load_2addr_b64 v[4:7], v17 offset0:128 offset1:160
	s_wait_alu 0xfffe
	v_and_b32_e32 v22, s9, v24
	s_delay_alu instid0(VALU_DEP_1) | instskip(SKIP_2) | instid1(VALU_DEP_3)
	v_and_b32_e32 v12, 1, v22
	v_lshlrev_b32_e32 v16, 30, v22
	v_lshlrev_b32_e32 v20, 28, v22
	v_add_co_u32 v18, s1, v12, -1
	s_delay_alu instid0(VALU_DEP_1)
	v_cndmask_b32_e64 v19, 0, 1, s1
	ds_load_2addr_b64 v[12:15], v17 offset0:192 offset1:224
	v_not_b32_e32 v17, v16
	v_cmp_gt_i32_e64 s1, 0, v16
	s_wait_loadcnt_dscnt 0x0
	v_cmp_ne_u32_e32 vcc_lo, 0, v19
	v_lshlrev_b32_e32 v19, 29, v22
	v_ashrrev_i32_e32 v16, 31, v17
	s_barrier_signal -1
	s_barrier_wait -1
	s_wait_alu 0xfffd
	v_xor_b32_e32 v17, vcc_lo, v18
	v_not_b32_e32 v18, v19
	s_wait_alu 0xf1ff
	v_xor_b32_e32 v16, s1, v16
	v_cmp_gt_i32_e32 vcc_lo, 0, v19
	v_not_b32_e32 v19, v20
	v_and_b32_e32 v17, exec_lo, v17
	v_ashrrev_i32_e32 v18, 31, v18
	global_inv scope:SCOPE_SE
	s_load_b32 s1, s[18:19], 0xc
	v_ashrrev_i32_e32 v19, 31, v19
	v_and_b32_e32 v16, v17, v16
	v_lshlrev_b32_e32 v17, 27, v22
	v_xor_b32_e32 v18, vcc_lo, v18
	v_cmp_gt_i32_e32 vcc_lo, 0, v20
	s_delay_alu instid0(VALU_DEP_3) | instskip(NEXT) | instid1(VALU_DEP_3)
	v_not_b32_e32 v20, v17
	v_and_b32_e32 v16, v16, v18
	v_lshlrev_b32_e32 v18, 26, v22
	s_wait_alu 0xfffd
	v_xor_b32_e32 v19, vcc_lo, v19
	v_cmp_gt_i32_e32 vcc_lo, 0, v17
	v_ashrrev_i32_e32 v17, 31, v20
	v_not_b32_e32 v20, v18
	s_delay_alu instid0(VALU_DEP_4)
	v_and_b32_e32 v16, v16, v19
	v_lshlrev_b32_e32 v19, 25, v22
	s_wait_alu 0xfffd
	v_xor_b32_e32 v17, vcc_lo, v17
	v_cmp_gt_i32_e32 vcc_lo, 0, v18
	v_ashrrev_i32_e32 v18, 31, v20
	s_wait_kmcnt 0x0
	s_lshr_b32 s11, s1, 16
	v_not_b32_e32 v20, v19
	v_and_b32_e32 v16, v16, v17
	v_lshlrev_b32_e32 v17, 24, v22
	s_wait_alu 0xfffd
	v_xor_b32_e32 v18, vcc_lo, v18
	v_cmp_gt_i32_e32 vcc_lo, 0, v19
	v_ashrrev_i32_e32 v19, 31, v20
	s_wait_alu 0xfffe
	v_mad_u32_u24 v21, v70, s11, v69
	v_not_b32_e32 v20, v17
	v_and_b32_e32 v18, v16, v18
	s_and_b32 s1, s1, 0xffff
	s_wait_alu 0xfffd
	v_xor_b32_e32 v19, vcc_lo, v19
	v_cmp_gt_i32_e32 vcc_lo, 0, v17
	v_ashrrev_i32_e32 v20, 31, v20
	s_wait_alu 0xfffe
	v_mad_co_u64_u32 v[16:17], null, v21, s1, v[44:45]
	v_and_b32_e32 v17, v18, v19
	s_wait_alu 0xfffd
	v_xor_b32_e32 v23, vcc_lo, v20
	v_dual_mov_b32 v18, s20 :: v_dual_mov_b32 v19, s21
	v_dual_mov_b32 v20, s22 :: v_dual_mov_b32 v21, s23
	s_delay_alu instid0(VALU_DEP_3)
	v_and_b32_e32 v17, v17, v23
	v_and_b32_e32 v22, 0xff, v22
	v_lshrrev_b32_e32 v16, 3, v16
	ds_store_b128 v66, v[18:21] offset:16
	ds_store_b128 v66, v[18:21] offset:32
	v_mbcnt_lo_u32_b32 v32, v17, 0
	v_lshlrev_b32_e32 v18, 4, v22
	v_and_b32_e32 v16, 0x1ffffffc, v16
	v_cmp_ne_u32_e64 s1, 0, v17
	s_wait_loadcnt_dscnt 0x0
	v_cmp_eq_u32_e32 vcc_lo, 0, v32
	s_barrier_signal -1
	v_add_nc_u32_e32 v33, v16, v18
	s_barrier_wait -1
	global_inv scope:SCOPE_SE
	s_and_b32 s11, s1, vcc_lo
	; wave barrier
	s_wait_alu 0xfffe
	s_and_saveexec_b32 s1, s11
; %bb.65:
	v_bcnt_u32_b32 v17, v17, 0
	ds_store_b32 v33, v17 offset:16
; %bb.66:
	s_wait_alu 0xfffe
	s_or_b32 exec_lo, exec_lo, s1
	v_and_b32_e32 v17, s9, v25
	; wave barrier
	s_delay_alu instid0(VALU_DEP_1)
	v_and_b32_e32 v19, 1, v17
	v_lshlrev_b32_e32 v20, 30, v17
	v_lshlrev_b32_e32 v21, 29, v17
	;; [unrolled: 1-line block ×4, first 2 shown]
	v_add_co_u32 v19, s1, v19, -1
	s_wait_alu 0xf1ff
	v_cndmask_b32_e64 v23, 0, 1, s1
	v_not_b32_e32 v37, v20
	v_cmp_gt_i32_e64 s1, 0, v20
	v_not_b32_e32 v20, v21
	v_lshlrev_b32_e32 v35, 26, v17
	v_cmp_ne_u32_e32 vcc_lo, 0, v23
	v_ashrrev_i32_e32 v23, 31, v37
	v_lshlrev_b32_e32 v36, 25, v17
	v_ashrrev_i32_e32 v20, 31, v20
	v_and_b32_e32 v18, 0xff, v17
	s_wait_alu 0xfffd
	v_xor_b32_e32 v19, vcc_lo, v19
	v_cmp_gt_i32_e32 vcc_lo, 0, v21
	v_not_b32_e32 v21, v22
	s_wait_alu 0xf1ff
	v_xor_b32_e32 v23, s1, v23
	v_cmp_gt_i32_e64 s1, 0, v22
	v_and_b32_e32 v19, exec_lo, v19
	v_not_b32_e32 v22, v34
	v_ashrrev_i32_e32 v21, 31, v21
	s_wait_alu 0xfffd
	v_xor_b32_e32 v20, vcc_lo, v20
	v_cmp_gt_i32_e32 vcc_lo, 0, v34
	v_and_b32_e32 v19, v19, v23
	v_not_b32_e32 v23, v35
	v_ashrrev_i32_e32 v22, 31, v22
	s_wait_alu 0xf1ff
	v_xor_b32_e32 v21, s1, v21
	v_lshlrev_b32_e32 v17, 24, v17
	v_and_b32_e32 v19, v19, v20
	v_cmp_gt_i32_e64 s1, 0, v35
	v_not_b32_e32 v20, v36
	v_ashrrev_i32_e32 v23, 31, v23
	s_wait_alu 0xfffd
	v_xor_b32_e32 v22, vcc_lo, v22
	v_and_b32_e32 v19, v19, v21
	v_cmp_gt_i32_e32 vcc_lo, 0, v36
	v_not_b32_e32 v21, v17
	v_ashrrev_i32_e32 v20, 31, v20
	s_wait_alu 0xf1ff
	v_xor_b32_e32 v23, s1, v23
	v_and_b32_e32 v19, v19, v22
	v_lshlrev_b32_e32 v18, 4, v18
	v_cmp_gt_i32_e64 s1, 0, v17
	v_ashrrev_i32_e32 v17, 31, v21
	s_wait_alu 0xfffd
	v_xor_b32_e32 v20, vcc_lo, v20
	v_and_b32_e32 v19, v19, v23
	v_add_nc_u32_e32 v36, v16, v18
	s_wait_alu 0xf1ff
	v_xor_b32_e32 v17, s1, v17
	s_delay_alu instid0(VALU_DEP_3) | instskip(SKIP_2) | instid1(VALU_DEP_1)
	v_and_b32_e32 v18, v19, v20
	ds_load_b32 v34, v36 offset:16
	; wave barrier
	v_and_b32_e32 v17, v18, v17
	v_mbcnt_lo_u32_b32 v35, v17, 0
	v_cmp_ne_u32_e64 s1, 0, v17
	s_delay_alu instid0(VALU_DEP_2)
	v_cmp_eq_u32_e32 vcc_lo, 0, v35
	s_and_b32 s11, s1, vcc_lo
	s_wait_alu 0xfffe
	s_and_saveexec_b32 s1, s11
	s_cbranch_execz .LBB92_68
; %bb.67:
	s_wait_dscnt 0x0
	v_bcnt_u32_b32 v17, v17, v34
	ds_store_b32 v36, v17 offset:16
.LBB92_68:
	s_wait_alu 0xfffe
	s_or_b32 exec_lo, exec_lo, s1
	v_and_b32_e32 v17, s9, v26
	; wave barrier
	s_delay_alu instid0(VALU_DEP_1)
	v_and_b32_e32 v19, 1, v17
	v_lshlrev_b32_e32 v20, 30, v17
	v_lshlrev_b32_e32 v21, 29, v17
	;; [unrolled: 1-line block ×4, first 2 shown]
	v_add_co_u32 v19, s1, v19, -1
	s_wait_alu 0xf1ff
	v_cndmask_b32_e64 v23, 0, 1, s1
	v_not_b32_e32 v40, v20
	v_cmp_gt_i32_e64 s1, 0, v20
	v_not_b32_e32 v20, v21
	v_lshlrev_b32_e32 v38, 26, v17
	v_cmp_ne_u32_e32 vcc_lo, 0, v23
	v_ashrrev_i32_e32 v23, 31, v40
	v_lshlrev_b32_e32 v39, 25, v17
	v_ashrrev_i32_e32 v20, 31, v20
	v_and_b32_e32 v18, 0xff, v17
	s_wait_alu 0xfffd
	v_xor_b32_e32 v19, vcc_lo, v19
	v_cmp_gt_i32_e32 vcc_lo, 0, v21
	v_not_b32_e32 v21, v22
	s_wait_alu 0xf1ff
	v_xor_b32_e32 v23, s1, v23
	v_cmp_gt_i32_e64 s1, 0, v22
	v_and_b32_e32 v19, exec_lo, v19
	v_not_b32_e32 v22, v37
	v_ashrrev_i32_e32 v21, 31, v21
	s_wait_alu 0xfffd
	v_xor_b32_e32 v20, vcc_lo, v20
	v_cmp_gt_i32_e32 vcc_lo, 0, v37
	v_and_b32_e32 v19, v19, v23
	v_not_b32_e32 v23, v38
	v_ashrrev_i32_e32 v22, 31, v22
	s_wait_alu 0xf1ff
	v_xor_b32_e32 v21, s1, v21
	v_lshlrev_b32_e32 v17, 24, v17
	v_and_b32_e32 v19, v19, v20
	v_cmp_gt_i32_e64 s1, 0, v38
	v_not_b32_e32 v20, v39
	v_ashrrev_i32_e32 v23, 31, v23
	s_wait_alu 0xfffd
	v_xor_b32_e32 v22, vcc_lo, v22
	v_and_b32_e32 v19, v19, v21
	v_cmp_gt_i32_e32 vcc_lo, 0, v39
	v_not_b32_e32 v21, v17
	v_ashrrev_i32_e32 v20, 31, v20
	s_wait_alu 0xf1ff
	v_xor_b32_e32 v23, s1, v23
	v_and_b32_e32 v19, v19, v22
	v_lshlrev_b32_e32 v18, 4, v18
	v_cmp_gt_i32_e64 s1, 0, v17
	v_ashrrev_i32_e32 v17, 31, v21
	s_wait_alu 0xfffd
	v_xor_b32_e32 v20, vcc_lo, v20
	v_and_b32_e32 v19, v19, v23
	v_add_nc_u32_e32 v39, v16, v18
	s_wait_alu 0xf1ff
	v_xor_b32_e32 v17, s1, v17
	s_delay_alu instid0(VALU_DEP_3) | instskip(SKIP_2) | instid1(VALU_DEP_1)
	v_and_b32_e32 v18, v19, v20
	ds_load_b32 v37, v39 offset:16
	; wave barrier
	v_and_b32_e32 v17, v18, v17
	v_mbcnt_lo_u32_b32 v38, v17, 0
	v_cmp_ne_u32_e64 s1, 0, v17
	s_delay_alu instid0(VALU_DEP_2)
	v_cmp_eq_u32_e32 vcc_lo, 0, v38
	s_and_b32 s11, s1, vcc_lo
	s_wait_alu 0xfffe
	s_and_saveexec_b32 s1, s11
	s_cbranch_execz .LBB92_70
; %bb.69:
	s_wait_dscnt 0x0
	v_bcnt_u32_b32 v17, v17, v37
	ds_store_b32 v39, v17 offset:16
.LBB92_70:
	s_wait_alu 0xfffe
	s_or_b32 exec_lo, exec_lo, s1
	v_and_b32_e32 v17, s9, v27
	; wave barrier
	s_delay_alu instid0(VALU_DEP_1)
	v_and_b32_e32 v19, 1, v17
	v_lshlrev_b32_e32 v20, 30, v17
	v_lshlrev_b32_e32 v21, 29, v17
	v_lshlrev_b32_e32 v22, 28, v17
	v_lshlrev_b32_e32 v40, 27, v17
	v_add_co_u32 v19, s1, v19, -1
	s_wait_alu 0xf1ff
	v_cndmask_b32_e64 v23, 0, 1, s1
	v_not_b32_e32 v69, v20
	v_cmp_gt_i32_e64 s1, 0, v20
	v_not_b32_e32 v20, v21
	v_lshlrev_b32_e32 v45, 26, v17
	v_cmp_ne_u32_e32 vcc_lo, 0, v23
	v_ashrrev_i32_e32 v23, 31, v69
	v_lshlrev_b32_e32 v46, 25, v17
	v_ashrrev_i32_e32 v20, 31, v20
	v_and_b32_e32 v18, 0xff, v17
	s_wait_alu 0xfffd
	v_xor_b32_e32 v19, vcc_lo, v19
	v_cmp_gt_i32_e32 vcc_lo, 0, v21
	v_not_b32_e32 v21, v22
	s_wait_alu 0xf1ff
	v_xor_b32_e32 v23, s1, v23
	v_cmp_gt_i32_e64 s1, 0, v22
	v_and_b32_e32 v19, exec_lo, v19
	v_not_b32_e32 v22, v40
	v_ashrrev_i32_e32 v21, 31, v21
	s_wait_alu 0xfffd
	v_xor_b32_e32 v20, vcc_lo, v20
	v_cmp_gt_i32_e32 vcc_lo, 0, v40
	v_and_b32_e32 v19, v19, v23
	v_not_b32_e32 v23, v45
	v_ashrrev_i32_e32 v22, 31, v22
	s_wait_alu 0xf1ff
	v_xor_b32_e32 v21, s1, v21
	v_lshlrev_b32_e32 v17, 24, v17
	v_and_b32_e32 v19, v19, v20
	v_cmp_gt_i32_e64 s1, 0, v45
	v_not_b32_e32 v20, v46
	v_ashrrev_i32_e32 v23, 31, v23
	s_wait_alu 0xfffd
	v_xor_b32_e32 v22, vcc_lo, v22
	v_and_b32_e32 v19, v19, v21
	v_cmp_gt_i32_e32 vcc_lo, 0, v46
	v_not_b32_e32 v21, v17
	v_ashrrev_i32_e32 v20, 31, v20
	s_wait_alu 0xf1ff
	v_xor_b32_e32 v23, s1, v23
	v_and_b32_e32 v19, v19, v22
	v_lshlrev_b32_e32 v18, 4, v18
	v_cmp_gt_i32_e64 s1, 0, v17
	v_ashrrev_i32_e32 v17, 31, v21
	s_wait_alu 0xfffd
	v_xor_b32_e32 v20, vcc_lo, v20
	v_and_b32_e32 v19, v19, v23
	v_add_nc_u32_e32 v46, v16, v18
	s_wait_alu 0xf1ff
	v_xor_b32_e32 v17, s1, v17
	s_delay_alu instid0(VALU_DEP_3) | instskip(SKIP_2) | instid1(VALU_DEP_1)
	v_and_b32_e32 v18, v19, v20
	ds_load_b32 v40, v46 offset:16
	; wave barrier
	v_and_b32_e32 v17, v18, v17
	v_mbcnt_lo_u32_b32 v45, v17, 0
	v_cmp_ne_u32_e64 s1, 0, v17
	s_delay_alu instid0(VALU_DEP_2)
	v_cmp_eq_u32_e32 vcc_lo, 0, v45
	s_and_b32 s11, s1, vcc_lo
	s_wait_alu 0xfffe
	s_and_saveexec_b32 s1, s11
	s_cbranch_execz .LBB92_72
; %bb.71:
	s_wait_dscnt 0x0
	v_bcnt_u32_b32 v17, v17, v40
	ds_store_b32 v46, v17 offset:16
.LBB92_72:
	s_wait_alu 0xfffe
	s_or_b32 exec_lo, exec_lo, s1
	v_and_b32_e32 v17, s9, v28
	; wave barrier
	s_delay_alu instid0(VALU_DEP_1)
	v_and_b32_e32 v19, 1, v17
	v_lshlrev_b32_e32 v20, 30, v17
	v_lshlrev_b32_e32 v21, 29, v17
	;; [unrolled: 1-line block ×4, first 2 shown]
	v_add_co_u32 v19, s1, v19, -1
	s_wait_alu 0xf1ff
	v_cndmask_b32_e64 v23, 0, 1, s1
	v_not_b32_e32 v72, v20
	v_cmp_gt_i32_e64 s1, 0, v20
	v_not_b32_e32 v20, v21
	v_lshlrev_b32_e32 v70, 26, v17
	v_cmp_ne_u32_e32 vcc_lo, 0, v23
	v_ashrrev_i32_e32 v23, 31, v72
	v_lshlrev_b32_e32 v71, 25, v17
	v_ashrrev_i32_e32 v20, 31, v20
	v_and_b32_e32 v18, 0xff, v17
	s_wait_alu 0xfffd
	v_xor_b32_e32 v19, vcc_lo, v19
	v_cmp_gt_i32_e32 vcc_lo, 0, v21
	v_not_b32_e32 v21, v22
	s_wait_alu 0xf1ff
	v_xor_b32_e32 v23, s1, v23
	v_cmp_gt_i32_e64 s1, 0, v22
	v_and_b32_e32 v19, exec_lo, v19
	v_not_b32_e32 v22, v69
	v_ashrrev_i32_e32 v21, 31, v21
	s_wait_alu 0xfffd
	v_xor_b32_e32 v20, vcc_lo, v20
	v_cmp_gt_i32_e32 vcc_lo, 0, v69
	v_and_b32_e32 v19, v19, v23
	v_not_b32_e32 v23, v70
	v_ashrrev_i32_e32 v22, 31, v22
	s_wait_alu 0xf1ff
	v_xor_b32_e32 v21, s1, v21
	v_lshlrev_b32_e32 v17, 24, v17
	v_and_b32_e32 v19, v19, v20
	v_cmp_gt_i32_e64 s1, 0, v70
	v_not_b32_e32 v20, v71
	v_ashrrev_i32_e32 v23, 31, v23
	s_wait_alu 0xfffd
	v_xor_b32_e32 v22, vcc_lo, v22
	v_and_b32_e32 v19, v19, v21
	v_cmp_gt_i32_e32 vcc_lo, 0, v71
	v_not_b32_e32 v21, v17
	v_ashrrev_i32_e32 v20, 31, v20
	s_wait_alu 0xf1ff
	v_xor_b32_e32 v23, s1, v23
	v_and_b32_e32 v19, v19, v22
	v_lshlrev_b32_e32 v18, 4, v18
	v_cmp_gt_i32_e64 s1, 0, v17
	v_ashrrev_i32_e32 v17, 31, v21
	s_wait_alu 0xfffd
	v_xor_b32_e32 v20, vcc_lo, v20
	v_and_b32_e32 v19, v19, v23
	v_add_nc_u32_e32 v71, v16, v18
	s_wait_alu 0xf1ff
	v_xor_b32_e32 v17, s1, v17
	s_delay_alu instid0(VALU_DEP_3) | instskip(SKIP_2) | instid1(VALU_DEP_1)
	v_and_b32_e32 v18, v19, v20
	ds_load_b32 v69, v71 offset:16
	; wave barrier
	v_and_b32_e32 v17, v18, v17
	v_mbcnt_lo_u32_b32 v70, v17, 0
	v_cmp_ne_u32_e64 s1, 0, v17
	s_delay_alu instid0(VALU_DEP_2)
	v_cmp_eq_u32_e32 vcc_lo, 0, v70
	s_and_b32 s11, s1, vcc_lo
	s_wait_alu 0xfffe
	s_and_saveexec_b32 s1, s11
	s_cbranch_execz .LBB92_74
; %bb.73:
	s_wait_dscnt 0x0
	v_bcnt_u32_b32 v17, v17, v69
	ds_store_b32 v71, v17 offset:16
.LBB92_74:
	s_wait_alu 0xfffe
	s_or_b32 exec_lo, exec_lo, s1
	v_and_b32_e32 v17, s9, v29
	; wave barrier
	s_delay_alu instid0(VALU_DEP_1)
	v_and_b32_e32 v19, 1, v17
	v_lshlrev_b32_e32 v20, 30, v17
	v_lshlrev_b32_e32 v21, 29, v17
	;; [unrolled: 1-line block ×4, first 2 shown]
	v_add_co_u32 v19, s1, v19, -1
	s_wait_alu 0xf1ff
	v_cndmask_b32_e64 v23, 0, 1, s1
	v_not_b32_e32 v75, v20
	v_cmp_gt_i32_e64 s1, 0, v20
	v_not_b32_e32 v20, v21
	v_lshlrev_b32_e32 v73, 26, v17
	v_cmp_ne_u32_e32 vcc_lo, 0, v23
	v_ashrrev_i32_e32 v23, 31, v75
	v_lshlrev_b32_e32 v74, 25, v17
	v_ashrrev_i32_e32 v20, 31, v20
	v_and_b32_e32 v18, 0xff, v17
	s_wait_alu 0xfffd
	v_xor_b32_e32 v19, vcc_lo, v19
	v_cmp_gt_i32_e32 vcc_lo, 0, v21
	v_not_b32_e32 v21, v22
	s_wait_alu 0xf1ff
	v_xor_b32_e32 v23, s1, v23
	v_cmp_gt_i32_e64 s1, 0, v22
	v_and_b32_e32 v19, exec_lo, v19
	v_not_b32_e32 v22, v72
	v_ashrrev_i32_e32 v21, 31, v21
	s_wait_alu 0xfffd
	v_xor_b32_e32 v20, vcc_lo, v20
	v_cmp_gt_i32_e32 vcc_lo, 0, v72
	v_and_b32_e32 v19, v19, v23
	v_not_b32_e32 v23, v73
	v_ashrrev_i32_e32 v22, 31, v22
	s_wait_alu 0xf1ff
	v_xor_b32_e32 v21, s1, v21
	v_lshlrev_b32_e32 v17, 24, v17
	v_and_b32_e32 v19, v19, v20
	v_cmp_gt_i32_e64 s1, 0, v73
	v_not_b32_e32 v20, v74
	v_ashrrev_i32_e32 v23, 31, v23
	s_wait_alu 0xfffd
	v_xor_b32_e32 v22, vcc_lo, v22
	v_and_b32_e32 v19, v19, v21
	v_cmp_gt_i32_e32 vcc_lo, 0, v74
	v_not_b32_e32 v21, v17
	v_ashrrev_i32_e32 v20, 31, v20
	s_wait_alu 0xf1ff
	v_xor_b32_e32 v23, s1, v23
	v_and_b32_e32 v19, v19, v22
	v_lshlrev_b32_e32 v18, 4, v18
	v_cmp_gt_i32_e64 s1, 0, v17
	v_ashrrev_i32_e32 v17, 31, v21
	s_wait_alu 0xfffd
	v_xor_b32_e32 v20, vcc_lo, v20
	v_and_b32_e32 v19, v19, v23
	v_add_nc_u32_e32 v74, v16, v18
	s_wait_alu 0xf1ff
	v_xor_b32_e32 v17, s1, v17
	s_delay_alu instid0(VALU_DEP_3) | instskip(SKIP_2) | instid1(VALU_DEP_1)
	v_and_b32_e32 v18, v19, v20
	ds_load_b32 v72, v74 offset:16
	; wave barrier
	v_and_b32_e32 v17, v18, v17
	v_mbcnt_lo_u32_b32 v73, v17, 0
	v_cmp_ne_u32_e64 s1, 0, v17
	s_delay_alu instid0(VALU_DEP_2)
	v_cmp_eq_u32_e32 vcc_lo, 0, v73
	s_and_b32 s11, s1, vcc_lo
	s_wait_alu 0xfffe
	s_and_saveexec_b32 s1, s11
	s_cbranch_execz .LBB92_76
; %bb.75:
	s_wait_dscnt 0x0
	v_bcnt_u32_b32 v17, v17, v72
	ds_store_b32 v74, v17 offset:16
.LBB92_76:
	s_wait_alu 0xfffe
	s_or_b32 exec_lo, exec_lo, s1
	v_and_b32_e32 v17, s9, v30
	; wave barrier
	s_delay_alu instid0(VALU_DEP_1)
	v_and_b32_e32 v19, 1, v17
	v_lshlrev_b32_e32 v20, 30, v17
	v_lshlrev_b32_e32 v21, 29, v17
	;; [unrolled: 1-line block ×4, first 2 shown]
	v_add_co_u32 v19, s1, v19, -1
	s_wait_alu 0xf1ff
	v_cndmask_b32_e64 v23, 0, 1, s1
	v_not_b32_e32 v78, v20
	v_cmp_gt_i32_e64 s1, 0, v20
	v_not_b32_e32 v20, v21
	v_lshlrev_b32_e32 v76, 26, v17
	v_cmp_ne_u32_e32 vcc_lo, 0, v23
	v_ashrrev_i32_e32 v23, 31, v78
	v_lshlrev_b32_e32 v77, 25, v17
	v_ashrrev_i32_e32 v20, 31, v20
	v_and_b32_e32 v18, 0xff, v17
	s_wait_alu 0xfffd
	v_xor_b32_e32 v19, vcc_lo, v19
	v_cmp_gt_i32_e32 vcc_lo, 0, v21
	v_not_b32_e32 v21, v22
	s_wait_alu 0xf1ff
	v_xor_b32_e32 v23, s1, v23
	v_cmp_gt_i32_e64 s1, 0, v22
	v_and_b32_e32 v19, exec_lo, v19
	v_not_b32_e32 v22, v75
	v_ashrrev_i32_e32 v21, 31, v21
	s_wait_alu 0xfffd
	v_xor_b32_e32 v20, vcc_lo, v20
	v_cmp_gt_i32_e32 vcc_lo, 0, v75
	v_and_b32_e32 v19, v19, v23
	v_not_b32_e32 v23, v76
	v_ashrrev_i32_e32 v22, 31, v22
	s_wait_alu 0xf1ff
	v_xor_b32_e32 v21, s1, v21
	v_lshlrev_b32_e32 v17, 24, v17
	v_and_b32_e32 v19, v19, v20
	v_cmp_gt_i32_e64 s1, 0, v76
	v_not_b32_e32 v20, v77
	v_ashrrev_i32_e32 v23, 31, v23
	s_wait_alu 0xfffd
	v_xor_b32_e32 v22, vcc_lo, v22
	v_and_b32_e32 v19, v19, v21
	v_cmp_gt_i32_e32 vcc_lo, 0, v77
	v_not_b32_e32 v21, v17
	v_ashrrev_i32_e32 v20, 31, v20
	s_wait_alu 0xf1ff
	v_xor_b32_e32 v23, s1, v23
	v_and_b32_e32 v19, v19, v22
	v_lshlrev_b32_e32 v18, 4, v18
	v_cmp_gt_i32_e64 s1, 0, v17
	v_ashrrev_i32_e32 v17, 31, v21
	s_wait_alu 0xfffd
	v_xor_b32_e32 v20, vcc_lo, v20
	v_and_b32_e32 v19, v19, v23
	v_add_nc_u32_e32 v77, v16, v18
	s_wait_alu 0xf1ff
	v_xor_b32_e32 v17, s1, v17
	s_delay_alu instid0(VALU_DEP_3) | instskip(SKIP_2) | instid1(VALU_DEP_1)
	v_and_b32_e32 v18, v19, v20
	ds_load_b32 v75, v77 offset:16
	; wave barrier
	v_and_b32_e32 v17, v18, v17
	v_mbcnt_lo_u32_b32 v76, v17, 0
	v_cmp_ne_u32_e64 s1, 0, v17
	s_delay_alu instid0(VALU_DEP_2)
	v_cmp_eq_u32_e32 vcc_lo, 0, v76
	s_and_b32 s11, s1, vcc_lo
	s_wait_alu 0xfffe
	s_and_saveexec_b32 s1, s11
	s_cbranch_execz .LBB92_78
; %bb.77:
	s_wait_dscnt 0x0
	v_bcnt_u32_b32 v17, v17, v75
	ds_store_b32 v77, v17 offset:16
.LBB92_78:
	s_wait_alu 0xfffe
	s_or_b32 exec_lo, exec_lo, s1
	v_and_b32_e32 v17, s9, v31
	; wave barrier
	s_delay_alu instid0(VALU_DEP_1)
	v_and_b32_e32 v19, 1, v17
	v_lshlrev_b32_e32 v20, 30, v17
	v_lshlrev_b32_e32 v21, 29, v17
	;; [unrolled: 1-line block ×4, first 2 shown]
	v_add_co_u32 v19, s1, v19, -1
	s_wait_alu 0xf1ff
	v_cndmask_b32_e64 v23, 0, 1, s1
	v_not_b32_e32 v81, v20
	v_cmp_gt_i32_e64 s1, 0, v20
	v_not_b32_e32 v20, v21
	v_lshlrev_b32_e32 v79, 26, v17
	v_cmp_ne_u32_e32 vcc_lo, 0, v23
	v_ashrrev_i32_e32 v23, 31, v81
	v_lshlrev_b32_e32 v80, 25, v17
	v_ashrrev_i32_e32 v20, 31, v20
	v_and_b32_e32 v18, 0xff, v17
	s_wait_alu 0xfffd
	v_xor_b32_e32 v19, vcc_lo, v19
	v_cmp_gt_i32_e32 vcc_lo, 0, v21
	v_not_b32_e32 v21, v22
	s_wait_alu 0xf1ff
	v_xor_b32_e32 v23, s1, v23
	v_cmp_gt_i32_e64 s1, 0, v22
	v_and_b32_e32 v19, exec_lo, v19
	v_not_b32_e32 v22, v78
	v_ashrrev_i32_e32 v21, 31, v21
	s_wait_alu 0xfffd
	v_xor_b32_e32 v20, vcc_lo, v20
	v_cmp_gt_i32_e32 vcc_lo, 0, v78
	v_and_b32_e32 v19, v19, v23
	v_not_b32_e32 v23, v79
	v_ashrrev_i32_e32 v22, 31, v22
	s_wait_alu 0xf1ff
	v_xor_b32_e32 v21, s1, v21
	v_lshlrev_b32_e32 v17, 24, v17
	v_and_b32_e32 v19, v19, v20
	v_cmp_gt_i32_e64 s1, 0, v79
	v_not_b32_e32 v20, v80
	v_ashrrev_i32_e32 v23, 31, v23
	s_wait_alu 0xfffd
	v_xor_b32_e32 v22, vcc_lo, v22
	v_and_b32_e32 v19, v19, v21
	v_cmp_gt_i32_e32 vcc_lo, 0, v80
	v_not_b32_e32 v21, v17
	v_ashrrev_i32_e32 v20, 31, v20
	s_wait_alu 0xf1ff
	v_xor_b32_e32 v23, s1, v23
	v_and_b32_e32 v19, v19, v22
	v_lshlrev_b32_e32 v18, 4, v18
	v_cmp_gt_i32_e64 s1, 0, v17
	v_ashrrev_i32_e32 v17, 31, v21
	s_wait_alu 0xfffd
	v_xor_b32_e32 v20, vcc_lo, v20
	v_and_b32_e32 v19, v19, v23
	v_add_nc_u32_e32 v80, v16, v18
	s_wait_alu 0xf1ff
	v_xor_b32_e32 v16, s1, v17
	s_delay_alu instid0(VALU_DEP_3) | instskip(SKIP_2) | instid1(VALU_DEP_1)
	v_and_b32_e32 v17, v19, v20
	ds_load_b32 v78, v80 offset:16
	; wave barrier
	v_and_b32_e32 v16, v17, v16
	v_mbcnt_lo_u32_b32 v79, v16, 0
	v_cmp_ne_u32_e64 s1, 0, v16
	s_delay_alu instid0(VALU_DEP_2)
	v_cmp_eq_u32_e32 vcc_lo, 0, v79
	s_and_b32 s9, s1, vcc_lo
	s_wait_alu 0xfffe
	s_and_saveexec_b32 s1, s9
	s_cbranch_execz .LBB92_80
; %bb.79:
	s_wait_dscnt 0x0
	v_bcnt_u32_b32 v16, v16, v78
	ds_store_b32 v80, v16 offset:16
.LBB92_80:
	s_wait_alu 0xfffe
	s_or_b32 exec_lo, exec_lo, s1
	; wave barrier
	s_wait_loadcnt_dscnt 0x0
	s_barrier_signal -1
	s_barrier_wait -1
	global_inv scope:SCOPE_SE
	ds_load_b128 v[20:23], v66 offset:16
	ds_load_b128 v[16:19], v66 offset:32
	v_min_u32_e32 v68, 0x60, v68
	s_mov_b32 s1, exec_lo
	s_delay_alu instid0(VALU_DEP_1) | instskip(SKIP_2) | instid1(VALU_DEP_1)
	v_or_b32_e32 v68, 31, v68
	s_wait_dscnt 0x1
	v_add_nc_u32_e32 v81, v21, v20
	v_add3_u32 v81, v81, v22, v23
	s_wait_dscnt 0x0
	s_delay_alu instid0(VALU_DEP_1) | instskip(NEXT) | instid1(VALU_DEP_1)
	v_add3_u32 v81, v81, v16, v17
	v_add3_u32 v19, v81, v18, v19
	v_and_b32_e32 v81, 15, v67
	s_delay_alu instid0(VALU_DEP_2) | instskip(NEXT) | instid1(VALU_DEP_2)
	v_mov_b32_dpp v82, v19 row_shr:1 row_mask:0xf bank_mask:0xf
	v_cmp_ne_u32_e32 vcc_lo, 0, v81
	s_wait_alu 0xfffd
	s_delay_alu instid0(VALU_DEP_2) | instskip(SKIP_1) | instid1(VALU_DEP_2)
	v_cndmask_b32_e32 v82, 0, v82, vcc_lo
	v_cmp_lt_u32_e32 vcc_lo, 1, v81
	v_add_nc_u32_e32 v19, v82, v19
	s_delay_alu instid0(VALU_DEP_1) | instskip(SKIP_1) | instid1(VALU_DEP_1)
	v_mov_b32_dpp v82, v19 row_shr:2 row_mask:0xf bank_mask:0xf
	s_wait_alu 0xfffd
	v_cndmask_b32_e32 v82, 0, v82, vcc_lo
	v_cmp_lt_u32_e32 vcc_lo, 3, v81
	s_delay_alu instid0(VALU_DEP_2) | instskip(NEXT) | instid1(VALU_DEP_1)
	v_add_nc_u32_e32 v19, v19, v82
	v_mov_b32_dpp v82, v19 row_shr:4 row_mask:0xf bank_mask:0xf
	s_wait_alu 0xfffd
	s_delay_alu instid0(VALU_DEP_1) | instskip(SKIP_1) | instid1(VALU_DEP_2)
	v_cndmask_b32_e32 v82, 0, v82, vcc_lo
	v_cmp_lt_u32_e32 vcc_lo, 7, v81
	v_add_nc_u32_e32 v19, v19, v82
	s_delay_alu instid0(VALU_DEP_1) | instskip(SKIP_1) | instid1(VALU_DEP_1)
	v_mov_b32_dpp v82, v19 row_shr:8 row_mask:0xf bank_mask:0xf
	s_wait_alu 0xfffd
	v_cndmask_b32_e32 v81, 0, v82, vcc_lo
	v_bfe_i32 v82, v67, 4, 1
	s_delay_alu instid0(VALU_DEP_2) | instskip(SKIP_3) | instid1(VALU_DEP_1)
	v_add_nc_u32_e32 v19, v19, v81
	ds_swizzle_b32 v81, v19 offset:swizzle(BROADCAST,32,15)
	s_wait_dscnt 0x0
	v_and_b32_e32 v81, v82, v81
	v_add_nc_u32_e32 v19, v19, v81
	v_cmpx_eq_u32_e64 v44, v68
; %bb.81:
	v_lshlrev_b32_e32 v68, 2, v62
	ds_store_b32 v68, v19
; %bb.82:
	s_wait_alu 0xfffe
	s_or_b32 exec_lo, exec_lo, s1
	s_delay_alu instid0(SALU_CYCLE_1)
	s_mov_b32 s1, exec_lo
	s_wait_loadcnt_dscnt 0x0
	s_barrier_signal -1
	s_barrier_wait -1
	global_inv scope:SCOPE_SE
	v_cmpx_gt_u32_e32 4, v44
	s_cbranch_execz .LBB92_84
; %bb.83:
	v_and_b32_e32 v82, 3, v67
	s_delay_alu instid0(VALU_DEP_1)
	v_cmp_ne_u32_e32 vcc_lo, 0, v82
	v_lshlrev_b32_e32 v68, 2, v44
	ds_load_b32 v81, v68
	s_wait_dscnt 0x0
	v_mov_b32_dpp v83, v81 row_shr:1 row_mask:0xf bank_mask:0xf
	s_wait_alu 0xfffd
	s_delay_alu instid0(VALU_DEP_1) | instskip(SKIP_1) | instid1(VALU_DEP_2)
	v_cndmask_b32_e32 v83, 0, v83, vcc_lo
	v_cmp_lt_u32_e32 vcc_lo, 1, v82
	v_add_nc_u32_e32 v81, v83, v81
	s_delay_alu instid0(VALU_DEP_1) | instskip(SKIP_1) | instid1(VALU_DEP_1)
	v_mov_b32_dpp v83, v81 row_shr:2 row_mask:0xf bank_mask:0xf
	s_wait_alu 0xfffd
	v_cndmask_b32_e32 v82, 0, v83, vcc_lo
	s_delay_alu instid0(VALU_DEP_1)
	v_add_nc_u32_e32 v81, v81, v82
	ds_store_b32 v68, v81
.LBB92_84:
	s_wait_alu 0xfffe
	s_or_b32 exec_lo, exec_lo, s1
	v_mov_b32_e32 v68, 0
	s_mov_b32 s1, exec_lo
	s_wait_loadcnt_dscnt 0x0
	s_barrier_signal -1
	s_barrier_wait -1
	global_inv scope:SCOPE_SE
	v_cmpx_lt_u32_e32 31, v44
; %bb.85:
	v_lshl_add_u32 v62, v62, 2, -4
	ds_load_b32 v68, v62
; %bb.86:
	s_wait_alu 0xfffe
	s_or_b32 exec_lo, exec_lo, s1
	v_sub_co_u32 v62, vcc_lo, v67, 1
	s_wait_dscnt 0x0
	v_add_nc_u32_e32 v19, v68, v19
	s_delay_alu instid0(VALU_DEP_2) | instskip(SKIP_1) | instid1(VALU_DEP_1)
	v_cmp_gt_i32_e64 s1, 0, v62
	s_wait_alu 0xf1ff
	v_cndmask_b32_e64 v62, v62, v67, s1
	s_delay_alu instid0(VALU_DEP_1)
	v_lshlrev_b32_e32 v62, 2, v62
	ds_bpermute_b32 v19, v62, v19
	s_wait_dscnt 0x0
	s_wait_alu 0xfffd
	v_cndmask_b32_e32 v19, v19, v68, vcc_lo
	v_cmp_ne_u32_e32 vcc_lo, 0, v44
	s_wait_alu 0xfffd
	s_delay_alu instid0(VALU_DEP_2) | instskip(NEXT) | instid1(VALU_DEP_1)
	v_cndmask_b32_e32 v19, 0, v19, vcc_lo
	v_add_nc_u32_e32 v20, v19, v20
	s_delay_alu instid0(VALU_DEP_1) | instskip(NEXT) | instid1(VALU_DEP_1)
	v_add_nc_u32_e32 v21, v20, v21
	v_add_nc_u32_e32 v22, v21, v22
	s_delay_alu instid0(VALU_DEP_1) | instskip(NEXT) | instid1(VALU_DEP_1)
	v_add_nc_u32_e32 v81, v22, v23
	;; [unrolled: 3-line block ×3, first 2 shown]
	v_add_nc_u32_e32 v84, v83, v18
	ds_store_b128 v66, v[19:22] offset:16
	ds_store_b128 v66, v[81:84] offset:32
	s_wait_loadcnt_dscnt 0x0
	s_barrier_signal -1
	s_barrier_wait -1
	global_inv scope:SCOPE_SE
	ds_load_b32 v16, v33 offset:16
	ds_load_b32 v17, v36 offset:16
	;; [unrolled: 1-line block ×8, first 2 shown]
	v_mad_u32_u24 v36, v44, 56, v57
	s_wait_loadcnt_dscnt 0x0
	s_barrier_signal -1
	s_barrier_wait -1
	global_inv scope:SCOPE_SE
	v_add_nc_u32_e32 v16, v16, v32
	v_add3_u32 v17, v35, v34, v17
	v_add3_u32 v18, v38, v37, v18
	;; [unrolled: 1-line block ×7, first 2 shown]
	ds_store_b8 v16, v24
	ds_store_b8 v17, v25
	;; [unrolled: 1-line block ×8, first 2 shown]
	v_lshlrev_b32_e32 v16, 3, v16
	v_lshlrev_b32_e32 v17, 3, v17
	;; [unrolled: 1-line block ×8, first 2 shown]
	s_wait_loadcnt_dscnt 0x0
	s_barrier_signal -1
	s_barrier_wait -1
	global_inv scope:SCOPE_SE
	ds_load_b64 v[33:34], v57
	s_wait_loadcnt_dscnt 0x0
	s_barrier_signal -1
	s_barrier_wait -1
	global_inv scope:SCOPE_SE
	ds_store_b64 v16, v[0:1]
	ds_store_b64 v17, v[2:3]
	;; [unrolled: 1-line block ×8, first 2 shown]
	s_wait_loadcnt_dscnt 0x0
	s_barrier_signal -1
	s_barrier_wait -1
	global_inv scope:SCOPE_SE
	ds_load_b128 v[29:32], v36
	ds_load_b128 v[25:28], v36 offset:16
	ds_load_b128 v[21:24], v36 offset:32
	;; [unrolled: 1-line block ×3, first 2 shown]
	v_not_b32_e32 v33, v33
	v_not_b32_e32 v34, v34
.LBB92_87:
	s_wait_loadcnt_dscnt 0x0
	s_barrier_signal -1
	s_barrier_wait -1
	global_inv scope:SCOPE_SE
	ds_store_2addr_b32 v56, v33, v34 offset1:1
	s_wait_loadcnt_dscnt 0x0
	s_barrier_signal -1
	s_barrier_wait -1
	global_inv scope:SCOPE_SE
	ds_load_u8 v8, v49 offset:128
	ds_load_u8 v7, v50 offset:256
	;; [unrolled: 1-line block ×7, first 2 shown]
	v_add_co_u32 v0, s1, s14, v47
	s_wait_alu 0xf1ff
	v_add_co_ci_u32_e64 v1, null, s15, 0, s1
	s_and_saveexec_b32 s1, s2
	s_cbranch_execnz .LBB92_106
; %bb.88:
	s_wait_alu 0xfffe
	s_or_b32 exec_lo, exec_lo, s1
	s_and_saveexec_b32 s1, s3
	s_cbranch_execnz .LBB92_107
.LBB92_89:
	s_wait_alu 0xfffe
	s_or_b32 exec_lo, exec_lo, s1
	s_and_saveexec_b32 s1, s4
	s_cbranch_execnz .LBB92_108
.LBB92_90:
	s_wait_alu 0xfffe
	s_or_b32 exec_lo, exec_lo, s1
	s_and_saveexec_b32 s1, s5
	s_cbranch_execnz .LBB92_109
.LBB92_91:
	s_wait_alu 0xfffe
	s_or_b32 exec_lo, exec_lo, s1
	s_and_saveexec_b32 s1, s6
	s_cbranch_execnz .LBB92_110
.LBB92_92:
	s_wait_alu 0xfffe
	s_or_b32 exec_lo, exec_lo, s1
	s_and_saveexec_b32 s1, s7
	s_cbranch_execnz .LBB92_111
.LBB92_93:
	s_wait_alu 0xfffe
	s_or_b32 exec_lo, exec_lo, s1
	s_and_saveexec_b32 s1, s8
	s_cbranch_execnz .LBB92_112
.LBB92_94:
	s_wait_alu 0xfffe
	s_or_b32 exec_lo, exec_lo, s1
	s_and_saveexec_b32 s1, s0
	s_cbranch_execz .LBB92_96
.LBB92_95:
	s_mul_i32 s9, s10, 0x380
	s_wait_alu 0xfffe
	v_add_co_u32 v0, vcc_lo, v0, s9
	s_wait_alu 0xfffd
	v_add_co_ci_u32_e64 v1, null, 0, v1, vcc_lo
	s_wait_dscnt 0x0
	global_store_b8 v[0:1], v2, off
.LBB92_96:
	s_wait_alu 0xfffe
	s_or_b32 exec_lo, exec_lo, s1
	s_wait_storecnt 0x0
	s_wait_loadcnt_dscnt 0x0
	s_barrier_signal -1
	s_barrier_wait -1
	global_inv scope:SCOPE_SE
	ds_store_2addr_b64 v65, v[29:30], v[31:32] offset1:1
	ds_store_2addr_b64 v65, v[25:26], v[27:28] offset0:2 offset1:3
	ds_store_2addr_b64 v65, v[21:22], v[23:24] offset0:4 offset1:5
	;; [unrolled: 1-line block ×3, first 2 shown]
	s_wait_loadcnt_dscnt 0x0
	s_barrier_signal -1
	s_barrier_wait -1
	global_inv scope:SCOPE_SE
	ds_load_b64 v[14:15], v59 offset:1024
	ds_load_b64 v[12:13], v60 offset:2048
	;; [unrolled: 1-line block ×7, first 2 shown]
	v_mov_b32_e32 v42, 0
	s_delay_alu instid0(VALU_DEP_1) | instskip(NEXT) | instid1(VALU_DEP_1)
	v_lshlrev_b64_e32 v[2:3], 3, v[41:42]
	v_add_co_u32 v2, vcc_lo, s16, v2
	s_wait_alu 0xfffd
	s_delay_alu instid0(VALU_DEP_2)
	v_add_co_ci_u32_e64 v3, null, s17, v3, vcc_lo
	s_and_saveexec_b32 s1, s2
	s_cbranch_execnz .LBB92_113
; %bb.97:
	s_wait_alu 0xfffe
	s_or_b32 exec_lo, exec_lo, s1
	s_and_saveexec_b32 s1, s3
	s_cbranch_execnz .LBB92_114
.LBB92_98:
	s_wait_alu 0xfffe
	s_or_b32 exec_lo, exec_lo, s1
	s_and_saveexec_b32 s1, s4
	s_cbranch_execnz .LBB92_115
.LBB92_99:
	s_wait_alu 0xfffe
	s_or_b32 exec_lo, exec_lo, s1
	s_and_saveexec_b32 s1, s5
	s_cbranch_execnz .LBB92_116
.LBB92_100:
	s_wait_alu 0xfffe
	s_or_b32 exec_lo, exec_lo, s1
	s_and_saveexec_b32 s1, s6
	s_cbranch_execnz .LBB92_117
.LBB92_101:
	s_wait_alu 0xfffe
	s_or_b32 exec_lo, exec_lo, s1
	s_and_saveexec_b32 s1, s7
	s_cbranch_execnz .LBB92_118
.LBB92_102:
	s_wait_alu 0xfffe
	s_or_b32 exec_lo, exec_lo, s1
	s_and_saveexec_b32 s1, s8
	s_cbranch_execnz .LBB92_119
.LBB92_103:
	s_wait_alu 0xfffe
	s_or_b32 exec_lo, exec_lo, s1
	s_and_saveexec_b32 s1, s0
	s_cbranch_execz .LBB92_105
.LBB92_104:
	s_mul_i32 s0, s12, 0x380
	s_mov_b32 s1, 0
	s_wait_alu 0xfffe
	s_lshl_b64 s[0:1], s[0:1], 3
	s_wait_alu 0xfffe
	v_add_co_u32 v2, vcc_lo, v2, s0
	s_wait_alu 0xfffd
	v_add_co_ci_u32_e64 v3, null, s1, v3, vcc_lo
	s_wait_dscnt 0x0
	global_store_b64 v[2:3], v[0:1], off
.LBB92_105:
	s_nop 0
	s_sendmsg sendmsg(MSG_DEALLOC_VGPRS)
	s_endpgm
.LBB92_106:
	ds_load_u8 v9, v48
	s_wait_dscnt 0x0
	global_store_b8 v[0:1], v9, off
	s_wait_alu 0xfffe
	s_or_b32 exec_lo, exec_lo, s1
	s_and_saveexec_b32 s1, s3
	s_cbranch_execz .LBB92_89
.LBB92_107:
	s_lshl_b32 s9, s10, 7
	s_wait_alu 0xfffe
	v_add_co_u32 v9, vcc_lo, v0, s9
	s_wait_alu 0xfffd
	v_add_co_ci_u32_e64 v10, null, 0, v1, vcc_lo
	s_wait_dscnt 0x6
	global_store_b8 v[9:10], v8, off
	s_or_b32 exec_lo, exec_lo, s1
	s_and_saveexec_b32 s1, s4
	s_cbranch_execz .LBB92_90
.LBB92_108:
	s_lshl_b32 s9, s10, 8
	s_wait_dscnt 0x6
	s_wait_alu 0xfffe
	v_add_co_u32 v8, vcc_lo, v0, s9
	s_wait_alu 0xfffd
	v_add_co_ci_u32_e64 v9, null, 0, v1, vcc_lo
	s_wait_dscnt 0x5
	global_store_b8 v[8:9], v7, off
	s_or_b32 exec_lo, exec_lo, s1
	s_and_saveexec_b32 s1, s5
	s_cbranch_execz .LBB92_91
.LBB92_109:
	s_mul_i32 s9, s10, 0x180
	s_wait_dscnt 0x5
	s_wait_alu 0xfffe
	v_add_co_u32 v7, vcc_lo, v0, s9
	s_wait_alu 0xfffd
	v_add_co_ci_u32_e64 v8, null, 0, v1, vcc_lo
	s_wait_dscnt 0x4
	global_store_b8 v[7:8], v6, off
	s_or_b32 exec_lo, exec_lo, s1
	s_and_saveexec_b32 s1, s6
	s_cbranch_execz .LBB92_92
.LBB92_110:
	s_lshl_b32 s9, s10, 9
	s_wait_dscnt 0x4
	s_wait_alu 0xfffe
	v_add_co_u32 v6, vcc_lo, v0, s9
	s_wait_alu 0xfffd
	v_add_co_ci_u32_e64 v7, null, 0, v1, vcc_lo
	s_wait_dscnt 0x3
	global_store_b8 v[6:7], v5, off
	s_or_b32 exec_lo, exec_lo, s1
	s_and_saveexec_b32 s1, s7
	s_cbranch_execz .LBB92_93
.LBB92_111:
	s_mul_i32 s9, s10, 0x280
	s_wait_dscnt 0x3
	s_wait_alu 0xfffe
	v_add_co_u32 v5, vcc_lo, v0, s9
	s_wait_alu 0xfffd
	v_add_co_ci_u32_e64 v6, null, 0, v1, vcc_lo
	s_wait_dscnt 0x2
	global_store_b8 v[5:6], v4, off
	s_or_b32 exec_lo, exec_lo, s1
	s_and_saveexec_b32 s1, s8
	s_cbranch_execz .LBB92_94
.LBB92_112:
	s_mul_i32 s9, s10, 0x300
	s_wait_dscnt 0x2
	s_wait_alu 0xfffe
	v_add_co_u32 v4, vcc_lo, v0, s9
	s_wait_alu 0xfffd
	v_add_co_ci_u32_e64 v5, null, 0, v1, vcc_lo
	s_wait_dscnt 0x1
	global_store_b8 v[4:5], v3, off
	s_or_b32 exec_lo, exec_lo, s1
	s_and_saveexec_b32 s1, s0
	s_cbranch_execnz .LBB92_95
	s_branch .LBB92_96
.LBB92_113:
	ds_load_b64 v[16:17], v58
	s_wait_dscnt 0x0
	global_store_b64 v[2:3], v[16:17], off
	s_wait_alu 0xfffe
	s_or_b32 exec_lo, exec_lo, s1
	s_and_saveexec_b32 s1, s3
	s_cbranch_execz .LBB92_98
.LBB92_114:
	s_lshl_b32 s2, s12, 7
	s_mov_b32 s3, 0
	s_delay_alu instid0(SALU_CYCLE_1) | instskip(NEXT) | instid1(SALU_CYCLE_1)
	s_lshl_b64 s[2:3], s[2:3], 3
	v_add_co_u32 v16, vcc_lo, v2, s2
	s_wait_alu 0xfffd
	v_add_co_ci_u32_e64 v17, null, s3, v3, vcc_lo
	s_wait_dscnt 0x6
	global_store_b64 v[16:17], v[14:15], off
	s_wait_alu 0xfffe
	s_or_b32 exec_lo, exec_lo, s1
	s_and_saveexec_b32 s1, s4
	s_cbranch_execz .LBB92_99
.LBB92_115:
	s_lshl_b32 s2, s12, 8
	s_mov_b32 s3, 0
	s_wait_alu 0xfffe
	s_lshl_b64 s[2:3], s[2:3], 3
	s_wait_dscnt 0x6
	s_wait_alu 0xfffe
	v_add_co_u32 v14, vcc_lo, v2, s2
	s_wait_alu 0xfffd
	v_add_co_ci_u32_e64 v15, null, s3, v3, vcc_lo
	s_wait_dscnt 0x5
	global_store_b64 v[14:15], v[12:13], off
	s_or_b32 exec_lo, exec_lo, s1
	s_and_saveexec_b32 s1, s5
	s_cbranch_execz .LBB92_100
.LBB92_116:
	s_mul_i32 s2, s12, 0x180
	s_mov_b32 s3, 0
	s_wait_alu 0xfffe
	s_lshl_b64 s[2:3], s[2:3], 3
	s_wait_dscnt 0x5
	s_wait_alu 0xfffe
	v_add_co_u32 v12, vcc_lo, v2, s2
	s_wait_alu 0xfffd
	v_add_co_ci_u32_e64 v13, null, s3, v3, vcc_lo
	s_wait_dscnt 0x4
	global_store_b64 v[12:13], v[10:11], off
	s_or_b32 exec_lo, exec_lo, s1
	s_and_saveexec_b32 s1, s6
	s_cbranch_execz .LBB92_101
.LBB92_117:
	s_lshl_b32 s2, s12, 9
	s_mov_b32 s3, 0
	s_wait_alu 0xfffe
	s_lshl_b64 s[2:3], s[2:3], 3
	s_wait_dscnt 0x4
	s_wait_alu 0xfffe
	v_add_co_u32 v10, vcc_lo, v2, s2
	s_wait_alu 0xfffd
	v_add_co_ci_u32_e64 v11, null, s3, v3, vcc_lo
	s_wait_dscnt 0x3
	global_store_b64 v[10:11], v[8:9], off
	s_or_b32 exec_lo, exec_lo, s1
	s_and_saveexec_b32 s1, s7
	s_cbranch_execz .LBB92_102
.LBB92_118:
	s_mul_i32 s2, s12, 0x280
	s_mov_b32 s3, 0
	s_wait_alu 0xfffe
	s_lshl_b64 s[2:3], s[2:3], 3
	s_wait_dscnt 0x3
	s_wait_alu 0xfffe
	v_add_co_u32 v8, vcc_lo, v2, s2
	s_wait_alu 0xfffd
	v_add_co_ci_u32_e64 v9, null, s3, v3, vcc_lo
	s_wait_dscnt 0x2
	global_store_b64 v[8:9], v[6:7], off
	s_or_b32 exec_lo, exec_lo, s1
	s_and_saveexec_b32 s1, s8
	s_cbranch_execz .LBB92_103
.LBB92_119:
	s_mul_i32 s2, s12, 0x300
	s_mov_b32 s3, 0
	s_wait_alu 0xfffe
	s_lshl_b64 s[2:3], s[2:3], 3
	s_wait_dscnt 0x2
	s_wait_alu 0xfffe
	v_add_co_u32 v6, vcc_lo, v2, s2
	s_wait_alu 0xfffd
	v_add_co_ci_u32_e64 v7, null, s3, v3, vcc_lo
	s_wait_dscnt 0x1
	global_store_b64 v[6:7], v[4:5], off
	s_or_b32 exec_lo, exec_lo, s1
	s_and_saveexec_b32 s1, s0
	s_cbranch_execnz .LBB92_104
	s_branch .LBB92_105
	.section	.rodata,"a",@progbits
	.p2align	6, 0x0
	.amdhsa_kernel _ZN2at6native18radixSortKVInPlaceILin1ELin1ELi128ELi8EhljEEvNS_4cuda6detail10TensorInfoIT3_T5_EES6_S6_S6_NS4_IT4_S6_EES6_b
		.amdhsa_group_segment_fixed_size 8448
		.amdhsa_private_segment_fixed_size 0
		.amdhsa_kernarg_size 712
		.amdhsa_user_sgpr_count 2
		.amdhsa_user_sgpr_dispatch_ptr 0
		.amdhsa_user_sgpr_queue_ptr 0
		.amdhsa_user_sgpr_kernarg_segment_ptr 1
		.amdhsa_user_sgpr_dispatch_id 0
		.amdhsa_user_sgpr_private_segment_size 0
		.amdhsa_wavefront_size32 1
		.amdhsa_uses_dynamic_stack 0
		.amdhsa_enable_private_segment 0
		.amdhsa_system_sgpr_workgroup_id_x 1
		.amdhsa_system_sgpr_workgroup_id_y 1
		.amdhsa_system_sgpr_workgroup_id_z 1
		.amdhsa_system_sgpr_workgroup_info 0
		.amdhsa_system_vgpr_workitem_id 2
		.amdhsa_next_free_vgpr 105
		.amdhsa_next_free_sgpr 24
		.amdhsa_reserve_vcc 1
		.amdhsa_float_round_mode_32 0
		.amdhsa_float_round_mode_16_64 0
		.amdhsa_float_denorm_mode_32 3
		.amdhsa_float_denorm_mode_16_64 3
		.amdhsa_fp16_overflow 0
		.amdhsa_workgroup_processor_mode 1
		.amdhsa_memory_ordered 1
		.amdhsa_forward_progress 1
		.amdhsa_inst_pref_size 101
		.amdhsa_round_robin_scheduling 0
		.amdhsa_exception_fp_ieee_invalid_op 0
		.amdhsa_exception_fp_denorm_src 0
		.amdhsa_exception_fp_ieee_div_zero 0
		.amdhsa_exception_fp_ieee_overflow 0
		.amdhsa_exception_fp_ieee_underflow 0
		.amdhsa_exception_fp_ieee_inexact 0
		.amdhsa_exception_int_div_zero 0
	.end_amdhsa_kernel
	.section	.text._ZN2at6native18radixSortKVInPlaceILin1ELin1ELi128ELi8EhljEEvNS_4cuda6detail10TensorInfoIT3_T5_EES6_S6_S6_NS4_IT4_S6_EES6_b,"axG",@progbits,_ZN2at6native18radixSortKVInPlaceILin1ELin1ELi128ELi8EhljEEvNS_4cuda6detail10TensorInfoIT3_T5_EES6_S6_S6_NS4_IT4_S6_EES6_b,comdat
.Lfunc_end92:
	.size	_ZN2at6native18radixSortKVInPlaceILin1ELin1ELi128ELi8EhljEEvNS_4cuda6detail10TensorInfoIT3_T5_EES6_S6_S6_NS4_IT4_S6_EES6_b, .Lfunc_end92-_ZN2at6native18radixSortKVInPlaceILin1ELin1ELi128ELi8EhljEEvNS_4cuda6detail10TensorInfoIT3_T5_EES6_S6_S6_NS4_IT4_S6_EES6_b
                                        ; -- End function
	.set _ZN2at6native18radixSortKVInPlaceILin1ELin1ELi128ELi8EhljEEvNS_4cuda6detail10TensorInfoIT3_T5_EES6_S6_S6_NS4_IT4_S6_EES6_b.num_vgpr, 105
	.set _ZN2at6native18radixSortKVInPlaceILin1ELin1ELi128ELi8EhljEEvNS_4cuda6detail10TensorInfoIT3_T5_EES6_S6_S6_NS4_IT4_S6_EES6_b.num_agpr, 0
	.set _ZN2at6native18radixSortKVInPlaceILin1ELin1ELi128ELi8EhljEEvNS_4cuda6detail10TensorInfoIT3_T5_EES6_S6_S6_NS4_IT4_S6_EES6_b.numbered_sgpr, 24
	.set _ZN2at6native18radixSortKVInPlaceILin1ELin1ELi128ELi8EhljEEvNS_4cuda6detail10TensorInfoIT3_T5_EES6_S6_S6_NS4_IT4_S6_EES6_b.num_named_barrier, 0
	.set _ZN2at6native18radixSortKVInPlaceILin1ELin1ELi128ELi8EhljEEvNS_4cuda6detail10TensorInfoIT3_T5_EES6_S6_S6_NS4_IT4_S6_EES6_b.private_seg_size, 0
	.set _ZN2at6native18radixSortKVInPlaceILin1ELin1ELi128ELi8EhljEEvNS_4cuda6detail10TensorInfoIT3_T5_EES6_S6_S6_NS4_IT4_S6_EES6_b.uses_vcc, 1
	.set _ZN2at6native18radixSortKVInPlaceILin1ELin1ELi128ELi8EhljEEvNS_4cuda6detail10TensorInfoIT3_T5_EES6_S6_S6_NS4_IT4_S6_EES6_b.uses_flat_scratch, 0
	.set _ZN2at6native18radixSortKVInPlaceILin1ELin1ELi128ELi8EhljEEvNS_4cuda6detail10TensorInfoIT3_T5_EES6_S6_S6_NS4_IT4_S6_EES6_b.has_dyn_sized_stack, 0
	.set _ZN2at6native18radixSortKVInPlaceILin1ELin1ELi128ELi8EhljEEvNS_4cuda6detail10TensorInfoIT3_T5_EES6_S6_S6_NS4_IT4_S6_EES6_b.has_recursion, 0
	.set _ZN2at6native18radixSortKVInPlaceILin1ELin1ELi128ELi8EhljEEvNS_4cuda6detail10TensorInfoIT3_T5_EES6_S6_S6_NS4_IT4_S6_EES6_b.has_indirect_call, 0
	.section	.AMDGPU.csdata,"",@progbits
; Kernel info:
; codeLenInByte = 12812
; TotalNumSgprs: 26
; NumVgprs: 105
; ScratchSize: 0
; MemoryBound: 0
; FloatMode: 240
; IeeeMode: 1
; LDSByteSize: 8448 bytes/workgroup (compile time only)
; SGPRBlocks: 0
; VGPRBlocks: 13
; NumSGPRsForWavesPerEU: 26
; NumVGPRsForWavesPerEU: 105
; Occupancy: 12
; WaveLimiterHint : 1
; COMPUTE_PGM_RSRC2:SCRATCH_EN: 0
; COMPUTE_PGM_RSRC2:USER_SGPR: 2
; COMPUTE_PGM_RSRC2:TRAP_HANDLER: 0
; COMPUTE_PGM_RSRC2:TGID_X_EN: 1
; COMPUTE_PGM_RSRC2:TGID_Y_EN: 1
; COMPUTE_PGM_RSRC2:TGID_Z_EN: 1
; COMPUTE_PGM_RSRC2:TIDIG_COMP_CNT: 2
	.section	.text._ZN2at6native18radixSortKVInPlaceILin1ELin1ELi32ELi4EhljEEvNS_4cuda6detail10TensorInfoIT3_T5_EES6_S6_S6_NS4_IT4_S6_EES6_b,"axG",@progbits,_ZN2at6native18radixSortKVInPlaceILin1ELin1ELi32ELi4EhljEEvNS_4cuda6detail10TensorInfoIT3_T5_EES6_S6_S6_NS4_IT4_S6_EES6_b,comdat
	.protected	_ZN2at6native18radixSortKVInPlaceILin1ELin1ELi32ELi4EhljEEvNS_4cuda6detail10TensorInfoIT3_T5_EES6_S6_S6_NS4_IT4_S6_EES6_b ; -- Begin function _ZN2at6native18radixSortKVInPlaceILin1ELin1ELi32ELi4EhljEEvNS_4cuda6detail10TensorInfoIT3_T5_EES6_S6_S6_NS4_IT4_S6_EES6_b
	.globl	_ZN2at6native18radixSortKVInPlaceILin1ELin1ELi32ELi4EhljEEvNS_4cuda6detail10TensorInfoIT3_T5_EES6_S6_S6_NS4_IT4_S6_EES6_b
	.p2align	8
	.type	_ZN2at6native18radixSortKVInPlaceILin1ELin1ELi32ELi4EhljEEvNS_4cuda6detail10TensorInfoIT3_T5_EES6_S6_S6_NS4_IT4_S6_EES6_b,@function
_ZN2at6native18radixSortKVInPlaceILin1ELin1ELi32ELi4EhljEEvNS_4cuda6detail10TensorInfoIT3_T5_EES6_S6_S6_NS4_IT4_S6_EES6_b: ; @_ZN2at6native18radixSortKVInPlaceILin1ELin1ELi32ELi4EhljEEvNS_4cuda6detail10TensorInfoIT3_T5_EES6_S6_S6_NS4_IT4_S6_EES6_b
; %bb.0:
	s_clause 0x1
	s_load_b64 s[2:3], s[0:1], 0x1c8
	s_load_b96 s[8:10], s[0:1], 0xd8
	s_lshr_b32 s4, ttmp7, 16
	s_wait_kmcnt 0x0
	s_mul_i32 s3, s3, s4
	s_and_b32 s4, ttmp7, 0xffff
	s_delay_alu instid0(SALU_CYCLE_1) | instskip(NEXT) | instid1(SALU_CYCLE_1)
	s_add_co_i32 s3, s3, s4
	s_mul_i32 s2, s3, s2
	s_delay_alu instid0(SALU_CYCLE_1) | instskip(NEXT) | instid1(SALU_CYCLE_1)
	s_add_co_i32 s11, s2, ttmp9
	s_cmp_ge_u32 s11, s8
	s_cbranch_scc1 .LBB93_57
; %bb.1:
	s_load_b32 s4, s[0:1], 0xd0
	s_mov_b32 s3, 0
	s_mov_b32 s2, s11
	s_wait_kmcnt 0x0
	s_cmp_lt_i32 s4, 2
	s_cbranch_scc1 .LBB93_4
; %bb.2:
	s_add_co_i32 s2, s4, -1
	s_delay_alu instid0(SALU_CYCLE_1)
	s_lshl_b64 s[6:7], s[2:3], 2
	s_mov_b32 s2, s11
	s_add_nc_u64 s[12:13], s[0:1], s[6:7]
	s_add_co_i32 s6, s4, 1
	s_add_nc_u64 s[4:5], s[12:13], 8
.LBB93_3:                               ; =>This Inner Loop Header: Depth=1
	s_clause 0x1
	s_load_b32 s7, s[4:5], 0x0
	s_load_b32 s8, s[4:5], 0x64
	s_mov_b32 s14, s2
	s_add_nc_u64 s[4:5], s[4:5], -4
	s_wait_kmcnt 0x0
	s_cvt_f32_u32 s12, s7
	s_sub_co_i32 s13, 0, s7
	s_wait_alu 0xfffe
	s_delay_alu instid0(SALU_CYCLE_1) | instskip(NEXT) | instid1(TRANS32_DEP_1)
	v_rcp_iflag_f32_e32 v1, s12
	v_readfirstlane_b32 s12, v1
	s_mul_f32 s12, s12, 0x4f7ffffe
	s_wait_alu 0xfffe
	s_delay_alu instid0(SALU_CYCLE_2) | instskip(SKIP_1) | instid1(SALU_CYCLE_2)
	s_cvt_u32_f32 s12, s12
	s_wait_alu 0xfffe
	s_mul_i32 s13, s13, s12
	s_wait_alu 0xfffe
	s_mul_hi_u32 s13, s12, s13
	s_wait_alu 0xfffe
	s_add_co_i32 s12, s12, s13
	s_wait_alu 0xfffe
	s_mul_hi_u32 s2, s2, s12
	s_delay_alu instid0(SALU_CYCLE_1)
	s_mul_i32 s12, s2, s7
	s_add_co_i32 s13, s2, 1
	s_wait_alu 0xfffe
	s_sub_co_i32 s12, s14, s12
	s_wait_alu 0xfffe
	s_sub_co_i32 s15, s12, s7
	s_cmp_ge_u32 s12, s7
	s_cselect_b32 s2, s13, s2
	s_cselect_b32 s12, s15, s12
	s_add_co_i32 s13, s2, 1
	s_wait_alu 0xfffe
	s_cmp_ge_u32 s12, s7
	s_cselect_b32 s2, s13, s2
	s_add_co_i32 s6, s6, -1
	s_mul_i32 s7, s2, s7
	s_delay_alu instid0(SALU_CYCLE_1) | instskip(NEXT) | instid1(SALU_CYCLE_1)
	s_sub_co_i32 s7, s14, s7
	s_mul_i32 s7, s8, s7
	s_delay_alu instid0(SALU_CYCLE_1)
	s_add_co_i32 s3, s7, s3
	s_cmp_gt_u32 s6, 2
	s_cbranch_scc1 .LBB93_3
.LBB93_4:
	s_load_b32 s6, s[0:1], 0x1b8
	s_add_nc_u64 s[18:19], s[0:1], 0x1c8
	s_mov_b32 s5, 0
	s_wait_kmcnt 0x0
	s_cmp_lt_i32 s6, 2
	s_cbranch_scc1 .LBB93_7
; %bb.5:
	s_add_co_i32 s4, s6, -1
	s_delay_alu instid0(SALU_CYCLE_1)
	s_lshl_b64 s[12:13], s[4:5], 2
	s_add_co_i32 s4, s6, 1
	s_wait_alu 0xfffe
	s_add_nc_u64 s[12:13], s[0:1], s[12:13]
	s_wait_alu 0xfffe
	s_add_nc_u64 s[6:7], s[12:13], 0xf0
.LBB93_6:                               ; =>This Inner Loop Header: Depth=1
	s_clause 0x1
	s_load_b32 s8, s[6:7], 0x0
	s_load_b32 s12, s[6:7], 0x64
	s_mov_b32 s15, s11
	s_add_nc_u64 s[6:7], s[6:7], -4
	s_wait_kmcnt 0x0
	s_cvt_f32_u32 s13, s8
	s_sub_co_i32 s14, 0, s8
	s_wait_alu 0xfffe
	s_delay_alu instid0(SALU_CYCLE_1) | instskip(NEXT) | instid1(TRANS32_DEP_1)
	v_rcp_iflag_f32_e32 v1, s13
	v_readfirstlane_b32 s13, v1
	s_mul_f32 s13, s13, 0x4f7ffffe
	s_wait_alu 0xfffe
	s_delay_alu instid0(SALU_CYCLE_2) | instskip(SKIP_1) | instid1(SALU_CYCLE_2)
	s_cvt_u32_f32 s13, s13
	s_wait_alu 0xfffe
	s_mul_i32 s14, s14, s13
	s_delay_alu instid0(SALU_CYCLE_1) | instskip(NEXT) | instid1(SALU_CYCLE_1)
	s_mul_hi_u32 s14, s13, s14
	s_add_co_i32 s13, s13, s14
	s_wait_alu 0xfffe
	s_mul_hi_u32 s11, s11, s13
	s_delay_alu instid0(SALU_CYCLE_1)
	s_mul_i32 s13, s11, s8
	s_add_co_i32 s14, s11, 1
	s_wait_alu 0xfffe
	s_sub_co_i32 s13, s15, s13
	s_wait_alu 0xfffe
	s_sub_co_i32 s16, s13, s8
	s_cmp_ge_u32 s13, s8
	s_cselect_b32 s11, s14, s11
	s_cselect_b32 s13, s16, s13
	s_add_co_i32 s14, s11, 1
	s_wait_alu 0xfffe
	s_cmp_ge_u32 s13, s8
	s_cselect_b32 s11, s14, s11
	s_add_co_i32 s4, s4, -1
	s_mul_i32 s8, s11, s8
	s_delay_alu instid0(SALU_CYCLE_1) | instskip(NEXT) | instid1(SALU_CYCLE_1)
	s_sub_co_i32 s8, s15, s8
	s_mul_i32 s8, s12, s8
	s_delay_alu instid0(SALU_CYCLE_1)
	s_add_co_i32 s5, s8, s5
	s_cmp_gt_u32 s4, 2
	s_cbranch_scc1 .LBB93_6
.LBB93_7:
	s_clause 0x2
	s_load_b32 s4, s[0:1], 0x6c
	s_load_b64 s[12:13], s[0:1], 0x1c0
	s_load_b64 s[6:7], s[0:1], 0x0
	s_mov_b32 s15, 0
	s_wait_kmcnt 0x0
	s_mul_i32 s2, s4, s2
	s_delay_alu instid0(SALU_CYCLE_1) | instskip(SKIP_3) | instid1(SALU_CYCLE_1)
	s_add_co_i32 s14, s2, s3
	s_bitcmp1_b32 s13, 0
	s_add_nc_u64 s[14:15], s[6:7], s[14:15]
	s_cselect_b32 s2, -1, 0
	s_xor_b32 s8, s2, -1
	s_delay_alu instid0(SALU_CYCLE_1) | instskip(SKIP_1) | instid1(VALU_DEP_2)
	v_cndmask_b32_e64 v2, 0, -1, s8
	v_cndmask_b32_e64 v1, 0, -1, s8
	v_readfirstlane_b32 s2, v2
	s_lshl_b32 s3, s2, 8
	s_and_b32 s2, s2, 0xff
	s_delay_alu instid0(SALU_CYCLE_1) | instskip(NEXT) | instid1(SALU_CYCLE_1)
	s_or_b32 s2, s2, s3
	s_and_b32 s3, s2, 0xffff
	s_lshl_b32 s2, s2, 16
	s_delay_alu instid0(SALU_CYCLE_1) | instskip(NEXT) | instid1(SALU_CYCLE_1)
	s_or_b32 s3, s3, s2
	v_dual_mov_b32 v2, s3 :: v_dual_and_b32 v11, 0x3ff, v0
	s_delay_alu instid0(VALU_DEP_1)
	v_mul_lo_u32 v20, s10, v11
	v_cmp_gt_u32_e64 s2, s9, v11
	s_and_saveexec_b32 s4, s2
	s_cbranch_execz .LBB93_9
; %bb.8:
	global_load_u8 v1, v20, s[14:15]
	s_wait_loadcnt 0x0
	v_perm_b32 v2, v1, s3, 0x3020104
.LBB93_9:
	s_or_b32 exec_lo, exec_lo, s4
	v_add_nc_u32_e32 v5, 32, v11
	s_delay_alu instid0(VALU_DEP_1)
	v_cmp_gt_u32_e64 s4, s9, v5
	s_and_saveexec_b32 s3, s4
	s_cbranch_execz .LBB93_11
; %bb.10:
	v_mul_lo_u32 v3, s10, v5
	global_load_u8 v3, v3, s[14:15]
	s_wait_loadcnt 0x0
	v_perm_b32 v2, v2, v3, 0x7060004
.LBB93_11:
	s_wait_alu 0xfffe
	s_or_b32 exec_lo, exec_lo, s3
	v_add_nc_u32_e32 v16, 64, v11
	s_delay_alu instid0(VALU_DEP_1)
	v_cmp_gt_u32_e64 s3, s9, v16
	s_and_saveexec_b32 s6, s3
	s_cbranch_execz .LBB93_13
; %bb.12:
	v_mul_lo_u32 v3, s10, v16
	global_load_u8 v3, v3, s[14:15]
	s_wait_loadcnt 0x0
	v_perm_b32 v2, v2, v3, 0x7000504
.LBB93_13:
	s_or_b32 exec_lo, exec_lo, s6
	s_clause 0x1
	s_load_b32 s13, s[0:1], 0x154
	s_load_b64 s[6:7], s[0:1], 0xe8
	v_add_nc_u32_e32 v14, 0x60, v11
	s_delay_alu instid0(VALU_DEP_1)
	v_cmp_gt_u32_e64 s0, s9, v14
	s_and_saveexec_b32 s1, s0
	s_cbranch_execz .LBB93_15
; %bb.14:
	v_mul_lo_u32 v3, s10, v14
	global_load_u8 v3, v3, s[14:15]
	s_wait_loadcnt 0x0
	v_perm_b32 v2, v2, v3, 0x60504
.LBB93_15:
	s_or_b32 exec_lo, exec_lo, s1
	v_lshrrev_b32_e32 v13, 5, v5
	v_lshrrev_b32_e32 v12, 5, v11
	;; [unrolled: 1-line block ×5, first 2 shown]
	v_and_b32_e32 v6, 60, v13
	v_and_b32_e32 v4, 28, v12
	;; [unrolled: 1-line block ×3, first 2 shown]
	v_lshlrev_b32_e32 v27, 2, v11
	v_lshrrev_b32_e32 v3, 8, v2
	v_add_nc_u32_e32 v22, v6, v11
	v_and_b32_e32 v6, 0x7c, v18
	v_add_nc_u32_e32 v21, v4, v11
	v_and_b32_e32 v4, 60, v17
	v_add_nc_u32_e32 v23, v7, v11
	v_lshrrev_b32_e32 v7, 24, v2
	v_add_nc_u32_e32 v25, v6, v27
	ds_store_b8 v21, v1
	ds_store_b8 v22, v3 offset:32
	v_add_nc_u32_e32 v24, v4, v11
	ds_store_b8_d16_hi v23, v2 offset:64
	ds_store_b8 v24, v7 offset:96
	s_wait_dscnt 0x0
	; wave barrier
	global_inv scope:SCOPE_SE
	ds_load_b32 v35, v25
	s_wait_kmcnt 0x0
	s_mul_i32 s1, s13, s11
	v_mul_lo_u32 v9, s12, v11
	s_add_co_i32 s16, s1, s5
	s_mov_b32 s17, 0
	v_mov_b32_e32 v1, 0
	v_dual_mov_b32 v3, 0 :: v_dual_mov_b32 v2, 0
	v_mov_b32_e32 v4, 0
	s_lshl_b64 s[16:17], s[16:17], 3
	s_wait_loadcnt_dscnt 0x0
	s_add_nc_u64 s[16:17], s[6:7], s[16:17]
	; wave barrier
	global_inv scope:SCOPE_SE
	s_and_saveexec_b32 s1, s2
	s_cbranch_execz .LBB93_17
; %bb.16:
	v_mov_b32_e32 v10, 0
	s_delay_alu instid0(VALU_DEP_1) | instskip(NEXT) | instid1(VALU_DEP_1)
	v_lshlrev_b64_e32 v[3:4], 3, v[9:10]
	v_add_co_u32 v3, vcc_lo, s16, v3
	s_delay_alu instid0(VALU_DEP_1)
	v_add_co_ci_u32_e64 v4, null, s17, v4, vcc_lo
	global_load_b64 v[3:4], v[3:4], off
.LBB93_17:
	s_or_b32 exec_lo, exec_lo, s1
	s_and_saveexec_b32 s1, s4
	s_cbranch_execz .LBB93_19
; %bb.18:
	v_mul_lo_u32 v1, s12, v5
	v_mov_b32_e32 v2, 0
	s_delay_alu instid0(VALU_DEP_1) | instskip(NEXT) | instid1(VALU_DEP_1)
	v_lshlrev_b64_e32 v[1:2], 3, v[1:2]
	v_add_co_u32 v1, vcc_lo, s16, v1
	s_wait_alu 0xfffd
	s_delay_alu instid0(VALU_DEP_2)
	v_add_co_ci_u32_e64 v2, null, s17, v2, vcc_lo
	global_load_b64 v[1:2], v[1:2], off
.LBB93_19:
	s_or_b32 exec_lo, exec_lo, s1
	v_mov_b32_e32 v5, 0
	v_dual_mov_b32 v6, 0 :: v_dual_mov_b32 v7, 0
	v_mov_b32_e32 v8, 0
	s_and_saveexec_b32 s1, s3
	s_cbranch_execz .LBB93_21
; %bb.20:
	v_mul_lo_u32 v7, s12, v16
	v_mov_b32_e32 v8, 0
	s_delay_alu instid0(VALU_DEP_1) | instskip(NEXT) | instid1(VALU_DEP_1)
	v_lshlrev_b64_e32 v[7:8], 3, v[7:8]
	v_add_co_u32 v7, vcc_lo, s16, v7
	s_wait_alu 0xfffd
	s_delay_alu instid0(VALU_DEP_2)
	v_add_co_ci_u32_e64 v8, null, s17, v8, vcc_lo
	global_load_b64 v[7:8], v[7:8], off
.LBB93_21:
	s_or_b32 exec_lo, exec_lo, s1
	s_and_saveexec_b32 s1, s0
	s_cbranch_execz .LBB93_23
; %bb.22:
	v_mul_lo_u32 v5, s12, v14
	v_mov_b32_e32 v6, 0
	s_delay_alu instid0(VALU_DEP_1) | instskip(NEXT) | instid1(VALU_DEP_1)
	v_lshlrev_b64_e32 v[5:6], 3, v[5:6]
	v_add_co_u32 v5, vcc_lo, s16, v5
	s_wait_alu 0xfffd
	s_delay_alu instid0(VALU_DEP_2)
	v_add_co_ci_u32_e64 v6, null, s17, v6, vcc_lo
	global_load_b64 v[5:6], v[5:6], off
.LBB93_23:
	s_or_b32 exec_lo, exec_lo, s1
	v_lshlrev_b32_e32 v14, 3, v11
	v_lshlrev_b32_e32 v10, 3, v27
	v_lshrrev_b32_e32 v37, 16, v35
	v_lshrrev_b32_e32 v38, 8, v35
	;; [unrolled: 1-line block ×3, first 2 shown]
	v_lshl_add_u32 v26, v12, 3, v14
	v_lshl_add_u32 v31, v18, 3, v10
	;; [unrolled: 1-line block ×5, first 2 shown]
	s_wait_loadcnt 0x0
	ds_store_b64 v26, v[3:4]
	ds_store_b64 v28, v[1:2] offset:256
	ds_store_b64 v29, v[7:8] offset:512
	;; [unrolled: 1-line block ×3, first 2 shown]
	s_wait_dscnt 0x0
	; wave barrier
	global_inv scope:SCOPE_SE
	ds_load_2addr_b64 v[5:8], v31 offset1:1
	ds_load_2addr_b64 v[1:4], v31 offset0:2 offset1:3
	v_bfe_u32 v34, v0, 10, 10
	v_bfe_u32 v0, v0, 20, 10
	v_mbcnt_lo_u32_b32 v33, -1, 0
	v_lshlrev_b32_e32 v32, 5, v11
	s_and_b32 vcc_lo, exec_lo, s8
	; wave barrier
	s_wait_loadcnt_dscnt 0x0
	global_inv scope:SCOPE_SE
	s_wait_alu 0xfffe
	s_cbranch_vccz .LBB93_35
; %bb.24:
	v_and_b32_e32 v39, 3, v33
	v_and_b32_e32 v14, 28, v33
	;; [unrolled: 1-line block ×4, first 2 shown]
	s_getpc_b64 s[8:9]
	s_wait_alu 0xfffe
	s_sext_i32_i16 s9, s9
	s_add_co_u32 s8, s8, _ZN7rocprim17ROCPRIM_400000_NS16block_radix_sortIhLj32ELj4ElLj1ELj1ELj0ELNS0_26block_radix_rank_algorithmE1ELNS0_18block_padding_hintE2ELNS0_4arch9wavefront6targetE0EE19radix_bits_per_passE@rel32@lo+12
	s_wait_alu 0xfffe
	s_add_co_ci_u32 s9, s9, _ZN7rocprim17ROCPRIM_400000_NS16block_radix_sortIhLj32ELj4ElLj1ELj1ELj0ELNS0_26block_radix_rank_algorithmE1ELNS0_18block_padding_hintE2ELNS0_4arch9wavefront6targetE0EE19radix_bits_per_passE@rel32@hi+24
	v_cmp_eq_u32_e32 vcc_lo, 3, v39
	v_and_b32_e32 v12, 0xff, v35
	ds_bpermute_b32 v17, v14, v13
	ds_bpermute_b32 v18, v14, v16
	v_and_b32_e32 v19, 0xffff, v36
	v_cmp_eq_u32_e64 s6, 0, v39
	ds_bpermute_b32 v15, v14, v12
	v_cmp_eq_u32_e64 s5, 1, v39
	v_cmp_eq_u32_e64 s1, 2, v39
	ds_bpermute_b32 v40, v14, v19
	s_load_b32 s8, s[8:9], 0x0
	; wave barrier
	s_wait_loadcnt_dscnt 0x0
	global_inv scope:SCOPE_SE
	s_load_b32 s7, s[18:19], 0xc
	ds_bpermute_b32 v58, v14, v5
	ds_bpermute_b32 v59, v14, v6
	;; [unrolled: 1-line block ×7, first 2 shown]
	ds_bpermute_b32 v60, v14, v5 offset:32
	v_and_b32_e32 v17, 0xff, v17
	v_and_b32_e32 v18, 0xff, v18
	ds_bpermute_b32 v61, v14, v6 offset:32
	ds_bpermute_b32 v50, v14, v7 offset:32
	v_and_b32_e32 v15, 0xff, v15
	ds_bpermute_b32 v51, v14, v8 offset:32
	ds_bpermute_b32 v47, v14, v1 offset:32
	;; [unrolled: 1-line block ×3, first 2 shown]
	s_wait_kmcnt 0x0
	s_min_u32 s8, s8, 8
	v_cndmask_b32_e64 v15, 0, v15, s6
	s_wait_alu 0xfffe
	s_lshl_b32 s8, -1, s8
	s_and_b32 s11, s7, 0xffff
	s_wait_alu 0xfffe
	s_not_b32 s9, s8
	s_lshr_b32 s8, s7, 16
	v_cndmask_b32_e64 v15, v15, v17, s5
	ds_bpermute_b32 v46, v14, v4 offset:32
	ds_bpermute_b32 v62, v14, v5 offset:64
	;; [unrolled: 1-line block ×4, first 2 shown]
	v_cndmask_b32_e64 v15, v15, v18, s1
	ds_bpermute_b32 v57, v14, v8 offset:64
	ds_bpermute_b32 v53, v14, v1 offset:64
	ds_bpermute_b32 v54, v14, v2 offset:64
	ds_bpermute_b32 v43, v14, v4 offset:64
	v_perm_b32 v17, v40, v15, 0x3020104
	ds_bpermute_b32 v40, v14, v3
	ds_bpermute_b32 v65, v14, v5 offset:96
	ds_bpermute_b32 v66, v14, v6 offset:96
	;; [unrolled: 1-line block ×3, first 2 shown]
	v_cndmask_b32_e32 v15, v15, v17, vcc_lo
	ds_bpermute_b32 v41, v14, v12 offset:32
	ds_bpermute_b32 v17, v14, v13 offset:32
	;; [unrolled: 1-line block ×3, first 2 shown]
	v_and_b32_e32 v39, 0xff, v15
	s_wait_dscnt 0x2
	v_lshlrev_b16 v18, 8, v41
	s_wait_dscnt 0x1
	v_lshlrev_b16 v17, 8, v17
	ds_bpermute_b32 v41, v14, v3 offset:64
	v_or_b32_e32 v18, v39, v18
	ds_bpermute_b32 v39, v14, v16 offset:32
	v_and_b32_e32 v18, 0xffff, v18
	s_delay_alu instid0(VALU_DEP_1) | instskip(NEXT) | instid1(VALU_DEP_1)
	v_cndmask_b32_e64 v15, v15, v18, s6
	v_and_b32_e32 v18, 0xff, v15
	s_delay_alu instid0(VALU_DEP_1) | instskip(NEXT) | instid1(VALU_DEP_1)
	v_or_b32_e32 v17, v18, v17
	v_and_b32_e32 v17, 0xffff, v17
	s_delay_alu instid0(VALU_DEP_1) | instskip(NEXT) | instid1(VALU_DEP_1)
	v_and_or_b32 v17, 0xffff0000, v15, v17
	v_cndmask_b32_e64 v15, v15, v17, s5
	s_wait_dscnt 0x0
	v_lshlrev_b16 v17, 8, v39
	ds_bpermute_b32 v39, v14, v19 offset:32
	v_and_b32_e32 v18, 0xff, v15
	s_delay_alu instid0(VALU_DEP_1) | instskip(NEXT) | instid1(VALU_DEP_1)
	v_or_b32_e32 v17, v18, v17
	v_and_b32_e32 v17, 0xffff, v17
	s_delay_alu instid0(VALU_DEP_1) | instskip(NEXT) | instid1(VALU_DEP_1)
	v_and_or_b32 v17, 0xffff0000, v15, v17
	v_cndmask_b32_e64 v15, v15, v17, s1
	s_wait_dscnt 0x0
	v_lshlrev_b16 v17, 8, v39
	ds_bpermute_b32 v39, v14, v12 offset:64
	ds_bpermute_b32 v12, v14, v12 offset:96
	v_and_b32_e32 v18, 0xff, v15
	s_delay_alu instid0(VALU_DEP_1) | instskip(NEXT) | instid1(VALU_DEP_1)
	v_or_b32_e32 v17, v18, v17
	v_and_b32_e32 v17, 0xffff, v17
	s_delay_alu instid0(VALU_DEP_1) | instskip(SKIP_2) | instid1(VALU_DEP_2)
	v_and_or_b32 v17, 0xffff0000, v15, v17
	s_wait_dscnt 0x0
	v_lshlrev_b16 v12, 8, v12
	v_cndmask_b32_e32 v15, v15, v17, vcc_lo
	ds_bpermute_b32 v17, v14, v13 offset:64
	ds_bpermute_b32 v13, v14, v13 offset:96
	v_perm_b32 v18, v39, v15, 0xc0c0304
	ds_bpermute_b32 v39, v14, v3 offset:32
	v_lshlrev_b32_e32 v18, 16, v18
	s_delay_alu instid0(VALU_DEP_1) | instskip(NEXT) | instid1(VALU_DEP_1)
	v_and_or_b32 v18, 0xffff, v15, v18
	v_cndmask_b32_e64 v15, v15, v18, s6
	ds_bpermute_b32 v18, v14, v16 offset:64
	s_wait_dscnt 0x2
	v_lshlrev_b16 v13, 8, v13
	v_perm_b32 v17, v17, v15, 0xc0c0304
	s_delay_alu instid0(VALU_DEP_1) | instskip(NEXT) | instid1(VALU_DEP_1)
	v_lshlrev_b32_e32 v17, 16, v17
	v_and_or_b32 v17, 0xffff, v15, v17
	s_delay_alu instid0(VALU_DEP_1) | instskip(SKIP_3) | instid1(VALU_DEP_1)
	v_cndmask_b32_e64 v15, v15, v17, s5
	ds_bpermute_b32 v17, v14, v19 offset:64
	s_wait_dscnt 0x1
	v_perm_b32 v18, v18, v15, 0xc0c0304
	v_lshlrev_b32_e32 v18, 16, v18
	s_delay_alu instid0(VALU_DEP_1) | instskip(NEXT) | instid1(VALU_DEP_1)
	v_and_or_b32 v18, 0xffff, v15, v18
	v_cndmask_b32_e64 v15, v15, v18, s1
	s_wait_dscnt 0x0
	s_delay_alu instid0(VALU_DEP_1) | instskip(NEXT) | instid1(VALU_DEP_1)
	v_perm_b32 v17, v17, v15, 0xc0c0304
	v_lshlrev_b32_e32 v17, 16, v17
	s_delay_alu instid0(VALU_DEP_1) | instskip(NEXT) | instid1(VALU_DEP_1)
	v_and_or_b32 v17, 0xffff, v15, v17
	v_cndmask_b32_e32 v15, v15, v17, vcc_lo
	s_delay_alu instid0(VALU_DEP_1) | instskip(NEXT) | instid1(VALU_DEP_1)
	v_lshrrev_b32_e32 v17, 16, v15
	v_and_b32_e32 v17, 0xff, v17
	s_delay_alu instid0(VALU_DEP_1) | instskip(NEXT) | instid1(VALU_DEP_1)
	v_or_b32_e32 v12, v17, v12
	v_lshlrev_b32_e32 v12, 16, v12
	s_delay_alu instid0(VALU_DEP_1) | instskip(NEXT) | instid1(VALU_DEP_1)
	v_and_or_b32 v12, 0xffff, v15, v12
	v_cndmask_b32_e64 v12, v15, v12, s6
	s_delay_alu instid0(VALU_DEP_1) | instskip(NEXT) | instid1(VALU_DEP_1)
	v_lshrrev_b32_e32 v15, 16, v12
	v_and_b32_e32 v15, 0xff, v15
	s_delay_alu instid0(VALU_DEP_1) | instskip(SKIP_2) | instid1(VALU_DEP_1)
	v_or_b32_e32 v13, v15, v13
	ds_bpermute_b32 v15, v14, v16 offset:96
	v_lshlrev_b32_e32 v13, 16, v13
	v_and_or_b32 v13, 0xffff, v12, v13
	s_delay_alu instid0(VALU_DEP_1) | instskip(NEXT) | instid1(VALU_DEP_1)
	v_cndmask_b32_e64 v12, v12, v13, s5
	v_lshrrev_b32_e32 v13, 16, v12
	s_wait_dscnt 0x0
	v_lshlrev_b16 v15, 8, v15
	s_delay_alu instid0(VALU_DEP_2) | instskip(NEXT) | instid1(VALU_DEP_1)
	v_and_b32_e32 v13, 0xff, v13
	v_or_b32_e32 v13, v13, v15
	ds_bpermute_b32 v15, v14, v19 offset:96
	v_lshlrev_b32_e32 v13, 16, v13
	s_delay_alu instid0(VALU_DEP_1) | instskip(NEXT) | instid1(VALU_DEP_1)
	v_and_or_b32 v13, 0xffff, v12, v13
	v_cndmask_b32_e64 v12, v12, v13, s1
	s_delay_alu instid0(VALU_DEP_1) | instskip(SKIP_2) | instid1(VALU_DEP_2)
	v_lshrrev_b32_e32 v13, 16, v12
	s_wait_dscnt 0x0
	v_lshlrev_b16 v15, 8, v15
	v_and_b32_e32 v13, 0xff, v13
	s_delay_alu instid0(VALU_DEP_1) | instskip(NEXT) | instid1(VALU_DEP_1)
	v_or_b32_e32 v13, v13, v15
	v_lshlrev_b32_e32 v13, 16, v13
	s_delay_alu instid0(VALU_DEP_1) | instskip(NEXT) | instid1(VALU_DEP_1)
	v_and_or_b32 v13, 0xffff, v12, v13
	v_cndmask_b32_e32 v48, v12, v13, vcc_lo
	s_wait_alu 0xfffe
	v_mad_u32_u24 v12, v0, s8, v34
	s_delay_alu instid0(VALU_DEP_2) | instskip(NEXT) | instid1(VALU_DEP_1)
	v_and_b32_e32 v15, s9, v48
	v_and_b32_e32 v13, 1, v15
	v_lshlrev_b32_e32 v16, 30, v15
	v_lshlrev_b32_e32 v17, 29, v15
	;; [unrolled: 1-line block ×4, first 2 shown]
	v_add_co_u32 v13, s7, v13, -1
	s_wait_alu 0xf1ff
	v_cndmask_b32_e64 v19, 0, 1, s7
	v_not_b32_e32 v70, v16
	v_cmp_gt_i32_e64 s8, 0, v16
	v_not_b32_e32 v16, v17
	v_lshlrev_b32_e32 v68, 26, v15
	v_cmp_ne_u32_e64 s7, 0, v19
	v_ashrrev_i32_e32 v70, 31, v70
	v_lshlrev_b32_e32 v69, 25, v15
	v_ashrrev_i32_e32 v16, 31, v16
	v_lshlrev_b32_e32 v19, 24, v15
	s_wait_alu 0xf1ff
	v_xor_b32_e32 v13, s7, v13
	v_cmp_gt_i32_e64 s7, 0, v17
	v_not_b32_e32 v17, v18
	v_xor_b32_e32 v70, s8, v70
	v_cmp_gt_i32_e64 s8, 0, v18
	v_and_b32_e32 v13, exec_lo, v13
	v_not_b32_e32 v18, v67
	v_ashrrev_i32_e32 v17, 31, v17
	s_wait_alu 0xf1ff
	v_xor_b32_e32 v16, s7, v16
	v_cmp_gt_i32_e64 s7, 0, v67
	v_and_b32_e32 v13, v13, v70
	v_not_b32_e32 v67, v68
	v_ashrrev_i32_e32 v18, 31, v18
	v_xor_b32_e32 v17, s8, v17
	v_cmp_gt_i32_e64 s8, 0, v68
	v_and_b32_e32 v13, v13, v16
	v_not_b32_e32 v16, v69
	v_ashrrev_i32_e32 v67, 31, v67
	s_wait_alu 0xf1ff
	v_xor_b32_e32 v18, s7, v18
	v_cmp_gt_i32_e64 s7, 0, v69
	v_and_b32_e32 v13, v13, v17
	v_not_b32_e32 v17, v19
	v_ashrrev_i32_e32 v16, 31, v16
	v_xor_b32_e32 v67, s8, v67
	v_cmp_gt_i32_e64 s8, 0, v19
	v_and_b32_e32 v18, v13, v18
	v_mad_co_u64_u32 v[12:13], null, v12, s11, v[11:12]
	v_ashrrev_i32_e32 v13, 31, v17
	s_wait_alu 0xf1ff
	v_xor_b32_e32 v16, s7, v16
	v_and_b32_e32 v17, v18, v67
	ds_bpermute_b32 v68, v14, v1 offset:96
	ds_bpermute_b32 v70, v14, v2 offset:96
	v_xor_b32_e32 v13, s8, v13
	ds_bpermute_b32 v67, v14, v3 offset:96
	v_and_b32_e32 v16, v17, v16
	ds_bpermute_b32 v69, v14, v4 offset:96
	v_lshrrev_b32_e32 v12, 3, v12
	v_dual_mov_b32 v14, 0 :: v_dual_and_b32 v15, 0xff, v15
	v_and_b32_e32 v13, v16, v13
	ds_store_2addr_b32 v32, v14, v14 offset0:1 offset1:2
	ds_store_2addr_b32 v32, v14, v14 offset0:3 offset1:4
	;; [unrolled: 1-line block ×4, first 2 shown]
	v_mbcnt_lo_u32_b32 v72, v13, 0
	v_and_b32_e32 v12, 0x1ffffffc, v12
	v_cmp_ne_u32_e64 s8, 0, v13
	; wave barrier
	s_wait_loadcnt_dscnt 0x0
	global_inv scope:SCOPE_SE
	v_cmp_eq_u32_e64 s7, 0, v72
	v_lshl_add_u32 v74, v15, 2, v12
	; wave barrier
	s_and_b32 s8, s8, s7
	s_wait_alu 0xfffe
	s_and_saveexec_b32 s7, s8
; %bb.25:
	v_bcnt_u32_b32 v13, v13, 0
	ds_store_b32 v74, v13 offset:4
; %bb.26:
	s_wait_alu 0xfffe
	s_or_b32 exec_lo, exec_lo, s7
	v_lshrrev_b32_e32 v73, 8, v48
	; wave barrier
	s_delay_alu instid0(VALU_DEP_1) | instskip(NEXT) | instid1(VALU_DEP_1)
	v_and_b32_e32 v13, s9, v73
	v_and_b32_e32 v14, 1, v13
	v_lshlrev_b32_e32 v15, 30, v13
	v_lshlrev_b32_e32 v16, 29, v13
	;; [unrolled: 1-line block ×4, first 2 shown]
	v_add_co_u32 v14, s7, v14, -1
	s_wait_alu 0xf1ff
	v_cndmask_b32_e64 v18, 0, 1, s7
	v_not_b32_e32 v77, v15
	v_cmp_gt_i32_e64 s8, 0, v15
	v_not_b32_e32 v15, v16
	v_lshlrev_b32_e32 v75, 26, v13
	v_cmp_ne_u32_e64 s7, 0, v18
	v_ashrrev_i32_e32 v77, 31, v77
	v_lshlrev_b32_e32 v76, 25, v13
	v_ashrrev_i32_e32 v15, 31, v15
	v_lshlrev_b32_e32 v18, 24, v13
	s_wait_alu 0xf1ff
	v_xor_b32_e32 v14, s7, v14
	v_cmp_gt_i32_e64 s7, 0, v16
	v_not_b32_e32 v16, v17
	v_xor_b32_e32 v77, s8, v77
	v_cmp_gt_i32_e64 s8, 0, v17
	v_and_b32_e32 v14, exec_lo, v14
	v_not_b32_e32 v17, v19
	v_ashrrev_i32_e32 v16, 31, v16
	s_wait_alu 0xf1ff
	v_xor_b32_e32 v15, s7, v15
	v_cmp_gt_i32_e64 s7, 0, v19
	v_and_b32_e32 v14, v14, v77
	v_not_b32_e32 v19, v75
	v_ashrrev_i32_e32 v17, 31, v17
	v_xor_b32_e32 v16, s8, v16
	v_cmp_gt_i32_e64 s8, 0, v75
	v_and_b32_e32 v14, v14, v15
	v_not_b32_e32 v15, v76
	v_ashrrev_i32_e32 v19, 31, v19
	s_wait_alu 0xf1ff
	v_xor_b32_e32 v17, s7, v17
	v_cmp_gt_i32_e64 s7, 0, v76
	v_and_b32_e32 v14, v14, v16
	v_not_b32_e32 v16, v18
	v_ashrrev_i32_e32 v15, 31, v15
	v_xor_b32_e32 v19, s8, v19
	v_and_b32_e32 v13, 0xff, v13
	v_and_b32_e32 v14, v14, v17
	v_cmp_gt_i32_e64 s8, 0, v18
	v_ashrrev_i32_e32 v16, 31, v16
	s_wait_alu 0xf1ff
	v_xor_b32_e32 v15, s7, v15
	v_lshl_add_u32 v78, v13, 2, v12
	v_and_b32_e32 v14, v14, v19
	v_xor_b32_e32 v13, s8, v16
	ds_load_b32 v75, v78 offset:4
	v_and_b32_e32 v14, v14, v15
	; wave barrier
	s_delay_alu instid0(VALU_DEP_1) | instskip(NEXT) | instid1(VALU_DEP_1)
	v_and_b32_e32 v13, v14, v13
	v_mbcnt_lo_u32_b32 v76, v13, 0
	v_cmp_ne_u32_e64 s8, 0, v13
	s_delay_alu instid0(VALU_DEP_2)
	v_cmp_eq_u32_e64 s7, 0, v76
	s_and_b32 s8, s8, s7
	s_wait_alu 0xfffe
	s_and_saveexec_b32 s7, s8
	s_cbranch_execz .LBB93_28
; %bb.27:
	s_wait_dscnt 0x0
	v_bcnt_u32_b32 v13, v13, v75
	ds_store_b32 v78, v13 offset:4
.LBB93_28:
	s_wait_alu 0xfffe
	s_or_b32 exec_lo, exec_lo, s7
	v_lshrrev_b32_e32 v77, 16, v48
	; wave barrier
	s_delay_alu instid0(VALU_DEP_1) | instskip(NEXT) | instid1(VALU_DEP_1)
	v_and_b32_e32 v13, s9, v77
	v_and_b32_e32 v14, 1, v13
	v_lshlrev_b32_e32 v15, 30, v13
	v_lshlrev_b32_e32 v16, 29, v13
	;; [unrolled: 1-line block ×4, first 2 shown]
	v_add_co_u32 v14, s7, v14, -1
	s_wait_alu 0xf1ff
	v_cndmask_b32_e64 v18, 0, 1, s7
	v_not_b32_e32 v81, v15
	v_cmp_gt_i32_e64 s8, 0, v15
	v_not_b32_e32 v15, v16
	v_lshlrev_b32_e32 v79, 26, v13
	v_cmp_ne_u32_e64 s7, 0, v18
	v_ashrrev_i32_e32 v81, 31, v81
	v_lshlrev_b32_e32 v80, 25, v13
	v_ashrrev_i32_e32 v15, 31, v15
	v_lshlrev_b32_e32 v18, 24, v13
	s_wait_alu 0xf1ff
	v_xor_b32_e32 v14, s7, v14
	v_cmp_gt_i32_e64 s7, 0, v16
	v_not_b32_e32 v16, v17
	v_xor_b32_e32 v81, s8, v81
	v_cmp_gt_i32_e64 s8, 0, v17
	v_and_b32_e32 v14, exec_lo, v14
	v_not_b32_e32 v17, v19
	v_ashrrev_i32_e32 v16, 31, v16
	s_wait_alu 0xf1ff
	v_xor_b32_e32 v15, s7, v15
	v_cmp_gt_i32_e64 s7, 0, v19
	v_and_b32_e32 v14, v14, v81
	v_not_b32_e32 v19, v79
	v_ashrrev_i32_e32 v17, 31, v17
	v_xor_b32_e32 v16, s8, v16
	v_cmp_gt_i32_e64 s8, 0, v79
	v_and_b32_e32 v14, v14, v15
	v_not_b32_e32 v15, v80
	v_ashrrev_i32_e32 v19, 31, v19
	s_wait_alu 0xf1ff
	v_xor_b32_e32 v17, s7, v17
	v_cmp_gt_i32_e64 s7, 0, v80
	v_and_b32_e32 v14, v14, v16
	v_not_b32_e32 v16, v18
	v_ashrrev_i32_e32 v15, 31, v15
	v_xor_b32_e32 v19, s8, v19
	v_and_b32_e32 v13, 0xff, v13
	v_and_b32_e32 v14, v14, v17
	v_cmp_gt_i32_e64 s8, 0, v18
	v_ashrrev_i32_e32 v16, 31, v16
	s_wait_alu 0xf1ff
	v_xor_b32_e32 v15, s7, v15
	v_lshl_add_u32 v82, v13, 2, v12
	v_and_b32_e32 v14, v14, v19
	v_xor_b32_e32 v13, s8, v16
	ds_load_b32 v79, v82 offset:4
	v_and_b32_e32 v14, v14, v15
	; wave barrier
	s_delay_alu instid0(VALU_DEP_1) | instskip(NEXT) | instid1(VALU_DEP_1)
	v_and_b32_e32 v13, v14, v13
	v_mbcnt_lo_u32_b32 v80, v13, 0
	v_cmp_ne_u32_e64 s8, 0, v13
	s_delay_alu instid0(VALU_DEP_2)
	v_cmp_eq_u32_e64 s7, 0, v80
	s_and_b32 s8, s8, s7
	s_wait_alu 0xfffe
	s_and_saveexec_b32 s7, s8
	s_cbranch_execz .LBB93_30
; %bb.29:
	s_wait_dscnt 0x0
	v_bcnt_u32_b32 v13, v13, v79
	ds_store_b32 v82, v13 offset:4
.LBB93_30:
	s_wait_alu 0xfffe
	s_or_b32 exec_lo, exec_lo, s7
	v_lshrrev_b32_e32 v81, 24, v48
	; wave barrier
	s_delay_alu instid0(VALU_DEP_1) | instskip(NEXT) | instid1(VALU_DEP_1)
	v_and_b32_e32 v13, s9, v81
	v_and_b32_e32 v14, 1, v13
	v_lshlrev_b32_e32 v15, 30, v13
	v_lshlrev_b32_e32 v16, 29, v13
	;; [unrolled: 1-line block ×4, first 2 shown]
	v_add_co_u32 v14, s7, v14, -1
	s_wait_alu 0xf1ff
	v_cndmask_b32_e64 v18, 0, 1, s7
	v_not_b32_e32 v85, v15
	v_cmp_gt_i32_e64 s8, 0, v15
	v_not_b32_e32 v15, v16
	v_lshlrev_b32_e32 v83, 26, v13
	v_cmp_ne_u32_e64 s7, 0, v18
	v_ashrrev_i32_e32 v85, 31, v85
	v_lshlrev_b32_e32 v84, 25, v13
	v_ashrrev_i32_e32 v15, 31, v15
	v_lshlrev_b32_e32 v18, 24, v13
	s_wait_alu 0xf1ff
	v_xor_b32_e32 v14, s7, v14
	v_cmp_gt_i32_e64 s7, 0, v16
	v_not_b32_e32 v16, v17
	v_xor_b32_e32 v85, s8, v85
	v_cmp_gt_i32_e64 s8, 0, v17
	v_and_b32_e32 v14, exec_lo, v14
	v_not_b32_e32 v17, v19
	v_ashrrev_i32_e32 v16, 31, v16
	s_wait_alu 0xf1ff
	v_xor_b32_e32 v15, s7, v15
	v_cmp_gt_i32_e64 s7, 0, v19
	v_and_b32_e32 v14, v14, v85
	v_not_b32_e32 v19, v83
	v_ashrrev_i32_e32 v17, 31, v17
	v_xor_b32_e32 v16, s8, v16
	v_cmp_gt_i32_e64 s8, 0, v83
	v_and_b32_e32 v14, v14, v15
	v_not_b32_e32 v15, v84
	v_ashrrev_i32_e32 v19, 31, v19
	s_wait_alu 0xf1ff
	v_xor_b32_e32 v17, s7, v17
	v_cmp_gt_i32_e64 s7, 0, v84
	v_and_b32_e32 v14, v14, v16
	v_not_b32_e32 v16, v18
	v_ashrrev_i32_e32 v15, 31, v15
	v_xor_b32_e32 v19, s8, v19
	v_cmp_gt_i32_e64 s8, 0, v18
	v_and_b32_e32 v14, v14, v17
	v_ashrrev_i32_e32 v16, 31, v16
	s_wait_alu 0xf1ff
	v_xor_b32_e32 v15, s7, v15
	v_lshl_add_u32 v85, v13, 2, v12
	v_and_b32_e32 v14, v14, v19
	v_xor_b32_e32 v12, s8, v16
	ds_load_b32 v83, v85 offset:4
	v_and_b32_e32 v13, v14, v15
	; wave barrier
	s_delay_alu instid0(VALU_DEP_1) | instskip(NEXT) | instid1(VALU_DEP_1)
	v_and_b32_e32 v12, v13, v12
	v_mbcnt_lo_u32_b32 v84, v12, 0
	v_cmp_ne_u32_e64 s8, 0, v12
	s_delay_alu instid0(VALU_DEP_2)
	v_cmp_eq_u32_e64 s7, 0, v84
	s_and_b32 s8, s8, s7
	s_wait_alu 0xfffe
	s_and_saveexec_b32 s7, s8
	s_cbranch_execz .LBB93_32
; %bb.31:
	s_wait_dscnt 0x0
	v_bcnt_u32_b32 v12, v12, v83
	ds_store_b32 v85, v12 offset:4
.LBB93_32:
	s_wait_alu 0xfffe
	s_or_b32 exec_lo, exec_lo, s7
	; wave barrier
	; wave barrier
	s_wait_loadcnt_dscnt 0x0
	global_inv scope:SCOPE_SE
	ds_load_2addr_b32 v[18:19], v32 offset0:1 offset1:2
	ds_load_2addr_b32 v[16:17], v32 offset0:3 offset1:4
	;; [unrolled: 1-line block ×4, first 2 shown]
	s_mov_b32 s8, 0
	s_mov_b32 s9, exec_lo
	s_wait_dscnt 0x3
	v_add_nc_u32_e32 v86, v19, v18
	s_wait_dscnt 0x2
	s_delay_alu instid0(VALU_DEP_1) | instskip(SKIP_1) | instid1(VALU_DEP_1)
	v_add3_u32 v86, v86, v16, v17
	s_wait_dscnt 0x1
	v_add3_u32 v86, v86, v14, v15
	s_wait_dscnt 0x0
	s_delay_alu instid0(VALU_DEP_1) | instskip(SKIP_1) | instid1(VALU_DEP_2)
	v_add3_u32 v13, v86, v12, v13
	v_and_b32_e32 v86, 15, v33
	v_mov_b32_dpp v87, v13 row_shr:1 row_mask:0xf bank_mask:0xf
	s_delay_alu instid0(VALU_DEP_2) | instskip(SKIP_1) | instid1(VALU_DEP_1)
	v_cmp_ne_u32_e64 s7, 0, v86
	s_wait_alu 0xf1ff
	v_cndmask_b32_e64 v87, 0, v87, s7
	v_cmp_lt_u32_e64 s7, 1, v86
	s_delay_alu instid0(VALU_DEP_2) | instskip(NEXT) | instid1(VALU_DEP_1)
	v_add_nc_u32_e32 v13, v87, v13
	v_mov_b32_dpp v87, v13 row_shr:2 row_mask:0xf bank_mask:0xf
	s_wait_alu 0xf1ff
	s_delay_alu instid0(VALU_DEP_1) | instskip(SKIP_1) | instid1(VALU_DEP_2)
	v_cndmask_b32_e64 v87, 0, v87, s7
	v_cmp_lt_u32_e64 s7, 3, v86
	v_add_nc_u32_e32 v13, v13, v87
	s_delay_alu instid0(VALU_DEP_1) | instskip(SKIP_1) | instid1(VALU_DEP_1)
	v_mov_b32_dpp v87, v13 row_shr:4 row_mask:0xf bank_mask:0xf
	s_wait_alu 0xf1ff
	v_cndmask_b32_e64 v87, 0, v87, s7
	v_cmp_lt_u32_e64 s7, 7, v86
	s_delay_alu instid0(VALU_DEP_2) | instskip(NEXT) | instid1(VALU_DEP_1)
	v_add_nc_u32_e32 v13, v13, v87
	v_mov_b32_dpp v87, v13 row_shr:8 row_mask:0xf bank_mask:0xf
	s_wait_alu 0xf1ff
	s_delay_alu instid0(VALU_DEP_1) | instskip(SKIP_1) | instid1(VALU_DEP_2)
	v_cndmask_b32_e64 v86, 0, v87, s7
	v_bfe_i32 v87, v33, 4, 1
	v_add_nc_u32_e32 v13, v13, v86
	ds_swizzle_b32 v86, v13 offset:swizzle(BROADCAST,32,15)
	s_wait_dscnt 0x0
	v_and_b32_e32 v86, v87, v86
	s_delay_alu instid0(VALU_DEP_1)
	v_add_nc_u32_e32 v13, v13, v86
	v_cmpx_eq_u32_e32 31, v11
; %bb.33:
	v_mov_b32_e32 v86, 0
	ds_store_b32 v86, v13
; %bb.34:
	s_wait_alu 0xfffe
	s_or_b32 exec_lo, exec_lo, s9
	v_sub_co_u32 v86, s9, v33, 1
	v_cndmask_b32_e64 v58, 0, v58, s6
	v_cndmask_b32_e64 v59, 0, v59, s6
	s_wait_loadcnt_dscnt 0x0
	s_delay_alu instid0(VALU_DEP_3)
	v_cmp_gt_i32_e64 s7, 0, v86
	; wave barrier
	global_inv scope:SCOPE_SE
	v_cndmask_b32_e64 v52, v58, v52, s5
	v_cndmask_b32_e64 v55, v59, v55, s5
	;; [unrolled: 1-line block ×3, first 2 shown]
	s_wait_alu 0xf1ff
	v_cndmask_b32_e64 v86, v86, v33, s7
	v_cmp_eq_u32_e64 s7, 0, v11
	v_cndmask_b32_e64 v44, v52, v44, s1
	v_cndmask_b32_e64 v45, v55, v45, s1
	;; [unrolled: 1-line block ×3, first 2 shown]
	v_lshlrev_b32_e32 v86, 2, v86
	s_or_b32 s7, s7, s9
	v_cndmask_b32_e64 v64, 0, v64, s6
	v_cndmask_b32_e64 v62, 0, v62, s6
	;; [unrolled: 1-line block ×3, first 2 shown]
	ds_bpermute_b32 v13, v86, v13
	v_cndmask_b32_e64 v66, 0, v66, s6
	s_wait_dscnt 0x0
	s_wait_alu 0xfffe
	v_cndmask_b32_e64 v13, v13, 0, s7
	s_delay_alu instid0(VALU_DEP_1) | instskip(NEXT) | instid1(VALU_DEP_1)
	v_add_nc_u32_e32 v18, v13, v18
	v_add_nc_u32_e32 v19, v18, v19
	s_delay_alu instid0(VALU_DEP_1) | instskip(NEXT) | instid1(VALU_DEP_1)
	v_add_nc_u32_e32 v16, v19, v16
	v_add_nc_u32_e32 v17, v16, v17
	;; [unrolled: 3-line block ×3, first 2 shown]
	s_delay_alu instid0(VALU_DEP_1)
	v_add_nc_u32_e32 v12, v15, v12
	ds_store_2addr_b32 v32, v13, v18 offset0:1 offset1:2
	ds_store_2addr_b32 v32, v19, v16 offset0:3 offset1:4
	;; [unrolled: 1-line block ×4, first 2 shown]
	; wave barrier
	s_wait_loadcnt_dscnt 0x0
	global_inv scope:SCOPE_SE
	ds_load_b32 v12, v74 offset:4
	ds_load_b32 v15, v78 offset:4
	;; [unrolled: 1-line block ×4, first 2 shown]
	v_cndmask_b32_e64 v13, v61, v51, s5
	v_cndmask_b32_e64 v14, v60, v50, s5
	;; [unrolled: 1-line block ×3, first 2 shown]
	; wave barrier
	s_wait_loadcnt_dscnt 0x0
	global_inv scope:SCOPE_SE
	v_cndmask_b32_e64 v49, v13, v49, s1
	v_cndmask_b32_e64 v47, v14, v47, s1
	v_dual_cndmask_b32 v14, v45, v42 :: v_dual_cndmask_b32 v13, v44, v40
	v_cndmask_b32_e64 v52, v16, v54, s1
	s_delay_alu instid0(VALU_DEP_4)
	v_cndmask_b32_e32 v16, v49, v46, vcc_lo
	v_cndmask_b32_e64 v19, v62, v56, s5
	v_cndmask_b32_e64 v50, v66, v71, s5
	;; [unrolled: 1-line block ×3, first 2 shown]
	v_add_nc_u32_e32 v42, v12, v72
	v_add3_u32 v44, v76, v75, v15
	v_add3_u32 v45, v80, v79, v17
	;; [unrolled: 1-line block ×3, first 2 shown]
	ds_store_b8 v42, v48
	ds_store_b8 v44, v73
	;; [unrolled: 1-line block ×4, first 2 shown]
	; wave barrier
	s_wait_loadcnt_dscnt 0x0
	global_inv scope:SCOPE_SE
	ds_load_b32 v12, v27
	v_cndmask_b32_e64 v19, v19, v53, s1
	v_cndmask_b32_e64 v40, v50, v70, s1
	;; [unrolled: 1-line block ×3, first 2 shown]
	v_cndmask_b32_e32 v18, v52, v43, vcc_lo
	v_cndmask_b32_e32 v15, v47, v39, vcc_lo
	;; [unrolled: 1-line block ×3, first 2 shown]
	v_lshlrev_b32_e32 v19, 3, v42
	v_lshlrev_b32_e32 v41, 3, v44
	;; [unrolled: 1-line block ×3, first 2 shown]
	v_cndmask_b32_e32 v40, v40, v69, vcc_lo
	v_cndmask_b32_e32 v39, v48, v67, vcc_lo
	v_lshlrev_b32_e32 v43, 3, v46
	; wave barrier
	s_wait_loadcnt_dscnt 0x0
	global_inv scope:SCOPE_SE
	ds_store_b64 v19, v[13:14]
	ds_store_b64 v41, v[15:16]
	;; [unrolled: 1-line block ×4, first 2 shown]
	; wave barrier
	s_wait_loadcnt_dscnt 0x0
	global_inv scope:SCOPE_SE
	s_and_b32 vcc_lo, exec_lo, s8
	s_wait_alu 0xfffe
	s_cbranch_vccnz .LBB93_36
	s_branch .LBB93_47
.LBB93_35:
                                        ; implicit-def: $vgpr12
	s_cbranch_execz .LBB93_47
.LBB93_36:
	v_xor_b32_e32 v12, -1, v35
	v_xor_b32_e32 v13, -1, v38
	v_and_b32_e32 v55, 28, v33
	v_xor_b32_e32 v14, -1, v37
	v_and_b32_e32 v19, 3, v33
	v_and_b32_e32 v12, 0xff, v12
	v_and_b32_e32 v13, 0xff, v13
	v_xor_b32_e32 v18, -1, v36
	s_getpc_b64 s[8:9]
	s_wait_alu 0xfffe
	s_sext_i32_i16 s9, s9
	s_add_co_u32 s8, s8, _ZN7rocprim17ROCPRIM_400000_NS16block_radix_sortIhLj32ELj4ElLj1ELj1ELj0ELNS0_26block_radix_rank_algorithmE1ELNS0_18block_padding_hintE2ELNS0_4arch9wavefront6targetE0EE19radix_bits_per_passE@rel32@lo+12
	s_wait_alu 0xfffe
	s_add_co_ci_u32 s9, s9, _ZN7rocprim17ROCPRIM_400000_NS16block_radix_sortIhLj32ELj4ElLj1ELj1ELj0ELNS0_26block_radix_rank_algorithmE1ELNS0_18block_padding_hintE2ELNS0_4arch9wavefront6targetE0EE19radix_bits_per_passE@rel32@hi+24
	v_cmp_eq_u32_e32 vcc_lo, 3, v19
	ds_bpermute_b32 v15, v55, v12
	v_and_b32_e32 v14, 0xff, v14
	ds_bpermute_b32 v16, v55, v13
	v_and_b32_e32 v18, 0xff, v18
	v_cmp_eq_u32_e64 s6, 0, v19
	v_cmp_eq_u32_e64 s5, 1, v19
	ds_bpermute_b32 v17, v55, v14
	ds_bpermute_b32 v36, v55, v12 offset:32
	ds_bpermute_b32 v35, v55, v18
	v_cmp_eq_u32_e64 s1, 2, v19
	s_load_b32 s8, s[8:9], 0x0
	; wave barrier
	s_wait_loadcnt_dscnt 0x0
	global_inv scope:SCOPE_SE
	s_load_b32 s7, s[18:19], 0xc
	ds_bpermute_b32 v47, v55, v5
	ds_bpermute_b32 v49, v55, v5 offset:32
	ds_bpermute_b32 v51, v55, v5 offset:64
	;; [unrolled: 1-line block ×3, first 2 shown]
	ds_bpermute_b32 v48, v55, v6
	ds_bpermute_b32 v50, v55, v6 offset:32
	v_and_b32_e32 v15, 0xff, v15
	ds_bpermute_b32 v52, v55, v6 offset:64
	v_and_b32_e32 v16, 0xff, v16
	ds_bpermute_b32 v54, v55, v6 offset:96
	ds_bpermute_b32 v37, v55, v7
	v_cndmask_b32_e64 v15, 0, v15, s6
	v_and_b32_e32 v17, 0xff, v17
	ds_bpermute_b32 v42, v55, v7 offset:32
	ds_bpermute_b32 v45, v55, v7 offset:64
	;; [unrolled: 1-line block ×3, first 2 shown]
	v_cndmask_b32_e64 v15, v15, v16, s5
	s_wait_kmcnt 0x0
	s_min_u32 s8, s8, 8
	ds_bpermute_b32 v38, v55, v8
	s_wait_alu 0xfffe
	s_lshl_b32 s8, -1, s8
	s_and_b32 s11, s7, 0xffff
	v_cndmask_b32_e64 v15, v15, v17, s1
	v_lshlrev_b16 v17, 8, v36
	s_wait_alu 0xfffe
	s_not_b32 s9, s8
	s_lshr_b32 s8, s7, 16
	ds_bpermute_b32 v36, v55, v2
	v_perm_b32 v16, v35, v15, 0x3020104
	s_wait_alu 0xfffe
	v_mad_u32_u24 v0, v0, s8, v34
	ds_bpermute_b32 v35, v55, v4
	ds_bpermute_b32 v43, v55, v8 offset:32
	ds_bpermute_b32 v40, v55, v2 offset:32
	v_cndmask_b32_e32 v15, v15, v16, vcc_lo
	ds_bpermute_b32 v16, v55, v13 offset:32
	ds_bpermute_b32 v46, v55, v8 offset:64
	v_and_b32_e32 v19, 0xff, v15
	s_delay_alu instid0(VALU_DEP_1) | instskip(SKIP_2) | instid1(VALU_DEP_1)
	v_or_b32_e32 v17, v19, v17
	ds_bpermute_b32 v19, v55, v14 offset:32
	v_and_b32_e32 v17, 0xffff, v17
	v_cndmask_b32_e64 v15, v15, v17, s6
	s_wait_dscnt 0x2
	v_lshlrev_b16 v16, 8, v16
	s_delay_alu instid0(VALU_DEP_2) | instskip(NEXT) | instid1(VALU_DEP_1)
	v_and_b32_e32 v17, 0xff, v15
	v_or_b32_e32 v16, v17, v16
	s_delay_alu instid0(VALU_DEP_1) | instskip(NEXT) | instid1(VALU_DEP_1)
	v_and_b32_e32 v16, 0xffff, v16
	v_and_or_b32 v16, 0xffff0000, v15, v16
	s_delay_alu instid0(VALU_DEP_1) | instskip(SKIP_4) | instid1(VALU_DEP_1)
	v_cndmask_b32_e64 v15, v15, v16, s5
	s_wait_dscnt 0x0
	v_lshlrev_b16 v16, 8, v19
	ds_bpermute_b32 v19, v55, v18 offset:32
	v_and_b32_e32 v17, 0xff, v15
	v_or_b32_e32 v16, v17, v16
	s_delay_alu instid0(VALU_DEP_1) | instskip(NEXT) | instid1(VALU_DEP_1)
	v_and_b32_e32 v16, 0xffff, v16
	v_and_or_b32 v16, 0xffff0000, v15, v16
	s_delay_alu instid0(VALU_DEP_1)
	v_cndmask_b32_e64 v15, v15, v16, s1
	s_wait_dscnt 0x0
	v_lshlrev_b16 v16, 8, v19
	ds_bpermute_b32 v19, v55, v12 offset:64
	ds_bpermute_b32 v12, v55, v12 offset:96
	v_and_b32_e32 v17, 0xff, v15
	s_delay_alu instid0(VALU_DEP_1) | instskip(NEXT) | instid1(VALU_DEP_1)
	v_or_b32_e32 v16, v17, v16
	v_and_b32_e32 v16, 0xffff, v16
	s_delay_alu instid0(VALU_DEP_1) | instskip(SKIP_2) | instid1(VALU_DEP_2)
	v_and_or_b32 v16, 0xffff0000, v15, v16
	s_wait_dscnt 0x0
	v_lshlrev_b16 v12, 8, v12
	v_cndmask_b32_e32 v15, v15, v16, vcc_lo
	ds_bpermute_b32 v16, v55, v13 offset:64
	ds_bpermute_b32 v13, v55, v13 offset:96
	v_perm_b32 v17, v19, v15, 0xc0c0304
	ds_bpermute_b32 v19, v55, v1
	v_lshlrev_b32_e32 v17, 16, v17
	s_delay_alu instid0(VALU_DEP_1) | instskip(NEXT) | instid1(VALU_DEP_1)
	v_and_or_b32 v17, 0xffff, v15, v17
	v_cndmask_b32_e64 v15, v15, v17, s6
	ds_bpermute_b32 v17, v55, v14 offset:64
	s_wait_dscnt 0x2
	v_lshlrev_b16 v13, 8, v13
	ds_bpermute_b32 v14, v55, v14 offset:96
	v_perm_b32 v16, v16, v15, 0xc0c0304
	s_delay_alu instid0(VALU_DEP_1) | instskip(NEXT) | instid1(VALU_DEP_1)
	v_lshlrev_b32_e32 v16, 16, v16
	v_and_or_b32 v16, 0xffff, v15, v16
	s_delay_alu instid0(VALU_DEP_1) | instskip(SKIP_4) | instid1(VALU_DEP_1)
	v_cndmask_b32_e64 v15, v15, v16, s5
	ds_bpermute_b32 v16, v55, v18 offset:64
	s_wait_dscnt 0x1
	v_lshlrev_b16 v14, 8, v14
	v_perm_b32 v17, v17, v15, 0xc0c0304
	v_lshlrev_b32_e32 v17, 16, v17
	s_delay_alu instid0(VALU_DEP_1) | instskip(NEXT) | instid1(VALU_DEP_1)
	v_and_or_b32 v17, 0xffff, v15, v17
	v_cndmask_b32_e64 v15, v15, v17, s1
	ds_bpermute_b32 v17, v55, v2 offset:64
	s_wait_dscnt 0x1
	v_perm_b32 v16, v16, v15, 0xc0c0304
	s_delay_alu instid0(VALU_DEP_1) | instskip(NEXT) | instid1(VALU_DEP_1)
	v_lshlrev_b32_e32 v16, 16, v16
	v_and_or_b32 v16, 0xffff, v15, v16
	s_delay_alu instid0(VALU_DEP_1) | instskip(NEXT) | instid1(VALU_DEP_1)
	v_cndmask_b32_e32 v15, v15, v16, vcc_lo
	v_lshrrev_b32_e32 v16, 16, v15
	s_delay_alu instid0(VALU_DEP_1) | instskip(NEXT) | instid1(VALU_DEP_1)
	v_and_b32_e32 v16, 0xff, v16
	v_or_b32_e32 v12, v16, v12
	ds_bpermute_b32 v16, v55, v4 offset:64
	v_lshlrev_b32_e32 v12, 16, v12
	s_delay_alu instid0(VALU_DEP_1) | instskip(NEXT) | instid1(VALU_DEP_1)
	v_and_or_b32 v12, 0xffff, v15, v12
	v_cndmask_b32_e64 v12, v15, v12, s6
	s_delay_alu instid0(VALU_DEP_1) | instskip(NEXT) | instid1(VALU_DEP_1)
	v_lshrrev_b32_e32 v15, 16, v12
	v_and_b32_e32 v15, 0xff, v15
	s_delay_alu instid0(VALU_DEP_1) | instskip(SKIP_2) | instid1(VALU_DEP_1)
	v_or_b32_e32 v13, v15, v13
	ds_bpermute_b32 v15, v55, v1 offset:64
	v_lshlrev_b32_e32 v13, 16, v13
	v_and_or_b32 v13, 0xffff, v12, v13
	s_delay_alu instid0(VALU_DEP_1) | instskip(NEXT) | instid1(VALU_DEP_1)
	v_cndmask_b32_e64 v12, v12, v13, s5
	v_lshrrev_b32_e32 v13, 16, v12
	s_delay_alu instid0(VALU_DEP_1) | instskip(NEXT) | instid1(VALU_DEP_1)
	v_and_b32_e32 v13, 0xff, v13
	v_or_b32_e32 v13, v13, v14
	ds_bpermute_b32 v14, v55, v18 offset:96
	ds_bpermute_b32 v18, v55, v3
	v_lshlrev_b32_e32 v13, 16, v13
	s_delay_alu instid0(VALU_DEP_1) | instskip(NEXT) | instid1(VALU_DEP_1)
	v_and_or_b32 v13, 0xffff, v12, v13
	v_cndmask_b32_e64 v41, v12, v13, s1
	s_delay_alu instid0(VALU_DEP_1) | instskip(SKIP_2) | instid1(VALU_DEP_2)
	v_lshrrev_b32_e32 v12, 16, v41
	s_wait_dscnt 0x1
	v_lshlrev_b16 v13, 8, v14
	v_and_b32_e32 v12, 0xff, v12
	s_delay_alu instid0(VALU_DEP_1) | instskip(SKIP_3) | instid1(VALU_DEP_1)
	v_or_b32_e32 v14, v12, v13
	ds_bpermute_b32 v12, v55, v3 offset:32
	ds_bpermute_b32 v13, v55, v4 offset:32
	v_lshlrev_b32_e32 v14, 16, v14
	v_and_or_b32 v44, 0xffff, v41, v14
	ds_bpermute_b32 v14, v55, v3 offset:64
	v_cndmask_b32_e32 v41, v41, v44, vcc_lo
	ds_bpermute_b32 v44, v55, v7 offset:96
	v_and_b32_e32 v58, s9, v41
	s_delay_alu instid0(VALU_DEP_1)
	v_and_b32_e32 v5, 1, v58
	v_lshlrev_b32_e32 v6, 30, v58
	v_lshlrev_b32_e32 v7, 29, v58
	v_lshlrev_b32_e32 v34, 28, v58
	v_lshlrev_b32_e32 v57, 27, v58
	v_add_co_u32 v5, s7, v5, -1
	s_wait_alu 0xf1ff
	v_cndmask_b32_e64 v56, 0, 1, s7
	v_not_b32_e32 v61, v6
	v_cmp_gt_i32_e64 s8, 0, v6
	v_not_b32_e32 v6, v7
	v_lshlrev_b32_e32 v59, 26, v58
	v_cmp_ne_u32_e64 s7, 0, v56
	v_ashrrev_i32_e32 v61, 31, v61
	v_lshlrev_b32_e32 v60, 25, v58
	v_ashrrev_i32_e32 v6, 31, v6
	v_lshlrev_b32_e32 v56, 24, v58
	s_wait_alu 0xf1ff
	v_xor_b32_e32 v5, s7, v5
	v_cmp_gt_i32_e64 s7, 0, v7
	v_not_b32_e32 v7, v34
	v_xor_b32_e32 v61, s8, v61
	v_cmp_gt_i32_e64 s8, 0, v34
	v_and_b32_e32 v5, exec_lo, v5
	v_not_b32_e32 v34, v57
	v_ashrrev_i32_e32 v7, 31, v7
	s_wait_alu 0xf1ff
	v_xor_b32_e32 v6, s7, v6
	v_cmp_gt_i32_e64 s7, 0, v57
	v_and_b32_e32 v5, v5, v61
	v_not_b32_e32 v57, v59
	v_ashrrev_i32_e32 v34, 31, v34
	v_xor_b32_e32 v7, s8, v7
	v_cmp_gt_i32_e64 s8, 0, v59
	v_and_b32_e32 v5, v5, v6
	v_not_b32_e32 v6, v60
	v_ashrrev_i32_e32 v57, 31, v57
	s_wait_alu 0xf1ff
	v_xor_b32_e32 v34, s7, v34
	v_cmp_gt_i32_e64 s7, 0, v60
	v_and_b32_e32 v5, v5, v7
	v_not_b32_e32 v7, v56
	v_ashrrev_i32_e32 v59, 31, v6
	v_xor_b32_e32 v57, s8, v57
	v_cmp_gt_i32_e64 s8, 0, v56
	v_and_b32_e32 v34, v5, v34
	s_wait_dscnt 0x3
	v_mad_co_u64_u32 v[5:6], null, v0, s11, v[11:12]
	v_ashrrev_i32_e32 v0, 31, v7
	s_wait_alu 0xf1ff
	v_xor_b32_e32 v6, s7, v59
	v_and_b32_e32 v7, v34, v57
	ds_bpermute_b32 v34, v55, v1 offset:96
	ds_bpermute_b32 v57, v55, v8 offset:96
	v_xor_b32_e32 v0, s8, v0
	ds_bpermute_b32 v56, v55, v2 offset:96
	v_and_b32_e32 v1, v7, v6
	ds_bpermute_b32 v8, v55, v3 offset:96
	ds_bpermute_b32 v55, v55, v4 offset:96
	v_lshrrev_b32_e32 v2, 3, v5
	v_mov_b32_e32 v3, 0
	v_and_b32_e32 v1, v1, v0
	ds_store_2addr_b32 v32, v3, v3 offset0:1 offset1:2
	ds_store_2addr_b32 v32, v3, v3 offset0:3 offset1:4
	;; [unrolled: 1-line block ×4, first 2 shown]
	v_and_b32_e32 v0, 0x1ffffffc, v2
	v_and_b32_e32 v2, 0xff, v58
	v_mbcnt_lo_u32_b32 v58, v1, 0
	v_cmp_ne_u32_e64 s8, 0, v1
	; wave barrier
	s_wait_loadcnt_dscnt 0x0
	global_inv scope:SCOPE_SE
	v_lshl_add_u32 v60, v2, 2, v0
	v_cmp_eq_u32_e64 s7, 0, v58
	; wave barrier
	s_and_b32 s8, s8, s7
	s_wait_alu 0xfffe
	s_and_saveexec_b32 s7, s8
; %bb.37:
	v_bcnt_u32_b32 v1, v1, 0
	ds_store_b32 v60, v1 offset:4
; %bb.38:
	s_wait_alu 0xfffe
	s_or_b32 exec_lo, exec_lo, s7
	v_lshrrev_b32_e32 v59, 8, v41
	; wave barrier
	s_delay_alu instid0(VALU_DEP_1) | instskip(NEXT) | instid1(VALU_DEP_1)
	v_and_b32_e32 v1, s9, v59
	v_and_b32_e32 v2, 1, v1
	v_lshlrev_b32_e32 v3, 30, v1
	v_lshlrev_b32_e32 v4, 29, v1
	;; [unrolled: 1-line block ×4, first 2 shown]
	v_add_co_u32 v2, s7, v2, -1
	s_wait_alu 0xf1ff
	v_cndmask_b32_e64 v6, 0, 1, s7
	v_not_b32_e32 v63, v3
	v_cmp_gt_i32_e64 s8, 0, v3
	v_not_b32_e32 v3, v4
	v_lshlrev_b32_e32 v61, 26, v1
	v_cmp_ne_u32_e64 s7, 0, v6
	v_ashrrev_i32_e32 v63, 31, v63
	v_lshlrev_b32_e32 v62, 25, v1
	v_ashrrev_i32_e32 v3, 31, v3
	v_lshlrev_b32_e32 v6, 24, v1
	s_wait_alu 0xf1ff
	v_xor_b32_e32 v2, s7, v2
	v_cmp_gt_i32_e64 s7, 0, v4
	v_not_b32_e32 v4, v5
	v_xor_b32_e32 v63, s8, v63
	v_cmp_gt_i32_e64 s8, 0, v5
	v_and_b32_e32 v2, exec_lo, v2
	v_not_b32_e32 v5, v7
	v_ashrrev_i32_e32 v4, 31, v4
	s_wait_alu 0xf1ff
	v_xor_b32_e32 v3, s7, v3
	v_cmp_gt_i32_e64 s7, 0, v7
	v_and_b32_e32 v2, v2, v63
	v_not_b32_e32 v7, v61
	v_ashrrev_i32_e32 v5, 31, v5
	v_xor_b32_e32 v4, s8, v4
	v_cmp_gt_i32_e64 s8, 0, v61
	v_and_b32_e32 v2, v2, v3
	v_not_b32_e32 v3, v62
	v_ashrrev_i32_e32 v7, 31, v7
	s_wait_alu 0xf1ff
	v_xor_b32_e32 v5, s7, v5
	v_cmp_gt_i32_e64 s7, 0, v62
	v_and_b32_e32 v2, v2, v4
	v_not_b32_e32 v4, v6
	v_ashrrev_i32_e32 v3, 31, v3
	v_xor_b32_e32 v7, s8, v7
	v_and_b32_e32 v1, 0xff, v1
	v_and_b32_e32 v2, v2, v5
	v_cmp_gt_i32_e64 s8, 0, v6
	v_ashrrev_i32_e32 v4, 31, v4
	s_wait_alu 0xf1ff
	v_xor_b32_e32 v3, s7, v3
	v_lshl_add_u32 v64, v1, 2, v0
	v_and_b32_e32 v2, v2, v7
	v_xor_b32_e32 v1, s8, v4
	ds_load_b32 v61, v64 offset:4
	v_and_b32_e32 v2, v2, v3
	; wave barrier
	s_delay_alu instid0(VALU_DEP_1) | instskip(NEXT) | instid1(VALU_DEP_1)
	v_and_b32_e32 v1, v2, v1
	v_mbcnt_lo_u32_b32 v62, v1, 0
	v_cmp_ne_u32_e64 s8, 0, v1
	s_delay_alu instid0(VALU_DEP_2)
	v_cmp_eq_u32_e64 s7, 0, v62
	s_and_b32 s8, s8, s7
	s_wait_alu 0xfffe
	s_and_saveexec_b32 s7, s8
	s_cbranch_execz .LBB93_40
; %bb.39:
	s_wait_dscnt 0x0
	v_bcnt_u32_b32 v1, v1, v61
	ds_store_b32 v64, v1 offset:4
.LBB93_40:
	s_wait_alu 0xfffe
	s_or_b32 exec_lo, exec_lo, s7
	v_lshrrev_b32_e32 v63, 16, v41
	; wave barrier
	s_delay_alu instid0(VALU_DEP_1) | instskip(NEXT) | instid1(VALU_DEP_1)
	v_and_b32_e32 v1, s9, v63
	v_and_b32_e32 v2, 1, v1
	v_lshlrev_b32_e32 v3, 30, v1
	v_lshlrev_b32_e32 v4, 29, v1
	;; [unrolled: 1-line block ×4, first 2 shown]
	v_add_co_u32 v2, s7, v2, -1
	s_wait_alu 0xf1ff
	v_cndmask_b32_e64 v6, 0, 1, s7
	v_not_b32_e32 v67, v3
	v_cmp_gt_i32_e64 s8, 0, v3
	v_not_b32_e32 v3, v4
	v_lshlrev_b32_e32 v65, 26, v1
	v_cmp_ne_u32_e64 s7, 0, v6
	v_ashrrev_i32_e32 v67, 31, v67
	v_lshlrev_b32_e32 v66, 25, v1
	v_ashrrev_i32_e32 v3, 31, v3
	v_lshlrev_b32_e32 v6, 24, v1
	s_wait_alu 0xf1ff
	v_xor_b32_e32 v2, s7, v2
	v_cmp_gt_i32_e64 s7, 0, v4
	v_not_b32_e32 v4, v5
	v_xor_b32_e32 v67, s8, v67
	v_cmp_gt_i32_e64 s8, 0, v5
	v_and_b32_e32 v2, exec_lo, v2
	v_not_b32_e32 v5, v7
	v_ashrrev_i32_e32 v4, 31, v4
	s_wait_alu 0xf1ff
	v_xor_b32_e32 v3, s7, v3
	v_cmp_gt_i32_e64 s7, 0, v7
	v_and_b32_e32 v2, v2, v67
	v_not_b32_e32 v7, v65
	v_ashrrev_i32_e32 v5, 31, v5
	v_xor_b32_e32 v4, s8, v4
	v_cmp_gt_i32_e64 s8, 0, v65
	v_and_b32_e32 v2, v2, v3
	v_not_b32_e32 v3, v66
	v_ashrrev_i32_e32 v7, 31, v7
	s_wait_alu 0xf1ff
	v_xor_b32_e32 v5, s7, v5
	v_cmp_gt_i32_e64 s7, 0, v66
	v_and_b32_e32 v2, v2, v4
	v_not_b32_e32 v4, v6
	v_ashrrev_i32_e32 v3, 31, v3
	v_xor_b32_e32 v7, s8, v7
	v_and_b32_e32 v1, 0xff, v1
	v_and_b32_e32 v2, v2, v5
	v_cmp_gt_i32_e64 s8, 0, v6
	v_ashrrev_i32_e32 v4, 31, v4
	s_wait_alu 0xf1ff
	v_xor_b32_e32 v3, s7, v3
	v_lshl_add_u32 v68, v1, 2, v0
	v_and_b32_e32 v2, v2, v7
	v_xor_b32_e32 v1, s8, v4
	ds_load_b32 v65, v68 offset:4
	v_and_b32_e32 v2, v2, v3
	; wave barrier
	s_delay_alu instid0(VALU_DEP_1) | instskip(NEXT) | instid1(VALU_DEP_1)
	v_and_b32_e32 v1, v2, v1
	v_mbcnt_lo_u32_b32 v66, v1, 0
	v_cmp_ne_u32_e64 s8, 0, v1
	s_delay_alu instid0(VALU_DEP_2)
	v_cmp_eq_u32_e64 s7, 0, v66
	s_and_b32 s8, s8, s7
	s_wait_alu 0xfffe
	s_and_saveexec_b32 s7, s8
	s_cbranch_execz .LBB93_42
; %bb.41:
	s_wait_dscnt 0x0
	v_bcnt_u32_b32 v1, v1, v65
	ds_store_b32 v68, v1 offset:4
.LBB93_42:
	s_wait_alu 0xfffe
	s_or_b32 exec_lo, exec_lo, s7
	v_lshrrev_b32_e32 v67, 24, v41
	; wave barrier
	s_delay_alu instid0(VALU_DEP_1) | instskip(NEXT) | instid1(VALU_DEP_1)
	v_and_b32_e32 v1, s9, v67
	v_and_b32_e32 v2, 1, v1
	v_lshlrev_b32_e32 v3, 30, v1
	v_lshlrev_b32_e32 v4, 29, v1
	;; [unrolled: 1-line block ×4, first 2 shown]
	v_add_co_u32 v2, s7, v2, -1
	s_wait_alu 0xf1ff
	v_cndmask_b32_e64 v6, 0, 1, s7
	v_not_b32_e32 v71, v3
	v_cmp_gt_i32_e64 s8, 0, v3
	v_not_b32_e32 v3, v4
	v_lshlrev_b32_e32 v69, 26, v1
	v_cmp_ne_u32_e64 s7, 0, v6
	v_ashrrev_i32_e32 v71, 31, v71
	v_lshlrev_b32_e32 v70, 25, v1
	v_ashrrev_i32_e32 v3, 31, v3
	v_lshlrev_b32_e32 v6, 24, v1
	s_wait_alu 0xf1ff
	v_xor_b32_e32 v2, s7, v2
	v_cmp_gt_i32_e64 s7, 0, v4
	v_not_b32_e32 v4, v5
	v_xor_b32_e32 v71, s8, v71
	v_cmp_gt_i32_e64 s8, 0, v5
	v_and_b32_e32 v2, exec_lo, v2
	v_not_b32_e32 v5, v7
	v_ashrrev_i32_e32 v4, 31, v4
	s_wait_alu 0xf1ff
	v_xor_b32_e32 v3, s7, v3
	v_cmp_gt_i32_e64 s7, 0, v7
	v_and_b32_e32 v2, v2, v71
	v_not_b32_e32 v7, v69
	v_ashrrev_i32_e32 v5, 31, v5
	v_xor_b32_e32 v4, s8, v4
	v_cmp_gt_i32_e64 s8, 0, v69
	v_and_b32_e32 v2, v2, v3
	v_not_b32_e32 v3, v70
	v_ashrrev_i32_e32 v7, 31, v7
	s_wait_alu 0xf1ff
	v_xor_b32_e32 v5, s7, v5
	v_cmp_gt_i32_e64 s7, 0, v70
	v_and_b32_e32 v2, v2, v4
	v_not_b32_e32 v4, v6
	v_ashrrev_i32_e32 v3, 31, v3
	v_xor_b32_e32 v7, s8, v7
	v_cmp_gt_i32_e64 s8, 0, v6
	v_and_b32_e32 v2, v2, v5
	v_ashrrev_i32_e32 v4, 31, v4
	s_wait_alu 0xf1ff
	v_xor_b32_e32 v3, s7, v3
	v_lshl_add_u32 v71, v1, 2, v0
	v_and_b32_e32 v2, v2, v7
	v_xor_b32_e32 v0, s8, v4
	ds_load_b32 v69, v71 offset:4
	v_and_b32_e32 v1, v2, v3
	; wave barrier
	s_delay_alu instid0(VALU_DEP_1) | instskip(NEXT) | instid1(VALU_DEP_1)
	v_and_b32_e32 v0, v1, v0
	v_mbcnt_lo_u32_b32 v70, v0, 0
	v_cmp_ne_u32_e64 s8, 0, v0
	s_delay_alu instid0(VALU_DEP_2)
	v_cmp_eq_u32_e64 s7, 0, v70
	s_and_b32 s8, s8, s7
	s_wait_alu 0xfffe
	s_and_saveexec_b32 s7, s8
	s_cbranch_execz .LBB93_44
; %bb.43:
	s_wait_dscnt 0x0
	v_bcnt_u32_b32 v0, v0, v69
	ds_store_b32 v71, v0 offset:4
.LBB93_44:
	s_wait_alu 0xfffe
	s_or_b32 exec_lo, exec_lo, s7
	; wave barrier
	; wave barrier
	s_wait_loadcnt_dscnt 0x0
	global_inv scope:SCOPE_SE
	ds_load_2addr_b32 v[6:7], v32 offset0:1 offset1:2
	ds_load_2addr_b32 v[4:5], v32 offset0:3 offset1:4
	;; [unrolled: 1-line block ×4, first 2 shown]
	s_mov_b32 s8, exec_lo
	s_wait_dscnt 0x3
	v_add_nc_u32_e32 v72, v7, v6
	s_wait_dscnt 0x2
	s_delay_alu instid0(VALU_DEP_1) | instskip(SKIP_1) | instid1(VALU_DEP_1)
	v_add3_u32 v72, v72, v4, v5
	s_wait_dscnt 0x1
	v_add3_u32 v72, v72, v2, v3
	s_wait_dscnt 0x0
	s_delay_alu instid0(VALU_DEP_1) | instskip(SKIP_1) | instid1(VALU_DEP_2)
	v_add3_u32 v1, v72, v0, v1
	v_and_b32_e32 v72, 15, v33
	v_mov_b32_dpp v73, v1 row_shr:1 row_mask:0xf bank_mask:0xf
	s_delay_alu instid0(VALU_DEP_2) | instskip(SKIP_1) | instid1(VALU_DEP_1)
	v_cmp_ne_u32_e64 s7, 0, v72
	s_wait_alu 0xf1ff
	v_cndmask_b32_e64 v73, 0, v73, s7
	v_cmp_lt_u32_e64 s7, 1, v72
	s_delay_alu instid0(VALU_DEP_2) | instskip(NEXT) | instid1(VALU_DEP_1)
	v_add_nc_u32_e32 v1, v73, v1
	v_mov_b32_dpp v73, v1 row_shr:2 row_mask:0xf bank_mask:0xf
	s_wait_alu 0xf1ff
	s_delay_alu instid0(VALU_DEP_1) | instskip(SKIP_1) | instid1(VALU_DEP_2)
	v_cndmask_b32_e64 v73, 0, v73, s7
	v_cmp_lt_u32_e64 s7, 3, v72
	v_add_nc_u32_e32 v1, v1, v73
	s_delay_alu instid0(VALU_DEP_1) | instskip(SKIP_1) | instid1(VALU_DEP_1)
	v_mov_b32_dpp v73, v1 row_shr:4 row_mask:0xf bank_mask:0xf
	s_wait_alu 0xf1ff
	v_cndmask_b32_e64 v73, 0, v73, s7
	v_cmp_lt_u32_e64 s7, 7, v72
	s_delay_alu instid0(VALU_DEP_2) | instskip(NEXT) | instid1(VALU_DEP_1)
	v_add_nc_u32_e32 v1, v1, v73
	v_mov_b32_dpp v73, v1 row_shr:8 row_mask:0xf bank_mask:0xf
	s_wait_alu 0xf1ff
	s_delay_alu instid0(VALU_DEP_1) | instskip(SKIP_1) | instid1(VALU_DEP_2)
	v_cndmask_b32_e64 v72, 0, v73, s7
	v_bfe_i32 v73, v33, 4, 1
	v_add_nc_u32_e32 v1, v1, v72
	ds_swizzle_b32 v72, v1 offset:swizzle(BROADCAST,32,15)
	s_wait_dscnt 0x0
	v_and_b32_e32 v72, v73, v72
	s_delay_alu instid0(VALU_DEP_1)
	v_add_nc_u32_e32 v1, v1, v72
	v_cmpx_eq_u32_e32 31, v11
; %bb.45:
	v_mov_b32_e32 v72, 0
	ds_store_b32 v72, v1
; %bb.46:
	s_wait_alu 0xfffe
	s_or_b32 exec_lo, exec_lo, s8
	v_sub_co_u32 v72, s8, v33, 1
	; wave barrier
	s_wait_loadcnt_dscnt 0x0
	global_inv scope:SCOPE_SE
	v_cmp_gt_i32_e64 s7, 0, v72
	s_wait_alu 0xf1ff
	s_delay_alu instid0(VALU_DEP_1)
	v_cndmask_b32_e64 v33, v72, v33, s7
	v_cmp_eq_u32_e64 s7, 0, v11
	v_cndmask_b32_e64 v11, 0, v47, s6
	v_cndmask_b32_e64 v47, 0, v49, s6
	;; [unrolled: 1-line block ×3, first 2 shown]
	v_lshlrev_b32_e32 v33, 2, v33
	s_or_b32 s7, s7, s8
	ds_bpermute_b32 v1, v33, v1
	v_cndmask_b32_e64 v33, 0, v48, s6
	v_cndmask_b32_e64 v48, 0, v50, s6
	;; [unrolled: 1-line block ×3, first 2 shown]
	s_wait_dscnt 0x0
	s_wait_alu 0xfffe
	v_cndmask_b32_e64 v1, v1, 0, s7
	s_delay_alu instid0(VALU_DEP_1) | instskip(NEXT) | instid1(VALU_DEP_1)
	v_add_nc_u32_e32 v6, v1, v6
	v_add_nc_u32_e32 v7, v6, v7
	s_delay_alu instid0(VALU_DEP_1) | instskip(NEXT) | instid1(VALU_DEP_1)
	v_add_nc_u32_e32 v4, v7, v4
	v_add_nc_u32_e32 v5, v4, v5
	;; [unrolled: 3-line block ×3, first 2 shown]
	s_delay_alu instid0(VALU_DEP_1)
	v_add_nc_u32_e32 v0, v3, v0
	ds_store_2addr_b32 v32, v1, v6 offset0:1 offset1:2
	ds_store_2addr_b32 v32, v7, v4 offset0:3 offset1:4
	;; [unrolled: 1-line block ×4, first 2 shown]
	; wave barrier
	s_wait_loadcnt_dscnt 0x0
	global_inv scope:SCOPE_SE
	ds_load_b32 v2, v60 offset:4
	ds_load_b32 v3, v64 offset:4
	;; [unrolled: 1-line block ×4, first 2 shown]
	v_cndmask_b32_e64 v0, 0, v54, s6
	v_cndmask_b32_e64 v7, v11, v37, s5
	;; [unrolled: 1-line block ×5, first 2 shown]
	s_wait_loadcnt_dscnt 0x0
	v_cndmask_b32_e64 v7, v7, v19, s1
	v_cndmask_b32_e64 v19, v0, v57, s5
	;; [unrolled: 1-line block ×3, first 2 shown]
	; wave barrier
	global_inv scope:SCOPE_SE
	v_cndmask_b32_e64 v33, v50, v46, s5
	v_cndmask_b32_e32 v0, v7, v18, vcc_lo
	v_cndmask_b32_e64 v7, v19, v56, s1
	v_cndmask_b32_e32 v1, v1, v35, vcc_lo
	v_cndmask_b32_e64 v37, v49, v45, s5
	v_cndmask_b32_e64 v11, v11, v40, s1
	s_delay_alu instid0(VALU_DEP_4)
	v_dual_cndmask_b32 v7, v7, v55 :: v_dual_add_nc_u32 v18, v2, v58
	v_add3_u32 v35, v62, v61, v3
	v_add3_u32 v36, v66, v65, v4
	;; [unrolled: 1-line block ×3, first 2 shown]
	ds_store_b8 v18, v41
	ds_store_b8 v35, v59
	;; [unrolled: 1-line block ×4, first 2 shown]
	; wave barrier
	s_wait_loadcnt_dscnt 0x0
	global_inv scope:SCOPE_SE
	ds_load_b32 v27, v27
	v_cndmask_b32_e64 v2, v6, v44, s5
	v_cndmask_b32_e64 v32, v47, v42, s5
	v_cndmask_b32_e32 v3, v11, v13, vcc_lo
	v_cndmask_b32_e64 v4, v33, v17, s1
	v_cndmask_b32_e64 v6, v37, v15, s1
	;; [unrolled: 1-line block ×4, first 2 shown]
	v_lshlrev_b32_e32 v13, 3, v36
	s_delay_alu instid0(VALU_DEP_4) | instskip(NEXT) | instid1(VALU_DEP_4)
	v_dual_cndmask_b32 v5, v4, v16 :: v_dual_cndmask_b32 v4, v6, v14
	v_cndmask_b32_e32 v6, v11, v8, vcc_lo
	v_lshlrev_b32_e32 v8, 3, v18
	v_dual_cndmask_b32 v2, v32, v12 :: v_dual_lshlrev_b32 v11, 3, v35
	v_lshlrev_b32_e32 v14, 3, v38
	; wave barrier
	s_wait_loadcnt_dscnt 0x0
	global_inv scope:SCOPE_SE
	ds_store_b64 v8, v[0:1]
	ds_store_b64 v11, v[2:3]
	ds_store_b64 v13, v[4:5]
	ds_store_b64 v14, v[6:7]
	v_not_b32_e32 v12, v27
	; wave barrier
	s_wait_loadcnt_dscnt 0x0
	global_inv scope:SCOPE_SE
.LBB93_47:
	ds_load_b128 v[0:3], v10
	ds_load_b128 v[4:7], v10 offset:16
	; wave barrier
	s_wait_loadcnt_dscnt 0x0
	global_inv scope:SCOPE_SE
	ds_store_b32 v25, v12
	; wave barrier
	s_wait_loadcnt_dscnt 0x0
	global_inv scope:SCOPE_SE
	ds_load_u8 v13, v22 offset:32
	ds_load_u8 v12, v23 offset:64
	;; [unrolled: 1-line block ×3, first 2 shown]
	v_add_co_u32 v10, s1, s14, v20
	s_wait_alu 0xf1ff
	v_add_co_ci_u32_e64 v11, null, s15, 0, s1
	s_and_saveexec_b32 s1, s2
	s_cbranch_execnz .LBB93_58
; %bb.48:
	s_wait_alu 0xfffe
	s_or_b32 exec_lo, exec_lo, s1
	s_and_saveexec_b32 s1, s4
	s_cbranch_execnz .LBB93_59
.LBB93_49:
	s_wait_alu 0xfffe
	s_or_b32 exec_lo, exec_lo, s1
	s_and_saveexec_b32 s1, s3
	s_cbranch_execnz .LBB93_60
.LBB93_50:
	s_wait_alu 0xfffe
	s_or_b32 exec_lo, exec_lo, s1
	s_and_saveexec_b32 s1, s0
	s_cbranch_execz .LBB93_52
.LBB93_51:
	s_mul_i32 s5, s10, 0x60
	s_wait_alu 0xfffe
	v_add_co_u32 v10, vcc_lo, v10, s5
	s_wait_alu 0xfffd
	v_add_co_ci_u32_e64 v11, null, 0, v11, vcc_lo
	s_wait_dscnt 0x0
	global_store_b8 v[10:11], v8, off
.LBB93_52:
	s_wait_alu 0xfffe
	s_or_b32 exec_lo, exec_lo, s1
	s_wait_storecnt 0x0
	; wave barrier
	s_wait_loadcnt_dscnt 0x0
	global_inv scope:SCOPE_SE
	ds_store_2addr_b64 v31, v[0:1], v[2:3] offset1:1
	ds_store_2addr_b64 v31, v[4:5], v[6:7] offset0:2 offset1:3
	; wave barrier
	s_wait_loadcnt_dscnt 0x0
	global_inv scope:SCOPE_SE
	ds_load_b64 v[6:7], v28 offset:256
	ds_load_b64 v[4:5], v29 offset:512
	;; [unrolled: 1-line block ×3, first 2 shown]
	v_mov_b32_e32 v10, 0
	s_delay_alu instid0(VALU_DEP_1) | instskip(NEXT) | instid1(VALU_DEP_1)
	v_lshlrev_b64_e32 v[2:3], 3, v[9:10]
	v_add_co_u32 v2, vcc_lo, s16, v2
	s_wait_alu 0xfffd
	s_delay_alu instid0(VALU_DEP_2)
	v_add_co_ci_u32_e64 v3, null, s17, v3, vcc_lo
	s_and_saveexec_b32 s1, s2
	s_cbranch_execnz .LBB93_61
; %bb.53:
	s_wait_alu 0xfffe
	s_or_b32 exec_lo, exec_lo, s1
	s_and_saveexec_b32 s1, s4
	s_cbranch_execnz .LBB93_62
.LBB93_54:
	s_wait_alu 0xfffe
	s_or_b32 exec_lo, exec_lo, s1
	s_and_saveexec_b32 s1, s3
	s_cbranch_execnz .LBB93_63
.LBB93_55:
	s_wait_alu 0xfffe
	s_or_b32 exec_lo, exec_lo, s1
	s_and_saveexec_b32 s1, s0
	s_cbranch_execz .LBB93_57
.LBB93_56:
	s_mul_i32 s0, s12, 0x60
	s_mov_b32 s1, 0
	s_wait_alu 0xfffe
	s_lshl_b64 s[0:1], s[0:1], 3
	s_wait_alu 0xfffe
	v_add_co_u32 v2, vcc_lo, v2, s0
	s_wait_alu 0xfffd
	v_add_co_ci_u32_e64 v3, null, s1, v3, vcc_lo
	s_wait_dscnt 0x0
	global_store_b64 v[2:3], v[0:1], off
.LBB93_57:
	s_endpgm
.LBB93_58:
	ds_load_u8 v14, v21
	s_wait_dscnt 0x0
	global_store_b8 v[10:11], v14, off
	s_wait_alu 0xfffe
	s_or_b32 exec_lo, exec_lo, s1
	s_and_saveexec_b32 s1, s4
	s_cbranch_execz .LBB93_49
.LBB93_59:
	s_lshl_b32 s5, s10, 5
	s_wait_alu 0xfffe
	v_add_co_u32 v14, vcc_lo, v10, s5
	s_wait_alu 0xfffd
	v_add_co_ci_u32_e64 v15, null, 0, v11, vcc_lo
	s_wait_dscnt 0x2
	global_store_b8 v[14:15], v13, off
	s_or_b32 exec_lo, exec_lo, s1
	s_and_saveexec_b32 s1, s3
	s_cbranch_execz .LBB93_50
.LBB93_60:
	s_lshl_b32 s5, s10, 6
	s_wait_dscnt 0x2
	s_wait_alu 0xfffe
	v_add_co_u32 v13, vcc_lo, v10, s5
	s_wait_alu 0xfffd
	v_add_co_ci_u32_e64 v14, null, 0, v11, vcc_lo
	s_wait_dscnt 0x1
	global_store_b8 v[13:14], v12, off
	s_or_b32 exec_lo, exec_lo, s1
	s_and_saveexec_b32 s1, s0
	s_cbranch_execnz .LBB93_51
	s_branch .LBB93_52
.LBB93_61:
	ds_load_b64 v[8:9], v26
	s_wait_dscnt 0x0
	global_store_b64 v[2:3], v[8:9], off
	s_wait_alu 0xfffe
	s_or_b32 exec_lo, exec_lo, s1
	s_and_saveexec_b32 s1, s4
	s_cbranch_execz .LBB93_54
.LBB93_62:
	s_lshl_b32 s4, s12, 5
	s_mov_b32 s5, 0
	s_wait_alu 0xfffe
	s_lshl_b64 s[4:5], s[4:5], 3
	s_wait_alu 0xfffe
	v_add_co_u32 v8, vcc_lo, v2, s4
	s_wait_alu 0xfffd
	v_add_co_ci_u32_e64 v9, null, s5, v3, vcc_lo
	s_wait_dscnt 0x2
	global_store_b64 v[8:9], v[6:7], off
	s_or_b32 exec_lo, exec_lo, s1
	s_and_saveexec_b32 s1, s3
	s_cbranch_execz .LBB93_55
.LBB93_63:
	s_lshl_b32 s2, s12, 6
	s_mov_b32 s3, 0
	s_wait_alu 0xfffe
	s_lshl_b64 s[2:3], s[2:3], 3
	s_wait_dscnt 0x2
	s_wait_alu 0xfffe
	v_add_co_u32 v6, vcc_lo, v2, s2
	s_wait_alu 0xfffd
	v_add_co_ci_u32_e64 v7, null, s3, v3, vcc_lo
	s_wait_dscnt 0x1
	global_store_b64 v[6:7], v[4:5], off
	s_or_b32 exec_lo, exec_lo, s1
	s_and_saveexec_b32 s1, s0
	s_cbranch_execnz .LBB93_56
	s_branch .LBB93_57
	.section	.rodata,"a",@progbits
	.p2align	6, 0x0
	.amdhsa_kernel _ZN2at6native18radixSortKVInPlaceILin1ELin1ELi32ELi4EhljEEvNS_4cuda6detail10TensorInfoIT3_T5_EES6_S6_S6_NS4_IT4_S6_EES6_b
		.amdhsa_group_segment_fixed_size 1056
		.amdhsa_private_segment_fixed_size 0
		.amdhsa_kernarg_size 712
		.amdhsa_user_sgpr_count 2
		.amdhsa_user_sgpr_dispatch_ptr 0
		.amdhsa_user_sgpr_queue_ptr 0
		.amdhsa_user_sgpr_kernarg_segment_ptr 1
		.amdhsa_user_sgpr_dispatch_id 0
		.amdhsa_user_sgpr_private_segment_size 0
		.amdhsa_wavefront_size32 1
		.amdhsa_uses_dynamic_stack 0
		.amdhsa_enable_private_segment 0
		.amdhsa_system_sgpr_workgroup_id_x 1
		.amdhsa_system_sgpr_workgroup_id_y 1
		.amdhsa_system_sgpr_workgroup_id_z 1
		.amdhsa_system_sgpr_workgroup_info 0
		.amdhsa_system_vgpr_workitem_id 2
		.amdhsa_next_free_vgpr 88
		.amdhsa_next_free_sgpr 20
		.amdhsa_reserve_vcc 1
		.amdhsa_float_round_mode_32 0
		.amdhsa_float_round_mode_16_64 0
		.amdhsa_float_denorm_mode_32 3
		.amdhsa_float_denorm_mode_16_64 3
		.amdhsa_fp16_overflow 0
		.amdhsa_workgroup_processor_mode 1
		.amdhsa_memory_ordered 1
		.amdhsa_forward_progress 1
		.amdhsa_inst_pref_size 78
		.amdhsa_round_robin_scheduling 0
		.amdhsa_exception_fp_ieee_invalid_op 0
		.amdhsa_exception_fp_denorm_src 0
		.amdhsa_exception_fp_ieee_div_zero 0
		.amdhsa_exception_fp_ieee_overflow 0
		.amdhsa_exception_fp_ieee_underflow 0
		.amdhsa_exception_fp_ieee_inexact 0
		.amdhsa_exception_int_div_zero 0
	.end_amdhsa_kernel
	.section	.text._ZN2at6native18radixSortKVInPlaceILin1ELin1ELi32ELi4EhljEEvNS_4cuda6detail10TensorInfoIT3_T5_EES6_S6_S6_NS4_IT4_S6_EES6_b,"axG",@progbits,_ZN2at6native18radixSortKVInPlaceILin1ELin1ELi32ELi4EhljEEvNS_4cuda6detail10TensorInfoIT3_T5_EES6_S6_S6_NS4_IT4_S6_EES6_b,comdat
.Lfunc_end93:
	.size	_ZN2at6native18radixSortKVInPlaceILin1ELin1ELi32ELi4EhljEEvNS_4cuda6detail10TensorInfoIT3_T5_EES6_S6_S6_NS4_IT4_S6_EES6_b, .Lfunc_end93-_ZN2at6native18radixSortKVInPlaceILin1ELin1ELi32ELi4EhljEEvNS_4cuda6detail10TensorInfoIT3_T5_EES6_S6_S6_NS4_IT4_S6_EES6_b
                                        ; -- End function
	.set _ZN2at6native18radixSortKVInPlaceILin1ELin1ELi32ELi4EhljEEvNS_4cuda6detail10TensorInfoIT3_T5_EES6_S6_S6_NS4_IT4_S6_EES6_b.num_vgpr, 88
	.set _ZN2at6native18radixSortKVInPlaceILin1ELin1ELi32ELi4EhljEEvNS_4cuda6detail10TensorInfoIT3_T5_EES6_S6_S6_NS4_IT4_S6_EES6_b.num_agpr, 0
	.set _ZN2at6native18radixSortKVInPlaceILin1ELin1ELi32ELi4EhljEEvNS_4cuda6detail10TensorInfoIT3_T5_EES6_S6_S6_NS4_IT4_S6_EES6_b.numbered_sgpr, 20
	.set _ZN2at6native18radixSortKVInPlaceILin1ELin1ELi32ELi4EhljEEvNS_4cuda6detail10TensorInfoIT3_T5_EES6_S6_S6_NS4_IT4_S6_EES6_b.num_named_barrier, 0
	.set _ZN2at6native18radixSortKVInPlaceILin1ELin1ELi32ELi4EhljEEvNS_4cuda6detail10TensorInfoIT3_T5_EES6_S6_S6_NS4_IT4_S6_EES6_b.private_seg_size, 0
	.set _ZN2at6native18radixSortKVInPlaceILin1ELin1ELi32ELi4EhljEEvNS_4cuda6detail10TensorInfoIT3_T5_EES6_S6_S6_NS4_IT4_S6_EES6_b.uses_vcc, 1
	.set _ZN2at6native18radixSortKVInPlaceILin1ELin1ELi32ELi4EhljEEvNS_4cuda6detail10TensorInfoIT3_T5_EES6_S6_S6_NS4_IT4_S6_EES6_b.uses_flat_scratch, 0
	.set _ZN2at6native18radixSortKVInPlaceILin1ELin1ELi32ELi4EhljEEvNS_4cuda6detail10TensorInfoIT3_T5_EES6_S6_S6_NS4_IT4_S6_EES6_b.has_dyn_sized_stack, 0
	.set _ZN2at6native18radixSortKVInPlaceILin1ELin1ELi32ELi4EhljEEvNS_4cuda6detail10TensorInfoIT3_T5_EES6_S6_S6_NS4_IT4_S6_EES6_b.has_recursion, 0
	.set _ZN2at6native18radixSortKVInPlaceILin1ELin1ELi32ELi4EhljEEvNS_4cuda6detail10TensorInfoIT3_T5_EES6_S6_S6_NS4_IT4_S6_EES6_b.has_indirect_call, 0
	.section	.AMDGPU.csdata,"",@progbits
; Kernel info:
; codeLenInByte = 9884
; TotalNumSgprs: 22
; NumVgprs: 88
; ScratchSize: 0
; MemoryBound: 0
; FloatMode: 240
; IeeeMode: 1
; LDSByteSize: 1056 bytes/workgroup (compile time only)
; SGPRBlocks: 0
; VGPRBlocks: 10
; NumSGPRsForWavesPerEU: 22
; NumVGPRsForWavesPerEU: 88
; Occupancy: 16
; WaveLimiterHint : 1
; COMPUTE_PGM_RSRC2:SCRATCH_EN: 0
; COMPUTE_PGM_RSRC2:USER_SGPR: 2
; COMPUTE_PGM_RSRC2:TRAP_HANDLER: 0
; COMPUTE_PGM_RSRC2:TGID_X_EN: 1
; COMPUTE_PGM_RSRC2:TGID_Y_EN: 1
; COMPUTE_PGM_RSRC2:TGID_Z_EN: 1
; COMPUTE_PGM_RSRC2:TIDIG_COMP_CNT: 2
	.section	.text._ZN2at6native18radixSortKVInPlaceILin1ELin1ELi16ELi2EhljEEvNS_4cuda6detail10TensorInfoIT3_T5_EES6_S6_S6_NS4_IT4_S6_EES6_b,"axG",@progbits,_ZN2at6native18radixSortKVInPlaceILin1ELin1ELi16ELi2EhljEEvNS_4cuda6detail10TensorInfoIT3_T5_EES6_S6_S6_NS4_IT4_S6_EES6_b,comdat
	.protected	_ZN2at6native18radixSortKVInPlaceILin1ELin1ELi16ELi2EhljEEvNS_4cuda6detail10TensorInfoIT3_T5_EES6_S6_S6_NS4_IT4_S6_EES6_b ; -- Begin function _ZN2at6native18radixSortKVInPlaceILin1ELin1ELi16ELi2EhljEEvNS_4cuda6detail10TensorInfoIT3_T5_EES6_S6_S6_NS4_IT4_S6_EES6_b
	.globl	_ZN2at6native18radixSortKVInPlaceILin1ELin1ELi16ELi2EhljEEvNS_4cuda6detail10TensorInfoIT3_T5_EES6_S6_S6_NS4_IT4_S6_EES6_b
	.p2align	8
	.type	_ZN2at6native18radixSortKVInPlaceILin1ELin1ELi16ELi2EhljEEvNS_4cuda6detail10TensorInfoIT3_T5_EES6_S6_S6_NS4_IT4_S6_EES6_b,@function
_ZN2at6native18radixSortKVInPlaceILin1ELin1ELi16ELi2EhljEEvNS_4cuda6detail10TensorInfoIT3_T5_EES6_S6_S6_NS4_IT4_S6_EES6_b: ; @_ZN2at6native18radixSortKVInPlaceILin1ELin1ELi16ELi2EhljEEvNS_4cuda6detail10TensorInfoIT3_T5_EES6_S6_S6_NS4_IT4_S6_EES6_b
; %bb.0:
	s_clause 0x1
	s_load_b64 s[2:3], s[0:1], 0x1c8
	s_load_b96 s[8:10], s[0:1], 0xd8
	s_lshr_b32 s4, ttmp7, 16
	s_wait_kmcnt 0x0
	s_mul_i32 s3, s3, s4
	s_and_b32 s4, ttmp7, 0xffff
	s_delay_alu instid0(SALU_CYCLE_1) | instskip(NEXT) | instid1(SALU_CYCLE_1)
	s_add_co_i32 s3, s3, s4
	s_mul_i32 s2, s3, s2
	s_delay_alu instid0(SALU_CYCLE_1) | instskip(NEXT) | instid1(SALU_CYCLE_1)
	s_add_co_i32 s11, s2, ttmp9
	s_cmp_ge_u32 s11, s8
	s_cbranch_scc1 .LBB94_71
; %bb.1:
	s_load_b32 s4, s[0:1], 0xd0
	s_mov_b32 s3, 0
	s_mov_b32 s2, s11
	s_wait_kmcnt 0x0
	s_cmp_lt_i32 s4, 2
	s_cbranch_scc1 .LBB94_4
; %bb.2:
	s_add_co_i32 s2, s4, -1
	s_delay_alu instid0(SALU_CYCLE_1)
	s_lshl_b64 s[6:7], s[2:3], 2
	s_mov_b32 s2, s11
	s_add_nc_u64 s[12:13], s[0:1], s[6:7]
	s_add_co_i32 s6, s4, 1
	s_add_nc_u64 s[4:5], s[12:13], 8
.LBB94_3:                               ; =>This Inner Loop Header: Depth=1
	s_clause 0x1
	s_load_b32 s7, s[4:5], 0x0
	s_load_b32 s8, s[4:5], 0x64
	s_mov_b32 s14, s2
	s_add_nc_u64 s[4:5], s[4:5], -4
	s_wait_kmcnt 0x0
	s_cvt_f32_u32 s12, s7
	s_sub_co_i32 s13, 0, s7
	s_wait_alu 0xfffe
	s_delay_alu instid0(SALU_CYCLE_1) | instskip(NEXT) | instid1(TRANS32_DEP_1)
	v_rcp_iflag_f32_e32 v1, s12
	v_readfirstlane_b32 s12, v1
	s_mul_f32 s12, s12, 0x4f7ffffe
	s_wait_alu 0xfffe
	s_delay_alu instid0(SALU_CYCLE_2) | instskip(SKIP_1) | instid1(SALU_CYCLE_2)
	s_cvt_u32_f32 s12, s12
	s_wait_alu 0xfffe
	s_mul_i32 s13, s13, s12
	s_wait_alu 0xfffe
	s_mul_hi_u32 s13, s12, s13
	s_wait_alu 0xfffe
	s_add_co_i32 s12, s12, s13
	s_wait_alu 0xfffe
	s_mul_hi_u32 s2, s2, s12
	s_delay_alu instid0(SALU_CYCLE_1)
	s_mul_i32 s12, s2, s7
	s_add_co_i32 s13, s2, 1
	s_wait_alu 0xfffe
	s_sub_co_i32 s12, s14, s12
	s_wait_alu 0xfffe
	s_sub_co_i32 s15, s12, s7
	s_cmp_ge_u32 s12, s7
	s_cselect_b32 s2, s13, s2
	s_cselect_b32 s12, s15, s12
	s_add_co_i32 s13, s2, 1
	s_wait_alu 0xfffe
	s_cmp_ge_u32 s12, s7
	s_cselect_b32 s2, s13, s2
	s_add_co_i32 s6, s6, -1
	s_mul_i32 s7, s2, s7
	s_delay_alu instid0(SALU_CYCLE_1) | instskip(NEXT) | instid1(SALU_CYCLE_1)
	s_sub_co_i32 s7, s14, s7
	s_mul_i32 s7, s8, s7
	s_delay_alu instid0(SALU_CYCLE_1)
	s_add_co_i32 s3, s7, s3
	s_cmp_gt_u32 s6, 2
	s_cbranch_scc1 .LBB94_3
.LBB94_4:
	s_load_b32 s6, s[0:1], 0x1b8
	s_mov_b32 s5, 0
	s_wait_kmcnt 0x0
	s_cmp_lt_i32 s6, 2
	s_cbranch_scc1 .LBB94_7
; %bb.5:
	s_add_co_i32 s4, s6, -1
	s_delay_alu instid0(SALU_CYCLE_1)
	s_lshl_b64 s[12:13], s[4:5], 2
	s_add_co_i32 s4, s6, 1
	s_wait_alu 0xfffe
	s_add_nc_u64 s[12:13], s[0:1], s[12:13]
	s_wait_alu 0xfffe
	s_add_nc_u64 s[6:7], s[12:13], 0xf0
.LBB94_6:                               ; =>This Inner Loop Header: Depth=1
	s_clause 0x1
	s_load_b32 s8, s[6:7], 0x0
	s_load_b32 s12, s[6:7], 0x64
	s_mov_b32 s15, s11
	s_add_nc_u64 s[6:7], s[6:7], -4
	s_wait_kmcnt 0x0
	s_cvt_f32_u32 s13, s8
	s_sub_co_i32 s14, 0, s8
	s_wait_alu 0xfffe
	s_delay_alu instid0(SALU_CYCLE_1) | instskip(NEXT) | instid1(TRANS32_DEP_1)
	v_rcp_iflag_f32_e32 v1, s13
	v_readfirstlane_b32 s13, v1
	s_mul_f32 s13, s13, 0x4f7ffffe
	s_wait_alu 0xfffe
	s_delay_alu instid0(SALU_CYCLE_2) | instskip(SKIP_1) | instid1(SALU_CYCLE_2)
	s_cvt_u32_f32 s13, s13
	s_wait_alu 0xfffe
	s_mul_i32 s14, s14, s13
	s_delay_alu instid0(SALU_CYCLE_1) | instskip(NEXT) | instid1(SALU_CYCLE_1)
	s_mul_hi_u32 s14, s13, s14
	s_add_co_i32 s13, s13, s14
	s_wait_alu 0xfffe
	s_mul_hi_u32 s11, s11, s13
	s_delay_alu instid0(SALU_CYCLE_1)
	s_mul_i32 s13, s11, s8
	s_add_co_i32 s14, s11, 1
	s_wait_alu 0xfffe
	s_sub_co_i32 s13, s15, s13
	s_wait_alu 0xfffe
	s_sub_co_i32 s16, s13, s8
	s_cmp_ge_u32 s13, s8
	s_cselect_b32 s11, s14, s11
	s_cselect_b32 s13, s16, s13
	s_add_co_i32 s14, s11, 1
	s_wait_alu 0xfffe
	s_cmp_ge_u32 s13, s8
	s_cselect_b32 s11, s14, s11
	s_add_co_i32 s4, s4, -1
	s_mul_i32 s8, s11, s8
	s_delay_alu instid0(SALU_CYCLE_1) | instskip(NEXT) | instid1(SALU_CYCLE_1)
	s_sub_co_i32 s8, s15, s8
	s_mul_i32 s8, s12, s8
	s_delay_alu instid0(SALU_CYCLE_1)
	s_add_co_i32 s5, s8, s5
	s_cmp_gt_u32 s4, 2
	s_cbranch_scc1 .LBB94_6
.LBB94_7:
	s_clause 0x2
	s_load_b32 s4, s[0:1], 0x6c
	s_load_b64 s[12:13], s[0:1], 0x1c0
	s_load_b64 s[6:7], s[0:1], 0x0
	v_mul_lo_u32 v20, s10, v0
	s_mov_b32 s15, 0
	s_wait_kmcnt 0x0
	s_mul_i32 s2, s4, s2
	s_delay_alu instid0(SALU_CYCLE_1) | instskip(SKIP_3) | instid1(SALU_CYCLE_1)
	s_add_co_i32 s14, s2, s3
	s_bitcmp1_b32 s13, 0
	s_add_nc_u64 s[14:15], s[6:7], s[14:15]
	s_cselect_b32 s2, -1, 0
	s_xor_b32 s3, s2, -1
	v_cmp_gt_u32_e64 s2, s9, v0
	v_cndmask_b32_e64 v2, 0, -1, s3
	v_cndmask_b32_e64 v1, 0, -1, s3
	s_delay_alu instid0(VALU_DEP_2) | instskip(SKIP_1) | instid1(VALU_DEP_1)
	v_lshlrev_b32_e32 v3, 8, v2
	v_and_b32_e32 v2, 0xff, v2
	v_or_b32_e32 v2, v2, v3
	s_delay_alu instid0(VALU_DEP_1)
	v_and_b32_e32 v2, 0xffff, v2
	s_and_saveexec_b32 s4, s2
	s_cbranch_execz .LBB94_9
; %bb.8:
	global_load_u8 v1, v20, s[14:15]
	s_wait_loadcnt 0x0
	v_perm_b32 v2, v1, v2, 0xc0c0104
.LBB94_9:
	s_or_b32 exec_lo, exec_lo, s4
	s_clause 0x1
	s_load_b32 s4, s[0:1], 0x154
	s_load_b64 s[6:7], s[0:1], 0xe8
	v_or_b32_e32 v3, 16, v0
	s_delay_alu instid0(VALU_DEP_1)
	v_cmp_gt_u32_e64 s0, s9, v3
	s_and_saveexec_b32 s1, s0
	s_cbranch_execz .LBB94_11
; %bb.10:
	v_mul_lo_u32 v4, s10, v3
	global_load_u8 v4, v4, s[14:15]
	s_wait_loadcnt 0x0
	v_perm_b32 v2, v2, v4, 0xc0c0004
.LBB94_11:
	s_or_b32 exec_lo, exec_lo, s1
	v_dual_mov_b32 v18, 0 :: v_dual_lshlrev_b32 v21, 1, v0
	s_delay_alu instid0(VALU_DEP_2)
	v_lshrrev_b16 v2, 8, v2
	s_wait_kmcnt 0x0
	s_mul_i32 s1, s4, s11
	ds_store_b8 v0, v1
	ds_store_b8 v0, v2 offset:16
	s_wait_dscnt 0x0
	; wave barrier
	global_inv scope:SCOPE_SE
	ds_load_u16 v24, v21
	v_mul_lo_u32 v17, s12, v0
	s_add_co_i32 s4, s1, s5
	s_mov_b32 s5, 0
	v_mov_b32_e32 v1, 0
	v_dual_mov_b32 v2, 0 :: v_dual_mov_b32 v19, v18
	s_lshl_b64 s[4:5], s[4:5], 3
	s_wait_loadcnt_dscnt 0x0
	s_add_nc_u64 s[8:9], s[6:7], s[4:5]
	; wave barrier
	global_inv scope:SCOPE_SE
	s_and_saveexec_b32 s1, s2
	s_cbranch_execz .LBB94_13
; %bb.12:
	v_lshlrev_b64_e32 v[1:2], 3, v[17:18]
	v_mov_b32_e32 v19, v18
	s_wait_alu 0xfffe
	s_delay_alu instid0(VALU_DEP_2) | instskip(NEXT) | instid1(VALU_DEP_1)
	v_add_co_u32 v1, vcc_lo, s8, v1
	v_add_co_ci_u32_e64 v2, null, s9, v2, vcc_lo
	global_load_b64 v[1:2], v[1:2], off
.LBB94_13:
	s_or_b32 exec_lo, exec_lo, s1
	s_and_saveexec_b32 s1, s0
	s_cbranch_execz .LBB94_15
; %bb.14:
	v_mul_lo_u32 v3, s12, v3
	v_mov_b32_e32 v4, 0
	s_delay_alu instid0(VALU_DEP_1) | instskip(SKIP_1) | instid1(VALU_DEP_1)
	v_lshlrev_b64_e32 v[3:4], 3, v[3:4]
	s_wait_alu 0xfffe
	v_add_co_u32 v3, vcc_lo, s8, v3
	s_wait_alu 0xfffd
	s_delay_alu instid0(VALU_DEP_2)
	v_add_co_ci_u32_e64 v4, null, s9, v4, vcc_lo
	global_load_b64 v[18:19], v[3:4], off
.LBB94_15:
	s_or_b32 exec_lo, exec_lo, s1
	v_lshlrev_b32_e32 v22, 3, v0
	v_lshlrev_b32_e32 v23, 3, v21
	v_cmp_gt_u32_e64 s1, 0x80, v0
	s_and_b32 vcc_lo, exec_lo, s3
	s_wait_loadcnt 0x0
	ds_store_2addr_b64 v22, v[1:2], v[18:19] offset1:16
	s_wait_dscnt 0x0
	; wave barrier
	global_inv scope:SCOPE_SE
	ds_load_2addr_b64 v[1:4], v23 offset1:1
	v_lshrrev_b16 v19, 8, v24
	v_lshlrev_b32_e32 v18, 5, v0
	; wave barrier
	s_wait_loadcnt_dscnt 0x0
	global_inv scope:SCOPE_SE
	s_wait_alu 0xfffe
	s_cbranch_vccz .LBB94_39
; %bb.16:
	s_getpc_b64 s[4:5]
	s_sext_i32_i16 s5, s5
	s_add_co_u32 s4, s4, _ZN7rocprim17ROCPRIM_400000_NS16block_radix_sortIhLj16ELj2ElLj1ELj1ELj0ELNS0_26block_radix_rank_algorithmE1ELNS0_18block_padding_hintE2ELNS0_4arch9wavefront6targetE0EE19radix_bits_per_passE@rel32@lo+8
	s_add_co_ci_u32 s5, s5, _ZN7rocprim17ROCPRIM_400000_NS16block_radix_sortIhLj16ELj2ElLj1ELj1ELj0ELNS0_26block_radix_rank_algorithmE1ELNS0_18block_padding_hintE2ELNS0_4arch9wavefront6targetE0EE19radix_bits_per_passE@rel32@hi+16
	v_mad_i32_i24 v26, 0xffffffe2, v0, v18
	s_load_b32 s11, s[4:5], 0x0
	s_delay_alu instid0(VALU_DEP_1)
	v_mad_u32_u24 v25, v0, 14, v26
	s_and_saveexec_b32 s3, s1
	s_cbranch_execz .LBB94_25
; %bb.17:
	s_delay_alu instid0(VALU_DEP_1)
	v_mad_i32_i24 v5, v0, -12, v25
	v_mov_b32_e32 v6, 0
	v_cmp_gt_u32_e32 vcc_lo, 0x70, v0
	ds_store_b32 v5, v6
	s_and_b32 exec_lo, exec_lo, vcc_lo
	s_cbranch_execz .LBB94_25
; %bb.18:
	v_mul_i32_i24_e32 v5, -12, v0
	v_cmp_gt_u32_e32 vcc_lo, 0x60, v0
	s_delay_alu instid0(VALU_DEP_2)
	v_add_nc_u32_e32 v5, v25, v5
	ds_store_b32 v5, v6 offset:64
	s_and_b32 exec_lo, exec_lo, vcc_lo
	s_cbranch_execz .LBB94_25
; %bb.19:
	v_mov_b32_e32 v6, 0
	v_cmp_gt_u32_e32 vcc_lo, 0x50, v0
	ds_store_b32 v5, v6 offset:128
	s_and_b32 exec_lo, exec_lo, vcc_lo
	s_cbranch_execz .LBB94_25
; %bb.20:
	v_cmp_gt_u32_e32 vcc_lo, 64, v0
	ds_store_b32 v5, v6 offset:192
	s_and_b32 exec_lo, exec_lo, vcc_lo
	s_cbranch_execz .LBB94_25
; %bb.21:
	v_mov_b32_e32 v6, 0
	v_cmp_gt_u32_e32 vcc_lo, 48, v0
	ds_store_b32 v5, v6 offset:256
	s_and_b32 exec_lo, exec_lo, vcc_lo
	s_cbranch_execz .LBB94_25
; %bb.22:
	v_cmp_gt_u32_e32 vcc_lo, 32, v0
	ds_store_b32 v5, v6 offset:320
	s_and_b32 exec_lo, exec_lo, vcc_lo
	s_cbranch_execz .LBB94_25
; %bb.23:
	v_mov_b32_e32 v6, 0
	v_cmp_gt_u32_e32 vcc_lo, 16, v0
	ds_store_b32 v5, v6 offset:384
	s_and_b32 exec_lo, exec_lo, vcc_lo
; %bb.24:
	ds_store_b32 v5, v6 offset:448
.LBB94_25:
	s_wait_alu 0xfffe
	s_or_b32 exec_lo, exec_lo, s3
	s_wait_kmcnt 0x0
	s_min_u32 s3, s11, 8
	s_wait_alu 0xfffe
	s_lshl_b32 s3, -1, s3
	s_wait_alu 0xfffe
	s_not_b32 s3, s3
	s_wait_alu 0xfffe
	v_and_b32_e32 v5, s3, v24
	s_delay_alu instid0(VALU_DEP_1) | instskip(SKIP_1) | instid1(VALU_DEP_2)
	v_lshlrev_b32_e32 v6, 4, v5
	v_lshrrev_b32_e32 v5, 2, v5
	v_and_or_b32 v6, 0x70, v6, v0
	s_delay_alu instid0(VALU_DEP_2) | instskip(NEXT) | instid1(VALU_DEP_1)
	v_and_b32_e32 v5, 62, v5
	v_lshl_add_u32 v14, v6, 2, v5
	v_and_b32_e32 v5, 0xffff, v19
	ds_load_u16 v13, v14
	v_and_b32_e32 v5, s3, v5
	v_cmp_eq_u32_e64 s3, 15, v0
	s_delay_alu instid0(VALU_DEP_2) | instskip(SKIP_1) | instid1(VALU_DEP_2)
	v_lshlrev_b32_e32 v6, 4, v5
	v_lshrrev_b32_e32 v5, 2, v5
	v_and_or_b32 v6, 0x70, v6, v0
	s_delay_alu instid0(VALU_DEP_2) | instskip(NEXT) | instid1(VALU_DEP_1)
	v_and_b32_e32 v5, 62, v5
	v_lshl_add_u32 v15, v6, 2, v5
	s_wait_dscnt 0x0
	v_add_nc_u16 v7, v13, 1
	ds_store_b16 v14, v7
	ds_load_u16 v16, v15
	s_wait_dscnt 0x0
	v_add_nc_u16 v5, v16, 1
	ds_store_b16 v15, v5
	; wave barrier
	s_wait_loadcnt_dscnt 0x0
	global_inv scope:SCOPE_SE
	ds_load_b128 v[9:12], v18
	ds_load_b128 v[5:8], v18 offset:16
	s_wait_dscnt 0x1
	v_add_nc_u32_e32 v27, v10, v9
	s_delay_alu instid0(VALU_DEP_1) | instskip(SKIP_1) | instid1(VALU_DEP_1)
	v_add3_u32 v27, v27, v11, v12
	s_wait_dscnt 0x0
	v_add3_u32 v28, v27, v5, v6
	v_mbcnt_lo_u32_b32 v27, -1, 0
	s_delay_alu instid0(VALU_DEP_2) | instskip(NEXT) | instid1(VALU_DEP_2)
	v_add3_u32 v8, v28, v7, v8
	v_and_b32_e32 v28, 15, v27
	s_delay_alu instid0(VALU_DEP_2) | instskip(NEXT) | instid1(VALU_DEP_2)
	v_mov_b32_dpp v29, v8 row_shr:1 row_mask:0xf bank_mask:0xf
	v_cmp_eq_u32_e32 vcc_lo, 0, v28
	v_cmp_lt_u32_e64 s4, 1, v28
	v_cmp_lt_u32_e64 s5, 3, v28
	;; [unrolled: 1-line block ×3, first 2 shown]
	s_wait_alu 0xfffd
	v_cndmask_b32_e64 v29, v29, 0, vcc_lo
	s_delay_alu instid0(VALU_DEP_1) | instskip(NEXT) | instid1(VALU_DEP_1)
	v_add_nc_u32_e32 v8, v29, v8
	v_mov_b32_dpp v29, v8 row_shr:2 row_mask:0xf bank_mask:0xf
	s_delay_alu instid0(VALU_DEP_1) | instskip(NEXT) | instid1(VALU_DEP_1)
	v_cndmask_b32_e64 v29, 0, v29, s4
	v_add_nc_u32_e32 v8, v8, v29
	s_delay_alu instid0(VALU_DEP_1) | instskip(NEXT) | instid1(VALU_DEP_1)
	v_mov_b32_dpp v29, v8 row_shr:4 row_mask:0xf bank_mask:0xf
	v_cndmask_b32_e64 v29, 0, v29, s5
	s_delay_alu instid0(VALU_DEP_1) | instskip(NEXT) | instid1(VALU_DEP_1)
	v_add_nc_u32_e32 v8, v8, v29
	v_mov_b32_dpp v29, v8 row_shr:8 row_mask:0xf bank_mask:0xf
	s_delay_alu instid0(VALU_DEP_1) | instskip(NEXT) | instid1(VALU_DEP_1)
	v_cndmask_b32_e64 v28, 0, v29, s6
	v_add_nc_u32_e32 v8, v8, v28
	s_and_saveexec_b32 s7, s3
; %bb.26:
	v_mov_b32_e32 v28, 0
	ds_store_b32 v28, v8 offset:512
; %bb.27:
	s_wait_alu 0xfffe
	s_or_b32 exec_lo, exec_lo, s7
	v_sub_co_u32 v28, s13, v27, 1
	v_and_b32_e32 v29, 16, v27
	; wave barrier
	s_wait_loadcnt_dscnt 0x0
	global_inv scope:SCOPE_SE
	v_cmp_lt_i32_e64 s7, v28, v29
	v_mov_b32_e32 v29, 0
	s_wait_alu 0xf1ff
	s_delay_alu instid0(VALU_DEP_2)
	v_cndmask_b32_e64 v27, v28, v27, s7
	ds_load_b32 v28, v29 offset:512
	v_lshlrev_b32_e32 v27, 2, v27
	ds_bpermute_b32 v8, v27, v8
	s_wait_dscnt 0x0
	v_cndmask_b32_e64 v8, v8, 0, s13
	s_delay_alu instid0(VALU_DEP_1) | instskip(NEXT) | instid1(VALU_DEP_1)
	v_lshl_add_u32 v8, v28, 16, v8
	v_add_nc_u32_e32 v9, v8, v9
	s_delay_alu instid0(VALU_DEP_1) | instskip(NEXT) | instid1(VALU_DEP_1)
	v_add_nc_u32_e32 v10, v9, v10
	v_add_nc_u32_e32 v11, v10, v11
	s_delay_alu instid0(VALU_DEP_1) | instskip(NEXT) | instid1(VALU_DEP_1)
	v_add_nc_u32_e32 v30, v11, v12
	;; [unrolled: 3-line block ×3, first 2 shown]
	v_add_nc_u32_e32 v33, v32, v7
	v_and_b32_e32 v7, 0xffff, v13
	ds_store_b128 v18, v[8:11]
	ds_store_b128 v18, v[30:33] offset:16
	; wave barrier
	s_wait_loadcnt_dscnt 0x0
	global_inv scope:SCOPE_SE
	ds_load_u16 v5, v14
	ds_load_u16 v6, v15
	v_and_b32_e32 v8, 0xffff, v16
	; wave barrier
	s_wait_loadcnt_dscnt 0x0
	global_inv scope:SCOPE_SE
	v_add_nc_u32_e32 v5, v5, v7
	v_add_nc_u32_e32 v6, v6, v8
	ds_store_b8 v5, v24
	ds_store_b8 v6, v19
	v_lshlrev_b32_e32 v5, 3, v5
	v_lshlrev_b32_e32 v6, 3, v6
	; wave barrier
	s_wait_loadcnt_dscnt 0x0
	global_inv scope:SCOPE_SE
	ds_load_u16 v28, v26
	; wave barrier
	s_wait_loadcnt_dscnt 0x0
	global_inv scope:SCOPE_SE
	ds_store_b64 v5, v[1:2]
	ds_store_b64 v6, v[3:4]
	; wave barrier
	s_wait_loadcnt_dscnt 0x0
	global_inv scope:SCOPE_SE
	ds_load_b128 v[5:8], v25
	; wave barrier
	s_wait_loadcnt_dscnt 0x0
	global_inv scope:SCOPE_SE
	s_and_saveexec_b32 s7, s1
	s_cbranch_execz .LBB94_36
; %bb.28:
	v_lshlrev_b32_e32 v9, 2, v0
	v_cmp_gt_u32_e64 s1, 0x70, v0
	ds_store_b32 v9, v29
	s_and_b32 exec_lo, exec_lo, s1
	s_cbranch_execz .LBB94_36
; %bb.29:
	v_mov_b32_e32 v10, 0
	v_cmp_gt_u32_e64 s1, 0x60, v0
	ds_store_b32 v9, v10 offset:64
	s_and_b32 exec_lo, exec_lo, s1
	s_cbranch_execz .LBB94_36
; %bb.30:
	v_cmp_gt_u32_e64 s1, 0x50, v0
	ds_store_b32 v9, v10 offset:128
	s_and_b32 exec_lo, exec_lo, s1
	s_cbranch_execz .LBB94_36
; %bb.31:
	v_mov_b32_e32 v10, 0
	v_cmp_gt_u32_e64 s1, 64, v0
	ds_store_b32 v9, v10 offset:192
	s_and_b32 exec_lo, exec_lo, s1
	s_cbranch_execz .LBB94_36
; %bb.32:
	v_cmp_gt_u32_e64 s1, 48, v0
	ds_store_b32 v9, v10 offset:256
	;; [unrolled: 11-line block ×3, first 2 shown]
	s_and_b32 exec_lo, exec_lo, s1
; %bb.35:
	v_mov_b32_e32 v10, 0
	ds_store_b32 v9, v10 offset:448
.LBB94_36:
	s_wait_alu 0xfffe
	s_or_b32 exec_lo, exec_lo, s7
	v_lshrrev_b16 v9, 4, v28
	s_min_u32 s1, s11, 4
	s_delay_alu instid0(SALU_CYCLE_1) | instskip(NEXT) | instid1(SALU_CYCLE_1)
	s_lshl_b32 s1, -1, s1
	s_not_b32 s1, s1
	s_delay_alu instid0(VALU_DEP_1) | instskip(NEXT) | instid1(VALU_DEP_1)
	v_and_b32_e32 v9, 15, v9
	v_and_b32_e32 v9, 0xffff, v9
	s_delay_alu instid0(VALU_DEP_1) | instskip(NEXT) | instid1(VALU_DEP_1)
	v_and_b32_e32 v9, s1, v9
	v_lshlrev_b32_e32 v10, 4, v9
	v_lshrrev_b32_e32 v9, 2, v9
	s_delay_alu instid0(VALU_DEP_2) | instskip(NEXT) | instid1(VALU_DEP_2)
	v_and_or_b32 v10, 0x70, v10, v0
	v_and_b32_e32 v9, 2, v9
	s_delay_alu instid0(VALU_DEP_1) | instskip(SKIP_3) | instid1(VALU_DEP_1)
	v_lshl_or_b32 v29, v10, 2, v9
	v_lshrrev_b16 v9, 12, v28
	ds_load_u16 v30, v29
	v_and_b32_e32 v9, 0xffff, v9
	v_and_b32_e32 v9, s1, v9
	s_mov_b32 s1, 0
	s_delay_alu instid0(VALU_DEP_1) | instskip(SKIP_1) | instid1(VALU_DEP_2)
	v_lshlrev_b32_e32 v10, 4, v9
	v_lshrrev_b32_e32 v9, 2, v9
	v_and_or_b32 v10, 0x70, v10, v0
	s_delay_alu instid0(VALU_DEP_2) | instskip(SKIP_2) | instid1(VALU_DEP_2)
	v_and_b32_e32 v9, 2, v9
	s_wait_dscnt 0x0
	v_add_nc_u16 v11, v30, 1
	v_lshl_or_b32 v31, v10, 2, v9
	ds_store_b16 v29, v11
	ds_load_u16 v32, v31
	s_wait_dscnt 0x0
	v_add_nc_u16 v9, v32, 1
	ds_store_b16 v31, v9
	; wave barrier
	s_wait_loadcnt_dscnt 0x0
	global_inv scope:SCOPE_SE
	ds_load_b128 v[13:16], v18
	ds_load_b128 v[9:12], v18 offset:16
	s_wait_dscnt 0x1
	v_add_nc_u32_e32 v33, v14, v13
	s_delay_alu instid0(VALU_DEP_1) | instskip(SKIP_1) | instid1(VALU_DEP_1)
	v_add3_u32 v33, v33, v15, v16
	s_wait_dscnt 0x0
	v_add3_u32 v33, v33, v9, v10
	s_delay_alu instid0(VALU_DEP_1) | instskip(NEXT) | instid1(VALU_DEP_1)
	v_add3_u32 v12, v33, v11, v12
	v_mov_b32_dpp v33, v12 row_shr:1 row_mask:0xf bank_mask:0xf
	s_delay_alu instid0(VALU_DEP_1) | instskip(NEXT) | instid1(VALU_DEP_1)
	v_cndmask_b32_e64 v33, v33, 0, vcc_lo
	v_add_nc_u32_e32 v12, v33, v12
	s_delay_alu instid0(VALU_DEP_1) | instskip(NEXT) | instid1(VALU_DEP_1)
	v_mov_b32_dpp v33, v12 row_shr:2 row_mask:0xf bank_mask:0xf
	v_cndmask_b32_e64 v33, 0, v33, s4
	s_delay_alu instid0(VALU_DEP_1) | instskip(NEXT) | instid1(VALU_DEP_1)
	v_add_nc_u32_e32 v12, v12, v33
	v_mov_b32_dpp v33, v12 row_shr:4 row_mask:0xf bank_mask:0xf
	s_delay_alu instid0(VALU_DEP_1) | instskip(NEXT) | instid1(VALU_DEP_1)
	v_cndmask_b32_e64 v33, 0, v33, s5
	v_add_nc_u32_e32 v33, v12, v33
	s_delay_alu instid0(VALU_DEP_1) | instskip(NEXT) | instid1(VALU_DEP_1)
	v_mov_b32_dpp v12, v33 row_shr:8 row_mask:0xf bank_mask:0xf
	v_cndmask_b32_e64 v34, 0, v12, s6
	v_lshrrev_b16 v12, 8, v28
	s_delay_alu instid0(VALU_DEP_2)
	v_add_nc_u32_e32 v33, v33, v34
	s_and_saveexec_b32 s4, s3
; %bb.37:
	v_mov_b32_e32 v34, 0
	ds_store_b32 v34, v33 offset:512
; %bb.38:
	s_wait_alu 0xfffe
	s_or_b32 exec_lo, exec_lo, s4
	ds_bpermute_b32 v27, v27, v33
	v_mov_b32_e32 v33, 0
	; wave barrier
	s_wait_loadcnt_dscnt 0x0
	global_inv scope:SCOPE_SE
	ds_load_b32 v33, v33 offset:512
	v_cndmask_b32_e64 v27, v27, 0, s13
	s_wait_dscnt 0x0
	s_delay_alu instid0(VALU_DEP_1) | instskip(NEXT) | instid1(VALU_DEP_1)
	v_lshl_add_u32 v33, v33, 16, v27
	v_add_nc_u32_e32 v34, v33, v13
	s_delay_alu instid0(VALU_DEP_1) | instskip(NEXT) | instid1(VALU_DEP_1)
	v_add_nc_u32_e32 v35, v34, v14
	v_add_nc_u32_e32 v36, v35, v15
	s_delay_alu instid0(VALU_DEP_1) | instskip(NEXT) | instid1(VALU_DEP_1)
	v_add_nc_u32_e32 v13, v36, v16
	;; [unrolled: 3-line block ×3, first 2 shown]
	v_add_nc_u32_e32 v16, v15, v11
	v_and_b32_e32 v11, 0xffff, v30
	ds_store_b128 v18, v[33:36]
	ds_store_b128 v18, v[13:16] offset:16
	; wave barrier
	s_wait_loadcnt_dscnt 0x0
	global_inv scope:SCOPE_SE
	ds_load_u16 v9, v29
	ds_load_u16 v10, v31
	v_and_b32_e32 v13, 0xffff, v32
	; wave barrier
	s_wait_loadcnt_dscnt 0x0
	global_inv scope:SCOPE_SE
	v_add_nc_u32_e32 v9, v9, v11
	v_add_nc_u32_e32 v10, v10, v13
	ds_store_b8 v9, v28
	ds_store_b8 v10, v12
	v_lshlrev_b32_e32 v11, 3, v9
	v_lshlrev_b32_e32 v10, 3, v10
	; wave barrier
	s_wait_loadcnt_dscnt 0x0
	global_inv scope:SCOPE_SE
	ds_load_u16 v9, v26
	; wave barrier
	s_wait_loadcnt_dscnt 0x0
	global_inv scope:SCOPE_SE
	ds_store_b64 v11, v[5:6]
	ds_store_b64 v10, v[7:8]
	; wave barrier
	s_wait_loadcnt_dscnt 0x0
	global_inv scope:SCOPE_SE
	ds_load_b128 v[5:8], v25
	s_and_b32 vcc_lo, exec_lo, s1
	s_wait_alu 0xfffe
	s_cbranch_vccnz .LBB94_40
	s_branch .LBB94_63
.LBB94_39:
                                        ; implicit-def: $vgpr7_vgpr8
                                        ; implicit-def: $vgpr9
	s_cbranch_execz .LBB94_63
.LBB94_40:
	s_getpc_b64 s[4:5]
	s_wait_alu 0xfffe
	s_sext_i32_i16 s5, s5
	s_add_co_u32 s4, s4, _ZN7rocprim17ROCPRIM_400000_NS16block_radix_sortIhLj16ELj2ElLj1ELj1ELj0ELNS0_26block_radix_rank_algorithmE1ELNS0_18block_padding_hintE2ELNS0_4arch9wavefront6targetE0EE19radix_bits_per_passE@rel32@lo+12
	s_wait_alu 0xfffe
	s_add_co_ci_u32 s5, s5, _ZN7rocprim17ROCPRIM_400000_NS16block_radix_sortIhLj16ELj2ElLj1ELj1ELj0ELNS0_26block_radix_rank_algorithmE1ELNS0_18block_padding_hintE2ELNS0_4arch9wavefront6targetE0EE19radix_bits_per_passE@rel32@hi+24
	v_mad_i32_i24 v14, 0xffffffe2, v0, v18
	s_load_b32 s11, s[4:5], 0x0
	v_cmp_gt_u32_e32 vcc_lo, 0x80, v0
	s_delay_alu instid0(VALU_DEP_2)
	v_mad_u32_u24 v13, v0, 14, v14
	s_and_saveexec_b32 s3, vcc_lo
	s_cbranch_execz .LBB94_49
; %bb.41:
	s_wait_dscnt 0x0
	s_delay_alu instid0(VALU_DEP_1)
	v_mad_i32_i24 v5, v0, -12, v13
	v_mov_b32_e32 v6, 0
	v_cmp_gt_u32_e64 s1, 0x70, v0
	ds_store_b32 v5, v6
	s_and_b32 exec_lo, exec_lo, s1
	s_cbranch_execz .LBB94_49
; %bb.42:
	v_mul_i32_i24_e32 v5, -12, v0
	v_cmp_gt_u32_e64 s1, 0x60, v0
	s_delay_alu instid0(VALU_DEP_2)
	v_add_nc_u32_e32 v5, v13, v5
	ds_store_b32 v5, v6 offset:64
	s_and_b32 exec_lo, exec_lo, s1
	s_cbranch_execz .LBB94_49
; %bb.43:
	v_mov_b32_e32 v6, 0
	v_cmp_gt_u32_e64 s1, 0x50, v0
	ds_store_b32 v5, v6 offset:128
	s_and_b32 exec_lo, exec_lo, s1
	s_cbranch_execz .LBB94_49
; %bb.44:
	v_cmp_gt_u32_e64 s1, 64, v0
	ds_store_b32 v5, v6 offset:192
	s_and_b32 exec_lo, exec_lo, s1
	s_cbranch_execz .LBB94_49
; %bb.45:
	v_mov_b32_e32 v6, 0
	v_cmp_gt_u32_e64 s1, 48, v0
	ds_store_b32 v5, v6 offset:256
	s_and_b32 exec_lo, exec_lo, s1
	s_cbranch_execz .LBB94_49
; %bb.46:
	v_cmp_gt_u32_e64 s1, 32, v0
	ds_store_b32 v5, v6 offset:320
	s_and_b32 exec_lo, exec_lo, s1
	s_cbranch_execz .LBB94_49
; %bb.47:
	v_mov_b32_e32 v6, 0
	v_cmp_gt_u32_e64 s1, 16, v0
	ds_store_b32 v5, v6 offset:384
	s_and_b32 exec_lo, exec_lo, s1
; %bb.48:
	ds_store_b32 v5, v6 offset:448
.LBB94_49:
	s_wait_alu 0xfffe
	s_or_b32 exec_lo, exec_lo, s3
	s_wait_kmcnt 0x0
	s_min_u32 s1, s11, 8
	v_xor_b32_e32 v16, -1, v24
	s_wait_alu 0xfffe
	s_lshl_b32 s1, -1, s1
	v_xor_b32_e32 v19, -1, v19
	s_wait_alu 0xfffe
	s_not_b32 s1, s1
	v_cmp_eq_u32_e64 s4, 15, v0
	s_wait_dscnt 0x0
	s_wait_alu 0xfffe
	v_and_b32_e32 v5, s1, v16
	s_delay_alu instid0(VALU_DEP_1) | instskip(SKIP_1) | instid1(VALU_DEP_2)
	v_lshlrev_b32_e32 v6, 4, v5
	v_lshrrev_b32_e32 v5, 2, v5
	v_and_or_b32 v6, 0x70, v6, v0
	s_delay_alu instid0(VALU_DEP_2) | instskip(NEXT) | instid1(VALU_DEP_1)
	v_and_b32_e32 v5, 62, v5
	v_lshl_add_u32 v25, v6, 2, v5
	v_and_b32_e32 v5, s1, v19
	ds_load_u16 v24, v25
	v_lshlrev_b32_e32 v6, 4, v5
	v_lshrrev_b32_e32 v5, 2, v5
	s_delay_alu instid0(VALU_DEP_2) | instskip(NEXT) | instid1(VALU_DEP_2)
	v_and_or_b32 v6, 0x70, v6, v0
	v_and_b32_e32 v5, 62, v5
	s_delay_alu instid0(VALU_DEP_1)
	v_lshl_add_u32 v26, v6, 2, v5
	s_wait_dscnt 0x0
	v_add_nc_u16 v7, v24, 1
	ds_store_b16 v25, v7
	ds_load_u16 v27, v26
	s_wait_dscnt 0x0
	v_add_nc_u16 v5, v27, 1
	ds_store_b16 v26, v5
	; wave barrier
	s_wait_loadcnt_dscnt 0x0
	global_inv scope:SCOPE_SE
	ds_load_b128 v[9:12], v18
	ds_load_b128 v[5:8], v18 offset:16
	s_wait_dscnt 0x1
	v_add_nc_u32_e32 v15, v10, v9
	s_delay_alu instid0(VALU_DEP_1) | instskip(SKIP_1) | instid1(VALU_DEP_1)
	v_add3_u32 v15, v15, v11, v12
	s_wait_dscnt 0x0
	v_add3_u32 v28, v15, v5, v6
	v_mbcnt_lo_u32_b32 v15, -1, 0
	s_delay_alu instid0(VALU_DEP_2) | instskip(NEXT) | instid1(VALU_DEP_2)
	v_add3_u32 v8, v28, v7, v8
	v_and_b32_e32 v28, 15, v15
	s_delay_alu instid0(VALU_DEP_2) | instskip(NEXT) | instid1(VALU_DEP_2)
	v_mov_b32_dpp v29, v8 row_shr:1 row_mask:0xf bank_mask:0xf
	v_cmp_eq_u32_e64 s1, 0, v28
	v_cmp_lt_u32_e64 s3, 1, v28
	v_cmp_lt_u32_e64 s5, 3, v28
	;; [unrolled: 1-line block ×3, first 2 shown]
	s_wait_alu 0xf1ff
	v_cndmask_b32_e64 v29, v29, 0, s1
	s_delay_alu instid0(VALU_DEP_1) | instskip(NEXT) | instid1(VALU_DEP_1)
	v_add_nc_u32_e32 v8, v29, v8
	v_mov_b32_dpp v29, v8 row_shr:2 row_mask:0xf bank_mask:0xf
	s_delay_alu instid0(VALU_DEP_1) | instskip(NEXT) | instid1(VALU_DEP_1)
	v_cndmask_b32_e64 v29, 0, v29, s3
	v_add_nc_u32_e32 v8, v8, v29
	s_delay_alu instid0(VALU_DEP_1) | instskip(NEXT) | instid1(VALU_DEP_1)
	v_mov_b32_dpp v29, v8 row_shr:4 row_mask:0xf bank_mask:0xf
	v_cndmask_b32_e64 v29, 0, v29, s5
	s_delay_alu instid0(VALU_DEP_1) | instskip(NEXT) | instid1(VALU_DEP_1)
	v_add_nc_u32_e32 v8, v8, v29
	v_mov_b32_dpp v29, v8 row_shr:8 row_mask:0xf bank_mask:0xf
	s_delay_alu instid0(VALU_DEP_1) | instskip(NEXT) | instid1(VALU_DEP_1)
	v_cndmask_b32_e64 v28, 0, v29, s6
	v_add_nc_u32_e32 v28, v8, v28
	s_and_saveexec_b32 s7, s4
; %bb.50:
	v_mov_b32_e32 v8, 0
	ds_store_b32 v8, v28 offset:512
; %bb.51:
	s_wait_alu 0xfffe
	s_or_b32 exec_lo, exec_lo, s7
	v_sub_co_u32 v8, s13, v15, 1
	v_and_b32_e32 v29, 16, v15
	; wave barrier
	s_wait_loadcnt_dscnt 0x0
	global_inv scope:SCOPE_SE
	v_cmp_lt_i32_e64 s7, v8, v29
	s_wait_alu 0xf1ff
	s_delay_alu instid0(VALU_DEP_1) | instskip(NEXT) | instid1(VALU_DEP_1)
	v_cndmask_b32_e64 v8, v8, v15, s7
	v_dual_mov_b32 v8, 0 :: v_dual_lshlrev_b32 v15, 2, v8
	ds_bpermute_b32 v28, v15, v28
	ds_load_b32 v29, v8 offset:512
	s_wait_dscnt 0x1
	v_cndmask_b32_e64 v28, v28, 0, s13
	s_wait_dscnt 0x0
	s_delay_alu instid0(VALU_DEP_1) | instskip(NEXT) | instid1(VALU_DEP_1)
	v_lshl_add_u32 v28, v29, 16, v28
	v_add_nc_u32_e32 v29, v28, v9
	s_delay_alu instid0(VALU_DEP_1) | instskip(NEXT) | instid1(VALU_DEP_1)
	v_add_nc_u32_e32 v30, v29, v10
	v_add_nc_u32_e32 v31, v30, v11
	s_delay_alu instid0(VALU_DEP_1) | instskip(NEXT) | instid1(VALU_DEP_1)
	v_add_nc_u32_e32 v9, v31, v12
	;; [unrolled: 3-line block ×3, first 2 shown]
	v_add_nc_u32_e32 v12, v11, v7
	v_and_b32_e32 v7, 0xffff, v24
	ds_store_b128 v18, v[28:31]
	ds_store_b128 v18, v[9:12] offset:16
	; wave barrier
	s_wait_loadcnt_dscnt 0x0
	global_inv scope:SCOPE_SE
	ds_load_u16 v5, v25
	ds_load_u16 v6, v26
	v_and_b32_e32 v9, 0xffff, v27
	; wave barrier
	s_wait_loadcnt_dscnt 0x0
	global_inv scope:SCOPE_SE
	v_add_nc_u32_e32 v5, v5, v7
	v_add_nc_u32_e32 v6, v6, v9
	ds_store_b8 v5, v16
	ds_store_b8 v6, v19
	v_lshlrev_b32_e32 v5, 3, v5
	v_lshlrev_b32_e32 v6, 3, v6
	; wave barrier
	s_wait_loadcnt_dscnt 0x0
	global_inv scope:SCOPE_SE
	ds_load_u16 v16, v14
	; wave barrier
	s_wait_loadcnt_dscnt 0x0
	global_inv scope:SCOPE_SE
	ds_store_b64 v5, v[1:2]
	ds_store_b64 v6, v[3:4]
	; wave barrier
	s_wait_loadcnt_dscnt 0x0
	global_inv scope:SCOPE_SE
	ds_load_b128 v[1:4], v13
	; wave barrier
	s_wait_loadcnt_dscnt 0x0
	global_inv scope:SCOPE_SE
	s_and_saveexec_b32 s7, vcc_lo
	s_cbranch_execz .LBB94_60
; %bb.52:
	v_lshlrev_b32_e32 v5, 2, v0
	v_cmp_gt_u32_e32 vcc_lo, 0x70, v0
	ds_store_b32 v5, v8
	s_and_b32 exec_lo, exec_lo, vcc_lo
	s_cbranch_execz .LBB94_60
; %bb.53:
	v_mov_b32_e32 v6, 0
	v_cmp_gt_u32_e32 vcc_lo, 0x60, v0
	ds_store_b32 v5, v6 offset:64
	s_and_b32 exec_lo, exec_lo, vcc_lo
	s_cbranch_execz .LBB94_60
; %bb.54:
	v_cmp_gt_u32_e32 vcc_lo, 0x50, v0
	ds_store_b32 v5, v6 offset:128
	s_and_b32 exec_lo, exec_lo, vcc_lo
	s_cbranch_execz .LBB94_60
; %bb.55:
	v_mov_b32_e32 v6, 0
	v_cmp_gt_u32_e32 vcc_lo, 64, v0
	ds_store_b32 v5, v6 offset:192
	s_and_b32 exec_lo, exec_lo, vcc_lo
	s_cbranch_execz .LBB94_60
; %bb.56:
	v_cmp_gt_u32_e32 vcc_lo, 48, v0
	ds_store_b32 v5, v6 offset:256
	;; [unrolled: 11-line block ×3, first 2 shown]
	s_and_b32 exec_lo, exec_lo, vcc_lo
; %bb.59:
	v_mov_b32_e32 v6, 0
	ds_store_b32 v5, v6 offset:448
.LBB94_60:
	s_wait_alu 0xfffe
	s_or_b32 exec_lo, exec_lo, s7
	v_lshrrev_b16 v5, 4, v16
	s_min_u32 s7, s11, 4
	s_wait_alu 0xfffe
	s_lshl_b32 s7, -1, s7
	s_wait_alu 0xfffe
	s_not_b32 s7, s7
	v_and_b32_e32 v5, 15, v5
	s_delay_alu instid0(VALU_DEP_1) | instskip(SKIP_1) | instid1(VALU_DEP_1)
	v_and_b32_e32 v5, 0xffff, v5
	s_wait_alu 0xfffe
	v_and_b32_e32 v5, s7, v5
	s_delay_alu instid0(VALU_DEP_1) | instskip(SKIP_1) | instid1(VALU_DEP_2)
	v_lshlrev_b32_e32 v6, 4, v5
	v_lshrrev_b32_e32 v5, 2, v5
	v_and_or_b32 v6, 0x70, v6, v0
	s_delay_alu instid0(VALU_DEP_2) | instskip(NEXT) | instid1(VALU_DEP_1)
	v_and_b32_e32 v5, 2, v5
	v_lshl_or_b32 v19, v6, 2, v5
	v_lshrrev_b16 v5, 12, v16
	ds_load_u16 v24, v19
	v_and_b32_e32 v5, 0xffff, v5
	s_delay_alu instid0(VALU_DEP_1) | instskip(NEXT) | instid1(VALU_DEP_1)
	v_and_b32_e32 v5, s7, v5
	v_lshlrev_b32_e32 v6, 4, v5
	v_lshrrev_b32_e32 v5, 2, v5
	s_delay_alu instid0(VALU_DEP_2) | instskip(NEXT) | instid1(VALU_DEP_2)
	v_and_or_b32 v6, 0x70, v6, v0
	v_and_b32_e32 v5, 2, v5
	s_wait_dscnt 0x0
	v_add_nc_u16 v7, v24, 1
	s_delay_alu instid0(VALU_DEP_2)
	v_lshl_or_b32 v25, v6, 2, v5
	ds_store_b16 v19, v7
	ds_load_u16 v26, v25
	s_wait_dscnt 0x0
	v_add_nc_u16 v5, v26, 1
	ds_store_b16 v25, v5
	; wave barrier
	s_wait_loadcnt_dscnt 0x0
	global_inv scope:SCOPE_SE
	ds_load_b128 v[9:12], v18
	ds_load_b128 v[5:8], v18 offset:16
	s_wait_dscnt 0x1
	v_add_nc_u32_e32 v27, v10, v9
	s_delay_alu instid0(VALU_DEP_1) | instskip(SKIP_1) | instid1(VALU_DEP_1)
	v_add3_u32 v27, v27, v11, v12
	s_wait_dscnt 0x0
	v_add3_u32 v27, v27, v5, v6
	s_delay_alu instid0(VALU_DEP_1) | instskip(NEXT) | instid1(VALU_DEP_1)
	v_add3_u32 v8, v27, v7, v8
	v_mov_b32_dpp v27, v8 row_shr:1 row_mask:0xf bank_mask:0xf
	s_delay_alu instid0(VALU_DEP_1) | instskip(NEXT) | instid1(VALU_DEP_1)
	v_cndmask_b32_e64 v27, v27, 0, s1
	v_add_nc_u32_e32 v8, v27, v8
	s_delay_alu instid0(VALU_DEP_1) | instskip(NEXT) | instid1(VALU_DEP_1)
	v_mov_b32_dpp v27, v8 row_shr:2 row_mask:0xf bank_mask:0xf
	v_cndmask_b32_e64 v27, 0, v27, s3
	s_delay_alu instid0(VALU_DEP_1) | instskip(NEXT) | instid1(VALU_DEP_1)
	v_add_nc_u32_e32 v8, v8, v27
	v_mov_b32_dpp v27, v8 row_shr:4 row_mask:0xf bank_mask:0xf
	s_delay_alu instid0(VALU_DEP_1) | instskip(NEXT) | instid1(VALU_DEP_1)
	v_cndmask_b32_e64 v27, 0, v27, s5
	v_add_nc_u32_e32 v27, v8, v27
	s_delay_alu instid0(VALU_DEP_1) | instskip(NEXT) | instid1(VALU_DEP_1)
	v_mov_b32_dpp v8, v27 row_shr:8 row_mask:0xf bank_mask:0xf
	v_cndmask_b32_e64 v28, 0, v8, s6
	v_lshrrev_b16 v8, 8, v16
	s_delay_alu instid0(VALU_DEP_2)
	v_add_nc_u32_e32 v27, v27, v28
	s_and_saveexec_b32 s1, s4
; %bb.61:
	v_mov_b32_e32 v28, 0
	ds_store_b32 v28, v27 offset:512
; %bb.62:
	s_wait_alu 0xfffe
	s_or_b32 exec_lo, exec_lo, s1
	ds_bpermute_b32 v15, v15, v27
	v_mov_b32_e32 v27, 0
	; wave barrier
	s_wait_loadcnt_dscnt 0x0
	global_inv scope:SCOPE_SE
	ds_load_b32 v27, v27 offset:512
	v_cndmask_b32_e64 v15, v15, 0, s13
	s_wait_dscnt 0x0
	s_delay_alu instid0(VALU_DEP_1) | instskip(NEXT) | instid1(VALU_DEP_1)
	v_lshl_add_u32 v27, v27, 16, v15
	v_add_nc_u32_e32 v28, v27, v9
	s_delay_alu instid0(VALU_DEP_1) | instskip(NEXT) | instid1(VALU_DEP_1)
	v_add_nc_u32_e32 v29, v28, v10
	v_add_nc_u32_e32 v30, v29, v11
	s_delay_alu instid0(VALU_DEP_1) | instskip(NEXT) | instid1(VALU_DEP_1)
	v_add_nc_u32_e32 v9, v30, v12
	;; [unrolled: 3-line block ×3, first 2 shown]
	v_add_nc_u32_e32 v12, v11, v7
	v_and_b32_e32 v7, 0xffff, v24
	ds_store_b128 v18, v[27:30]
	ds_store_b128 v18, v[9:12] offset:16
	; wave barrier
	s_wait_loadcnt_dscnt 0x0
	global_inv scope:SCOPE_SE
	ds_load_u16 v5, v19
	ds_load_u16 v6, v25
	v_and_b32_e32 v9, 0xffff, v26
	; wave barrier
	s_wait_loadcnt_dscnt 0x0
	global_inv scope:SCOPE_SE
	v_add_nc_u32_e32 v5, v5, v7
	v_add_nc_u32_e32 v6, v6, v9
	ds_store_b8 v5, v16
	ds_store_b8 v6, v8
	; wave barrier
	s_wait_loadcnt_dscnt 0x0
	global_inv scope:SCOPE_SE
	ds_load_u16 v9, v14
	v_lshlrev_b32_e32 v5, 3, v5
	v_lshlrev_b32_e32 v6, 3, v6
	; wave barrier
	s_wait_loadcnt_dscnt 0x0
	global_inv scope:SCOPE_SE
	ds_store_b64 v5, v[1:2]
	ds_store_b64 v6, v[3:4]
	; wave barrier
	s_wait_loadcnt_dscnt 0x0
	global_inv scope:SCOPE_SE
	ds_load_b128 v[5:8], v13
	v_xor_b32_e32 v1, -1, v9
	s_delay_alu instid0(VALU_DEP_1)
	v_and_b32_e32 v9, 0xffff, v1
.LBB94_63:
	; wave barrier
	s_wait_loadcnt_dscnt 0x0
	global_inv scope:SCOPE_SE
	ds_store_b16 v21, v9
	; wave barrier
	s_wait_loadcnt_dscnt 0x0
	global_inv scope:SCOPE_SE
	ds_load_u8 v3, v0 offset:16
	v_add_co_u32 v1, s1, s14, v20
	s_wait_alu 0xf1ff
	v_add_co_ci_u32_e64 v2, null, s15, 0, s1
	s_and_saveexec_b32 s1, s2
	s_cbranch_execz .LBB94_65
; %bb.64:
	ds_load_u8 v0, v0
	s_wait_dscnt 0x0
	global_store_b8 v[1:2], v0, off
.LBB94_65:
	s_wait_alu 0xfffe
	s_or_b32 exec_lo, exec_lo, s1
	s_and_saveexec_b32 s1, s0
	s_cbranch_execz .LBB94_67
; %bb.66:
	s_lshl_b32 s3, s10, 4
	s_wait_alu 0xfffe
	v_add_co_u32 v0, vcc_lo, v1, s3
	s_wait_alu 0xfffd
	v_add_co_ci_u32_e64 v1, null, 0, v2, vcc_lo
	s_wait_dscnt 0x0
	global_store_b8 v[0:1], v3, off
.LBB94_67:
	s_wait_alu 0xfffe
	s_or_b32 exec_lo, exec_lo, s1
	s_wait_storecnt 0x0
	; wave barrier
	s_wait_loadcnt_dscnt 0x0
	global_inv scope:SCOPE_SE
	ds_store_2addr_b64 v23, v[5:6], v[7:8] offset1:1
	; wave barrier
	s_wait_loadcnt_dscnt 0x0
	global_inv scope:SCOPE_SE
	ds_load_b64 v[0:1], v22 offset:128
	v_mov_b32_e32 v18, 0
	s_delay_alu instid0(VALU_DEP_1) | instskip(NEXT) | instid1(VALU_DEP_1)
	v_lshlrev_b64_e32 v[2:3], 3, v[17:18]
	v_add_co_u32 v2, vcc_lo, s8, v2
	s_wait_alu 0xfffd
	s_delay_alu instid0(VALU_DEP_2)
	v_add_co_ci_u32_e64 v3, null, s9, v3, vcc_lo
	s_and_saveexec_b32 s1, s2
	s_cbranch_execz .LBB94_69
; %bb.68:
	ds_load_b64 v[4:5], v22
	s_wait_dscnt 0x0
	global_store_b64 v[2:3], v[4:5], off
.LBB94_69:
	s_wait_alu 0xfffe
	s_or_b32 exec_lo, exec_lo, s1
	s_and_saveexec_b32 s1, s0
	s_cbranch_execz .LBB94_71
; %bb.70:
	s_lshl_b32 s0, s12, 4
	s_mov_b32 s1, 0
	s_wait_alu 0xfffe
	s_lshl_b64 s[0:1], s[0:1], 3
	s_wait_alu 0xfffe
	v_add_co_u32 v2, vcc_lo, v2, s0
	s_wait_alu 0xfffd
	v_add_co_ci_u32_e64 v3, null, s1, v3, vcc_lo
	s_wait_dscnt 0x0
	global_store_b64 v[2:3], v[0:1], off
.LBB94_71:
	s_endpgm
	.section	.rodata,"a",@progbits
	.p2align	6, 0x0
	.amdhsa_kernel _ZN2at6native18radixSortKVInPlaceILin1ELin1ELi16ELi2EhljEEvNS_4cuda6detail10TensorInfoIT3_T5_EES6_S6_S6_NS4_IT4_S6_EES6_b
		.amdhsa_group_segment_fixed_size 528
		.amdhsa_private_segment_fixed_size 0
		.amdhsa_kernarg_size 712
		.amdhsa_user_sgpr_count 2
		.amdhsa_user_sgpr_dispatch_ptr 0
		.amdhsa_user_sgpr_queue_ptr 0
		.amdhsa_user_sgpr_kernarg_segment_ptr 1
		.amdhsa_user_sgpr_dispatch_id 0
		.amdhsa_user_sgpr_private_segment_size 0
		.amdhsa_wavefront_size32 1
		.amdhsa_uses_dynamic_stack 0
		.amdhsa_enable_private_segment 0
		.amdhsa_system_sgpr_workgroup_id_x 1
		.amdhsa_system_sgpr_workgroup_id_y 1
		.amdhsa_system_sgpr_workgroup_id_z 1
		.amdhsa_system_sgpr_workgroup_info 0
		.amdhsa_system_vgpr_workitem_id 0
		.amdhsa_next_free_vgpr 37
		.amdhsa_next_free_sgpr 17
		.amdhsa_reserve_vcc 1
		.amdhsa_float_round_mode_32 0
		.amdhsa_float_round_mode_16_64 0
		.amdhsa_float_denorm_mode_32 3
		.amdhsa_float_denorm_mode_16_64 3
		.amdhsa_fp16_overflow 0
		.amdhsa_workgroup_processor_mode 1
		.amdhsa_memory_ordered 1
		.amdhsa_forward_progress 1
		.amdhsa_inst_pref_size 44
		.amdhsa_round_robin_scheduling 0
		.amdhsa_exception_fp_ieee_invalid_op 0
		.amdhsa_exception_fp_denorm_src 0
		.amdhsa_exception_fp_ieee_div_zero 0
		.amdhsa_exception_fp_ieee_overflow 0
		.amdhsa_exception_fp_ieee_underflow 0
		.amdhsa_exception_fp_ieee_inexact 0
		.amdhsa_exception_int_div_zero 0
	.end_amdhsa_kernel
	.section	.text._ZN2at6native18radixSortKVInPlaceILin1ELin1ELi16ELi2EhljEEvNS_4cuda6detail10TensorInfoIT3_T5_EES6_S6_S6_NS4_IT4_S6_EES6_b,"axG",@progbits,_ZN2at6native18radixSortKVInPlaceILin1ELin1ELi16ELi2EhljEEvNS_4cuda6detail10TensorInfoIT3_T5_EES6_S6_S6_NS4_IT4_S6_EES6_b,comdat
.Lfunc_end94:
	.size	_ZN2at6native18radixSortKVInPlaceILin1ELin1ELi16ELi2EhljEEvNS_4cuda6detail10TensorInfoIT3_T5_EES6_S6_S6_NS4_IT4_S6_EES6_b, .Lfunc_end94-_ZN2at6native18radixSortKVInPlaceILin1ELin1ELi16ELi2EhljEEvNS_4cuda6detail10TensorInfoIT3_T5_EES6_S6_S6_NS4_IT4_S6_EES6_b
                                        ; -- End function
	.set _ZN2at6native18radixSortKVInPlaceILin1ELin1ELi16ELi2EhljEEvNS_4cuda6detail10TensorInfoIT3_T5_EES6_S6_S6_NS4_IT4_S6_EES6_b.num_vgpr, 37
	.set _ZN2at6native18radixSortKVInPlaceILin1ELin1ELi16ELi2EhljEEvNS_4cuda6detail10TensorInfoIT3_T5_EES6_S6_S6_NS4_IT4_S6_EES6_b.num_agpr, 0
	.set _ZN2at6native18radixSortKVInPlaceILin1ELin1ELi16ELi2EhljEEvNS_4cuda6detail10TensorInfoIT3_T5_EES6_S6_S6_NS4_IT4_S6_EES6_b.numbered_sgpr, 17
	.set _ZN2at6native18radixSortKVInPlaceILin1ELin1ELi16ELi2EhljEEvNS_4cuda6detail10TensorInfoIT3_T5_EES6_S6_S6_NS4_IT4_S6_EES6_b.num_named_barrier, 0
	.set _ZN2at6native18radixSortKVInPlaceILin1ELin1ELi16ELi2EhljEEvNS_4cuda6detail10TensorInfoIT3_T5_EES6_S6_S6_NS4_IT4_S6_EES6_b.private_seg_size, 0
	.set _ZN2at6native18radixSortKVInPlaceILin1ELin1ELi16ELi2EhljEEvNS_4cuda6detail10TensorInfoIT3_T5_EES6_S6_S6_NS4_IT4_S6_EES6_b.uses_vcc, 1
	.set _ZN2at6native18radixSortKVInPlaceILin1ELin1ELi16ELi2EhljEEvNS_4cuda6detail10TensorInfoIT3_T5_EES6_S6_S6_NS4_IT4_S6_EES6_b.uses_flat_scratch, 0
	.set _ZN2at6native18radixSortKVInPlaceILin1ELin1ELi16ELi2EhljEEvNS_4cuda6detail10TensorInfoIT3_T5_EES6_S6_S6_NS4_IT4_S6_EES6_b.has_dyn_sized_stack, 0
	.set _ZN2at6native18radixSortKVInPlaceILin1ELin1ELi16ELi2EhljEEvNS_4cuda6detail10TensorInfoIT3_T5_EES6_S6_S6_NS4_IT4_S6_EES6_b.has_recursion, 0
	.set _ZN2at6native18radixSortKVInPlaceILin1ELin1ELi16ELi2EhljEEvNS_4cuda6detail10TensorInfoIT3_T5_EES6_S6_S6_NS4_IT4_S6_EES6_b.has_indirect_call, 0
	.section	.AMDGPU.csdata,"",@progbits
; Kernel info:
; codeLenInByte = 5580
; TotalNumSgprs: 19
; NumVgprs: 37
; ScratchSize: 0
; MemoryBound: 0
; FloatMode: 240
; IeeeMode: 1
; LDSByteSize: 528 bytes/workgroup (compile time only)
; SGPRBlocks: 0
; VGPRBlocks: 4
; NumSGPRsForWavesPerEU: 19
; NumVGPRsForWavesPerEU: 37
; Occupancy: 16
; WaveLimiterHint : 1
; COMPUTE_PGM_RSRC2:SCRATCH_EN: 0
; COMPUTE_PGM_RSRC2:USER_SGPR: 2
; COMPUTE_PGM_RSRC2:TRAP_HANDLER: 0
; COMPUTE_PGM_RSRC2:TGID_X_EN: 1
; COMPUTE_PGM_RSRC2:TGID_Y_EN: 1
; COMPUTE_PGM_RSRC2:TGID_Z_EN: 1
; COMPUTE_PGM_RSRC2:TIDIG_COMP_CNT: 0
	.section	.text._ZN2at6native18radixSortKVInPlaceILin1ELin1ELi512ELi8EhlmEEvNS_4cuda6detail10TensorInfoIT3_T5_EES6_S6_S6_NS4_IT4_S6_EES6_b,"axG",@progbits,_ZN2at6native18radixSortKVInPlaceILin1ELin1ELi512ELi8EhlmEEvNS_4cuda6detail10TensorInfoIT3_T5_EES6_S6_S6_NS4_IT4_S6_EES6_b,comdat
	.protected	_ZN2at6native18radixSortKVInPlaceILin1ELin1ELi512ELi8EhlmEEvNS_4cuda6detail10TensorInfoIT3_T5_EES6_S6_S6_NS4_IT4_S6_EES6_b ; -- Begin function _ZN2at6native18radixSortKVInPlaceILin1ELin1ELi512ELi8EhlmEEvNS_4cuda6detail10TensorInfoIT3_T5_EES6_S6_S6_NS4_IT4_S6_EES6_b
	.globl	_ZN2at6native18radixSortKVInPlaceILin1ELin1ELi512ELi8EhlmEEvNS_4cuda6detail10TensorInfoIT3_T5_EES6_S6_S6_NS4_IT4_S6_EES6_b
	.p2align	8
	.type	_ZN2at6native18radixSortKVInPlaceILin1ELin1ELi512ELi8EhlmEEvNS_4cuda6detail10TensorInfoIT3_T5_EES6_S6_S6_NS4_IT4_S6_EES6_b,@function
_ZN2at6native18radixSortKVInPlaceILin1ELin1ELi512ELi8EhlmEEvNS_4cuda6detail10TensorInfoIT3_T5_EES6_S6_S6_NS4_IT4_S6_EES6_b: ; @_ZN2at6native18radixSortKVInPlaceILin1ELin1ELi512ELi8EhlmEEvNS_4cuda6detail10TensorInfoIT3_T5_EES6_S6_S6_NS4_IT4_S6_EES6_b
; %bb.0:
	s_clause 0x1
	s_load_b64 s[2:3], s[0:1], 0x368
	s_load_b128 s[8:11], s[0:1], 0x1a0
	s_lshr_b32 s4, ttmp7, 16
	s_and_b32 s5, ttmp7, 0xffff
	s_wait_kmcnt 0x0
	s_mul_i32 s3, s3, s4
	s_delay_alu instid0(SALU_CYCLE_1) | instskip(NEXT) | instid1(SALU_CYCLE_1)
	s_add_co_i32 s3, s3, s5
	s_mul_i32 s2, s3, s2
	s_mov_b32 s3, 0
	s_add_co_i32 s2, s2, ttmp9
	s_delay_alu instid0(SALU_CYCLE_1)
	v_cmp_le_u64_e64 s4, s[8:9], s[2:3]
	s_and_b32 vcc_lo, exec_lo, s4
	s_cbranch_vccnz .LBB95_116
; %bb.1:
	s_clause 0x1
	s_load_b32 s9, s[0:1], 0x198
	s_load_b64 s[12:13], s[0:1], 0x1b0
	s_mov_b64 s[4:5], 0
	s_mov_b64 s[6:7], s[2:3]
	s_wait_kmcnt 0x0
	s_cmp_lt_i32 s9, 2
	s_cbranch_scc1 .LBB95_9
; %bb.2:
	s_mov_b32 s8, 0
	s_add_co_i32 s4, s9, -1
	s_wait_alu 0xfffe
	s_mov_b32 s5, s8
	s_add_co_i32 s11, s9, 1
	s_lshl_b64 s[4:5], s[4:5], 3
	s_mov_b64 s[16:17], s[2:3]
	s_add_nc_u64 s[6:7], s[0:1], s[4:5]
	s_mov_b64 s[4:5], 0
	s_add_nc_u64 s[14:15], s[6:7], 8
.LBB95_3:                               ; =>This Inner Loop Header: Depth=1
	s_load_b64 s[18:19], s[14:15], 0x0
	s_wait_kmcnt 0x0
	s_or_b64 s[6:7], s[16:17], s[18:19]
	s_wait_alu 0xfffe
	s_mov_b32 s9, s7
                                        ; implicit-def: $sgpr6_sgpr7
	s_wait_alu 0xfffe
	s_cmp_lg_u64 s[8:9], 0
	s_mov_b32 s9, -1
	s_cbranch_scc0 .LBB95_5
; %bb.4:                                ;   in Loop: Header=BB95_3 Depth=1
	s_cvt_f32_u32 s6, s18
	s_cvt_f32_u32 s7, s19
	s_sub_nc_u64 s[20:21], 0, s[18:19]
	s_mov_b32 s23, s8
	s_mov_b32 s27, s8
	s_wait_alu 0xfffe
	s_fmamk_f32 s6, s7, 0x4f800000, s6
	s_wait_alu 0xfffe
	s_delay_alu instid0(SALU_CYCLE_2) | instskip(NEXT) | instid1(TRANS32_DEP_1)
	v_s_rcp_f32 s6, s6
	s_mul_f32 s6, s6, 0x5f7ffffc
	s_wait_alu 0xfffe
	s_delay_alu instid0(SALU_CYCLE_2) | instskip(SKIP_1) | instid1(SALU_CYCLE_2)
	s_mul_f32 s7, s6, 0x2f800000
	s_wait_alu 0xfffe
	s_trunc_f32 s7, s7
	s_wait_alu 0xfffe
	s_delay_alu instid0(SALU_CYCLE_2) | instskip(SKIP_2) | instid1(SALU_CYCLE_1)
	s_fmamk_f32 s6, s7, 0xcf800000, s6
	s_cvt_u32_f32 s7, s7
	s_wait_alu 0xfffe
	s_cvt_u32_f32 s6, s6
	s_wait_alu 0xfffe
	s_delay_alu instid0(SALU_CYCLE_2) | instskip(NEXT) | instid1(SALU_CYCLE_1)
	s_mul_u64 s[24:25], s[20:21], s[6:7]
	s_mul_hi_u32 s29, s6, s25
	s_mul_i32 s28, s6, s25
	s_mul_hi_u32 s22, s6, s24
	s_mul_i32 s26, s7, s24
	s_add_nc_u64 s[22:23], s[22:23], s[28:29]
	s_mul_hi_u32 s9, s7, s24
	s_mul_hi_u32 s30, s7, s25
	s_add_co_u32 s22, s22, s26
	s_wait_alu 0xfffe
	s_add_co_ci_u32 s26, s23, s9
	s_mul_i32 s24, s7, s25
	s_add_co_ci_u32 s25, s30, 0
	s_delay_alu instid0(SALU_CYCLE_1)
	s_add_nc_u64 s[22:23], s[26:27], s[24:25]
	s_mov_b32 s25, s8
	s_add_co_u32 s6, s6, s22
	s_cselect_b32 s9, -1, 0
	s_wait_alu 0xfffe
	s_cmp_lg_u32 s9, 0
	s_add_co_ci_u32 s7, s7, s23
	s_mov_b32 s23, s8
	s_wait_alu 0xfffe
	s_mul_u64 s[20:21], s[20:21], s[6:7]
	s_delay_alu instid0(SALU_CYCLE_1)
	s_mul_hi_u32 s27, s6, s21
	s_mul_i32 s26, s6, s21
	s_mul_hi_u32 s22, s6, s20
	s_mul_i32 s24, s7, s20
	s_add_nc_u64 s[22:23], s[22:23], s[26:27]
	s_mul_hi_u32 s9, s7, s20
	s_mul_hi_u32 s28, s7, s21
	s_mul_i32 s20, s7, s21
	s_add_co_u32 s21, s22, s24
	s_wait_alu 0xfffe
	s_add_co_ci_u32 s24, s23, s9
	s_add_co_ci_u32 s21, s28, 0
	s_mov_b32 s23, s8
	s_add_nc_u64 s[20:21], s[24:25], s[20:21]
	s_delay_alu instid0(SALU_CYCLE_1)
	s_add_co_u32 s6, s6, s20
	s_cselect_b32 s9, -1, 0
	s_wait_alu 0xfffe
	s_mul_hi_u32 s22, s16, s6
	s_cmp_lg_u32 s9, 0
	s_mul_hi_u32 s9, s17, s6
	s_add_co_ci_u32 s20, s7, s21
	s_mul_i32 s21, s17, s6
	s_mul_hi_u32 s7, s16, s20
	s_mul_i32 s6, s16, s20
	s_mul_hi_u32 s26, s17, s20
	s_wait_alu 0xfffe
	s_add_nc_u64 s[6:7], s[22:23], s[6:7]
	s_mul_i32 s20, s17, s20
	s_wait_alu 0xfffe
	s_add_co_u32 s6, s6, s21
	s_add_co_ci_u32 s24, s7, s9
	s_add_co_ci_u32 s21, s26, 0
	s_delay_alu instid0(SALU_CYCLE_1) | instskip(SKIP_2) | instid1(SALU_CYCLE_1)
	s_add_nc_u64 s[6:7], s[24:25], s[20:21]
	s_wait_alu 0xfffe
	s_mul_u64 s[20:21], s[18:19], s[6:7]
	s_sub_co_u32 s9, s16, s20
	s_cselect_b32 s20, -1, 0
	s_sub_co_i32 s22, s17, s21
	s_cmp_lg_u32 s20, 0
	s_sub_co_ci_u32 s22, s22, s19
	s_wait_alu 0xfffe
	s_sub_co_u32 s23, s9, s18
	s_cselect_b32 s24, -1, 0
	s_delay_alu instid0(SALU_CYCLE_1) | instskip(SKIP_1) | instid1(SALU_CYCLE_1)
	s_cmp_lg_u32 s24, 0
	s_sub_co_ci_u32 s22, s22, 0
	s_cmp_ge_u32 s22, s19
	s_cselect_b32 s24, -1, 0
	s_cmp_ge_u32 s23, s18
	s_cselect_b32 s25, -1, 0
	s_cmp_eq_u32 s22, s19
	s_add_nc_u64 s[22:23], s[6:7], 1
	s_cselect_b32 s26, s25, s24
	s_add_nc_u64 s[24:25], s[6:7], 2
	s_cmp_lg_u32 s26, 0
	s_cselect_b32 s22, s24, s22
	s_cselect_b32 s23, s25, s23
	s_cmp_lg_u32 s20, 0
	s_sub_co_ci_u32 s20, s17, s21
	s_delay_alu instid0(SALU_CYCLE_1)
	s_cmp_ge_u32 s20, s19
	s_cselect_b32 s21, -1, 0
	s_cmp_ge_u32 s9, s18
	s_cselect_b32 s9, -1, 0
	s_cmp_eq_u32 s20, s19
	s_wait_alu 0xfffe
	s_cselect_b32 s9, s9, s21
	s_wait_alu 0xfffe
	s_cmp_lg_u32 s9, 0
	s_mov_b32 s9, 0
	s_cselect_b32 s7, s23, s7
	s_cselect_b32 s6, s22, s6
.LBB95_5:                               ;   in Loop: Header=BB95_3 Depth=1
	s_wait_alu 0xfffe
	s_and_not1_b32 vcc_lo, exec_lo, s9
	s_cbranch_vccnz .LBB95_7
; %bb.6:                                ;   in Loop: Header=BB95_3 Depth=1
	v_cvt_f32_u32_e32 v1, s18
	s_sub_co_i32 s7, 0, s18
	s_delay_alu instid0(VALU_DEP_1) | instskip(NEXT) | instid1(TRANS32_DEP_1)
	v_rcp_iflag_f32_e32 v1, v1
	v_mul_f32_e32 v1, 0x4f7ffffe, v1
	s_delay_alu instid0(VALU_DEP_1) | instskip(NEXT) | instid1(VALU_DEP_1)
	v_cvt_u32_f32_e32 v1, v1
	v_readfirstlane_b32 s6, v1
	s_wait_alu 0xfffe
	s_mul_i32 s7, s7, s6
	s_wait_alu 0xfffe
	s_mul_hi_u32 s7, s6, s7
	s_wait_alu 0xfffe
	s_add_co_i32 s6, s6, s7
	s_wait_alu 0xfffe
	s_mul_hi_u32 s6, s16, s6
	s_wait_alu 0xfffe
	s_mul_i32 s7, s6, s18
	s_add_co_i32 s9, s6, 1
	s_wait_alu 0xfffe
	s_sub_co_i32 s7, s16, s7
	s_wait_alu 0xfffe
	s_sub_co_i32 s20, s7, s18
	s_cmp_ge_u32 s7, s18
	s_cselect_b32 s6, s9, s6
	s_cselect_b32 s7, s20, s7
	s_wait_alu 0xfffe
	s_add_co_i32 s9, s6, 1
	s_cmp_ge_u32 s7, s18
	s_mov_b32 s7, s8
	s_wait_alu 0xfffe
	s_cselect_b32 s6, s9, s6
.LBB95_7:                               ;   in Loop: Header=BB95_3 Depth=1
	s_load_b64 s[20:21], s[14:15], 0xc8
	s_mul_u64 s[18:19], s[6:7], s[18:19]
	s_add_co_i32 s11, s11, -1
	s_wait_alu 0xfffe
	s_sub_nc_u64 s[16:17], s[16:17], s[18:19]
	s_cmp_gt_u32 s11, 2
	s_add_nc_u64 s[14:15], s[14:15], -8
	s_wait_kmcnt 0x0
	s_mul_u64 s[16:17], s[20:21], s[16:17]
	s_delay_alu instid0(SALU_CYCLE_1)
	s_add_nc_u64 s[4:5], s[16:17], s[4:5]
	s_cbranch_scc0 .LBB95_9
; %bb.8:                                ;   in Loop: Header=BB95_3 Depth=1
	s_mov_b64 s[16:17], s[6:7]
	s_branch .LBB95_3
.LBB95_9:
	s_load_b32 s9, s[0:1], 0x350
	s_add_nc_u64 s[20:21], s[0:1], 0x368
	s_mov_b64 s[14:15], 0
	s_wait_kmcnt 0x0
	s_cmp_lt_i32 s9, 2
	s_cbranch_scc1 .LBB95_17
; %bb.10:
	s_mov_b32 s8, 0
	s_add_co_i32 s14, s9, -1
	s_wait_alu 0xfffe
	s_mov_b32 s15, s8
	s_add_co_i32 s11, s9, 1
	s_lshl_b64 s[14:15], s[14:15], 3
	s_delay_alu instid0(SALU_CYCLE_1) | instskip(NEXT) | instid1(SALU_CYCLE_1)
	s_add_nc_u64 s[14:15], s[0:1], s[14:15]
	s_add_nc_u64 s[16:17], s[14:15], 0x1c0
	s_mov_b64 s[14:15], 0
.LBB95_11:                              ; =>This Inner Loop Header: Depth=1
	s_load_b64 s[22:23], s[16:17], 0x0
	s_wait_kmcnt 0x0
	s_or_b64 s[18:19], s[2:3], s[22:23]
	s_wait_alu 0xfffe
	s_mov_b32 s9, s19
                                        ; implicit-def: $sgpr18_sgpr19
	s_wait_alu 0xfffe
	s_cmp_lg_u64 s[8:9], 0
	s_mov_b32 s9, -1
	s_cbranch_scc0 .LBB95_13
; %bb.12:                               ;   in Loop: Header=BB95_11 Depth=1
	s_cvt_f32_u32 s9, s22
	s_cvt_f32_u32 s18, s23
	s_sub_nc_u64 s[24:25], 0, s[22:23]
	s_mov_b32 s27, s8
	s_mov_b32 s31, s8
	s_wait_alu 0xfffe
	s_fmamk_f32 s9, s18, 0x4f800000, s9
	s_wait_alu 0xfffe
	s_delay_alu instid0(SALU_CYCLE_2) | instskip(NEXT) | instid1(TRANS32_DEP_1)
	v_s_rcp_f32 s9, s9
	s_mul_f32 s9, s9, 0x5f7ffffc
	s_wait_alu 0xfffe
	s_delay_alu instid0(SALU_CYCLE_2) | instskip(SKIP_1) | instid1(SALU_CYCLE_2)
	s_mul_f32 s18, s9, 0x2f800000
	s_wait_alu 0xfffe
	s_trunc_f32 s18, s18
	s_wait_alu 0xfffe
	s_delay_alu instid0(SALU_CYCLE_2) | instskip(SKIP_2) | instid1(SALU_CYCLE_1)
	s_fmamk_f32 s9, s18, 0xcf800000, s9
	s_cvt_u32_f32 s19, s18
	s_wait_alu 0xfffe
	s_cvt_u32_f32 s18, s9
	s_wait_alu 0xfffe
	s_delay_alu instid0(SALU_CYCLE_2) | instskip(NEXT) | instid1(SALU_CYCLE_1)
	s_mul_u64 s[28:29], s[24:25], s[18:19]
	s_mul_hi_u32 s35, s18, s29
	s_mul_i32 s34, s18, s29
	s_mul_hi_u32 s26, s18, s28
	s_mul_i32 s30, s19, s28
	s_add_nc_u64 s[26:27], s[26:27], s[34:35]
	s_mul_hi_u32 s9, s19, s28
	s_mul_hi_u32 s33, s19, s29
	s_add_co_u32 s26, s26, s30
	s_wait_alu 0xfffe
	s_add_co_ci_u32 s30, s27, s9
	s_mul_i32 s28, s19, s29
	s_add_co_ci_u32 s29, s33, 0
	s_delay_alu instid0(SALU_CYCLE_1)
	s_add_nc_u64 s[26:27], s[30:31], s[28:29]
	s_mov_b32 s29, s8
	s_add_co_u32 s18, s18, s26
	s_cselect_b32 s9, -1, 0
	s_wait_alu 0xfffe
	s_cmp_lg_u32 s9, 0
	s_add_co_ci_u32 s19, s19, s27
	s_mov_b32 s27, s8
	s_wait_alu 0xfffe
	s_mul_u64 s[24:25], s[24:25], s[18:19]
	s_delay_alu instid0(SALU_CYCLE_1)
	s_mul_hi_u32 s31, s18, s25
	s_mul_i32 s30, s18, s25
	s_mul_hi_u32 s26, s18, s24
	s_mul_i32 s28, s19, s24
	s_add_nc_u64 s[26:27], s[26:27], s[30:31]
	s_mul_hi_u32 s9, s19, s24
	s_mul_hi_u32 s33, s19, s25
	s_mul_i32 s24, s19, s25
	s_add_co_u32 s25, s26, s28
	s_wait_alu 0xfffe
	s_add_co_ci_u32 s28, s27, s9
	s_add_co_ci_u32 s25, s33, 0
	s_mov_b32 s27, s8
	s_add_nc_u64 s[24:25], s[28:29], s[24:25]
	s_delay_alu instid0(SALU_CYCLE_1)
	s_add_co_u32 s9, s18, s24
	s_cselect_b32 s18, -1, 0
	s_wait_alu 0xfffe
	s_mul_hi_u32 s26, s2, s9
	s_cmp_lg_u32 s18, 0
	s_mul_hi_u32 s28, s3, s9
	s_add_co_ci_u32 s24, s19, s25
	s_mul_i32 s9, s3, s9
	s_mul_hi_u32 s19, s2, s24
	s_mul_i32 s18, s2, s24
	s_mul_hi_u32 s25, s3, s24
	s_wait_alu 0xfffe
	s_add_nc_u64 s[18:19], s[26:27], s[18:19]
	s_mul_i32 s24, s3, s24
	s_wait_alu 0xfffe
	s_add_co_u32 s9, s18, s9
	s_add_co_ci_u32 s28, s19, s28
	s_add_co_ci_u32 s25, s25, 0
	s_delay_alu instid0(SALU_CYCLE_1) | instskip(SKIP_2) | instid1(SALU_CYCLE_1)
	s_add_nc_u64 s[18:19], s[28:29], s[24:25]
	s_wait_alu 0xfffe
	s_mul_u64 s[24:25], s[22:23], s[18:19]
	s_sub_co_u32 s9, s2, s24
	s_cselect_b32 s24, -1, 0
	s_sub_co_i32 s26, s3, s25
	s_cmp_lg_u32 s24, 0
	s_sub_co_ci_u32 s26, s26, s23
	s_wait_alu 0xfffe
	s_sub_co_u32 s27, s9, s22
	s_cselect_b32 s28, -1, 0
	s_delay_alu instid0(SALU_CYCLE_1) | instskip(SKIP_1) | instid1(SALU_CYCLE_1)
	s_cmp_lg_u32 s28, 0
	s_sub_co_ci_u32 s26, s26, 0
	s_cmp_ge_u32 s26, s23
	s_cselect_b32 s28, -1, 0
	s_cmp_ge_u32 s27, s22
	s_cselect_b32 s29, -1, 0
	s_cmp_eq_u32 s26, s23
	s_add_nc_u64 s[26:27], s[18:19], 1
	s_cselect_b32 s30, s29, s28
	s_add_nc_u64 s[28:29], s[18:19], 2
	s_cmp_lg_u32 s30, 0
	s_cselect_b32 s26, s28, s26
	s_cselect_b32 s27, s29, s27
	s_cmp_lg_u32 s24, 0
	s_sub_co_ci_u32 s24, s3, s25
	s_delay_alu instid0(SALU_CYCLE_1)
	s_cmp_ge_u32 s24, s23
	s_cselect_b32 s25, -1, 0
	s_cmp_ge_u32 s9, s22
	s_cselect_b32 s9, -1, 0
	s_cmp_eq_u32 s24, s23
	s_wait_alu 0xfffe
	s_cselect_b32 s9, s9, s25
	s_wait_alu 0xfffe
	s_cmp_lg_u32 s9, 0
	s_mov_b32 s9, 0
	s_cselect_b32 s19, s27, s19
	s_cselect_b32 s18, s26, s18
.LBB95_13:                              ;   in Loop: Header=BB95_11 Depth=1
	s_wait_alu 0xfffe
	s_and_not1_b32 vcc_lo, exec_lo, s9
	s_cbranch_vccnz .LBB95_15
; %bb.14:                               ;   in Loop: Header=BB95_11 Depth=1
	v_cvt_f32_u32_e32 v1, s22
	s_sub_co_i32 s18, 0, s22
	s_delay_alu instid0(VALU_DEP_1) | instskip(NEXT) | instid1(TRANS32_DEP_1)
	v_rcp_iflag_f32_e32 v1, v1
	v_mul_f32_e32 v1, 0x4f7ffffe, v1
	s_delay_alu instid0(VALU_DEP_1) | instskip(NEXT) | instid1(VALU_DEP_1)
	v_cvt_u32_f32_e32 v1, v1
	v_readfirstlane_b32 s9, v1
	s_wait_alu 0xfffe
	s_mul_i32 s18, s18, s9
	s_wait_alu 0xfffe
	s_mul_hi_u32 s18, s9, s18
	s_wait_alu 0xfffe
	s_add_co_i32 s9, s9, s18
	s_wait_alu 0xfffe
	s_mul_hi_u32 s9, s2, s9
	s_wait_alu 0xfffe
	s_mul_i32 s18, s9, s22
	s_add_co_i32 s19, s9, 1
	s_wait_alu 0xfffe
	s_sub_co_i32 s18, s2, s18
	s_wait_alu 0xfffe
	s_sub_co_i32 s24, s18, s22
	s_cmp_ge_u32 s18, s22
	s_cselect_b32 s9, s19, s9
	s_cselect_b32 s18, s24, s18
	s_wait_alu 0xfffe
	s_add_co_i32 s19, s9, 1
	s_cmp_ge_u32 s18, s22
	s_wait_alu 0xfffe
	s_cselect_b32 s18, s19, s9
	s_mov_b32 s19, s8
.LBB95_15:                              ;   in Loop: Header=BB95_11 Depth=1
	s_load_b64 s[24:25], s[16:17], 0xc8
	s_mul_u64 s[22:23], s[18:19], s[22:23]
	s_add_co_i32 s11, s11, -1
	s_wait_alu 0xfffe
	s_sub_nc_u64 s[2:3], s[2:3], s[22:23]
	s_cmp_gt_u32 s11, 2
	s_add_nc_u64 s[16:17], s[16:17], -8
	s_wait_kmcnt 0x0
	s_wait_alu 0xfffe
	s_mul_u64 s[2:3], s[24:25], s[2:3]
	s_wait_alu 0xfffe
	s_add_nc_u64 s[14:15], s[2:3], s[14:15]
	s_cbranch_scc0 .LBB95_18
; %bb.16:                               ;   in Loop: Header=BB95_11 Depth=1
	s_mov_b64 s[2:3], s[18:19]
	s_branch .LBB95_11
.LBB95_17:
	s_mov_b64 s[18:19], s[2:3]
.LBB95_18:
	s_clause 0x2
	s_load_b64 s[2:3], s[0:1], 0xd0
	s_load_b32 s11, s[0:1], 0x360
	s_load_b64 s[8:9], s[0:1], 0x0
	s_wait_kmcnt 0x0
	s_mul_u64 s[6:7], s[2:3], s[6:7]
	s_bitcmp1_b32 s11, 0
	s_wait_alu 0xfffe
	s_add_nc_u64 s[6:7], s[8:9], s[6:7]
	s_cselect_b32 s11, -1, 0
	s_wait_alu 0xfffe
	s_add_nc_u64 s[16:17], s[6:7], s[4:5]
	s_xor_b32 s11, s11, -1
	s_delay_alu instid0(SALU_CYCLE_1) | instskip(SKIP_1) | instid1(VALU_DEP_2)
	v_cndmask_b32_e64 v1, 0, -1, s11
	v_cndmask_b32_e64 v3, 0, -1, s11
	v_lshlrev_b32_e32 v2, 8, v1
	v_and_b32_e32 v1, 0xff, v1
	s_delay_alu instid0(VALU_DEP_1) | instskip(NEXT) | instid1(VALU_DEP_1)
	v_or_b32_e32 v1, v1, v2
	v_and_b32_e32 v2, 0xffff, v1
	v_lshlrev_b32_e32 v1, 16, v1
	s_delay_alu instid0(VALU_DEP_1) | instskip(NEXT) | instid1(VALU_DEP_1)
	v_or_b32_e32 v1, v2, v1
	v_dual_mov_b32 v2, v1 :: v_dual_and_b32 v41, 0x3ff, v0
	s_delay_alu instid0(VALU_DEP_1)
	v_cmp_gt_u32_e64 s2, s10, v41
	s_and_saveexec_b32 s3, s2
	s_cbranch_execz .LBB95_20
; %bb.19:
	v_mad_co_u64_u32 v[2:3], null, s12, v41, s[16:17]
	v_mov_b32_e32 v5, v1
	s_delay_alu instid0(VALU_DEP_2) | instskip(SKIP_3) | instid1(VALU_DEP_1)
	v_mad_co_u64_u32 v[3:4], null, s13, v41, v[3:4]
	global_load_u8 v3, v[2:3], off
	s_wait_loadcnt 0x0
	v_perm_b32 v4, v3, v1, 0x3020104
	v_dual_mov_b32 v1, v4 :: v_dual_mov_b32 v2, v5
.LBB95_20:
	s_wait_alu 0xfffe
	s_or_b32 exec_lo, exec_lo, s3
	v_add_nc_u32_e32 v23, 0x200, v41
	s_delay_alu instid0(VALU_DEP_1)
	v_cmp_gt_u32_e64 s3, s10, v23
	s_and_saveexec_b32 s4, s3
	s_cbranch_execz .LBB95_22
; %bb.21:
	v_mad_co_u64_u32 v[4:5], null, s12, v23, s[16:17]
	s_delay_alu instid0(VALU_DEP_1)
	v_mad_co_u64_u32 v[5:6], null, s13, v23, v[5:6]
	global_load_u8 v4, v[4:5], off
	s_wait_loadcnt 0x0
	v_perm_b32 v1, v1, v4, 0x7060004
.LBB95_22:
	s_or_b32 exec_lo, exec_lo, s4
	v_or_b32_e32 v22, 0x400, v41
	s_delay_alu instid0(VALU_DEP_1)
	v_cmp_gt_u32_e64 s4, s10, v22
	s_and_saveexec_b32 s5, s4
	s_cbranch_execz .LBB95_24
; %bb.23:
	v_mad_co_u64_u32 v[4:5], null, s12, v22, s[16:17]
	s_delay_alu instid0(VALU_DEP_1) | instskip(SKIP_3) | instid1(VALU_DEP_1)
	v_mad_co_u64_u32 v[5:6], null, s13, v22, v[5:6]
	global_load_u8 v4, v[4:5], off
	s_wait_loadcnt 0x0
	v_perm_b32 v4, v4, v1, 0xc0c0304
	v_lshlrev_b32_e32 v4, 16, v4
	s_delay_alu instid0(VALU_DEP_1)
	v_and_or_b32 v1, 0xffff, v1, v4
.LBB95_24:
	s_or_b32 exec_lo, exec_lo, s5
	v_add_nc_u32_e32 v21, 0x600, v41
	s_delay_alu instid0(VALU_DEP_1)
	v_cmp_gt_u32_e64 s5, s10, v21
	s_and_saveexec_b32 s6, s5
	s_cbranch_execz .LBB95_26
; %bb.25:
	v_mad_co_u64_u32 v[4:5], null, s12, v21, s[16:17]
	s_delay_alu instid0(VALU_DEP_1) | instskip(SKIP_3) | instid1(VALU_DEP_1)
	v_mad_co_u64_u32 v[5:6], null, s13, v21, v[5:6]
	global_load_u8 v4, v[4:5], off
	s_wait_loadcnt 0x0
	v_perm_b32 v4, v1, v4, 0xc0c0006
	v_lshlrev_b32_e32 v4, 16, v4
	s_delay_alu instid0(VALU_DEP_1)
	v_and_or_b32 v1, 0xffff, v1, v4
.LBB95_26:
	s_wait_alu 0xfffe
	s_or_b32 exec_lo, exec_lo, s6
	v_or_b32_e32 v20, 0x800, v41
	s_delay_alu instid0(VALU_DEP_1)
	v_cmp_gt_u32_e64 s6, s10, v20
	s_and_saveexec_b32 s7, s6
	s_cbranch_execz .LBB95_28
; %bb.27:
	v_mad_co_u64_u32 v[4:5], null, s12, v20, s[16:17]
	s_delay_alu instid0(VALU_DEP_1)
	v_mad_co_u64_u32 v[5:6], null, s13, v20, v[5:6]
	global_load_u8 v4, v[4:5], off
	s_wait_loadcnt 0x0
	v_perm_b32 v2, v4, v2, 0x3020104
.LBB95_28:
	s_wait_alu 0xfffe
	s_or_b32 exec_lo, exec_lo, s7
	v_add_nc_u32_e32 v19, 0xa00, v41
	s_delay_alu instid0(VALU_DEP_1)
	v_cmp_gt_u32_e64 s7, s10, v19
	s_and_saveexec_b32 s8, s7
	s_cbranch_execz .LBB95_30
; %bb.29:
	v_mad_co_u64_u32 v[4:5], null, s12, v19, s[16:17]
	s_delay_alu instid0(VALU_DEP_1)
	v_mad_co_u64_u32 v[5:6], null, s13, v19, v[5:6]
	global_load_u8 v4, v[4:5], off
	s_wait_loadcnt 0x0
	v_perm_b32 v2, v2, v4, 0x7060004
.LBB95_30:
	s_wait_alu 0xfffe
	s_or_b32 exec_lo, exec_lo, s8
	v_or_b32_e32 v17, 0xc00, v41
	s_delay_alu instid0(VALU_DEP_1)
	v_cmp_gt_u32_e64 s8, s10, v17
	s_and_saveexec_b32 s9, s8
	s_cbranch_execz .LBB95_32
; %bb.31:
	v_mad_co_u64_u32 v[4:5], null, s12, v17, s[16:17]
	s_delay_alu instid0(VALU_DEP_1)
	v_mad_co_u64_u32 v[5:6], null, s13, v17, v[5:6]
	global_load_u8 v4, v[4:5], off
	s_wait_loadcnt 0x0
	v_perm_b32 v2, v2, v4, 0x7000504
.LBB95_32:
	s_wait_alu 0xfffe
	s_or_b32 exec_lo, exec_lo, s9
	s_clause 0x1
	s_load_b64 s[24:25], s[0:1], 0x288
	s_load_b64 s[22:23], s[0:1], 0x1b8
	v_add_nc_u32_e32 v18, 0xe00, v41
	s_delay_alu instid0(VALU_DEP_1)
	v_cmp_gt_u32_e64 s9, s10, v18
	s_and_saveexec_b32 s10, s9
	s_cbranch_execz .LBB95_34
; %bb.33:
	v_mad_co_u64_u32 v[4:5], null, s12, v18, s[16:17]
	s_delay_alu instid0(VALU_DEP_1)
	v_mad_co_u64_u32 v[5:6], null, s13, v18, v[5:6]
	global_load_u8 v4, v[4:5], off
	s_wait_loadcnt 0x0
	v_perm_b32 v2, v2, v4, 0x60504
.LBB95_34:
	s_wait_alu 0xfffe
	s_or_b32 exec_lo, exec_lo, s10
	v_lshrrev_b32_e32 v62, 5, v41
	v_lshrrev_b32_e32 v25, 5, v22
	;; [unrolled: 1-line block ×5, first 2 shown]
	v_and_b32_e32 v4, 28, v62
	v_lshrrev_b32_e32 v29, 5, v17
	v_and_b32_e32 v7, 0x5c, v27
	v_lshrrev_b32_e32 v28, 5, v19
	v_lshrrev_b32_e32 v30, 5, v18
	v_add_nc_u32_e32 v44, v4, v41
	v_and_b32_e32 v4, 60, v25
	v_and_b32_e32 v5, 60, v24
	v_add_nc_u32_e32 v48, v7, v41
	v_and_b32_e32 v7, 0x7c, v29
	v_and_b32_e32 v9, 0xfc, v30
	v_add_nc_u32_e32 v46, v4, v41
	v_and_b32_e32 v4, 0x7c, v26
	v_lshrrev_b32_e32 v31, 2, v41
	v_lshrrev_b32_e32 v6, 8, v1
	v_add_nc_u32_e32 v45, v5, v41
	v_lshrrev_b32_e32 v5, 24, v1
	v_add_nc_u32_e32 v47, v4, v41
	v_and_b32_e32 v4, 0x7c, v28
	v_dual_mov_b32 v11, 0 :: v_dual_add_nc_u32 v50, v7, v41
	v_lshrrev_b32_e32 v8, 8, v2
	v_add_nc_u32_e32 v51, v9, v41
	s_delay_alu instid0(VALU_DEP_4)
	v_add_nc_u32_e32 v49, v4, v41
	v_lshrrev_b32_e32 v4, 24, v2
	v_lshlrev_b32_e32 v54, 3, v41
	v_mov_b32_e32 v12, 0
	ds_store_b8 v44, v3
	ds_store_b8 v45, v6 offset:512
	ds_store_b8_d16_hi v46, v1 offset:1024
	ds_store_b8 v47, v5 offset:1536
	ds_store_b8 v48, v2 offset:2048
	;; [unrolled: 1-line block ×3, first 2 shown]
	ds_store_b8_d16_hi v50, v2 offset:3072
	ds_store_b8 v51, v4 offset:3584
	v_mov_b32_e32 v1, 0
	v_and_b32_e32 v7, 0xfc, v31
	s_wait_kmcnt 0x0
	s_mul_u64 s[18:19], s[24:25], s[18:19]
	s_lshl_b64 s[24:25], s[14:15], 3
	s_load_b64 s[14:15], s[0:1], 0x358
	v_mov_b32_e32 v10, v1
	v_add_nc_u32_e32 v52, v7, v54
	s_wait_dscnt 0x0
	s_barrier_signal -1
	s_barrier_wait -1
	global_inv scope:SCOPE_SE
	ds_load_2addr_b32 v[42:43], v52 offset1:1
	s_lshl_b64 s[18:19], s[18:19], 3
	v_dual_mov_b32 v2, v1 :: v_dual_mov_b32 v13, v1
	v_dual_mov_b32 v14, v1 :: v_dual_mov_b32 v15, v1
	;; [unrolled: 1-line block ×6, first 2 shown]
	s_wait_alu 0xfffe
	s_add_nc_u64 s[0:1], s[22:23], s[18:19]
	s_wait_loadcnt_dscnt 0x0
	s_add_nc_u64 s[18:19], s[0:1], s[24:25]
	s_barrier_signal -1
	s_barrier_wait -1
	global_inv scope:SCOPE_SE
	s_and_saveexec_b32 s0, s2
	s_cbranch_execnz .LBB95_67
; %bb.35:
	s_or_b32 exec_lo, exec_lo, s0
	s_and_saveexec_b32 s0, s3
	s_cbranch_execnz .LBB95_68
.LBB95_36:
	s_or_b32 exec_lo, exec_lo, s0
	s_and_saveexec_b32 s0, s4
	s_cbranch_execnz .LBB95_69
.LBB95_37:
	s_or_b32 exec_lo, exec_lo, s0
	s_and_saveexec_b32 s0, s5
	s_cbranch_execnz .LBB95_70
.LBB95_38:
	s_or_b32 exec_lo, exec_lo, s0
	s_and_saveexec_b32 s0, s6
	s_cbranch_execnz .LBB95_71
.LBB95_39:
	s_or_b32 exec_lo, exec_lo, s0
	s_and_saveexec_b32 s0, s7
	s_cbranch_execnz .LBB95_72
.LBB95_40:
	s_or_b32 exec_lo, exec_lo, s0
	s_and_saveexec_b32 s0, s8
	s_cbranch_execnz .LBB95_73
.LBB95_41:
	s_or_b32 exec_lo, exec_lo, s0
	s_and_saveexec_b32 s0, s9
	s_cbranch_execz .LBB95_43
.LBB95_42:
	s_wait_kmcnt 0x0
	v_mad_co_u64_u32 v[9:10], null, s14, v18, 0
	s_wait_loadcnt 0x0
	s_delay_alu instid0(VALU_DEP_1) | instskip(NEXT) | instid1(VALU_DEP_1)
	v_mad_co_u64_u32 v[17:18], null, s15, v18, v[10:11]
	v_mov_b32_e32 v10, v17
	s_delay_alu instid0(VALU_DEP_1) | instskip(SKIP_1) | instid1(VALU_DEP_1)
	v_lshlrev_b64_e32 v[9:10], 3, v[9:10]
	s_wait_alu 0xfffe
	v_add_co_u32 v9, vcc_lo, s18, v9
	s_wait_alu 0xfffd
	s_delay_alu instid0(VALU_DEP_2)
	v_add_co_ci_u32_e64 v10, null, s19, v10, vcc_lo
	global_load_b64 v[9:10], v[9:10], off
.LBB95_43:
	s_or_b32 exec_lo, exec_lo, s0
	v_lshl_add_u32 v53, v62, 3, v54
	v_lshl_add_u32 v55, v24, 3, v54
	;; [unrolled: 1-line block ×5, first 2 shown]
	s_wait_loadcnt 0x0
	ds_store_b64 v53, v[11:12]
	ds_store_b64 v55, v[1:2] offset:4096
	ds_store_b64 v56, v[13:14] offset:8192
	ds_store_b64 v57, v[15:16] offset:12288
	v_lshlrev_b32_e32 v1, 3, v54
	v_lshl_add_u32 v59, v28, 3, v54
	v_lshl_add_u32 v60, v29, 3, v54
	;; [unrolled: 1-line block ×3, first 2 shown]
	ds_store_b64 v58, v[3:4] offset:16384
	ds_store_b64 v59, v[5:6] offset:20480
	;; [unrolled: 1-line block ×4, first 2 shown]
	v_lshl_add_u32 v63, v31, 3, v1
	s_wait_dscnt 0x0
	s_barrier_signal -1
	s_barrier_wait -1
	global_inv scope:SCOPE_SE
	ds_load_2addr_b64 v[13:16], v63 offset1:1
	ds_load_2addr_b64 v[9:12], v63 offset0:2 offset1:3
	ds_load_2addr_b64 v[5:8], v63 offset0:4 offset1:5
	;; [unrolled: 1-line block ×3, first 2 shown]
	v_bfe_u32 v67, v0, 10, 10
	v_bfe_u32 v68, v0, 20, 10
	v_mbcnt_lo_u32_b32 v65, -1, 0
	v_and_b32_e32 v66, 0x3e0, v41
	v_lshlrev_b32_e32 v64, 2, v54
	s_and_b32 vcc_lo, exec_lo, s11
	s_wait_loadcnt_dscnt 0x0
	s_barrier_signal -1
	s_barrier_wait -1
	global_inv scope:SCOPE_SE
	s_wait_alu 0xfffe
	s_cbranch_vccz .LBB95_74
; %bb.44:
	s_getpc_b64 s[0:1]
	s_sext_i32_i16 s1, s1
	s_add_co_u32 s0, s0, _ZN7rocprim17ROCPRIM_400000_NS16block_radix_sortIhLj512ELj8ElLj1ELj1ELj0ELNS0_26block_radix_rank_algorithmE1ELNS0_18block_padding_hintE2ELNS0_4arch9wavefront6targetE0EE19radix_bits_per_passE@rel32@lo+8
	s_add_co_ci_u32 s1, s1, _ZN7rocprim17ROCPRIM_400000_NS16block_radix_sortIhLj512ELj8ElLj1ELj1ELj0ELNS0_26block_radix_rank_algorithmE1ELNS0_18block_padding_hintE2ELNS0_4arch9wavefront6targetE0EE19radix_bits_per_passE@rel32@hi+16
	v_or_b32_e32 v17, v65, v66
	s_load_b32 s0, s[0:1], 0x0
	s_mov_b32 s24, 0
	v_and_or_b32 v18, 0x1f00, v54, v65
	s_mov_b32 s25, s24
	s_mov_b32 s26, s24
	;; [unrolled: 1-line block ×3, first 2 shown]
	v_lshlrev_b32_e32 v19, 3, v17
	v_mad_u32_u24 v29, v18, 7, v18
	ds_store_b64 v19, v[42:43]
	; wave barrier
	ds_load_u8 v0, v18
	ds_load_u8 v69, v18 offset:32
	ds_load_u8 v70, v18 offset:64
	;; [unrolled: 1-line block ×7, first 2 shown]
	v_mad_u32_u24 v17, v17, 56, v19
	s_wait_loadcnt_dscnt 0x0
	s_barrier_signal -1
	s_barrier_wait -1
	global_inv scope:SCOPE_SE
	s_wait_kmcnt 0x0
	s_min_u32 s0, s0, 8
	ds_store_b128 v17, v[13:16]
	ds_store_b128 v17, v[9:12] offset:16
	s_lshl_b32 s0, -1, s0
	ds_store_b128 v17, v[5:8] offset:32
	ds_store_b128 v17, v[1:4] offset:48
	s_not_b32 s1, s0
	; wave barrier
	s_delay_alu instid0(SALU_CYCLE_1)
	v_and_b32_e32 v39, s1, v0
	ds_load_2addr_b64 v[25:28], v29 offset1:32
	ds_load_2addr_b64 v[21:24], v29 offset0:64 offset1:96
	ds_load_2addr_b64 v[17:20], v29 offset0:128 offset1:160
	;; [unrolled: 1-line block ×3, first 2 shown]
	s_wait_loadcnt_dscnt 0x0
	s_barrier_signal -1
	v_and_b32_e32 v33, 1, v39
	v_lshlrev_b32_e32 v34, 30, v39
	v_lshlrev_b32_e32 v36, 29, v39
	;; [unrolled: 1-line block ×3, first 2 shown]
	s_barrier_wait -1
	v_add_co_u32 v33, s0, v33, -1
	s_wait_alu 0xf1ff
	v_cndmask_b32_e64 v35, 0, 1, s0
	v_not_b32_e32 v37, v34
	v_cmp_gt_i32_e64 s0, 0, v34
	v_not_b32_e32 v34, v36
	global_inv scope:SCOPE_SE
	v_cmp_ne_u32_e32 vcc_lo, 0, v35
	v_ashrrev_i32_e32 v35, 31, v37
	v_lshlrev_b32_e32 v37, 28, v39
	v_ashrrev_i32_e32 v34, 31, v34
	s_wait_alu 0xfffd
	v_xor_b32_e32 v33, vcc_lo, v33
	v_cmp_gt_i32_e32 vcc_lo, 0, v36
	s_wait_alu 0xf1ff
	v_xor_b32_e32 v35, s0, v35
	v_not_b32_e32 v36, v37
	s_load_b32 s0, s[20:21], 0xc
	v_and_b32_e32 v33, exec_lo, v33
	v_xor_b32_e32 v34, vcc_lo, v34
	v_cmp_gt_i32_e32 vcc_lo, 0, v37
	v_lshlrev_b32_e32 v37, 26, v39
	s_delay_alu instid0(VALU_DEP_4) | instskip(SKIP_2) | instid1(VALU_DEP_3)
	v_and_b32_e32 v33, v33, v35
	v_ashrrev_i32_e32 v35, 31, v36
	v_not_b32_e32 v36, v38
	v_and_b32_e32 v33, v33, v34
	s_wait_alu 0xfffd
	s_delay_alu instid0(VALU_DEP_3) | instskip(SKIP_3) | instid1(VALU_DEP_4)
	v_xor_b32_e32 v34, vcc_lo, v35
	v_cmp_gt_i32_e32 vcc_lo, 0, v38
	v_ashrrev_i32_e32 v35, 31, v36
	v_not_b32_e32 v36, v37
	v_and_b32_e32 v33, v33, v34
	v_lshlrev_b32_e32 v34, 25, v39
	s_wait_alu 0xfffd
	v_xor_b32_e32 v35, vcc_lo, v35
	v_cmp_gt_i32_e32 vcc_lo, 0, v37
	v_ashrrev_i32_e32 v36, 31, v36
	s_wait_kmcnt 0x0
	s_lshr_b32 s10, s0, 16
	v_not_b32_e32 v37, v34
	v_and_b32_e32 v33, v33, v35
	v_lshlrev_b32_e32 v35, 24, v39
	s_wait_alu 0xfffd
	v_xor_b32_e32 v36, vcc_lo, v36
	v_cmp_gt_i32_e32 vcc_lo, 0, v34
	v_ashrrev_i32_e32 v34, 31, v37
	s_wait_alu 0xfffe
	v_mad_u32_u24 v38, v68, s10, v67
	v_not_b32_e32 v37, v35
	v_and_b32_e32 v36, v33, v36
	s_and_b32 s0, s0, 0xffff
	s_wait_alu 0xfffd
	v_xor_b32_e32 v40, vcc_lo, v34
	v_cmp_gt_i32_e32 vcc_lo, 0, v35
	v_ashrrev_i32_e32 v35, 31, v37
	s_wait_alu 0xfffe
	v_mad_co_u64_u32 v[33:34], null, v38, s0, v[41:42]
	v_and_b32_e32 v34, v36, v40
	s_wait_alu 0xfffd
	v_xor_b32_e32 v40, vcc_lo, v35
	v_dual_mov_b32 v38, s27 :: v_dual_mov_b32 v37, s26
	v_dual_mov_b32 v36, s25 :: v_dual_mov_b32 v35, s24
	s_delay_alu instid0(VALU_DEP_3)
	v_and_b32_e32 v34, v34, v40
	v_and_b32_e32 v39, 0xff, v39
	v_lshrrev_b32_e32 v33, 3, v33
	ds_store_b128 v64, v[35:38] offset:64
	ds_store_b128 v64, v[35:38] offset:80
	v_mbcnt_lo_u32_b32 v76, v34, 0
	v_lshlrev_b32_e32 v35, 6, v39
	v_and_b32_e32 v33, 0x1ffffffc, v33
	v_cmp_ne_u32_e64 s0, 0, v34
	s_wait_loadcnt_dscnt 0x0
	v_cmp_eq_u32_e32 vcc_lo, 0, v76
	s_barrier_signal -1
	v_add_nc_u32_e32 v77, v33, v35
	s_barrier_wait -1
	global_inv scope:SCOPE_SE
	s_and_b32 s10, s0, vcc_lo
	; wave barrier
	s_wait_alu 0xfffe
	s_and_saveexec_b32 s0, s10
; %bb.45:
	v_bcnt_u32_b32 v34, v34, 0
	ds_store_b32 v77, v34 offset:64
; %bb.46:
	s_wait_alu 0xfffe
	s_or_b32 exec_lo, exec_lo, s0
	v_and_b32_e32 v34, s1, v69
	; wave barrier
	s_delay_alu instid0(VALU_DEP_1)
	v_and_b32_e32 v36, 1, v34
	v_lshlrev_b32_e32 v37, 30, v34
	v_lshlrev_b32_e32 v38, 29, v34
	;; [unrolled: 1-line block ×4, first 2 shown]
	v_add_co_u32 v36, s0, v36, -1
	s_wait_alu 0xf1ff
	v_cndmask_b32_e64 v40, 0, 1, s0
	v_not_b32_e32 v81, v37
	v_cmp_gt_i32_e64 s0, 0, v37
	v_not_b32_e32 v37, v38
	v_lshlrev_b32_e32 v79, 26, v34
	v_cmp_ne_u32_e32 vcc_lo, 0, v40
	v_ashrrev_i32_e32 v40, 31, v81
	v_lshlrev_b32_e32 v80, 25, v34
	v_ashrrev_i32_e32 v37, 31, v37
	v_and_b32_e32 v35, 0xff, v34
	s_wait_alu 0xfffd
	v_xor_b32_e32 v36, vcc_lo, v36
	v_cmp_gt_i32_e32 vcc_lo, 0, v38
	v_not_b32_e32 v38, v39
	s_wait_alu 0xf1ff
	v_xor_b32_e32 v40, s0, v40
	v_cmp_gt_i32_e64 s0, 0, v39
	v_and_b32_e32 v36, exec_lo, v36
	v_not_b32_e32 v39, v78
	v_ashrrev_i32_e32 v38, 31, v38
	s_wait_alu 0xfffd
	v_xor_b32_e32 v37, vcc_lo, v37
	v_cmp_gt_i32_e32 vcc_lo, 0, v78
	v_and_b32_e32 v36, v36, v40
	v_not_b32_e32 v40, v79
	v_ashrrev_i32_e32 v39, 31, v39
	s_wait_alu 0xf1ff
	v_xor_b32_e32 v38, s0, v38
	v_lshlrev_b32_e32 v34, 24, v34
	v_and_b32_e32 v36, v36, v37
	v_cmp_gt_i32_e64 s0, 0, v79
	v_not_b32_e32 v37, v80
	v_ashrrev_i32_e32 v40, 31, v40
	s_wait_alu 0xfffd
	v_xor_b32_e32 v39, vcc_lo, v39
	v_and_b32_e32 v36, v36, v38
	v_cmp_gt_i32_e32 vcc_lo, 0, v80
	v_not_b32_e32 v38, v34
	v_ashrrev_i32_e32 v37, 31, v37
	s_wait_alu 0xf1ff
	v_xor_b32_e32 v40, s0, v40
	v_and_b32_e32 v36, v36, v39
	v_lshlrev_b32_e32 v35, 6, v35
	v_cmp_gt_i32_e64 s0, 0, v34
	v_ashrrev_i32_e32 v34, 31, v38
	s_wait_alu 0xfffd
	v_xor_b32_e32 v37, vcc_lo, v37
	v_and_b32_e32 v36, v36, v40
	v_add_nc_u32_e32 v80, v33, v35
	s_wait_alu 0xf1ff
	v_xor_b32_e32 v34, s0, v34
	s_delay_alu instid0(VALU_DEP_3) | instskip(SKIP_2) | instid1(VALU_DEP_1)
	v_and_b32_e32 v35, v36, v37
	ds_load_b32 v78, v80 offset:64
	; wave barrier
	v_and_b32_e32 v34, v35, v34
	v_mbcnt_lo_u32_b32 v79, v34, 0
	v_cmp_ne_u32_e64 s0, 0, v34
	s_delay_alu instid0(VALU_DEP_2)
	v_cmp_eq_u32_e32 vcc_lo, 0, v79
	s_and_b32 s10, s0, vcc_lo
	s_wait_alu 0xfffe
	s_and_saveexec_b32 s0, s10
	s_cbranch_execz .LBB95_48
; %bb.47:
	s_wait_dscnt 0x0
	v_bcnt_u32_b32 v34, v34, v78
	ds_store_b32 v80, v34 offset:64
.LBB95_48:
	s_wait_alu 0xfffe
	s_or_b32 exec_lo, exec_lo, s0
	v_and_b32_e32 v34, s1, v70
	; wave barrier
	s_delay_alu instid0(VALU_DEP_1)
	v_and_b32_e32 v36, 1, v34
	v_lshlrev_b32_e32 v37, 30, v34
	v_lshlrev_b32_e32 v38, 29, v34
	;; [unrolled: 1-line block ×4, first 2 shown]
	v_add_co_u32 v36, s0, v36, -1
	s_wait_alu 0xf1ff
	v_cndmask_b32_e64 v40, 0, 1, s0
	v_not_b32_e32 v84, v37
	v_cmp_gt_i32_e64 s0, 0, v37
	v_not_b32_e32 v37, v38
	v_lshlrev_b32_e32 v82, 26, v34
	v_cmp_ne_u32_e32 vcc_lo, 0, v40
	v_ashrrev_i32_e32 v40, 31, v84
	v_lshlrev_b32_e32 v83, 25, v34
	v_ashrrev_i32_e32 v37, 31, v37
	v_and_b32_e32 v35, 0xff, v34
	s_wait_alu 0xfffd
	v_xor_b32_e32 v36, vcc_lo, v36
	v_cmp_gt_i32_e32 vcc_lo, 0, v38
	v_not_b32_e32 v38, v39
	s_wait_alu 0xf1ff
	v_xor_b32_e32 v40, s0, v40
	v_cmp_gt_i32_e64 s0, 0, v39
	v_and_b32_e32 v36, exec_lo, v36
	v_not_b32_e32 v39, v81
	v_ashrrev_i32_e32 v38, 31, v38
	s_wait_alu 0xfffd
	v_xor_b32_e32 v37, vcc_lo, v37
	v_cmp_gt_i32_e32 vcc_lo, 0, v81
	v_and_b32_e32 v36, v36, v40
	v_not_b32_e32 v40, v82
	v_ashrrev_i32_e32 v39, 31, v39
	s_wait_alu 0xf1ff
	v_xor_b32_e32 v38, s0, v38
	v_lshlrev_b32_e32 v34, 24, v34
	v_and_b32_e32 v36, v36, v37
	v_cmp_gt_i32_e64 s0, 0, v82
	v_not_b32_e32 v37, v83
	v_ashrrev_i32_e32 v40, 31, v40
	s_wait_alu 0xfffd
	v_xor_b32_e32 v39, vcc_lo, v39
	v_and_b32_e32 v36, v36, v38
	v_cmp_gt_i32_e32 vcc_lo, 0, v83
	v_not_b32_e32 v38, v34
	v_ashrrev_i32_e32 v37, 31, v37
	s_wait_alu 0xf1ff
	v_xor_b32_e32 v40, s0, v40
	v_and_b32_e32 v36, v36, v39
	v_lshlrev_b32_e32 v35, 6, v35
	v_cmp_gt_i32_e64 s0, 0, v34
	v_ashrrev_i32_e32 v34, 31, v38
	s_wait_alu 0xfffd
	v_xor_b32_e32 v37, vcc_lo, v37
	v_and_b32_e32 v36, v36, v40
	v_add_nc_u32_e32 v83, v33, v35
	s_wait_alu 0xf1ff
	v_xor_b32_e32 v34, s0, v34
	s_delay_alu instid0(VALU_DEP_3) | instskip(SKIP_2) | instid1(VALU_DEP_1)
	v_and_b32_e32 v35, v36, v37
	ds_load_b32 v81, v83 offset:64
	; wave barrier
	v_and_b32_e32 v34, v35, v34
	v_mbcnt_lo_u32_b32 v82, v34, 0
	v_cmp_ne_u32_e64 s0, 0, v34
	s_delay_alu instid0(VALU_DEP_2)
	v_cmp_eq_u32_e32 vcc_lo, 0, v82
	s_and_b32 s10, s0, vcc_lo
	s_wait_alu 0xfffe
	s_and_saveexec_b32 s0, s10
	s_cbranch_execz .LBB95_50
; %bb.49:
	s_wait_dscnt 0x0
	v_bcnt_u32_b32 v34, v34, v81
	ds_store_b32 v83, v34 offset:64
.LBB95_50:
	s_wait_alu 0xfffe
	s_or_b32 exec_lo, exec_lo, s0
	v_and_b32_e32 v34, s1, v71
	; wave barrier
	s_delay_alu instid0(VALU_DEP_1)
	v_and_b32_e32 v36, 1, v34
	v_lshlrev_b32_e32 v37, 30, v34
	v_lshlrev_b32_e32 v38, 29, v34
	;; [unrolled: 1-line block ×4, first 2 shown]
	v_add_co_u32 v36, s0, v36, -1
	s_wait_alu 0xf1ff
	v_cndmask_b32_e64 v40, 0, 1, s0
	v_not_b32_e32 v87, v37
	v_cmp_gt_i32_e64 s0, 0, v37
	v_not_b32_e32 v37, v38
	v_lshlrev_b32_e32 v85, 26, v34
	v_cmp_ne_u32_e32 vcc_lo, 0, v40
	v_ashrrev_i32_e32 v40, 31, v87
	v_lshlrev_b32_e32 v86, 25, v34
	v_ashrrev_i32_e32 v37, 31, v37
	v_and_b32_e32 v35, 0xff, v34
	s_wait_alu 0xfffd
	v_xor_b32_e32 v36, vcc_lo, v36
	v_cmp_gt_i32_e32 vcc_lo, 0, v38
	v_not_b32_e32 v38, v39
	s_wait_alu 0xf1ff
	v_xor_b32_e32 v40, s0, v40
	v_cmp_gt_i32_e64 s0, 0, v39
	v_and_b32_e32 v36, exec_lo, v36
	v_not_b32_e32 v39, v84
	v_ashrrev_i32_e32 v38, 31, v38
	s_wait_alu 0xfffd
	v_xor_b32_e32 v37, vcc_lo, v37
	v_cmp_gt_i32_e32 vcc_lo, 0, v84
	v_and_b32_e32 v36, v36, v40
	v_not_b32_e32 v40, v85
	v_ashrrev_i32_e32 v39, 31, v39
	s_wait_alu 0xf1ff
	v_xor_b32_e32 v38, s0, v38
	v_lshlrev_b32_e32 v34, 24, v34
	v_and_b32_e32 v36, v36, v37
	v_cmp_gt_i32_e64 s0, 0, v85
	v_not_b32_e32 v37, v86
	v_ashrrev_i32_e32 v40, 31, v40
	s_wait_alu 0xfffd
	v_xor_b32_e32 v39, vcc_lo, v39
	v_and_b32_e32 v36, v36, v38
	v_cmp_gt_i32_e32 vcc_lo, 0, v86
	v_not_b32_e32 v38, v34
	v_ashrrev_i32_e32 v37, 31, v37
	s_wait_alu 0xf1ff
	v_xor_b32_e32 v40, s0, v40
	v_and_b32_e32 v36, v36, v39
	v_lshlrev_b32_e32 v35, 6, v35
	v_cmp_gt_i32_e64 s0, 0, v34
	v_ashrrev_i32_e32 v34, 31, v38
	s_wait_alu 0xfffd
	v_xor_b32_e32 v37, vcc_lo, v37
	v_and_b32_e32 v36, v36, v40
	v_add_nc_u32_e32 v86, v33, v35
	s_wait_alu 0xf1ff
	v_xor_b32_e32 v34, s0, v34
	s_delay_alu instid0(VALU_DEP_3) | instskip(SKIP_2) | instid1(VALU_DEP_1)
	v_and_b32_e32 v35, v36, v37
	ds_load_b32 v84, v86 offset:64
	; wave barrier
	v_and_b32_e32 v34, v35, v34
	v_mbcnt_lo_u32_b32 v85, v34, 0
	v_cmp_ne_u32_e64 s0, 0, v34
	s_delay_alu instid0(VALU_DEP_2)
	v_cmp_eq_u32_e32 vcc_lo, 0, v85
	s_and_b32 s10, s0, vcc_lo
	s_wait_alu 0xfffe
	s_and_saveexec_b32 s0, s10
	s_cbranch_execz .LBB95_52
; %bb.51:
	s_wait_dscnt 0x0
	v_bcnt_u32_b32 v34, v34, v84
	ds_store_b32 v86, v34 offset:64
.LBB95_52:
	s_wait_alu 0xfffe
	s_or_b32 exec_lo, exec_lo, s0
	v_and_b32_e32 v34, s1, v72
	; wave barrier
	s_delay_alu instid0(VALU_DEP_1)
	v_and_b32_e32 v36, 1, v34
	v_lshlrev_b32_e32 v37, 30, v34
	v_lshlrev_b32_e32 v38, 29, v34
	;; [unrolled: 1-line block ×4, first 2 shown]
	v_add_co_u32 v36, s0, v36, -1
	s_wait_alu 0xf1ff
	v_cndmask_b32_e64 v40, 0, 1, s0
	v_not_b32_e32 v90, v37
	v_cmp_gt_i32_e64 s0, 0, v37
	v_not_b32_e32 v37, v38
	v_lshlrev_b32_e32 v88, 26, v34
	v_cmp_ne_u32_e32 vcc_lo, 0, v40
	v_ashrrev_i32_e32 v40, 31, v90
	v_lshlrev_b32_e32 v89, 25, v34
	v_ashrrev_i32_e32 v37, 31, v37
	v_and_b32_e32 v35, 0xff, v34
	s_wait_alu 0xfffd
	v_xor_b32_e32 v36, vcc_lo, v36
	v_cmp_gt_i32_e32 vcc_lo, 0, v38
	v_not_b32_e32 v38, v39
	s_wait_alu 0xf1ff
	v_xor_b32_e32 v40, s0, v40
	v_cmp_gt_i32_e64 s0, 0, v39
	v_and_b32_e32 v36, exec_lo, v36
	v_not_b32_e32 v39, v87
	v_ashrrev_i32_e32 v38, 31, v38
	s_wait_alu 0xfffd
	v_xor_b32_e32 v37, vcc_lo, v37
	v_cmp_gt_i32_e32 vcc_lo, 0, v87
	v_and_b32_e32 v36, v36, v40
	v_not_b32_e32 v40, v88
	v_ashrrev_i32_e32 v39, 31, v39
	s_wait_alu 0xf1ff
	v_xor_b32_e32 v38, s0, v38
	v_lshlrev_b32_e32 v34, 24, v34
	v_and_b32_e32 v36, v36, v37
	v_cmp_gt_i32_e64 s0, 0, v88
	v_not_b32_e32 v37, v89
	v_ashrrev_i32_e32 v40, 31, v40
	s_wait_alu 0xfffd
	v_xor_b32_e32 v39, vcc_lo, v39
	v_and_b32_e32 v36, v36, v38
	v_cmp_gt_i32_e32 vcc_lo, 0, v89
	v_not_b32_e32 v38, v34
	v_ashrrev_i32_e32 v37, 31, v37
	s_wait_alu 0xf1ff
	v_xor_b32_e32 v40, s0, v40
	v_and_b32_e32 v36, v36, v39
	v_lshlrev_b32_e32 v35, 6, v35
	v_cmp_gt_i32_e64 s0, 0, v34
	v_ashrrev_i32_e32 v34, 31, v38
	s_wait_alu 0xfffd
	v_xor_b32_e32 v37, vcc_lo, v37
	v_and_b32_e32 v36, v36, v40
	v_add_nc_u32_e32 v89, v33, v35
	s_wait_alu 0xf1ff
	v_xor_b32_e32 v34, s0, v34
	s_delay_alu instid0(VALU_DEP_3) | instskip(SKIP_2) | instid1(VALU_DEP_1)
	v_and_b32_e32 v35, v36, v37
	ds_load_b32 v87, v89 offset:64
	; wave barrier
	v_and_b32_e32 v34, v35, v34
	v_mbcnt_lo_u32_b32 v88, v34, 0
	v_cmp_ne_u32_e64 s0, 0, v34
	s_delay_alu instid0(VALU_DEP_2)
	v_cmp_eq_u32_e32 vcc_lo, 0, v88
	s_and_b32 s10, s0, vcc_lo
	s_wait_alu 0xfffe
	s_and_saveexec_b32 s0, s10
	s_cbranch_execz .LBB95_54
; %bb.53:
	s_wait_dscnt 0x0
	v_bcnt_u32_b32 v34, v34, v87
	ds_store_b32 v89, v34 offset:64
.LBB95_54:
	s_wait_alu 0xfffe
	s_or_b32 exec_lo, exec_lo, s0
	v_and_b32_e32 v34, s1, v73
	; wave barrier
	s_delay_alu instid0(VALU_DEP_1)
	v_and_b32_e32 v36, 1, v34
	v_lshlrev_b32_e32 v37, 30, v34
	v_lshlrev_b32_e32 v38, 29, v34
	;; [unrolled: 1-line block ×4, first 2 shown]
	v_add_co_u32 v36, s0, v36, -1
	s_wait_alu 0xf1ff
	v_cndmask_b32_e64 v40, 0, 1, s0
	v_not_b32_e32 v93, v37
	v_cmp_gt_i32_e64 s0, 0, v37
	v_not_b32_e32 v37, v38
	v_lshlrev_b32_e32 v91, 26, v34
	v_cmp_ne_u32_e32 vcc_lo, 0, v40
	v_ashrrev_i32_e32 v40, 31, v93
	v_lshlrev_b32_e32 v92, 25, v34
	v_ashrrev_i32_e32 v37, 31, v37
	v_and_b32_e32 v35, 0xff, v34
	s_wait_alu 0xfffd
	v_xor_b32_e32 v36, vcc_lo, v36
	v_cmp_gt_i32_e32 vcc_lo, 0, v38
	v_not_b32_e32 v38, v39
	s_wait_alu 0xf1ff
	v_xor_b32_e32 v40, s0, v40
	v_cmp_gt_i32_e64 s0, 0, v39
	v_and_b32_e32 v36, exec_lo, v36
	v_not_b32_e32 v39, v90
	v_ashrrev_i32_e32 v38, 31, v38
	s_wait_alu 0xfffd
	v_xor_b32_e32 v37, vcc_lo, v37
	v_cmp_gt_i32_e32 vcc_lo, 0, v90
	v_and_b32_e32 v36, v36, v40
	v_not_b32_e32 v40, v91
	v_ashrrev_i32_e32 v39, 31, v39
	s_wait_alu 0xf1ff
	v_xor_b32_e32 v38, s0, v38
	v_lshlrev_b32_e32 v34, 24, v34
	v_and_b32_e32 v36, v36, v37
	v_cmp_gt_i32_e64 s0, 0, v91
	v_not_b32_e32 v37, v92
	v_ashrrev_i32_e32 v40, 31, v40
	s_wait_alu 0xfffd
	v_xor_b32_e32 v39, vcc_lo, v39
	v_and_b32_e32 v36, v36, v38
	v_cmp_gt_i32_e32 vcc_lo, 0, v92
	v_not_b32_e32 v38, v34
	v_ashrrev_i32_e32 v37, 31, v37
	s_wait_alu 0xf1ff
	v_xor_b32_e32 v40, s0, v40
	v_and_b32_e32 v36, v36, v39
	v_lshlrev_b32_e32 v35, 6, v35
	v_cmp_gt_i32_e64 s0, 0, v34
	v_ashrrev_i32_e32 v34, 31, v38
	s_wait_alu 0xfffd
	v_xor_b32_e32 v37, vcc_lo, v37
	v_and_b32_e32 v36, v36, v40
	v_add_nc_u32_e32 v92, v33, v35
	s_wait_alu 0xf1ff
	v_xor_b32_e32 v34, s0, v34
	s_delay_alu instid0(VALU_DEP_3) | instskip(SKIP_2) | instid1(VALU_DEP_1)
	v_and_b32_e32 v35, v36, v37
	ds_load_b32 v90, v92 offset:64
	; wave barrier
	v_and_b32_e32 v34, v35, v34
	v_mbcnt_lo_u32_b32 v91, v34, 0
	v_cmp_ne_u32_e64 s0, 0, v34
	s_delay_alu instid0(VALU_DEP_2)
	v_cmp_eq_u32_e32 vcc_lo, 0, v91
	s_and_b32 s10, s0, vcc_lo
	s_wait_alu 0xfffe
	s_and_saveexec_b32 s0, s10
	s_cbranch_execz .LBB95_56
; %bb.55:
	s_wait_dscnt 0x0
	v_bcnt_u32_b32 v34, v34, v90
	ds_store_b32 v92, v34 offset:64
.LBB95_56:
	s_wait_alu 0xfffe
	s_or_b32 exec_lo, exec_lo, s0
	v_and_b32_e32 v34, s1, v74
	; wave barrier
	s_delay_alu instid0(VALU_DEP_1)
	v_and_b32_e32 v36, 1, v34
	v_lshlrev_b32_e32 v37, 30, v34
	v_lshlrev_b32_e32 v38, 29, v34
	;; [unrolled: 1-line block ×4, first 2 shown]
	v_add_co_u32 v36, s0, v36, -1
	s_wait_alu 0xf1ff
	v_cndmask_b32_e64 v40, 0, 1, s0
	v_not_b32_e32 v96, v37
	v_cmp_gt_i32_e64 s0, 0, v37
	v_not_b32_e32 v37, v38
	v_lshlrev_b32_e32 v94, 26, v34
	v_cmp_ne_u32_e32 vcc_lo, 0, v40
	v_ashrrev_i32_e32 v40, 31, v96
	v_lshlrev_b32_e32 v95, 25, v34
	v_ashrrev_i32_e32 v37, 31, v37
	v_and_b32_e32 v35, 0xff, v34
	s_wait_alu 0xfffd
	v_xor_b32_e32 v36, vcc_lo, v36
	v_cmp_gt_i32_e32 vcc_lo, 0, v38
	v_not_b32_e32 v38, v39
	s_wait_alu 0xf1ff
	v_xor_b32_e32 v40, s0, v40
	v_cmp_gt_i32_e64 s0, 0, v39
	v_and_b32_e32 v36, exec_lo, v36
	v_not_b32_e32 v39, v93
	v_ashrrev_i32_e32 v38, 31, v38
	s_wait_alu 0xfffd
	v_xor_b32_e32 v37, vcc_lo, v37
	v_cmp_gt_i32_e32 vcc_lo, 0, v93
	v_and_b32_e32 v36, v36, v40
	v_not_b32_e32 v40, v94
	v_ashrrev_i32_e32 v39, 31, v39
	s_wait_alu 0xf1ff
	v_xor_b32_e32 v38, s0, v38
	v_lshlrev_b32_e32 v34, 24, v34
	v_and_b32_e32 v36, v36, v37
	v_cmp_gt_i32_e64 s0, 0, v94
	v_not_b32_e32 v37, v95
	v_ashrrev_i32_e32 v40, 31, v40
	s_wait_alu 0xfffd
	v_xor_b32_e32 v39, vcc_lo, v39
	v_and_b32_e32 v36, v36, v38
	v_cmp_gt_i32_e32 vcc_lo, 0, v95
	v_not_b32_e32 v38, v34
	v_ashrrev_i32_e32 v37, 31, v37
	s_wait_alu 0xf1ff
	v_xor_b32_e32 v40, s0, v40
	v_and_b32_e32 v36, v36, v39
	v_lshlrev_b32_e32 v35, 6, v35
	v_cmp_gt_i32_e64 s0, 0, v34
	v_ashrrev_i32_e32 v34, 31, v38
	s_wait_alu 0xfffd
	v_xor_b32_e32 v37, vcc_lo, v37
	v_and_b32_e32 v36, v36, v40
	v_add_nc_u32_e32 v95, v33, v35
	s_wait_alu 0xf1ff
	v_xor_b32_e32 v34, s0, v34
	s_delay_alu instid0(VALU_DEP_3) | instskip(SKIP_2) | instid1(VALU_DEP_1)
	v_and_b32_e32 v35, v36, v37
	ds_load_b32 v93, v95 offset:64
	; wave barrier
	v_and_b32_e32 v34, v35, v34
	v_mbcnt_lo_u32_b32 v94, v34, 0
	v_cmp_ne_u32_e64 s0, 0, v34
	s_delay_alu instid0(VALU_DEP_2)
	v_cmp_eq_u32_e32 vcc_lo, 0, v94
	s_and_b32 s10, s0, vcc_lo
	s_wait_alu 0xfffe
	s_and_saveexec_b32 s0, s10
	s_cbranch_execz .LBB95_58
; %bb.57:
	s_wait_dscnt 0x0
	v_bcnt_u32_b32 v34, v34, v93
	ds_store_b32 v95, v34 offset:64
.LBB95_58:
	s_wait_alu 0xfffe
	s_or_b32 exec_lo, exec_lo, s0
	v_and_b32_e32 v34, s1, v75
	; wave barrier
	s_delay_alu instid0(VALU_DEP_1)
	v_and_b32_e32 v36, 1, v34
	v_lshlrev_b32_e32 v37, 30, v34
	v_lshlrev_b32_e32 v38, 29, v34
	;; [unrolled: 1-line block ×4, first 2 shown]
	v_add_co_u32 v36, s0, v36, -1
	s_wait_alu 0xf1ff
	v_cndmask_b32_e64 v40, 0, 1, s0
	v_not_b32_e32 v99, v37
	v_cmp_gt_i32_e64 s0, 0, v37
	v_not_b32_e32 v37, v38
	v_lshlrev_b32_e32 v97, 26, v34
	v_cmp_ne_u32_e32 vcc_lo, 0, v40
	v_ashrrev_i32_e32 v40, 31, v99
	v_lshlrev_b32_e32 v98, 25, v34
	v_ashrrev_i32_e32 v37, 31, v37
	v_and_b32_e32 v35, 0xff, v34
	s_wait_alu 0xfffd
	v_xor_b32_e32 v36, vcc_lo, v36
	v_cmp_gt_i32_e32 vcc_lo, 0, v38
	v_not_b32_e32 v38, v39
	s_wait_alu 0xf1ff
	v_xor_b32_e32 v40, s0, v40
	v_cmp_gt_i32_e64 s0, 0, v39
	v_and_b32_e32 v36, exec_lo, v36
	v_not_b32_e32 v39, v96
	v_ashrrev_i32_e32 v38, 31, v38
	s_wait_alu 0xfffd
	v_xor_b32_e32 v37, vcc_lo, v37
	v_cmp_gt_i32_e32 vcc_lo, 0, v96
	v_and_b32_e32 v36, v36, v40
	v_not_b32_e32 v40, v97
	v_ashrrev_i32_e32 v39, 31, v39
	s_wait_alu 0xf1ff
	v_xor_b32_e32 v38, s0, v38
	v_lshlrev_b32_e32 v34, 24, v34
	v_and_b32_e32 v36, v36, v37
	v_cmp_gt_i32_e64 s0, 0, v97
	v_not_b32_e32 v37, v98
	v_ashrrev_i32_e32 v40, 31, v40
	s_wait_alu 0xfffd
	v_xor_b32_e32 v39, vcc_lo, v39
	v_and_b32_e32 v36, v36, v38
	v_cmp_gt_i32_e32 vcc_lo, 0, v98
	v_not_b32_e32 v38, v34
	v_ashrrev_i32_e32 v37, 31, v37
	s_wait_alu 0xf1ff
	v_xor_b32_e32 v40, s0, v40
	v_and_b32_e32 v36, v36, v39
	v_lshlrev_b32_e32 v35, 6, v35
	v_cmp_gt_i32_e64 s0, 0, v34
	v_ashrrev_i32_e32 v34, 31, v38
	s_wait_alu 0xfffd
	v_xor_b32_e32 v37, vcc_lo, v37
	v_and_b32_e32 v36, v36, v40
	v_add_nc_u32_e32 v98, v33, v35
	s_wait_alu 0xf1ff
	v_xor_b32_e32 v33, s0, v34
	s_delay_alu instid0(VALU_DEP_3) | instskip(SKIP_2) | instid1(VALU_DEP_1)
	v_and_b32_e32 v34, v36, v37
	ds_load_b32 v96, v98 offset:64
	; wave barrier
	v_and_b32_e32 v33, v34, v33
	v_mbcnt_lo_u32_b32 v97, v33, 0
	v_cmp_ne_u32_e64 s0, 0, v33
	s_delay_alu instid0(VALU_DEP_2)
	v_cmp_eq_u32_e32 vcc_lo, 0, v97
	s_and_b32 s1, s0, vcc_lo
	s_wait_alu 0xfffe
	s_and_saveexec_b32 s0, s1
	s_cbranch_execz .LBB95_60
; %bb.59:
	s_wait_dscnt 0x0
	v_bcnt_u32_b32 v33, v33, v96
	ds_store_b32 v98, v33 offset:64
.LBB95_60:
	s_wait_alu 0xfffe
	s_or_b32 exec_lo, exec_lo, s0
	; wave barrier
	s_wait_loadcnt_dscnt 0x0
	s_barrier_signal -1
	s_barrier_wait -1
	global_inv scope:SCOPE_SE
	ds_load_b128 v[37:40], v64 offset:64
	ds_load_b128 v[33:36], v64 offset:80
	v_min_u32_e32 v101, 0x1e0, v66
	s_mov_b32 s22, exec_lo
	s_wait_dscnt 0x1
	v_add_nc_u32_e32 v99, v38, v37
	s_delay_alu instid0(VALU_DEP_1) | instskip(SKIP_1) | instid1(VALU_DEP_1)
	v_add3_u32 v99, v99, v39, v40
	s_wait_dscnt 0x0
	v_add3_u32 v99, v99, v33, v34
	s_delay_alu instid0(VALU_DEP_1) | instskip(SKIP_1) | instid1(VALU_DEP_2)
	v_add3_u32 v36, v99, v35, v36
	v_and_b32_e32 v99, 15, v65
	v_mov_b32_dpp v100, v36 row_shr:1 row_mask:0xf bank_mask:0xf
	s_delay_alu instid0(VALU_DEP_2)
	v_cmp_eq_u32_e32 vcc_lo, 0, v99
	v_cmp_lt_u32_e64 s0, 1, v99
	v_cmp_lt_u32_e64 s1, 3, v99
	v_cmp_lt_u32_e64 s10, 7, v99
	s_wait_alu 0xfffd
	v_cndmask_b32_e64 v100, v100, 0, vcc_lo
	s_delay_alu instid0(VALU_DEP_1) | instskip(NEXT) | instid1(VALU_DEP_1)
	v_add_nc_u32_e32 v36, v100, v36
	v_mov_b32_dpp v100, v36 row_shr:2 row_mask:0xf bank_mask:0xf
	s_wait_alu 0xf1ff
	s_delay_alu instid0(VALU_DEP_1) | instskip(NEXT) | instid1(VALU_DEP_1)
	v_cndmask_b32_e64 v100, 0, v100, s0
	v_add_nc_u32_e32 v36, v36, v100
	s_delay_alu instid0(VALU_DEP_1) | instskip(NEXT) | instid1(VALU_DEP_1)
	v_mov_b32_dpp v100, v36 row_shr:4 row_mask:0xf bank_mask:0xf
	v_cndmask_b32_e64 v100, 0, v100, s1
	s_delay_alu instid0(VALU_DEP_1) | instskip(NEXT) | instid1(VALU_DEP_1)
	v_add_nc_u32_e32 v36, v36, v100
	v_mov_b32_dpp v100, v36 row_shr:8 row_mask:0xf bank_mask:0xf
	s_delay_alu instid0(VALU_DEP_1) | instskip(SKIP_1) | instid1(VALU_DEP_2)
	v_cndmask_b32_e64 v99, 0, v100, s10
	v_bfe_i32 v100, v65, 4, 1
	v_add_nc_u32_e32 v36, v36, v99
	ds_swizzle_b32 v99, v36 offset:swizzle(BROADCAST,32,15)
	s_wait_dscnt 0x0
	v_and_b32_e32 v99, v100, v99
	v_or_b32_e32 v100, 31, v101
	s_delay_alu instid0(VALU_DEP_2) | instskip(NEXT) | instid1(VALU_DEP_2)
	v_add_nc_u32_e32 v36, v36, v99
	v_cmpx_eq_u32_e64 v41, v100
; %bb.61:
	v_lshlrev_b32_e32 v99, 2, v62
	ds_store_b32 v99, v36
; %bb.62:
	s_wait_alu 0xfffe
	s_or_b32 exec_lo, exec_lo, s22
	s_delay_alu instid0(SALU_CYCLE_1)
	s_mov_b32 s22, exec_lo
	s_wait_loadcnt_dscnt 0x0
	s_barrier_signal -1
	s_barrier_wait -1
	global_inv scope:SCOPE_SE
	v_cmpx_gt_u32_e32 16, v41
	s_cbranch_execz .LBB95_64
; %bb.63:
	v_lshlrev_b32_e32 v99, 2, v41
	ds_load_b32 v100, v99
	s_wait_dscnt 0x0
	v_mov_b32_dpp v101, v100 row_shr:1 row_mask:0xf bank_mask:0xf
	s_delay_alu instid0(VALU_DEP_1) | instskip(NEXT) | instid1(VALU_DEP_1)
	v_cndmask_b32_e64 v101, v101, 0, vcc_lo
	v_add_nc_u32_e32 v100, v101, v100
	s_delay_alu instid0(VALU_DEP_1) | instskip(NEXT) | instid1(VALU_DEP_1)
	v_mov_b32_dpp v101, v100 row_shr:2 row_mask:0xf bank_mask:0xf
	v_cndmask_b32_e64 v101, 0, v101, s0
	s_delay_alu instid0(VALU_DEP_1) | instskip(NEXT) | instid1(VALU_DEP_1)
	v_add_nc_u32_e32 v100, v100, v101
	v_mov_b32_dpp v101, v100 row_shr:4 row_mask:0xf bank_mask:0xf
	s_delay_alu instid0(VALU_DEP_1) | instskip(NEXT) | instid1(VALU_DEP_1)
	v_cndmask_b32_e64 v101, 0, v101, s1
	v_add_nc_u32_e32 v100, v100, v101
	s_delay_alu instid0(VALU_DEP_1) | instskip(NEXT) | instid1(VALU_DEP_1)
	v_mov_b32_dpp v101, v100 row_shr:8 row_mask:0xf bank_mask:0xf
	v_cndmask_b32_e64 v101, 0, v101, s10
	s_delay_alu instid0(VALU_DEP_1)
	v_add_nc_u32_e32 v100, v100, v101
	ds_store_b32 v99, v100
.LBB95_64:
	s_wait_alu 0xfffe
	s_or_b32 exec_lo, exec_lo, s22
	v_mov_b32_e32 v99, 0
	s_mov_b32 s0, exec_lo
	s_wait_loadcnt_dscnt 0x0
	s_barrier_signal -1
	s_barrier_wait -1
	global_inv scope:SCOPE_SE
	v_cmpx_lt_u32_e32 31, v41
; %bb.65:
	v_lshl_add_u32 v99, v62, 2, -4
	ds_load_b32 v99, v99
; %bb.66:
	s_wait_alu 0xfffe
	s_or_b32 exec_lo, exec_lo, s0
	v_sub_co_u32 v100, vcc_lo, v65, 1
	s_wait_dscnt 0x0
	v_add_nc_u32_e32 v36, v99, v36
	s_delay_alu instid0(VALU_DEP_2) | instskip(SKIP_1) | instid1(VALU_DEP_1)
	v_cmp_gt_i32_e64 s0, 0, v100
	s_wait_alu 0xf1ff
	v_cndmask_b32_e64 v100, v100, v65, s0
	s_delay_alu instid0(VALU_DEP_1)
	v_lshlrev_b32_e32 v100, 2, v100
	ds_bpermute_b32 v36, v100, v36
	s_wait_dscnt 0x0
	s_wait_alu 0xfffd
	v_cndmask_b32_e32 v36, v36, v99, vcc_lo
	v_cmp_ne_u32_e32 vcc_lo, 0, v41
	s_wait_alu 0xfffd
	s_delay_alu instid0(VALU_DEP_2) | instskip(NEXT) | instid1(VALU_DEP_1)
	v_cndmask_b32_e32 v36, 0, v36, vcc_lo
	v_add_nc_u32_e32 v37, v36, v37
	s_delay_alu instid0(VALU_DEP_1) | instskip(NEXT) | instid1(VALU_DEP_1)
	v_add_nc_u32_e32 v38, v37, v38
	v_add_nc_u32_e32 v39, v38, v39
	s_delay_alu instid0(VALU_DEP_1) | instskip(NEXT) | instid1(VALU_DEP_1)
	v_add_nc_u32_e32 v99, v39, v40
	;; [unrolled: 3-line block ×3, first 2 shown]
	v_add_nc_u32_e32 v102, v101, v35
	ds_store_b128 v64, v[36:39] offset:64
	ds_store_b128 v64, v[99:102] offset:80
	s_wait_loadcnt_dscnt 0x0
	s_barrier_signal -1
	s_barrier_wait -1
	global_inv scope:SCOPE_SE
	ds_load_b32 v33, v77 offset:64
	ds_load_b32 v34, v80 offset:64
	;; [unrolled: 1-line block ×8, first 2 shown]
	v_mad_u32_u24 v77, v41, 56, v54
	s_wait_loadcnt_dscnt 0x0
	s_barrier_signal -1
	s_barrier_wait -1
	global_inv scope:SCOPE_SE
	v_add_nc_u32_e32 v76, v33, v76
	v_add3_u32 v78, v79, v78, v34
	v_add3_u32 v35, v82, v81, v35
	;; [unrolled: 1-line block ×7, first 2 shown]
	ds_store_b8 v76, v0
	ds_store_b8 v78, v69
	;; [unrolled: 1-line block ×8, first 2 shown]
	v_lshlrev_b32_e32 v0, 3, v76
	v_lshlrev_b32_e32 v69, 3, v78
	;; [unrolled: 1-line block ×5, first 2 shown]
	s_wait_loadcnt_dscnt 0x0
	s_barrier_signal -1
	s_barrier_wait -1
	global_inv scope:SCOPE_SE
	ds_load_b64 v[33:34], v54
	s_wait_loadcnt_dscnt 0x0
	s_barrier_signal -1
	s_barrier_wait -1
	global_inv scope:SCOPE_SE
	v_lshlrev_b32_e32 v38, 3, v38
	v_lshlrev_b32_e32 v39, 3, v39
	;; [unrolled: 1-line block ×3, first 2 shown]
	ds_store_b64 v0, v[25:26]
	ds_store_b64 v69, v[27:28]
	;; [unrolled: 1-line block ×8, first 2 shown]
	s_wait_loadcnt_dscnt 0x0
	s_barrier_signal -1
	s_barrier_wait -1
	global_inv scope:SCOPE_SE
	ds_load_b128 v[29:32], v77
	ds_load_b128 v[25:28], v77 offset:16
	ds_load_b128 v[21:24], v77 offset:32
	;; [unrolled: 1-line block ×3, first 2 shown]
	s_branch .LBB95_98
.LBB95_67:
	s_wait_kmcnt 0x0
	v_mad_co_u64_u32 v[2:3], null, s14, v41, 0
	v_dual_mov_b32 v14, v1 :: v_dual_mov_b32 v15, v1
	v_mov_b32_e32 v16, v1
	v_dual_mov_b32 v6, v1 :: v_dual_mov_b32 v7, v1
	v_dual_mov_b32 v8, v1 :: v_dual_mov_b32 v9, v1
	v_mad_co_u64_u32 v[3:4], null, s15, v41, v[3:4]
	v_dual_mov_b32 v4, v1 :: v_dual_mov_b32 v5, v1
	v_dual_mov_b32 v10, v1 :: v_dual_mov_b32 v13, v1
	s_delay_alu instid0(VALU_DEP_3) | instskip(SKIP_1) | instid1(VALU_DEP_1)
	v_lshlrev_b64_e32 v[2:3], 3, v[2:3]
	s_wait_alu 0xfffe
	v_add_co_u32 v2, vcc_lo, s18, v2
	s_delay_alu instid0(VALU_DEP_1)
	v_add_co_ci_u32_e64 v3, null, s19, v3, vcc_lo
	global_load_b64 v[11:12], v[2:3], off
	v_dual_mov_b32 v2, v1 :: v_dual_mov_b32 v3, v1
	s_or_b32 exec_lo, exec_lo, s0
	s_and_saveexec_b32 s0, s3
	s_cbranch_execz .LBB95_36
.LBB95_68:
	s_wait_kmcnt 0x0
	v_mad_co_u64_u32 v[1:2], null, s14, v23, 0
	s_delay_alu instid0(VALU_DEP_1) | instskip(NEXT) | instid1(VALU_DEP_1)
	v_mad_co_u64_u32 v[32:33], null, s15, v23, v[2:3]
	v_mov_b32_e32 v2, v32
	s_delay_alu instid0(VALU_DEP_1) | instskip(SKIP_1) | instid1(VALU_DEP_1)
	v_lshlrev_b64_e32 v[1:2], 3, v[1:2]
	s_wait_alu 0xfffe
	v_add_co_u32 v1, vcc_lo, s18, v1
	s_wait_alu 0xfffd
	s_delay_alu instid0(VALU_DEP_2)
	v_add_co_ci_u32_e64 v2, null, s19, v2, vcc_lo
	global_load_b64 v[1:2], v[1:2], off
	s_or_b32 exec_lo, exec_lo, s0
	s_and_saveexec_b32 s0, s4
	s_cbranch_execz .LBB95_37
.LBB95_69:
	s_wait_kmcnt 0x0
	v_mad_co_u64_u32 v[13:14], null, s14, v22, 0
	s_delay_alu instid0(VALU_DEP_1) | instskip(NEXT) | instid1(VALU_DEP_1)
	v_mad_co_u64_u32 v[22:23], null, s15, v22, v[14:15]
	v_mov_b32_e32 v14, v22
	s_delay_alu instid0(VALU_DEP_1) | instskip(SKIP_1) | instid1(VALU_DEP_1)
	v_lshlrev_b64_e32 v[13:14], 3, v[13:14]
	s_wait_alu 0xfffe
	v_add_co_u32 v13, vcc_lo, s18, v13
	s_wait_alu 0xfffd
	s_delay_alu instid0(VALU_DEP_2)
	v_add_co_ci_u32_e64 v14, null, s19, v14, vcc_lo
	global_load_b64 v[13:14], v[13:14], off
	s_or_b32 exec_lo, exec_lo, s0
	s_and_saveexec_b32 s0, s5
	s_cbranch_execz .LBB95_38
.LBB95_70:
	s_wait_kmcnt 0x0
	v_mad_co_u64_u32 v[15:16], null, s14, v21, 0
	s_delay_alu instid0(VALU_DEP_1) | instskip(NEXT) | instid1(VALU_DEP_1)
	v_mad_co_u64_u32 v[21:22], null, s15, v21, v[16:17]
	v_mov_b32_e32 v16, v21
	s_delay_alu instid0(VALU_DEP_1) | instskip(SKIP_1) | instid1(VALU_DEP_1)
	v_lshlrev_b64_e32 v[15:16], 3, v[15:16]
	s_wait_alu 0xfffe
	v_add_co_u32 v15, vcc_lo, s18, v15
	s_wait_alu 0xfffd
	s_delay_alu instid0(VALU_DEP_2)
	v_add_co_ci_u32_e64 v16, null, s19, v16, vcc_lo
	global_load_b64 v[15:16], v[15:16], off
	s_or_b32 exec_lo, exec_lo, s0
	s_and_saveexec_b32 s0, s6
	s_cbranch_execz .LBB95_39
.LBB95_71:
	s_wait_kmcnt 0x0
	v_mad_co_u64_u32 v[3:4], null, s14, v20, 0
	s_delay_alu instid0(VALU_DEP_1) | instskip(NEXT) | instid1(VALU_DEP_1)
	v_mad_co_u64_u32 v[20:21], null, s15, v20, v[4:5]
	v_mov_b32_e32 v4, v20
	s_delay_alu instid0(VALU_DEP_1) | instskip(SKIP_1) | instid1(VALU_DEP_1)
	v_lshlrev_b64_e32 v[3:4], 3, v[3:4]
	s_wait_alu 0xfffe
	v_add_co_u32 v3, vcc_lo, s18, v3
	s_wait_alu 0xfffd
	s_delay_alu instid0(VALU_DEP_2)
	v_add_co_ci_u32_e64 v4, null, s19, v4, vcc_lo
	global_load_b64 v[3:4], v[3:4], off
	s_or_b32 exec_lo, exec_lo, s0
	s_and_saveexec_b32 s0, s7
	s_cbranch_execz .LBB95_40
.LBB95_72:
	s_wait_kmcnt 0x0
	v_mad_co_u64_u32 v[5:6], null, s14, v19, 0
	s_delay_alu instid0(VALU_DEP_1) | instskip(NEXT) | instid1(VALU_DEP_1)
	v_mad_co_u64_u32 v[19:20], null, s15, v19, v[6:7]
	v_mov_b32_e32 v6, v19
	s_delay_alu instid0(VALU_DEP_1) | instskip(SKIP_1) | instid1(VALU_DEP_1)
	v_lshlrev_b64_e32 v[5:6], 3, v[5:6]
	s_wait_alu 0xfffe
	v_add_co_u32 v5, vcc_lo, s18, v5
	s_wait_alu 0xfffd
	s_delay_alu instid0(VALU_DEP_2)
	v_add_co_ci_u32_e64 v6, null, s19, v6, vcc_lo
	global_load_b64 v[5:6], v[5:6], off
	s_or_b32 exec_lo, exec_lo, s0
	s_and_saveexec_b32 s0, s8
	s_cbranch_execz .LBB95_41
.LBB95_73:
	s_wait_kmcnt 0x0
	v_mad_co_u64_u32 v[7:8], null, s14, v17, 0
	s_delay_alu instid0(VALU_DEP_1) | instskip(NEXT) | instid1(VALU_DEP_1)
	v_mad_co_u64_u32 v[19:20], null, s15, v17, v[8:9]
	v_mov_b32_e32 v8, v19
	s_delay_alu instid0(VALU_DEP_1) | instskip(SKIP_1) | instid1(VALU_DEP_1)
	v_lshlrev_b64_e32 v[7:8], 3, v[7:8]
	s_wait_alu 0xfffe
	v_add_co_u32 v7, vcc_lo, s18, v7
	s_wait_alu 0xfffd
	s_delay_alu instid0(VALU_DEP_2)
	v_add_co_ci_u32_e64 v8, null, s19, v8, vcc_lo
	global_load_b64 v[7:8], v[7:8], off
	s_or_b32 exec_lo, exec_lo, s0
	s_and_saveexec_b32 s0, s9
	s_cbranch_execnz .LBB95_42
	s_branch .LBB95_43
.LBB95_74:
                                        ; implicit-def: $vgpr19_vgpr20
                                        ; implicit-def: $vgpr23_vgpr24
                                        ; implicit-def: $vgpr27_vgpr28
                                        ; implicit-def: $vgpr31_vgpr32
                                        ; implicit-def: $vgpr34
	s_cbranch_execz .LBB95_98
; %bb.75:
	v_or_b32_e32 v0, v65, v66
	s_getpc_b64 s[0:1]
	s_sext_i32_i16 s1, s1
	s_add_co_u32 s0, s0, _ZN7rocprim17ROCPRIM_400000_NS16block_radix_sortIhLj512ELj8ElLj1ELj1ELj0ELNS0_26block_radix_rank_algorithmE1ELNS0_18block_padding_hintE2ELNS0_4arch9wavefront6targetE0EE19radix_bits_per_passE@rel32@lo+8
	s_add_co_ci_u32 s1, s1, _ZN7rocprim17ROCPRIM_400000_NS16block_radix_sortIhLj512ELj8ElLj1ELj1ELj0ELNS0_26block_radix_rank_algorithmE1ELNS0_18block_padding_hintE2ELNS0_4arch9wavefront6targetE0EE19radix_bits_per_passE@rel32@hi+16
	s_wait_dscnt 0x0
	v_not_b32_e32 v18, v43
	s_load_b32 s0, s[0:1], 0x0
	v_not_b32_e32 v17, v42
	v_lshlrev_b32_e32 v19, 3, v0
	v_and_or_b32 v20, 0x1f00, v54, v65
	ds_store_b64 v19, v[17:18]
	; wave barrier
	ds_load_u8 v24, v20
	v_mad_u32_u24 v0, v0, 56, v19
	ds_load_u8 v25, v20 offset:32
	ds_load_u8 v26, v20 offset:64
	;; [unrolled: 1-line block ×7, first 2 shown]
	s_wait_loadcnt_dscnt 0x0
	s_barrier_signal -1
	s_barrier_wait -1
	global_inv scope:SCOPE_SE
	ds_store_b128 v0, v[13:16]
	ds_store_b128 v0, v[9:12] offset:16
	v_mad_u32_u24 v17, v20, 7, v20
	ds_store_b128 v0, v[5:8] offset:32
	ds_store_b128 v0, v[1:4] offset:48
	s_wait_kmcnt 0x0
	s_min_u32 s0, s0, 8
	s_delay_alu instid0(SALU_CYCLE_1) | instskip(NEXT) | instid1(SALU_CYCLE_1)
	s_lshl_b32 s0, -1, s0
	; wave barrier
	s_not_b32 s1, s0
	ds_load_2addr_b64 v[0:3], v17 offset1:32
	ds_load_2addr_b64 v[8:11], v17 offset0:64 offset1:96
	ds_load_2addr_b64 v[4:7], v17 offset0:128 offset1:160
	v_and_b32_e32 v22, s1, v24
	s_delay_alu instid0(VALU_DEP_1) | instskip(SKIP_2) | instid1(VALU_DEP_3)
	v_and_b32_e32 v12, 1, v22
	v_lshlrev_b32_e32 v16, 30, v22
	v_lshlrev_b32_e32 v20, 28, v22
	v_add_co_u32 v18, s0, v12, -1
	s_wait_alu 0xf1ff
	v_cndmask_b32_e64 v19, 0, 1, s0
	ds_load_2addr_b64 v[12:15], v17 offset0:192 offset1:224
	v_not_b32_e32 v17, v16
	v_cmp_gt_i32_e64 s0, 0, v16
	s_wait_loadcnt_dscnt 0x0
	v_cmp_ne_u32_e32 vcc_lo, 0, v19
	v_lshlrev_b32_e32 v19, 29, v22
	v_ashrrev_i32_e32 v16, 31, v17
	s_barrier_signal -1
	s_barrier_wait -1
	s_wait_alu 0xfffd
	v_xor_b32_e32 v17, vcc_lo, v18
	global_inv scope:SCOPE_SE
	s_wait_alu 0xf1ff
	v_xor_b32_e32 v16, s0, v16
	s_load_b32 s0, s[20:21], 0xc
	s_mov_b32 s20, 0
	v_not_b32_e32 v18, v19
	s_mov_b32 s21, s20
	s_mov_b32 s22, s20
	;; [unrolled: 1-line block ×3, first 2 shown]
	v_and_b32_e32 v17, exec_lo, v17
	v_cmp_gt_i32_e32 vcc_lo, 0, v19
	v_ashrrev_i32_e32 v18, 31, v18
	v_not_b32_e32 v19, v20
	s_delay_alu instid0(VALU_DEP_4)
	v_and_b32_e32 v16, v17, v16
	v_lshlrev_b32_e32 v17, 27, v22
	s_wait_alu 0xfffd
	v_xor_b32_e32 v18, vcc_lo, v18
	v_cmp_gt_i32_e32 vcc_lo, 0, v20
	v_ashrrev_i32_e32 v19, 31, v19
	v_not_b32_e32 v20, v17
	s_delay_alu instid0(VALU_DEP_4)
	v_and_b32_e32 v16, v16, v18
	v_lshlrev_b32_e32 v18, 26, v22
	s_wait_alu 0xfffd
	v_xor_b32_e32 v19, vcc_lo, v19
	v_cmp_gt_i32_e32 vcc_lo, 0, v17
	v_ashrrev_i32_e32 v17, 31, v20
	s_wait_kmcnt 0x0
	s_lshr_b32 s10, s0, 16
	v_not_b32_e32 v20, v18
	v_and_b32_e32 v16, v16, v19
	v_lshlrev_b32_e32 v19, 25, v22
	s_wait_alu 0xfffd
	v_xor_b32_e32 v17, vcc_lo, v17
	v_cmp_gt_i32_e32 vcc_lo, 0, v18
	v_ashrrev_i32_e32 v18, 31, v20
	s_wait_alu 0xfffe
	v_mad_u32_u24 v21, v68, s10, v67
	v_not_b32_e32 v20, v19
	v_and_b32_e32 v16, v16, v17
	v_lshlrev_b32_e32 v17, 24, v22
	s_wait_alu 0xfffd
	v_xor_b32_e32 v18, vcc_lo, v18
	v_cmp_gt_i32_e32 vcc_lo, 0, v19
	v_ashrrev_i32_e32 v19, 31, v20
	s_and_b32 s0, s0, 0xffff
	v_not_b32_e32 v20, v17
	v_and_b32_e32 v18, v16, v18
	s_wait_alu 0xfffd
	v_xor_b32_e32 v19, vcc_lo, v19
	v_cmp_gt_i32_e32 vcc_lo, 0, v17
	v_ashrrev_i32_e32 v20, 31, v20
	s_wait_alu 0xfffe
	v_mad_co_u64_u32 v[16:17], null, v21, s0, v[41:42]
	v_and_b32_e32 v17, v18, v19
	s_wait_alu 0xfffd
	v_xor_b32_e32 v23, vcc_lo, v20
	v_dual_mov_b32 v18, s20 :: v_dual_mov_b32 v19, s21
	v_dual_mov_b32 v20, s22 :: v_dual_mov_b32 v21, s23
	s_delay_alu instid0(VALU_DEP_3)
	v_and_b32_e32 v17, v17, v23
	v_and_b32_e32 v22, 0xff, v22
	v_lshrrev_b32_e32 v16, 3, v16
	ds_store_b128 v64, v[18:21] offset:64
	ds_store_b128 v64, v[18:21] offset:80
	v_mbcnt_lo_u32_b32 v32, v17, 0
	v_lshlrev_b32_e32 v18, 6, v22
	v_and_b32_e32 v16, 0x1ffffffc, v16
	v_cmp_ne_u32_e64 s0, 0, v17
	s_wait_loadcnt_dscnt 0x0
	v_cmp_eq_u32_e32 vcc_lo, 0, v32
	s_barrier_signal -1
	v_add_nc_u32_e32 v33, v16, v18
	s_barrier_wait -1
	global_inv scope:SCOPE_SE
	s_and_b32 s10, s0, vcc_lo
	; wave barrier
	s_wait_alu 0xfffe
	s_and_saveexec_b32 s0, s10
; %bb.76:
	v_bcnt_u32_b32 v17, v17, 0
	ds_store_b32 v33, v17 offset:64
; %bb.77:
	s_wait_alu 0xfffe
	s_or_b32 exec_lo, exec_lo, s0
	v_and_b32_e32 v17, s1, v25
	; wave barrier
	s_delay_alu instid0(VALU_DEP_1)
	v_and_b32_e32 v19, 1, v17
	v_lshlrev_b32_e32 v20, 30, v17
	v_lshlrev_b32_e32 v21, 29, v17
	;; [unrolled: 1-line block ×4, first 2 shown]
	v_add_co_u32 v19, s0, v19, -1
	s_wait_alu 0xf1ff
	v_cndmask_b32_e64 v23, 0, 1, s0
	v_not_b32_e32 v37, v20
	v_cmp_gt_i32_e64 s0, 0, v20
	v_not_b32_e32 v20, v21
	v_lshlrev_b32_e32 v35, 26, v17
	v_cmp_ne_u32_e32 vcc_lo, 0, v23
	v_ashrrev_i32_e32 v23, 31, v37
	v_lshlrev_b32_e32 v36, 25, v17
	v_ashrrev_i32_e32 v20, 31, v20
	v_and_b32_e32 v18, 0xff, v17
	s_wait_alu 0xfffd
	v_xor_b32_e32 v19, vcc_lo, v19
	v_cmp_gt_i32_e32 vcc_lo, 0, v21
	v_not_b32_e32 v21, v22
	s_wait_alu 0xf1ff
	v_xor_b32_e32 v23, s0, v23
	v_cmp_gt_i32_e64 s0, 0, v22
	v_and_b32_e32 v19, exec_lo, v19
	v_not_b32_e32 v22, v34
	v_ashrrev_i32_e32 v21, 31, v21
	s_wait_alu 0xfffd
	v_xor_b32_e32 v20, vcc_lo, v20
	v_cmp_gt_i32_e32 vcc_lo, 0, v34
	v_and_b32_e32 v19, v19, v23
	v_not_b32_e32 v23, v35
	v_ashrrev_i32_e32 v22, 31, v22
	s_wait_alu 0xf1ff
	v_xor_b32_e32 v21, s0, v21
	v_lshlrev_b32_e32 v17, 24, v17
	v_and_b32_e32 v19, v19, v20
	v_cmp_gt_i32_e64 s0, 0, v35
	v_not_b32_e32 v20, v36
	v_ashrrev_i32_e32 v23, 31, v23
	s_wait_alu 0xfffd
	v_xor_b32_e32 v22, vcc_lo, v22
	v_and_b32_e32 v19, v19, v21
	v_cmp_gt_i32_e32 vcc_lo, 0, v36
	v_not_b32_e32 v21, v17
	v_ashrrev_i32_e32 v20, 31, v20
	s_wait_alu 0xf1ff
	v_xor_b32_e32 v23, s0, v23
	v_and_b32_e32 v19, v19, v22
	v_lshlrev_b32_e32 v18, 6, v18
	v_cmp_gt_i32_e64 s0, 0, v17
	v_ashrrev_i32_e32 v17, 31, v21
	s_wait_alu 0xfffd
	v_xor_b32_e32 v20, vcc_lo, v20
	v_and_b32_e32 v19, v19, v23
	v_add_nc_u32_e32 v36, v16, v18
	s_wait_alu 0xf1ff
	v_xor_b32_e32 v17, s0, v17
	s_delay_alu instid0(VALU_DEP_3) | instskip(SKIP_2) | instid1(VALU_DEP_1)
	v_and_b32_e32 v18, v19, v20
	ds_load_b32 v34, v36 offset:64
	; wave barrier
	v_and_b32_e32 v17, v18, v17
	v_mbcnt_lo_u32_b32 v35, v17, 0
	v_cmp_ne_u32_e64 s0, 0, v17
	s_delay_alu instid0(VALU_DEP_2)
	v_cmp_eq_u32_e32 vcc_lo, 0, v35
	s_and_b32 s10, s0, vcc_lo
	s_wait_alu 0xfffe
	s_and_saveexec_b32 s0, s10
	s_cbranch_execz .LBB95_79
; %bb.78:
	s_wait_dscnt 0x0
	v_bcnt_u32_b32 v17, v17, v34
	ds_store_b32 v36, v17 offset:64
.LBB95_79:
	s_wait_alu 0xfffe
	s_or_b32 exec_lo, exec_lo, s0
	v_and_b32_e32 v17, s1, v26
	; wave barrier
	s_delay_alu instid0(VALU_DEP_1)
	v_and_b32_e32 v19, 1, v17
	v_lshlrev_b32_e32 v20, 30, v17
	v_lshlrev_b32_e32 v21, 29, v17
	;; [unrolled: 1-line block ×4, first 2 shown]
	v_add_co_u32 v19, s0, v19, -1
	s_wait_alu 0xf1ff
	v_cndmask_b32_e64 v23, 0, 1, s0
	v_not_b32_e32 v40, v20
	v_cmp_gt_i32_e64 s0, 0, v20
	v_not_b32_e32 v20, v21
	v_lshlrev_b32_e32 v38, 26, v17
	v_cmp_ne_u32_e32 vcc_lo, 0, v23
	v_ashrrev_i32_e32 v23, 31, v40
	v_lshlrev_b32_e32 v39, 25, v17
	v_ashrrev_i32_e32 v20, 31, v20
	v_and_b32_e32 v18, 0xff, v17
	s_wait_alu 0xfffd
	v_xor_b32_e32 v19, vcc_lo, v19
	v_cmp_gt_i32_e32 vcc_lo, 0, v21
	v_not_b32_e32 v21, v22
	s_wait_alu 0xf1ff
	v_xor_b32_e32 v23, s0, v23
	v_cmp_gt_i32_e64 s0, 0, v22
	v_and_b32_e32 v19, exec_lo, v19
	v_not_b32_e32 v22, v37
	v_ashrrev_i32_e32 v21, 31, v21
	s_wait_alu 0xfffd
	v_xor_b32_e32 v20, vcc_lo, v20
	v_cmp_gt_i32_e32 vcc_lo, 0, v37
	v_and_b32_e32 v19, v19, v23
	v_not_b32_e32 v23, v38
	v_ashrrev_i32_e32 v22, 31, v22
	s_wait_alu 0xf1ff
	v_xor_b32_e32 v21, s0, v21
	v_lshlrev_b32_e32 v17, 24, v17
	v_and_b32_e32 v19, v19, v20
	v_cmp_gt_i32_e64 s0, 0, v38
	v_not_b32_e32 v20, v39
	v_ashrrev_i32_e32 v23, 31, v23
	s_wait_alu 0xfffd
	v_xor_b32_e32 v22, vcc_lo, v22
	v_and_b32_e32 v19, v19, v21
	v_cmp_gt_i32_e32 vcc_lo, 0, v39
	v_not_b32_e32 v21, v17
	v_ashrrev_i32_e32 v20, 31, v20
	s_wait_alu 0xf1ff
	v_xor_b32_e32 v23, s0, v23
	v_and_b32_e32 v19, v19, v22
	v_lshlrev_b32_e32 v18, 6, v18
	v_cmp_gt_i32_e64 s0, 0, v17
	v_ashrrev_i32_e32 v17, 31, v21
	s_wait_alu 0xfffd
	v_xor_b32_e32 v20, vcc_lo, v20
	v_and_b32_e32 v19, v19, v23
	v_add_nc_u32_e32 v39, v16, v18
	s_wait_alu 0xf1ff
	v_xor_b32_e32 v17, s0, v17
	s_delay_alu instid0(VALU_DEP_3) | instskip(SKIP_2) | instid1(VALU_DEP_1)
	v_and_b32_e32 v18, v19, v20
	ds_load_b32 v37, v39 offset:64
	; wave barrier
	v_and_b32_e32 v17, v18, v17
	v_mbcnt_lo_u32_b32 v38, v17, 0
	v_cmp_ne_u32_e64 s0, 0, v17
	s_delay_alu instid0(VALU_DEP_2)
	v_cmp_eq_u32_e32 vcc_lo, 0, v38
	s_and_b32 s10, s0, vcc_lo
	s_wait_alu 0xfffe
	s_and_saveexec_b32 s0, s10
	s_cbranch_execz .LBB95_81
; %bb.80:
	s_wait_dscnt 0x0
	v_bcnt_u32_b32 v17, v17, v37
	ds_store_b32 v39, v17 offset:64
.LBB95_81:
	s_wait_alu 0xfffe
	s_or_b32 exec_lo, exec_lo, s0
	v_and_b32_e32 v17, s1, v27
	; wave barrier
	s_delay_alu instid0(VALU_DEP_1)
	v_and_b32_e32 v19, 1, v17
	v_lshlrev_b32_e32 v20, 30, v17
	v_lshlrev_b32_e32 v21, 29, v17
	;; [unrolled: 1-line block ×4, first 2 shown]
	v_add_co_u32 v19, s0, v19, -1
	s_wait_alu 0xf1ff
	v_cndmask_b32_e64 v23, 0, 1, s0
	v_not_b32_e32 v67, v20
	v_cmp_gt_i32_e64 s0, 0, v20
	v_not_b32_e32 v20, v21
	v_lshlrev_b32_e32 v42, 26, v17
	v_cmp_ne_u32_e32 vcc_lo, 0, v23
	v_ashrrev_i32_e32 v23, 31, v67
	v_lshlrev_b32_e32 v43, 25, v17
	v_ashrrev_i32_e32 v20, 31, v20
	v_and_b32_e32 v18, 0xff, v17
	s_wait_alu 0xfffd
	v_xor_b32_e32 v19, vcc_lo, v19
	v_cmp_gt_i32_e32 vcc_lo, 0, v21
	v_not_b32_e32 v21, v22
	s_wait_alu 0xf1ff
	v_xor_b32_e32 v23, s0, v23
	v_cmp_gt_i32_e64 s0, 0, v22
	v_and_b32_e32 v19, exec_lo, v19
	v_not_b32_e32 v22, v40
	v_ashrrev_i32_e32 v21, 31, v21
	s_wait_alu 0xfffd
	v_xor_b32_e32 v20, vcc_lo, v20
	v_cmp_gt_i32_e32 vcc_lo, 0, v40
	v_and_b32_e32 v19, v19, v23
	v_not_b32_e32 v23, v42
	v_ashrrev_i32_e32 v22, 31, v22
	s_wait_alu 0xf1ff
	v_xor_b32_e32 v21, s0, v21
	v_lshlrev_b32_e32 v17, 24, v17
	v_and_b32_e32 v19, v19, v20
	v_cmp_gt_i32_e64 s0, 0, v42
	v_not_b32_e32 v20, v43
	v_ashrrev_i32_e32 v23, 31, v23
	s_wait_alu 0xfffd
	v_xor_b32_e32 v22, vcc_lo, v22
	v_and_b32_e32 v19, v19, v21
	v_cmp_gt_i32_e32 vcc_lo, 0, v43
	v_not_b32_e32 v21, v17
	v_ashrrev_i32_e32 v20, 31, v20
	s_wait_alu 0xf1ff
	v_xor_b32_e32 v23, s0, v23
	v_and_b32_e32 v19, v19, v22
	v_lshlrev_b32_e32 v18, 6, v18
	v_cmp_gt_i32_e64 s0, 0, v17
	v_ashrrev_i32_e32 v17, 31, v21
	s_wait_alu 0xfffd
	v_xor_b32_e32 v20, vcc_lo, v20
	v_and_b32_e32 v19, v19, v23
	v_add_nc_u32_e32 v43, v16, v18
	s_wait_alu 0xf1ff
	v_xor_b32_e32 v17, s0, v17
	s_delay_alu instid0(VALU_DEP_3) | instskip(SKIP_2) | instid1(VALU_DEP_1)
	v_and_b32_e32 v18, v19, v20
	ds_load_b32 v40, v43 offset:64
	; wave barrier
	v_and_b32_e32 v17, v18, v17
	v_mbcnt_lo_u32_b32 v42, v17, 0
	v_cmp_ne_u32_e64 s0, 0, v17
	s_delay_alu instid0(VALU_DEP_2)
	v_cmp_eq_u32_e32 vcc_lo, 0, v42
	s_and_b32 s10, s0, vcc_lo
	s_wait_alu 0xfffe
	s_and_saveexec_b32 s0, s10
	s_cbranch_execz .LBB95_83
; %bb.82:
	s_wait_dscnt 0x0
	v_bcnt_u32_b32 v17, v17, v40
	ds_store_b32 v43, v17 offset:64
.LBB95_83:
	s_wait_alu 0xfffe
	s_or_b32 exec_lo, exec_lo, s0
	v_and_b32_e32 v17, s1, v28
	; wave barrier
	s_delay_alu instid0(VALU_DEP_1)
	v_and_b32_e32 v19, 1, v17
	v_lshlrev_b32_e32 v20, 30, v17
	v_lshlrev_b32_e32 v21, 29, v17
	;; [unrolled: 1-line block ×4, first 2 shown]
	v_add_co_u32 v19, s0, v19, -1
	s_wait_alu 0xf1ff
	v_cndmask_b32_e64 v23, 0, 1, s0
	v_not_b32_e32 v70, v20
	v_cmp_gt_i32_e64 s0, 0, v20
	v_not_b32_e32 v20, v21
	v_lshlrev_b32_e32 v68, 26, v17
	v_cmp_ne_u32_e32 vcc_lo, 0, v23
	v_ashrrev_i32_e32 v23, 31, v70
	v_lshlrev_b32_e32 v69, 25, v17
	v_ashrrev_i32_e32 v20, 31, v20
	v_and_b32_e32 v18, 0xff, v17
	s_wait_alu 0xfffd
	v_xor_b32_e32 v19, vcc_lo, v19
	v_cmp_gt_i32_e32 vcc_lo, 0, v21
	v_not_b32_e32 v21, v22
	s_wait_alu 0xf1ff
	v_xor_b32_e32 v23, s0, v23
	v_cmp_gt_i32_e64 s0, 0, v22
	v_and_b32_e32 v19, exec_lo, v19
	v_not_b32_e32 v22, v67
	v_ashrrev_i32_e32 v21, 31, v21
	s_wait_alu 0xfffd
	v_xor_b32_e32 v20, vcc_lo, v20
	v_cmp_gt_i32_e32 vcc_lo, 0, v67
	v_and_b32_e32 v19, v19, v23
	v_not_b32_e32 v23, v68
	v_ashrrev_i32_e32 v22, 31, v22
	s_wait_alu 0xf1ff
	v_xor_b32_e32 v21, s0, v21
	v_lshlrev_b32_e32 v17, 24, v17
	v_and_b32_e32 v19, v19, v20
	v_cmp_gt_i32_e64 s0, 0, v68
	v_not_b32_e32 v20, v69
	v_ashrrev_i32_e32 v23, 31, v23
	s_wait_alu 0xfffd
	v_xor_b32_e32 v22, vcc_lo, v22
	v_and_b32_e32 v19, v19, v21
	v_cmp_gt_i32_e32 vcc_lo, 0, v69
	v_not_b32_e32 v21, v17
	v_ashrrev_i32_e32 v20, 31, v20
	s_wait_alu 0xf1ff
	v_xor_b32_e32 v23, s0, v23
	v_and_b32_e32 v19, v19, v22
	v_lshlrev_b32_e32 v18, 6, v18
	v_cmp_gt_i32_e64 s0, 0, v17
	v_ashrrev_i32_e32 v17, 31, v21
	s_wait_alu 0xfffd
	v_xor_b32_e32 v20, vcc_lo, v20
	v_and_b32_e32 v19, v19, v23
	v_add_nc_u32_e32 v69, v16, v18
	s_wait_alu 0xf1ff
	v_xor_b32_e32 v17, s0, v17
	s_delay_alu instid0(VALU_DEP_3) | instskip(SKIP_2) | instid1(VALU_DEP_1)
	v_and_b32_e32 v18, v19, v20
	ds_load_b32 v67, v69 offset:64
	; wave barrier
	v_and_b32_e32 v17, v18, v17
	v_mbcnt_lo_u32_b32 v68, v17, 0
	v_cmp_ne_u32_e64 s0, 0, v17
	s_delay_alu instid0(VALU_DEP_2)
	v_cmp_eq_u32_e32 vcc_lo, 0, v68
	s_and_b32 s10, s0, vcc_lo
	s_wait_alu 0xfffe
	s_and_saveexec_b32 s0, s10
	s_cbranch_execz .LBB95_85
; %bb.84:
	s_wait_dscnt 0x0
	v_bcnt_u32_b32 v17, v17, v67
	ds_store_b32 v69, v17 offset:64
.LBB95_85:
	s_wait_alu 0xfffe
	s_or_b32 exec_lo, exec_lo, s0
	v_and_b32_e32 v17, s1, v29
	; wave barrier
	s_delay_alu instid0(VALU_DEP_1)
	v_and_b32_e32 v19, 1, v17
	v_lshlrev_b32_e32 v20, 30, v17
	v_lshlrev_b32_e32 v21, 29, v17
	;; [unrolled: 1-line block ×4, first 2 shown]
	v_add_co_u32 v19, s0, v19, -1
	s_wait_alu 0xf1ff
	v_cndmask_b32_e64 v23, 0, 1, s0
	v_not_b32_e32 v73, v20
	v_cmp_gt_i32_e64 s0, 0, v20
	v_not_b32_e32 v20, v21
	v_lshlrev_b32_e32 v71, 26, v17
	v_cmp_ne_u32_e32 vcc_lo, 0, v23
	v_ashrrev_i32_e32 v23, 31, v73
	v_lshlrev_b32_e32 v72, 25, v17
	v_ashrrev_i32_e32 v20, 31, v20
	v_and_b32_e32 v18, 0xff, v17
	s_wait_alu 0xfffd
	v_xor_b32_e32 v19, vcc_lo, v19
	v_cmp_gt_i32_e32 vcc_lo, 0, v21
	v_not_b32_e32 v21, v22
	s_wait_alu 0xf1ff
	v_xor_b32_e32 v23, s0, v23
	v_cmp_gt_i32_e64 s0, 0, v22
	v_and_b32_e32 v19, exec_lo, v19
	v_not_b32_e32 v22, v70
	v_ashrrev_i32_e32 v21, 31, v21
	s_wait_alu 0xfffd
	v_xor_b32_e32 v20, vcc_lo, v20
	v_cmp_gt_i32_e32 vcc_lo, 0, v70
	v_and_b32_e32 v19, v19, v23
	v_not_b32_e32 v23, v71
	v_ashrrev_i32_e32 v22, 31, v22
	s_wait_alu 0xf1ff
	v_xor_b32_e32 v21, s0, v21
	v_lshlrev_b32_e32 v17, 24, v17
	v_and_b32_e32 v19, v19, v20
	v_cmp_gt_i32_e64 s0, 0, v71
	v_not_b32_e32 v20, v72
	v_ashrrev_i32_e32 v23, 31, v23
	s_wait_alu 0xfffd
	v_xor_b32_e32 v22, vcc_lo, v22
	v_and_b32_e32 v19, v19, v21
	v_cmp_gt_i32_e32 vcc_lo, 0, v72
	v_not_b32_e32 v21, v17
	v_ashrrev_i32_e32 v20, 31, v20
	s_wait_alu 0xf1ff
	v_xor_b32_e32 v23, s0, v23
	v_and_b32_e32 v19, v19, v22
	v_lshlrev_b32_e32 v18, 6, v18
	v_cmp_gt_i32_e64 s0, 0, v17
	v_ashrrev_i32_e32 v17, 31, v21
	s_wait_alu 0xfffd
	v_xor_b32_e32 v20, vcc_lo, v20
	v_and_b32_e32 v19, v19, v23
	v_add_nc_u32_e32 v72, v16, v18
	s_wait_alu 0xf1ff
	v_xor_b32_e32 v17, s0, v17
	s_delay_alu instid0(VALU_DEP_3) | instskip(SKIP_2) | instid1(VALU_DEP_1)
	v_and_b32_e32 v18, v19, v20
	ds_load_b32 v70, v72 offset:64
	; wave barrier
	v_and_b32_e32 v17, v18, v17
	v_mbcnt_lo_u32_b32 v71, v17, 0
	v_cmp_ne_u32_e64 s0, 0, v17
	s_delay_alu instid0(VALU_DEP_2)
	v_cmp_eq_u32_e32 vcc_lo, 0, v71
	s_and_b32 s10, s0, vcc_lo
	s_wait_alu 0xfffe
	s_and_saveexec_b32 s0, s10
	s_cbranch_execz .LBB95_87
; %bb.86:
	s_wait_dscnt 0x0
	v_bcnt_u32_b32 v17, v17, v70
	ds_store_b32 v72, v17 offset:64
.LBB95_87:
	s_wait_alu 0xfffe
	s_or_b32 exec_lo, exec_lo, s0
	v_and_b32_e32 v17, s1, v30
	; wave barrier
	s_delay_alu instid0(VALU_DEP_1)
	v_and_b32_e32 v19, 1, v17
	v_lshlrev_b32_e32 v20, 30, v17
	v_lshlrev_b32_e32 v21, 29, v17
	v_lshlrev_b32_e32 v22, 28, v17
	v_lshlrev_b32_e32 v73, 27, v17
	v_add_co_u32 v19, s0, v19, -1
	s_wait_alu 0xf1ff
	v_cndmask_b32_e64 v23, 0, 1, s0
	v_not_b32_e32 v76, v20
	v_cmp_gt_i32_e64 s0, 0, v20
	v_not_b32_e32 v20, v21
	v_lshlrev_b32_e32 v74, 26, v17
	v_cmp_ne_u32_e32 vcc_lo, 0, v23
	v_ashrrev_i32_e32 v23, 31, v76
	v_lshlrev_b32_e32 v75, 25, v17
	v_ashrrev_i32_e32 v20, 31, v20
	v_and_b32_e32 v18, 0xff, v17
	s_wait_alu 0xfffd
	v_xor_b32_e32 v19, vcc_lo, v19
	v_cmp_gt_i32_e32 vcc_lo, 0, v21
	v_not_b32_e32 v21, v22
	s_wait_alu 0xf1ff
	v_xor_b32_e32 v23, s0, v23
	v_cmp_gt_i32_e64 s0, 0, v22
	v_and_b32_e32 v19, exec_lo, v19
	v_not_b32_e32 v22, v73
	v_ashrrev_i32_e32 v21, 31, v21
	s_wait_alu 0xfffd
	v_xor_b32_e32 v20, vcc_lo, v20
	v_cmp_gt_i32_e32 vcc_lo, 0, v73
	v_and_b32_e32 v19, v19, v23
	v_not_b32_e32 v23, v74
	v_ashrrev_i32_e32 v22, 31, v22
	s_wait_alu 0xf1ff
	v_xor_b32_e32 v21, s0, v21
	v_lshlrev_b32_e32 v17, 24, v17
	v_and_b32_e32 v19, v19, v20
	v_cmp_gt_i32_e64 s0, 0, v74
	v_not_b32_e32 v20, v75
	v_ashrrev_i32_e32 v23, 31, v23
	s_wait_alu 0xfffd
	v_xor_b32_e32 v22, vcc_lo, v22
	v_and_b32_e32 v19, v19, v21
	v_cmp_gt_i32_e32 vcc_lo, 0, v75
	v_not_b32_e32 v21, v17
	v_ashrrev_i32_e32 v20, 31, v20
	s_wait_alu 0xf1ff
	v_xor_b32_e32 v23, s0, v23
	v_and_b32_e32 v19, v19, v22
	v_lshlrev_b32_e32 v18, 6, v18
	v_cmp_gt_i32_e64 s0, 0, v17
	v_ashrrev_i32_e32 v17, 31, v21
	s_wait_alu 0xfffd
	v_xor_b32_e32 v20, vcc_lo, v20
	v_and_b32_e32 v19, v19, v23
	v_add_nc_u32_e32 v75, v16, v18
	s_wait_alu 0xf1ff
	v_xor_b32_e32 v17, s0, v17
	s_delay_alu instid0(VALU_DEP_3) | instskip(SKIP_2) | instid1(VALU_DEP_1)
	v_and_b32_e32 v18, v19, v20
	ds_load_b32 v73, v75 offset:64
	; wave barrier
	v_and_b32_e32 v17, v18, v17
	v_mbcnt_lo_u32_b32 v74, v17, 0
	v_cmp_ne_u32_e64 s0, 0, v17
	s_delay_alu instid0(VALU_DEP_2)
	v_cmp_eq_u32_e32 vcc_lo, 0, v74
	s_and_b32 s10, s0, vcc_lo
	s_wait_alu 0xfffe
	s_and_saveexec_b32 s0, s10
	s_cbranch_execz .LBB95_89
; %bb.88:
	s_wait_dscnt 0x0
	v_bcnt_u32_b32 v17, v17, v73
	ds_store_b32 v75, v17 offset:64
.LBB95_89:
	s_wait_alu 0xfffe
	s_or_b32 exec_lo, exec_lo, s0
	v_and_b32_e32 v17, s1, v31
	; wave barrier
	s_delay_alu instid0(VALU_DEP_1)
	v_and_b32_e32 v19, 1, v17
	v_lshlrev_b32_e32 v20, 30, v17
	v_lshlrev_b32_e32 v21, 29, v17
	;; [unrolled: 1-line block ×4, first 2 shown]
	v_add_co_u32 v19, s0, v19, -1
	s_wait_alu 0xf1ff
	v_cndmask_b32_e64 v23, 0, 1, s0
	v_not_b32_e32 v79, v20
	v_cmp_gt_i32_e64 s0, 0, v20
	v_not_b32_e32 v20, v21
	v_lshlrev_b32_e32 v77, 26, v17
	v_cmp_ne_u32_e32 vcc_lo, 0, v23
	v_ashrrev_i32_e32 v23, 31, v79
	v_lshlrev_b32_e32 v78, 25, v17
	v_ashrrev_i32_e32 v20, 31, v20
	v_and_b32_e32 v18, 0xff, v17
	s_wait_alu 0xfffd
	v_xor_b32_e32 v19, vcc_lo, v19
	v_cmp_gt_i32_e32 vcc_lo, 0, v21
	v_not_b32_e32 v21, v22
	s_wait_alu 0xf1ff
	v_xor_b32_e32 v23, s0, v23
	v_cmp_gt_i32_e64 s0, 0, v22
	v_and_b32_e32 v19, exec_lo, v19
	v_not_b32_e32 v22, v76
	v_ashrrev_i32_e32 v21, 31, v21
	s_wait_alu 0xfffd
	v_xor_b32_e32 v20, vcc_lo, v20
	v_cmp_gt_i32_e32 vcc_lo, 0, v76
	v_and_b32_e32 v19, v19, v23
	v_not_b32_e32 v23, v77
	v_ashrrev_i32_e32 v22, 31, v22
	s_wait_alu 0xf1ff
	v_xor_b32_e32 v21, s0, v21
	v_lshlrev_b32_e32 v17, 24, v17
	v_and_b32_e32 v19, v19, v20
	v_cmp_gt_i32_e64 s0, 0, v77
	v_not_b32_e32 v20, v78
	v_ashrrev_i32_e32 v23, 31, v23
	s_wait_alu 0xfffd
	v_xor_b32_e32 v22, vcc_lo, v22
	v_and_b32_e32 v19, v19, v21
	v_cmp_gt_i32_e32 vcc_lo, 0, v78
	v_not_b32_e32 v21, v17
	v_ashrrev_i32_e32 v20, 31, v20
	s_wait_alu 0xf1ff
	v_xor_b32_e32 v23, s0, v23
	v_and_b32_e32 v19, v19, v22
	v_lshlrev_b32_e32 v18, 6, v18
	v_cmp_gt_i32_e64 s0, 0, v17
	v_ashrrev_i32_e32 v17, 31, v21
	s_wait_alu 0xfffd
	v_xor_b32_e32 v20, vcc_lo, v20
	v_and_b32_e32 v19, v19, v23
	v_add_nc_u32_e32 v78, v16, v18
	s_wait_alu 0xf1ff
	v_xor_b32_e32 v16, s0, v17
	s_delay_alu instid0(VALU_DEP_3) | instskip(SKIP_2) | instid1(VALU_DEP_1)
	v_and_b32_e32 v17, v19, v20
	ds_load_b32 v76, v78 offset:64
	; wave barrier
	v_and_b32_e32 v16, v17, v16
	v_mbcnt_lo_u32_b32 v77, v16, 0
	v_cmp_ne_u32_e64 s0, 0, v16
	s_delay_alu instid0(VALU_DEP_2)
	v_cmp_eq_u32_e32 vcc_lo, 0, v77
	s_and_b32 s1, s0, vcc_lo
	s_wait_alu 0xfffe
	s_and_saveexec_b32 s0, s1
	s_cbranch_execz .LBB95_91
; %bb.90:
	s_wait_dscnt 0x0
	v_bcnt_u32_b32 v16, v16, v76
	ds_store_b32 v78, v16 offset:64
.LBB95_91:
	s_wait_alu 0xfffe
	s_or_b32 exec_lo, exec_lo, s0
	; wave barrier
	s_wait_loadcnt_dscnt 0x0
	s_barrier_signal -1
	s_barrier_wait -1
	global_inv scope:SCOPE_SE
	ds_load_b128 v[20:23], v64 offset:64
	ds_load_b128 v[16:19], v64 offset:80
	v_min_u32_e32 v66, 0x1e0, v66
	s_mov_b32 s20, exec_lo
	s_delay_alu instid0(VALU_DEP_1) | instskip(SKIP_2) | instid1(VALU_DEP_1)
	v_or_b32_e32 v66, 31, v66
	s_wait_dscnt 0x1
	v_add_nc_u32_e32 v79, v21, v20
	v_add3_u32 v79, v79, v22, v23
	s_wait_dscnt 0x0
	s_delay_alu instid0(VALU_DEP_1) | instskip(NEXT) | instid1(VALU_DEP_1)
	v_add3_u32 v79, v79, v16, v17
	v_add3_u32 v19, v79, v18, v19
	v_and_b32_e32 v79, 15, v65
	s_delay_alu instid0(VALU_DEP_2) | instskip(NEXT) | instid1(VALU_DEP_2)
	v_mov_b32_dpp v80, v19 row_shr:1 row_mask:0xf bank_mask:0xf
	v_cmp_eq_u32_e32 vcc_lo, 0, v79
	v_cmp_lt_u32_e64 s0, 1, v79
	v_cmp_lt_u32_e64 s1, 3, v79
	;; [unrolled: 1-line block ×3, first 2 shown]
	s_wait_alu 0xfffd
	v_cndmask_b32_e64 v80, v80, 0, vcc_lo
	s_delay_alu instid0(VALU_DEP_1) | instskip(NEXT) | instid1(VALU_DEP_1)
	v_add_nc_u32_e32 v19, v80, v19
	v_mov_b32_dpp v80, v19 row_shr:2 row_mask:0xf bank_mask:0xf
	s_wait_alu 0xf1ff
	s_delay_alu instid0(VALU_DEP_1) | instskip(NEXT) | instid1(VALU_DEP_1)
	v_cndmask_b32_e64 v80, 0, v80, s0
	v_add_nc_u32_e32 v19, v19, v80
	s_delay_alu instid0(VALU_DEP_1) | instskip(NEXT) | instid1(VALU_DEP_1)
	v_mov_b32_dpp v80, v19 row_shr:4 row_mask:0xf bank_mask:0xf
	v_cndmask_b32_e64 v80, 0, v80, s1
	s_delay_alu instid0(VALU_DEP_1) | instskip(NEXT) | instid1(VALU_DEP_1)
	v_add_nc_u32_e32 v19, v19, v80
	v_mov_b32_dpp v80, v19 row_shr:8 row_mask:0xf bank_mask:0xf
	s_delay_alu instid0(VALU_DEP_1) | instskip(SKIP_1) | instid1(VALU_DEP_2)
	v_cndmask_b32_e64 v79, 0, v80, s10
	v_bfe_i32 v80, v65, 4, 1
	v_add_nc_u32_e32 v19, v19, v79
	ds_swizzle_b32 v79, v19 offset:swizzle(BROADCAST,32,15)
	s_wait_dscnt 0x0
	v_and_b32_e32 v79, v80, v79
	s_delay_alu instid0(VALU_DEP_1)
	v_add_nc_u32_e32 v19, v19, v79
	v_cmpx_eq_u32_e64 v41, v66
; %bb.92:
	v_lshlrev_b32_e32 v66, 2, v62
	ds_store_b32 v66, v19
; %bb.93:
	s_wait_alu 0xfffe
	s_or_b32 exec_lo, exec_lo, s20
	s_delay_alu instid0(SALU_CYCLE_1)
	s_mov_b32 s20, exec_lo
	s_wait_loadcnt_dscnt 0x0
	s_barrier_signal -1
	s_barrier_wait -1
	global_inv scope:SCOPE_SE
	v_cmpx_gt_u32_e32 16, v41
	s_cbranch_execz .LBB95_95
; %bb.94:
	v_lshlrev_b32_e32 v66, 2, v41
	ds_load_b32 v79, v66
	s_wait_dscnt 0x0
	v_mov_b32_dpp v80, v79 row_shr:1 row_mask:0xf bank_mask:0xf
	s_delay_alu instid0(VALU_DEP_1) | instskip(NEXT) | instid1(VALU_DEP_1)
	v_cndmask_b32_e64 v80, v80, 0, vcc_lo
	v_add_nc_u32_e32 v79, v80, v79
	s_delay_alu instid0(VALU_DEP_1) | instskip(NEXT) | instid1(VALU_DEP_1)
	v_mov_b32_dpp v80, v79 row_shr:2 row_mask:0xf bank_mask:0xf
	v_cndmask_b32_e64 v80, 0, v80, s0
	s_delay_alu instid0(VALU_DEP_1) | instskip(NEXT) | instid1(VALU_DEP_1)
	v_add_nc_u32_e32 v79, v79, v80
	v_mov_b32_dpp v80, v79 row_shr:4 row_mask:0xf bank_mask:0xf
	s_delay_alu instid0(VALU_DEP_1) | instskip(NEXT) | instid1(VALU_DEP_1)
	v_cndmask_b32_e64 v80, 0, v80, s1
	v_add_nc_u32_e32 v79, v79, v80
	s_delay_alu instid0(VALU_DEP_1) | instskip(NEXT) | instid1(VALU_DEP_1)
	v_mov_b32_dpp v80, v79 row_shr:8 row_mask:0xf bank_mask:0xf
	v_cndmask_b32_e64 v80, 0, v80, s10
	s_delay_alu instid0(VALU_DEP_1)
	v_add_nc_u32_e32 v79, v79, v80
	ds_store_b32 v66, v79
.LBB95_95:
	s_wait_alu 0xfffe
	s_or_b32 exec_lo, exec_lo, s20
	v_mov_b32_e32 v66, 0
	s_mov_b32 s0, exec_lo
	s_wait_loadcnt_dscnt 0x0
	s_barrier_signal -1
	s_barrier_wait -1
	global_inv scope:SCOPE_SE
	v_cmpx_lt_u32_e32 31, v41
; %bb.96:
	v_lshl_add_u32 v62, v62, 2, -4
	ds_load_b32 v66, v62
; %bb.97:
	s_wait_alu 0xfffe
	s_or_b32 exec_lo, exec_lo, s0
	v_sub_co_u32 v62, vcc_lo, v65, 1
	s_wait_dscnt 0x0
	v_add_nc_u32_e32 v19, v66, v19
	s_delay_alu instid0(VALU_DEP_2) | instskip(SKIP_1) | instid1(VALU_DEP_1)
	v_cmp_gt_i32_e64 s0, 0, v62
	s_wait_alu 0xf1ff
	v_cndmask_b32_e64 v62, v62, v65, s0
	s_delay_alu instid0(VALU_DEP_1)
	v_lshlrev_b32_e32 v62, 2, v62
	ds_bpermute_b32 v19, v62, v19
	s_wait_dscnt 0x0
	s_wait_alu 0xfffd
	v_cndmask_b32_e32 v19, v19, v66, vcc_lo
	v_cmp_ne_u32_e32 vcc_lo, 0, v41
	s_wait_alu 0xfffd
	s_delay_alu instid0(VALU_DEP_2) | instskip(NEXT) | instid1(VALU_DEP_1)
	v_cndmask_b32_e32 v19, 0, v19, vcc_lo
	v_add_nc_u32_e32 v20, v19, v20
	s_delay_alu instid0(VALU_DEP_1) | instskip(NEXT) | instid1(VALU_DEP_1)
	v_add_nc_u32_e32 v21, v20, v21
	v_add_nc_u32_e32 v22, v21, v22
	s_delay_alu instid0(VALU_DEP_1) | instskip(NEXT) | instid1(VALU_DEP_1)
	v_add_nc_u32_e32 v79, v22, v23
	;; [unrolled: 3-line block ×3, first 2 shown]
	v_add_nc_u32_e32 v82, v81, v18
	ds_store_b128 v64, v[19:22] offset:64
	ds_store_b128 v64, v[79:82] offset:80
	s_wait_loadcnt_dscnt 0x0
	s_barrier_signal -1
	s_barrier_wait -1
	global_inv scope:SCOPE_SE
	ds_load_b32 v16, v33 offset:64
	ds_load_b32 v17, v36 offset:64
	;; [unrolled: 1-line block ×8, first 2 shown]
	v_mad_u32_u24 v36, v41, 56, v54
	s_wait_loadcnt_dscnt 0x0
	s_barrier_signal -1
	s_barrier_wait -1
	global_inv scope:SCOPE_SE
	v_add_nc_u32_e32 v16, v16, v32
	v_add3_u32 v17, v35, v34, v17
	v_add3_u32 v18, v38, v37, v18
	;; [unrolled: 1-line block ×7, first 2 shown]
	ds_store_b8 v16, v24
	ds_store_b8 v17, v25
	;; [unrolled: 1-line block ×8, first 2 shown]
	v_lshlrev_b32_e32 v16, 3, v16
	v_lshlrev_b32_e32 v17, 3, v17
	;; [unrolled: 1-line block ×8, first 2 shown]
	s_wait_loadcnt_dscnt 0x0
	s_barrier_signal -1
	s_barrier_wait -1
	global_inv scope:SCOPE_SE
	ds_load_b64 v[33:34], v54
	s_wait_loadcnt_dscnt 0x0
	s_barrier_signal -1
	s_barrier_wait -1
	global_inv scope:SCOPE_SE
	ds_store_b64 v16, v[0:1]
	ds_store_b64 v17, v[2:3]
	ds_store_b64 v18, v[8:9]
	ds_store_b64 v19, v[10:11]
	ds_store_b64 v20, v[4:5]
	ds_store_b64 v21, v[6:7]
	ds_store_b64 v22, v[12:13]
	ds_store_b64 v23, v[14:15]
	s_wait_loadcnt_dscnt 0x0
	s_barrier_signal -1
	s_barrier_wait -1
	global_inv scope:SCOPE_SE
	ds_load_b128 v[29:32], v36
	ds_load_b128 v[25:28], v36 offset:16
	ds_load_b128 v[21:24], v36 offset:32
	;; [unrolled: 1-line block ×3, first 2 shown]
	v_not_b32_e32 v33, v33
	v_not_b32_e32 v34, v34
.LBB95_98:
	s_wait_loadcnt_dscnt 0x0
	s_barrier_signal -1
	s_barrier_wait -1
	global_inv scope:SCOPE_SE
	ds_store_2addr_b32 v52, v33, v34 offset1:1
	s_wait_loadcnt_dscnt 0x0
	s_barrier_signal -1
	s_barrier_wait -1
	global_inv scope:SCOPE_SE
	ds_load_u8 v8, v45 offset:512
	ds_load_u8 v7, v46 offset:1024
	;; [unrolled: 1-line block ×7, first 2 shown]
	v_mad_co_u64_u32 v[0:1], null, s12, v41, s[16:17]
	s_wait_dscnt 0x0
	s_delay_alu instid0(VALU_DEP_1) | instskip(NEXT) | instid1(VALU_DEP_1)
	v_mad_co_u64_u32 v[9:10], null, s13, v41, v[1:2]
	v_mov_b32_e32 v1, v9
	s_and_saveexec_b32 s0, s2
	s_cbranch_execnz .LBB95_117
; %bb.99:
	s_wait_alu 0xfffe
	s_or_b32 exec_lo, exec_lo, s0
	s_and_saveexec_b32 s0, s3
	s_cbranch_execnz .LBB95_118
.LBB95_100:
	s_wait_alu 0xfffe
	s_or_b32 exec_lo, exec_lo, s0
	s_and_saveexec_b32 s0, s4
	s_cbranch_execnz .LBB95_119
.LBB95_101:
	s_wait_alu 0xfffe
	s_or_b32 exec_lo, exec_lo, s0
	s_and_saveexec_b32 s0, s5
	s_cbranch_execnz .LBB95_120
.LBB95_102:
	s_wait_alu 0xfffe
	s_or_b32 exec_lo, exec_lo, s0
	s_and_saveexec_b32 s0, s6
	s_cbranch_execnz .LBB95_121
.LBB95_103:
	s_wait_alu 0xfffe
	s_or_b32 exec_lo, exec_lo, s0
	s_and_saveexec_b32 s0, s7
	s_cbranch_execnz .LBB95_122
.LBB95_104:
	s_wait_alu 0xfffe
	s_or_b32 exec_lo, exec_lo, s0
	s_and_saveexec_b32 s0, s8
	s_cbranch_execnz .LBB95_123
.LBB95_105:
	s_wait_alu 0xfffe
	s_or_b32 exec_lo, exec_lo, s0
	s_and_saveexec_b32 s0, s9
	s_cbranch_execz .LBB95_107
.LBB95_106:
	v_mad_co_u64_u32 v[0:1], null, 0xe00, s12, v[0:1]
	s_delay_alu instid0(VALU_DEP_1) | instskip(NEXT) | instid1(VALU_DEP_1)
	v_mad_co_u64_u32 v[3:4], null, 0xe00, s13, v[1:2]
	v_mov_b32_e32 v1, v3
	global_store_b8 v[0:1], v2, off
.LBB95_107:
	s_wait_alu 0xfffe
	s_or_b32 exec_lo, exec_lo, s0
	s_wait_kmcnt 0x0
	v_mad_co_u64_u32 v[2:3], null, s14, v41, 0
	s_wait_loadcnt 0x0
	s_wait_storecnt 0x0
	s_barrier_signal -1
	s_barrier_wait -1
	global_inv scope:SCOPE_SE
	ds_store_2addr_b64 v63, v[29:30], v[31:32] offset1:1
	ds_store_2addr_b64 v63, v[25:26], v[27:28] offset0:2 offset1:3
	ds_store_2addr_b64 v63, v[21:22], v[23:24] offset0:4 offset1:5
	;; [unrolled: 1-line block ×3, first 2 shown]
	s_wait_loadcnt_dscnt 0x0
	v_mov_b32_e32 v0, v3
	s_barrier_signal -1
	s_barrier_wait -1
	global_inv scope:SCOPE_SE
	v_mad_co_u64_u32 v[3:4], null, s15, v41, v[0:1]
	ds_load_b64 v[14:15], v55 offset:4096
	ds_load_b64 v[12:13], v56 offset:8192
	;; [unrolled: 1-line block ×7, first 2 shown]
	v_lshlrev_b64_e32 v[2:3], 3, v[2:3]
	s_delay_alu instid0(VALU_DEP_1) | instskip(SKIP_1) | instid1(VALU_DEP_2)
	v_add_co_u32 v2, vcc_lo, s18, v2
	s_wait_alu 0xfffd
	v_add_co_ci_u32_e64 v3, null, s19, v3, vcc_lo
	s_and_saveexec_b32 s0, s2
	s_cbranch_execnz .LBB95_124
; %bb.108:
	s_wait_alu 0xfffe
	s_or_b32 exec_lo, exec_lo, s0
	s_and_saveexec_b32 s0, s3
	s_cbranch_execnz .LBB95_125
.LBB95_109:
	s_wait_alu 0xfffe
	s_or_b32 exec_lo, exec_lo, s0
	s_and_saveexec_b32 s0, s4
	s_cbranch_execnz .LBB95_126
.LBB95_110:
	s_wait_alu 0xfffe
	s_or_b32 exec_lo, exec_lo, s0
	s_and_saveexec_b32 s0, s5
	s_cbranch_execnz .LBB95_127
.LBB95_111:
	s_wait_alu 0xfffe
	s_or_b32 exec_lo, exec_lo, s0
	s_and_saveexec_b32 s0, s6
	s_cbranch_execnz .LBB95_128
.LBB95_112:
	s_wait_alu 0xfffe
	s_or_b32 exec_lo, exec_lo, s0
	s_and_saveexec_b32 s0, s7
	s_cbranch_execnz .LBB95_129
.LBB95_113:
	s_wait_alu 0xfffe
	s_or_b32 exec_lo, exec_lo, s0
	s_and_saveexec_b32 s0, s8
	s_cbranch_execnz .LBB95_130
.LBB95_114:
	s_wait_alu 0xfffe
	s_or_b32 exec_lo, exec_lo, s0
	s_and_saveexec_b32 s0, s9
	s_cbranch_execz .LBB95_116
.LBB95_115:
	v_mad_co_u64_u32 v[2:3], null, 0x7000, s14, v[2:3]
	s_wait_dscnt 0x1
	s_delay_alu instid0(VALU_DEP_1)
	v_mad_co_u64_u32 v[3:4], null, 0x7000, s15, v[3:4]
	s_wait_dscnt 0x0
	global_store_b64 v[2:3], v[0:1], off
.LBB95_116:
	s_nop 0
	s_sendmsg sendmsg(MSG_DEALLOC_VGPRS)
	s_endpgm
.LBB95_117:
	ds_load_u8 v9, v44
	s_wait_dscnt 0x0
	global_store_b8 v[0:1], v9, off
	s_wait_alu 0xfffe
	s_or_b32 exec_lo, exec_lo, s0
	s_and_saveexec_b32 s0, s3
	s_cbranch_execz .LBB95_100
.LBB95_118:
	s_lshl_b64 s[10:11], s[12:13], 9
	s_wait_alu 0xfffe
	v_add_co_u32 v9, vcc_lo, v0, s10
	s_wait_alu 0xfffd
	v_add_co_ci_u32_e64 v10, null, s11, v1, vcc_lo
	global_store_b8 v[9:10], v8, off
	s_or_b32 exec_lo, exec_lo, s0
	s_and_saveexec_b32 s0, s4
	s_cbranch_execz .LBB95_101
.LBB95_119:
	s_lshl_b64 s[10:11], s[12:13], 10
	s_wait_alu 0xfffe
	v_add_co_u32 v8, vcc_lo, v0, s10
	s_wait_alu 0xfffd
	v_add_co_ci_u32_e64 v9, null, s11, v1, vcc_lo
	global_store_b8 v[8:9], v7, off
	s_or_b32 exec_lo, exec_lo, s0
	s_and_saveexec_b32 s0, s5
	s_cbranch_execz .LBB95_102
.LBB95_120:
	v_mad_co_u64_u32 v[7:8], null, 0x600, s12, v[0:1]
	s_delay_alu instid0(VALU_DEP_1)
	v_mad_co_u64_u32 v[8:9], null, 0x600, s13, v[8:9]
	global_store_b8 v[7:8], v6, off
	s_wait_alu 0xfffe
	s_or_b32 exec_lo, exec_lo, s0
	s_and_saveexec_b32 s0, s6
	s_cbranch_execz .LBB95_103
.LBB95_121:
	s_lshl_b64 s[10:11], s[12:13], 11
	s_wait_alu 0xfffe
	v_add_co_u32 v6, vcc_lo, v0, s10
	s_wait_alu 0xfffd
	v_add_co_ci_u32_e64 v7, null, s11, v1, vcc_lo
	global_store_b8 v[6:7], v5, off
	s_or_b32 exec_lo, exec_lo, s0
	s_and_saveexec_b32 s0, s7
	s_cbranch_execz .LBB95_104
.LBB95_122:
	v_mad_co_u64_u32 v[5:6], null, 0xa00, s12, v[0:1]
	s_delay_alu instid0(VALU_DEP_1)
	v_mad_co_u64_u32 v[6:7], null, 0xa00, s13, v[6:7]
	global_store_b8 v[5:6], v4, off
	s_wait_alu 0xfffe
	s_or_b32 exec_lo, exec_lo, s0
	s_and_saveexec_b32 s0, s8
	s_cbranch_execz .LBB95_105
.LBB95_123:
	v_mad_co_u64_u32 v[4:5], null, 0xc00, s12, v[0:1]
	s_delay_alu instid0(VALU_DEP_1)
	v_mad_co_u64_u32 v[5:6], null, 0xc00, s13, v[5:6]
	global_store_b8 v[4:5], v3, off
	s_wait_alu 0xfffe
	s_or_b32 exec_lo, exec_lo, s0
	s_and_saveexec_b32 s0, s9
	s_cbranch_execnz .LBB95_106
	s_branch .LBB95_107
.LBB95_124:
	ds_load_b64 v[16:17], v53
	s_wait_dscnt 0x0
	global_store_b64 v[2:3], v[16:17], off
	s_wait_alu 0xfffe
	s_or_b32 exec_lo, exec_lo, s0
	s_and_saveexec_b32 s0, s3
	s_cbranch_execz .LBB95_109
.LBB95_125:
	s_lshl_b64 s[2:3], s[14:15], 12
	s_wait_alu 0xfffe
	v_add_co_u32 v16, vcc_lo, v2, s2
	s_wait_alu 0xfffd
	v_add_co_ci_u32_e64 v17, null, s3, v3, vcc_lo
	s_wait_dscnt 0x6
	global_store_b64 v[16:17], v[14:15], off
	s_or_b32 exec_lo, exec_lo, s0
	s_and_saveexec_b32 s0, s4
	s_cbranch_execz .LBB95_110
.LBB95_126:
	s_lshl_b64 s[2:3], s[14:15], 13
	s_wait_dscnt 0x6
	s_wait_alu 0xfffe
	v_add_co_u32 v14, vcc_lo, v2, s2
	s_wait_alu 0xfffd
	v_add_co_ci_u32_e64 v15, null, s3, v3, vcc_lo
	s_wait_dscnt 0x5
	global_store_b64 v[14:15], v[12:13], off
	s_or_b32 exec_lo, exec_lo, s0
	s_and_saveexec_b32 s0, s5
	s_cbranch_execz .LBB95_111
.LBB95_127:
	s_wait_dscnt 0x5
	v_mad_co_u64_u32 v[12:13], null, 0x3000, s14, v[2:3]
	s_delay_alu instid0(VALU_DEP_1)
	v_mad_co_u64_u32 v[13:14], null, 0x3000, s15, v[13:14]
	s_wait_dscnt 0x4
	global_store_b64 v[12:13], v[10:11], off
	s_wait_alu 0xfffe
	s_or_b32 exec_lo, exec_lo, s0
	s_and_saveexec_b32 s0, s6
	s_cbranch_execz .LBB95_112
.LBB95_128:
	s_lshl_b64 s[2:3], s[14:15], 14
	s_wait_dscnt 0x4
	s_wait_alu 0xfffe
	v_add_co_u32 v10, vcc_lo, v2, s2
	s_wait_alu 0xfffd
	v_add_co_ci_u32_e64 v11, null, s3, v3, vcc_lo
	s_wait_dscnt 0x3
	global_store_b64 v[10:11], v[8:9], off
	s_or_b32 exec_lo, exec_lo, s0
	s_and_saveexec_b32 s0, s7
	s_cbranch_execz .LBB95_113
.LBB95_129:
	s_wait_dscnt 0x3
	v_mad_co_u64_u32 v[8:9], null, 0x5000, s14, v[2:3]
	s_delay_alu instid0(VALU_DEP_1)
	v_mad_co_u64_u32 v[9:10], null, 0x5000, s15, v[9:10]
	s_wait_dscnt 0x2
	global_store_b64 v[8:9], v[6:7], off
	s_wait_alu 0xfffe
	s_or_b32 exec_lo, exec_lo, s0
	s_and_saveexec_b32 s0, s8
	s_cbranch_execz .LBB95_114
.LBB95_130:
	s_wait_dscnt 0x2
	v_mad_co_u64_u32 v[6:7], null, 0x6000, s14, v[2:3]
	s_delay_alu instid0(VALU_DEP_1)
	v_mad_co_u64_u32 v[7:8], null, 0x6000, s15, v[7:8]
	s_wait_dscnt 0x1
	global_store_b64 v[6:7], v[4:5], off
	s_wait_alu 0xfffe
	s_or_b32 exec_lo, exec_lo, s0
	s_and_saveexec_b32 s0, s9
	s_cbranch_execnz .LBB95_115
	s_branch .LBB95_116
	.section	.rodata,"a",@progbits
	.p2align	6, 0x0
	.amdhsa_kernel _ZN2at6native18radixSortKVInPlaceILin1ELin1ELi512ELi8EhlmEEvNS_4cuda6detail10TensorInfoIT3_T5_EES6_S6_S6_NS4_IT4_S6_EES6_b
		.amdhsa_group_segment_fixed_size 33792
		.amdhsa_private_segment_fixed_size 0
		.amdhsa_kernarg_size 1128
		.amdhsa_user_sgpr_count 2
		.amdhsa_user_sgpr_dispatch_ptr 0
		.amdhsa_user_sgpr_queue_ptr 0
		.amdhsa_user_sgpr_kernarg_segment_ptr 1
		.amdhsa_user_sgpr_dispatch_id 0
		.amdhsa_user_sgpr_private_segment_size 0
		.amdhsa_wavefront_size32 1
		.amdhsa_uses_dynamic_stack 0
		.amdhsa_enable_private_segment 0
		.amdhsa_system_sgpr_workgroup_id_x 1
		.amdhsa_system_sgpr_workgroup_id_y 1
		.amdhsa_system_sgpr_workgroup_id_z 1
		.amdhsa_system_sgpr_workgroup_info 0
		.amdhsa_system_vgpr_workitem_id 2
		.amdhsa_next_free_vgpr 103
		.amdhsa_next_free_sgpr 36
		.amdhsa_reserve_vcc 1
		.amdhsa_float_round_mode_32 0
		.amdhsa_float_round_mode_16_64 0
		.amdhsa_float_denorm_mode_32 3
		.amdhsa_float_denorm_mode_16_64 3
		.amdhsa_fp16_overflow 0
		.amdhsa_workgroup_processor_mode 1
		.amdhsa_memory_ordered 1
		.amdhsa_forward_progress 1
		.amdhsa_inst_pref_size 112
		.amdhsa_round_robin_scheduling 0
		.amdhsa_exception_fp_ieee_invalid_op 0
		.amdhsa_exception_fp_denorm_src 0
		.amdhsa_exception_fp_ieee_div_zero 0
		.amdhsa_exception_fp_ieee_overflow 0
		.amdhsa_exception_fp_ieee_underflow 0
		.amdhsa_exception_fp_ieee_inexact 0
		.amdhsa_exception_int_div_zero 0
	.end_amdhsa_kernel
	.section	.text._ZN2at6native18radixSortKVInPlaceILin1ELin1ELi512ELi8EhlmEEvNS_4cuda6detail10TensorInfoIT3_T5_EES6_S6_S6_NS4_IT4_S6_EES6_b,"axG",@progbits,_ZN2at6native18radixSortKVInPlaceILin1ELin1ELi512ELi8EhlmEEvNS_4cuda6detail10TensorInfoIT3_T5_EES6_S6_S6_NS4_IT4_S6_EES6_b,comdat
.Lfunc_end95:
	.size	_ZN2at6native18radixSortKVInPlaceILin1ELin1ELi512ELi8EhlmEEvNS_4cuda6detail10TensorInfoIT3_T5_EES6_S6_S6_NS4_IT4_S6_EES6_b, .Lfunc_end95-_ZN2at6native18radixSortKVInPlaceILin1ELin1ELi512ELi8EhlmEEvNS_4cuda6detail10TensorInfoIT3_T5_EES6_S6_S6_NS4_IT4_S6_EES6_b
                                        ; -- End function
	.set _ZN2at6native18radixSortKVInPlaceILin1ELin1ELi512ELi8EhlmEEvNS_4cuda6detail10TensorInfoIT3_T5_EES6_S6_S6_NS4_IT4_S6_EES6_b.num_vgpr, 103
	.set _ZN2at6native18radixSortKVInPlaceILin1ELin1ELi512ELi8EhlmEEvNS_4cuda6detail10TensorInfoIT3_T5_EES6_S6_S6_NS4_IT4_S6_EES6_b.num_agpr, 0
	.set _ZN2at6native18radixSortKVInPlaceILin1ELin1ELi512ELi8EhlmEEvNS_4cuda6detail10TensorInfoIT3_T5_EES6_S6_S6_NS4_IT4_S6_EES6_b.numbered_sgpr, 36
	.set _ZN2at6native18radixSortKVInPlaceILin1ELin1ELi512ELi8EhlmEEvNS_4cuda6detail10TensorInfoIT3_T5_EES6_S6_S6_NS4_IT4_S6_EES6_b.num_named_barrier, 0
	.set _ZN2at6native18radixSortKVInPlaceILin1ELin1ELi512ELi8EhlmEEvNS_4cuda6detail10TensorInfoIT3_T5_EES6_S6_S6_NS4_IT4_S6_EES6_b.private_seg_size, 0
	.set _ZN2at6native18radixSortKVInPlaceILin1ELin1ELi512ELi8EhlmEEvNS_4cuda6detail10TensorInfoIT3_T5_EES6_S6_S6_NS4_IT4_S6_EES6_b.uses_vcc, 1
	.set _ZN2at6native18radixSortKVInPlaceILin1ELin1ELi512ELi8EhlmEEvNS_4cuda6detail10TensorInfoIT3_T5_EES6_S6_S6_NS4_IT4_S6_EES6_b.uses_flat_scratch, 0
	.set _ZN2at6native18radixSortKVInPlaceILin1ELin1ELi512ELi8EhlmEEvNS_4cuda6detail10TensorInfoIT3_T5_EES6_S6_S6_NS4_IT4_S6_EES6_b.has_dyn_sized_stack, 0
	.set _ZN2at6native18radixSortKVInPlaceILin1ELin1ELi512ELi8EhlmEEvNS_4cuda6detail10TensorInfoIT3_T5_EES6_S6_S6_NS4_IT4_S6_EES6_b.has_recursion, 0
	.set _ZN2at6native18radixSortKVInPlaceILin1ELin1ELi512ELi8EhlmEEvNS_4cuda6detail10TensorInfoIT3_T5_EES6_S6_S6_NS4_IT4_S6_EES6_b.has_indirect_call, 0
	.section	.AMDGPU.csdata,"",@progbits
; Kernel info:
; codeLenInByte = 14308
; TotalNumSgprs: 38
; NumVgprs: 103
; ScratchSize: 0
; MemoryBound: 0
; FloatMode: 240
; IeeeMode: 1
; LDSByteSize: 33792 bytes/workgroup (compile time only)
; SGPRBlocks: 0
; VGPRBlocks: 12
; NumSGPRsForWavesPerEU: 38
; NumVGPRsForWavesPerEU: 103
; Occupancy: 12
; WaveLimiterHint : 1
; COMPUTE_PGM_RSRC2:SCRATCH_EN: 0
; COMPUTE_PGM_RSRC2:USER_SGPR: 2
; COMPUTE_PGM_RSRC2:TRAP_HANDLER: 0
; COMPUTE_PGM_RSRC2:TGID_X_EN: 1
; COMPUTE_PGM_RSRC2:TGID_Y_EN: 1
; COMPUTE_PGM_RSRC2:TGID_Z_EN: 1
; COMPUTE_PGM_RSRC2:TIDIG_COMP_CNT: 2
	.section	.text._ZN2at6native18radixSortKVInPlaceILin1ELin1ELi256ELi8EhlmEEvNS_4cuda6detail10TensorInfoIT3_T5_EES6_S6_S6_NS4_IT4_S6_EES6_b,"axG",@progbits,_ZN2at6native18radixSortKVInPlaceILin1ELin1ELi256ELi8EhlmEEvNS_4cuda6detail10TensorInfoIT3_T5_EES6_S6_S6_NS4_IT4_S6_EES6_b,comdat
	.protected	_ZN2at6native18radixSortKVInPlaceILin1ELin1ELi256ELi8EhlmEEvNS_4cuda6detail10TensorInfoIT3_T5_EES6_S6_S6_NS4_IT4_S6_EES6_b ; -- Begin function _ZN2at6native18radixSortKVInPlaceILin1ELin1ELi256ELi8EhlmEEvNS_4cuda6detail10TensorInfoIT3_T5_EES6_S6_S6_NS4_IT4_S6_EES6_b
	.globl	_ZN2at6native18radixSortKVInPlaceILin1ELin1ELi256ELi8EhlmEEvNS_4cuda6detail10TensorInfoIT3_T5_EES6_S6_S6_NS4_IT4_S6_EES6_b
	.p2align	8
	.type	_ZN2at6native18radixSortKVInPlaceILin1ELin1ELi256ELi8EhlmEEvNS_4cuda6detail10TensorInfoIT3_T5_EES6_S6_S6_NS4_IT4_S6_EES6_b,@function
_ZN2at6native18radixSortKVInPlaceILin1ELin1ELi256ELi8EhlmEEvNS_4cuda6detail10TensorInfoIT3_T5_EES6_S6_S6_NS4_IT4_S6_EES6_b: ; @_ZN2at6native18radixSortKVInPlaceILin1ELin1ELi256ELi8EhlmEEvNS_4cuda6detail10TensorInfoIT3_T5_EES6_S6_S6_NS4_IT4_S6_EES6_b
; %bb.0:
	s_clause 0x1
	s_load_b64 s[2:3], s[0:1], 0x368
	s_load_b128 s[8:11], s[0:1], 0x1a0
	s_lshr_b32 s4, ttmp7, 16
	s_and_b32 s5, ttmp7, 0xffff
	s_wait_kmcnt 0x0
	s_mul_i32 s3, s3, s4
	s_delay_alu instid0(SALU_CYCLE_1) | instskip(NEXT) | instid1(SALU_CYCLE_1)
	s_add_co_i32 s3, s3, s5
	s_mul_i32 s2, s3, s2
	s_mov_b32 s3, 0
	s_add_co_i32 s2, s2, ttmp9
	s_delay_alu instid0(SALU_CYCLE_1)
	v_cmp_le_u64_e64 s4, s[8:9], s[2:3]
	s_and_b32 vcc_lo, exec_lo, s4
	s_cbranch_vccnz .LBB96_116
; %bb.1:
	s_clause 0x1
	s_load_b32 s9, s[0:1], 0x198
	s_load_b64 s[12:13], s[0:1], 0x1b0
	s_mov_b64 s[4:5], 0
	s_mov_b64 s[6:7], s[2:3]
	s_wait_kmcnt 0x0
	s_cmp_lt_i32 s9, 2
	s_cbranch_scc1 .LBB96_9
; %bb.2:
	s_mov_b32 s8, 0
	s_add_co_i32 s4, s9, -1
	s_wait_alu 0xfffe
	s_mov_b32 s5, s8
	s_add_co_i32 s11, s9, 1
	s_lshl_b64 s[4:5], s[4:5], 3
	s_mov_b64 s[16:17], s[2:3]
	s_add_nc_u64 s[6:7], s[0:1], s[4:5]
	s_mov_b64 s[4:5], 0
	s_add_nc_u64 s[14:15], s[6:7], 8
.LBB96_3:                               ; =>This Inner Loop Header: Depth=1
	s_load_b64 s[18:19], s[14:15], 0x0
	s_wait_kmcnt 0x0
	s_or_b64 s[6:7], s[16:17], s[18:19]
	s_wait_alu 0xfffe
	s_mov_b32 s9, s7
                                        ; implicit-def: $sgpr6_sgpr7
	s_wait_alu 0xfffe
	s_cmp_lg_u64 s[8:9], 0
	s_mov_b32 s9, -1
	s_cbranch_scc0 .LBB96_5
; %bb.4:                                ;   in Loop: Header=BB96_3 Depth=1
	s_cvt_f32_u32 s6, s18
	s_cvt_f32_u32 s7, s19
	s_sub_nc_u64 s[20:21], 0, s[18:19]
	s_mov_b32 s23, s8
	s_mov_b32 s27, s8
	s_wait_alu 0xfffe
	s_fmamk_f32 s6, s7, 0x4f800000, s6
	s_wait_alu 0xfffe
	s_delay_alu instid0(SALU_CYCLE_2) | instskip(NEXT) | instid1(TRANS32_DEP_1)
	v_s_rcp_f32 s6, s6
	s_mul_f32 s6, s6, 0x5f7ffffc
	s_wait_alu 0xfffe
	s_delay_alu instid0(SALU_CYCLE_2) | instskip(SKIP_1) | instid1(SALU_CYCLE_2)
	s_mul_f32 s7, s6, 0x2f800000
	s_wait_alu 0xfffe
	s_trunc_f32 s7, s7
	s_wait_alu 0xfffe
	s_delay_alu instid0(SALU_CYCLE_2) | instskip(SKIP_2) | instid1(SALU_CYCLE_1)
	s_fmamk_f32 s6, s7, 0xcf800000, s6
	s_cvt_u32_f32 s7, s7
	s_wait_alu 0xfffe
	s_cvt_u32_f32 s6, s6
	s_wait_alu 0xfffe
	s_delay_alu instid0(SALU_CYCLE_2) | instskip(NEXT) | instid1(SALU_CYCLE_1)
	s_mul_u64 s[24:25], s[20:21], s[6:7]
	s_mul_hi_u32 s29, s6, s25
	s_mul_i32 s28, s6, s25
	s_mul_hi_u32 s22, s6, s24
	s_mul_i32 s26, s7, s24
	s_add_nc_u64 s[22:23], s[22:23], s[28:29]
	s_mul_hi_u32 s9, s7, s24
	s_mul_hi_u32 s30, s7, s25
	s_add_co_u32 s22, s22, s26
	s_wait_alu 0xfffe
	s_add_co_ci_u32 s26, s23, s9
	s_mul_i32 s24, s7, s25
	s_add_co_ci_u32 s25, s30, 0
	s_delay_alu instid0(SALU_CYCLE_1)
	s_add_nc_u64 s[22:23], s[26:27], s[24:25]
	s_mov_b32 s25, s8
	s_add_co_u32 s6, s6, s22
	s_cselect_b32 s9, -1, 0
	s_wait_alu 0xfffe
	s_cmp_lg_u32 s9, 0
	s_add_co_ci_u32 s7, s7, s23
	s_mov_b32 s23, s8
	s_wait_alu 0xfffe
	s_mul_u64 s[20:21], s[20:21], s[6:7]
	s_delay_alu instid0(SALU_CYCLE_1)
	s_mul_hi_u32 s27, s6, s21
	s_mul_i32 s26, s6, s21
	s_mul_hi_u32 s22, s6, s20
	s_mul_i32 s24, s7, s20
	s_add_nc_u64 s[22:23], s[22:23], s[26:27]
	s_mul_hi_u32 s9, s7, s20
	s_mul_hi_u32 s28, s7, s21
	s_mul_i32 s20, s7, s21
	s_add_co_u32 s21, s22, s24
	s_wait_alu 0xfffe
	s_add_co_ci_u32 s24, s23, s9
	s_add_co_ci_u32 s21, s28, 0
	s_mov_b32 s23, s8
	s_add_nc_u64 s[20:21], s[24:25], s[20:21]
	s_delay_alu instid0(SALU_CYCLE_1)
	s_add_co_u32 s6, s6, s20
	s_cselect_b32 s9, -1, 0
	s_wait_alu 0xfffe
	s_mul_hi_u32 s22, s16, s6
	s_cmp_lg_u32 s9, 0
	s_mul_hi_u32 s9, s17, s6
	s_add_co_ci_u32 s20, s7, s21
	s_mul_i32 s21, s17, s6
	s_mul_hi_u32 s7, s16, s20
	s_mul_i32 s6, s16, s20
	s_mul_hi_u32 s26, s17, s20
	s_wait_alu 0xfffe
	s_add_nc_u64 s[6:7], s[22:23], s[6:7]
	s_mul_i32 s20, s17, s20
	s_wait_alu 0xfffe
	s_add_co_u32 s6, s6, s21
	s_add_co_ci_u32 s24, s7, s9
	s_add_co_ci_u32 s21, s26, 0
	s_delay_alu instid0(SALU_CYCLE_1) | instskip(SKIP_2) | instid1(SALU_CYCLE_1)
	s_add_nc_u64 s[6:7], s[24:25], s[20:21]
	s_wait_alu 0xfffe
	s_mul_u64 s[20:21], s[18:19], s[6:7]
	s_sub_co_u32 s9, s16, s20
	s_cselect_b32 s20, -1, 0
	s_sub_co_i32 s22, s17, s21
	s_cmp_lg_u32 s20, 0
	s_sub_co_ci_u32 s22, s22, s19
	s_wait_alu 0xfffe
	s_sub_co_u32 s23, s9, s18
	s_cselect_b32 s24, -1, 0
	s_delay_alu instid0(SALU_CYCLE_1) | instskip(SKIP_1) | instid1(SALU_CYCLE_1)
	s_cmp_lg_u32 s24, 0
	s_sub_co_ci_u32 s22, s22, 0
	s_cmp_ge_u32 s22, s19
	s_cselect_b32 s24, -1, 0
	s_cmp_ge_u32 s23, s18
	s_cselect_b32 s25, -1, 0
	s_cmp_eq_u32 s22, s19
	s_add_nc_u64 s[22:23], s[6:7], 1
	s_cselect_b32 s26, s25, s24
	s_add_nc_u64 s[24:25], s[6:7], 2
	s_cmp_lg_u32 s26, 0
	s_cselect_b32 s22, s24, s22
	s_cselect_b32 s23, s25, s23
	s_cmp_lg_u32 s20, 0
	s_sub_co_ci_u32 s20, s17, s21
	s_delay_alu instid0(SALU_CYCLE_1)
	s_cmp_ge_u32 s20, s19
	s_cselect_b32 s21, -1, 0
	s_cmp_ge_u32 s9, s18
	s_cselect_b32 s9, -1, 0
	s_cmp_eq_u32 s20, s19
	s_wait_alu 0xfffe
	s_cselect_b32 s9, s9, s21
	s_wait_alu 0xfffe
	s_cmp_lg_u32 s9, 0
	s_mov_b32 s9, 0
	s_cselect_b32 s7, s23, s7
	s_cselect_b32 s6, s22, s6
.LBB96_5:                               ;   in Loop: Header=BB96_3 Depth=1
	s_wait_alu 0xfffe
	s_and_not1_b32 vcc_lo, exec_lo, s9
	s_cbranch_vccnz .LBB96_7
; %bb.6:                                ;   in Loop: Header=BB96_3 Depth=1
	v_cvt_f32_u32_e32 v1, s18
	s_sub_co_i32 s7, 0, s18
	s_delay_alu instid0(VALU_DEP_1) | instskip(NEXT) | instid1(TRANS32_DEP_1)
	v_rcp_iflag_f32_e32 v1, v1
	v_mul_f32_e32 v1, 0x4f7ffffe, v1
	s_delay_alu instid0(VALU_DEP_1) | instskip(NEXT) | instid1(VALU_DEP_1)
	v_cvt_u32_f32_e32 v1, v1
	v_readfirstlane_b32 s6, v1
	s_wait_alu 0xfffe
	s_mul_i32 s7, s7, s6
	s_wait_alu 0xfffe
	s_mul_hi_u32 s7, s6, s7
	s_wait_alu 0xfffe
	s_add_co_i32 s6, s6, s7
	s_wait_alu 0xfffe
	s_mul_hi_u32 s6, s16, s6
	s_wait_alu 0xfffe
	s_mul_i32 s7, s6, s18
	s_add_co_i32 s9, s6, 1
	s_wait_alu 0xfffe
	s_sub_co_i32 s7, s16, s7
	s_wait_alu 0xfffe
	s_sub_co_i32 s20, s7, s18
	s_cmp_ge_u32 s7, s18
	s_cselect_b32 s6, s9, s6
	s_cselect_b32 s7, s20, s7
	s_wait_alu 0xfffe
	s_add_co_i32 s9, s6, 1
	s_cmp_ge_u32 s7, s18
	s_mov_b32 s7, s8
	s_wait_alu 0xfffe
	s_cselect_b32 s6, s9, s6
.LBB96_7:                               ;   in Loop: Header=BB96_3 Depth=1
	s_load_b64 s[20:21], s[14:15], 0xc8
	s_mul_u64 s[18:19], s[6:7], s[18:19]
	s_add_co_i32 s11, s11, -1
	s_wait_alu 0xfffe
	s_sub_nc_u64 s[16:17], s[16:17], s[18:19]
	s_cmp_gt_u32 s11, 2
	s_add_nc_u64 s[14:15], s[14:15], -8
	s_wait_kmcnt 0x0
	s_mul_u64 s[16:17], s[20:21], s[16:17]
	s_delay_alu instid0(SALU_CYCLE_1)
	s_add_nc_u64 s[4:5], s[16:17], s[4:5]
	s_cbranch_scc0 .LBB96_9
; %bb.8:                                ;   in Loop: Header=BB96_3 Depth=1
	s_mov_b64 s[16:17], s[6:7]
	s_branch .LBB96_3
.LBB96_9:
	s_load_b32 s9, s[0:1], 0x350
	s_add_nc_u64 s[18:19], s[0:1], 0x368
	s_mov_b64 s[16:17], 0
	s_wait_kmcnt 0x0
	s_cmp_lt_i32 s9, 2
	s_cbranch_scc1 .LBB96_17
; %bb.10:
	s_mov_b32 s8, 0
	s_add_co_i32 s14, s9, -1
	s_wait_alu 0xfffe
	s_mov_b32 s15, s8
	s_add_co_i32 s11, s9, 1
	s_lshl_b64 s[14:15], s[14:15], 3
	s_delay_alu instid0(SALU_CYCLE_1) | instskip(NEXT) | instid1(SALU_CYCLE_1)
	s_add_nc_u64 s[14:15], s[0:1], s[14:15]
	s_add_nc_u64 s[14:15], s[14:15], 0x1c0
.LBB96_11:                              ; =>This Inner Loop Header: Depth=1
	s_load_b64 s[22:23], s[14:15], 0x0
	s_wait_kmcnt 0x0
	s_or_b64 s[20:21], s[2:3], s[22:23]
	s_delay_alu instid0(SALU_CYCLE_1)
	s_mov_b32 s9, s21
                                        ; implicit-def: $sgpr20_sgpr21
	s_wait_alu 0xfffe
	s_cmp_lg_u64 s[8:9], 0
	s_mov_b32 s9, -1
	s_cbranch_scc0 .LBB96_13
; %bb.12:                               ;   in Loop: Header=BB96_11 Depth=1
	s_cvt_f32_u32 s9, s22
	s_cvt_f32_u32 s20, s23
	s_sub_nc_u64 s[24:25], 0, s[22:23]
	s_mov_b32 s27, s8
	s_mov_b32 s31, s8
	s_wait_alu 0xfffe
	s_fmamk_f32 s9, s20, 0x4f800000, s9
	s_wait_alu 0xfffe
	s_delay_alu instid0(SALU_CYCLE_2) | instskip(NEXT) | instid1(TRANS32_DEP_1)
	v_s_rcp_f32 s9, s9
	s_mul_f32 s9, s9, 0x5f7ffffc
	s_wait_alu 0xfffe
	s_delay_alu instid0(SALU_CYCLE_2) | instskip(NEXT) | instid1(SALU_CYCLE_3)
	s_mul_f32 s20, s9, 0x2f800000
	s_trunc_f32 s20, s20
	s_delay_alu instid0(SALU_CYCLE_3) | instskip(SKIP_2) | instid1(SALU_CYCLE_1)
	s_fmamk_f32 s9, s20, 0xcf800000, s9
	s_cvt_u32_f32 s21, s20
	s_wait_alu 0xfffe
	s_cvt_u32_f32 s20, s9
	s_delay_alu instid0(SALU_CYCLE_3) | instskip(NEXT) | instid1(SALU_CYCLE_1)
	s_mul_u64 s[28:29], s[24:25], s[20:21]
	s_mul_hi_u32 s35, s20, s29
	s_mul_i32 s34, s20, s29
	s_mul_hi_u32 s26, s20, s28
	s_mul_i32 s30, s21, s28
	s_add_nc_u64 s[26:27], s[26:27], s[34:35]
	s_mul_hi_u32 s9, s21, s28
	s_mul_hi_u32 s33, s21, s29
	s_add_co_u32 s26, s26, s30
	s_wait_alu 0xfffe
	s_add_co_ci_u32 s30, s27, s9
	s_mul_i32 s28, s21, s29
	s_add_co_ci_u32 s29, s33, 0
	s_delay_alu instid0(SALU_CYCLE_1)
	s_add_nc_u64 s[26:27], s[30:31], s[28:29]
	s_mov_b32 s29, s8
	s_add_co_u32 s20, s20, s26
	s_cselect_b32 s9, -1, 0
	s_wait_alu 0xfffe
	s_cmp_lg_u32 s9, 0
	s_add_co_ci_u32 s21, s21, s27
	s_mov_b32 s27, s8
	s_mul_u64 s[24:25], s[24:25], s[20:21]
	s_delay_alu instid0(SALU_CYCLE_1)
	s_mul_hi_u32 s31, s20, s25
	s_mul_i32 s30, s20, s25
	s_mul_hi_u32 s26, s20, s24
	s_mul_i32 s28, s21, s24
	s_add_nc_u64 s[26:27], s[26:27], s[30:31]
	s_mul_hi_u32 s9, s21, s24
	s_mul_hi_u32 s33, s21, s25
	s_mul_i32 s24, s21, s25
	s_add_co_u32 s25, s26, s28
	s_wait_alu 0xfffe
	s_add_co_ci_u32 s28, s27, s9
	s_add_co_ci_u32 s25, s33, 0
	s_mov_b32 s27, s8
	s_add_nc_u64 s[24:25], s[28:29], s[24:25]
	s_delay_alu instid0(SALU_CYCLE_1)
	s_add_co_u32 s9, s20, s24
	s_cselect_b32 s20, -1, 0
	s_wait_alu 0xfffe
	s_mul_hi_u32 s26, s2, s9
	s_cmp_lg_u32 s20, 0
	s_mul_hi_u32 s28, s3, s9
	s_add_co_ci_u32 s24, s21, s25
	s_mul_i32 s9, s3, s9
	s_mul_hi_u32 s21, s2, s24
	s_mul_i32 s20, s2, s24
	s_mul_hi_u32 s25, s3, s24
	s_add_nc_u64 s[20:21], s[26:27], s[20:21]
	s_mul_i32 s24, s3, s24
	s_wait_alu 0xfffe
	s_add_co_u32 s9, s20, s9
	s_add_co_ci_u32 s28, s21, s28
	s_add_co_ci_u32 s25, s25, 0
	s_delay_alu instid0(SALU_CYCLE_1) | instskip(NEXT) | instid1(SALU_CYCLE_1)
	s_add_nc_u64 s[20:21], s[28:29], s[24:25]
	s_mul_u64 s[24:25], s[22:23], s[20:21]
	s_delay_alu instid0(SALU_CYCLE_1)
	s_sub_co_u32 s9, s2, s24
	s_cselect_b32 s24, -1, 0
	s_sub_co_i32 s26, s3, s25
	s_cmp_lg_u32 s24, 0
	s_sub_co_ci_u32 s26, s26, s23
	s_wait_alu 0xfffe
	s_sub_co_u32 s27, s9, s22
	s_cselect_b32 s28, -1, 0
	s_delay_alu instid0(SALU_CYCLE_1) | instskip(SKIP_1) | instid1(SALU_CYCLE_1)
	s_cmp_lg_u32 s28, 0
	s_sub_co_ci_u32 s26, s26, 0
	s_cmp_ge_u32 s26, s23
	s_cselect_b32 s28, -1, 0
	s_cmp_ge_u32 s27, s22
	s_cselect_b32 s29, -1, 0
	s_cmp_eq_u32 s26, s23
	s_add_nc_u64 s[26:27], s[20:21], 1
	s_cselect_b32 s30, s29, s28
	s_add_nc_u64 s[28:29], s[20:21], 2
	s_cmp_lg_u32 s30, 0
	s_cselect_b32 s26, s28, s26
	s_cselect_b32 s27, s29, s27
	s_cmp_lg_u32 s24, 0
	s_sub_co_ci_u32 s24, s3, s25
	s_delay_alu instid0(SALU_CYCLE_1)
	s_cmp_ge_u32 s24, s23
	s_cselect_b32 s25, -1, 0
	s_cmp_ge_u32 s9, s22
	s_cselect_b32 s9, -1, 0
	s_cmp_eq_u32 s24, s23
	s_wait_alu 0xfffe
	s_cselect_b32 s9, s9, s25
	s_wait_alu 0xfffe
	s_cmp_lg_u32 s9, 0
	s_mov_b32 s9, 0
	s_cselect_b32 s21, s27, s21
	s_cselect_b32 s20, s26, s20
.LBB96_13:                              ;   in Loop: Header=BB96_11 Depth=1
	s_wait_alu 0xfffe
	s_and_not1_b32 vcc_lo, exec_lo, s9
	s_cbranch_vccnz .LBB96_15
; %bb.14:                               ;   in Loop: Header=BB96_11 Depth=1
	v_cvt_f32_u32_e32 v1, s22
	s_sub_co_i32 s20, 0, s22
	s_delay_alu instid0(VALU_DEP_1) | instskip(NEXT) | instid1(TRANS32_DEP_1)
	v_rcp_iflag_f32_e32 v1, v1
	v_mul_f32_e32 v1, 0x4f7ffffe, v1
	s_delay_alu instid0(VALU_DEP_1) | instskip(NEXT) | instid1(VALU_DEP_1)
	v_cvt_u32_f32_e32 v1, v1
	v_readfirstlane_b32 s9, v1
	s_mul_i32 s20, s20, s9
	s_delay_alu instid0(SALU_CYCLE_1) | instskip(NEXT) | instid1(SALU_CYCLE_1)
	s_mul_hi_u32 s20, s9, s20
	s_add_co_i32 s9, s9, s20
	s_wait_alu 0xfffe
	s_mul_hi_u32 s9, s2, s9
	s_wait_alu 0xfffe
	s_mul_i32 s20, s9, s22
	s_add_co_i32 s21, s9, 1
	s_sub_co_i32 s20, s2, s20
	s_delay_alu instid0(SALU_CYCLE_1)
	s_sub_co_i32 s24, s20, s22
	s_cmp_ge_u32 s20, s22
	s_cselect_b32 s9, s21, s9
	s_cselect_b32 s20, s24, s20
	s_wait_alu 0xfffe
	s_add_co_i32 s21, s9, 1
	s_cmp_ge_u32 s20, s22
	s_cselect_b32 s20, s21, s9
	s_mov_b32 s21, s8
.LBB96_15:                              ;   in Loop: Header=BB96_11 Depth=1
	s_load_b64 s[24:25], s[14:15], 0xc8
	s_mul_u64 s[22:23], s[20:21], s[22:23]
	s_add_co_i32 s11, s11, -1
	s_wait_alu 0xfffe
	s_sub_nc_u64 s[2:3], s[2:3], s[22:23]
	s_cmp_gt_u32 s11, 2
	s_add_nc_u64 s[14:15], s[14:15], -8
	s_wait_kmcnt 0x0
	s_wait_alu 0xfffe
	s_mul_u64 s[2:3], s[24:25], s[2:3]
	s_wait_alu 0xfffe
	s_add_nc_u64 s[16:17], s[2:3], s[16:17]
	s_cbranch_scc0 .LBB96_18
; %bb.16:                               ;   in Loop: Header=BB96_11 Depth=1
	s_mov_b64 s[2:3], s[20:21]
	s_branch .LBB96_11
.LBB96_17:
	s_mov_b64 s[20:21], s[2:3]
.LBB96_18:
	s_clause 0x2
	s_load_b64 s[2:3], s[0:1], 0xd0
	s_load_b32 s11, s[0:1], 0x360
	s_load_b64 s[8:9], s[0:1], 0x0
	s_wait_kmcnt 0x0
	s_mul_u64 s[6:7], s[2:3], s[6:7]
	s_bitcmp1_b32 s11, 0
	s_wait_alu 0xfffe
	s_add_nc_u64 s[6:7], s[8:9], s[6:7]
	s_cselect_b32 s11, -1, 0
	s_wait_alu 0xfffe
	s_add_nc_u64 s[14:15], s[6:7], s[4:5]
	s_xor_b32 s26, s11, -1
	s_delay_alu instid0(SALU_CYCLE_1) | instskip(SKIP_1) | instid1(VALU_DEP_2)
	v_cndmask_b32_e64 v1, 0, -1, s26
	v_cndmask_b32_e64 v3, 0, -1, s26
	v_lshlrev_b32_e32 v2, 8, v1
	v_and_b32_e32 v1, 0xff, v1
	s_delay_alu instid0(VALU_DEP_1) | instskip(NEXT) | instid1(VALU_DEP_1)
	v_or_b32_e32 v1, v1, v2
	v_and_b32_e32 v2, 0xffff, v1
	v_lshlrev_b32_e32 v1, 16, v1
	s_delay_alu instid0(VALU_DEP_1) | instskip(NEXT) | instid1(VALU_DEP_1)
	v_or_b32_e32 v1, v2, v1
	v_dual_mov_b32 v2, v1 :: v_dual_and_b32 v41, 0x3ff, v0
	s_delay_alu instid0(VALU_DEP_1)
	v_cmp_gt_u32_e64 s2, s10, v41
	s_and_saveexec_b32 s3, s2
	s_cbranch_execz .LBB96_20
; %bb.19:
	v_mad_co_u64_u32 v[2:3], null, s12, v41, s[14:15]
	v_mov_b32_e32 v5, v1
	s_delay_alu instid0(VALU_DEP_2) | instskip(SKIP_3) | instid1(VALU_DEP_1)
	v_mad_co_u64_u32 v[3:4], null, s13, v41, v[3:4]
	global_load_u8 v3, v[2:3], off
	s_wait_loadcnt 0x0
	v_perm_b32 v4, v3, v1, 0x3020104
	v_dual_mov_b32 v1, v4 :: v_dual_mov_b32 v2, v5
.LBB96_20:
	s_wait_alu 0xfffe
	s_or_b32 exec_lo, exec_lo, s3
	v_add_nc_u32_e32 v23, 0x100, v41
	s_delay_alu instid0(VALU_DEP_1)
	v_cmp_gt_u32_e64 s3, s10, v23
	s_and_saveexec_b32 s4, s3
	s_cbranch_execz .LBB96_22
; %bb.21:
	v_mad_co_u64_u32 v[4:5], null, s12, v23, s[14:15]
	s_delay_alu instid0(VALU_DEP_1)
	v_mad_co_u64_u32 v[5:6], null, s13, v23, v[5:6]
	global_load_u8 v4, v[4:5], off
	s_wait_loadcnt 0x0
	v_perm_b32 v1, v1, v4, 0x7060004
.LBB96_22:
	s_or_b32 exec_lo, exec_lo, s4
	v_add_nc_u32_e32 v22, 0x200, v41
	s_delay_alu instid0(VALU_DEP_1)
	v_cmp_gt_u32_e64 s4, s10, v22
	s_and_saveexec_b32 s5, s4
	s_cbranch_execz .LBB96_24
; %bb.23:
	v_mad_co_u64_u32 v[4:5], null, s12, v22, s[14:15]
	s_delay_alu instid0(VALU_DEP_1) | instskip(SKIP_3) | instid1(VALU_DEP_1)
	v_mad_co_u64_u32 v[5:6], null, s13, v22, v[5:6]
	global_load_u8 v4, v[4:5], off
	s_wait_loadcnt 0x0
	v_perm_b32 v4, v4, v1, 0xc0c0304
	v_lshlrev_b32_e32 v4, 16, v4
	s_delay_alu instid0(VALU_DEP_1)
	v_and_or_b32 v1, 0xffff, v1, v4
.LBB96_24:
	s_or_b32 exec_lo, exec_lo, s5
	v_add_nc_u32_e32 v21, 0x300, v41
	s_delay_alu instid0(VALU_DEP_1)
	v_cmp_gt_u32_e64 s5, s10, v21
	s_and_saveexec_b32 s6, s5
	s_cbranch_execz .LBB96_26
; %bb.25:
	v_mad_co_u64_u32 v[4:5], null, s12, v21, s[14:15]
	s_delay_alu instid0(VALU_DEP_1) | instskip(SKIP_3) | instid1(VALU_DEP_1)
	v_mad_co_u64_u32 v[5:6], null, s13, v21, v[5:6]
	global_load_u8 v4, v[4:5], off
	s_wait_loadcnt 0x0
	v_perm_b32 v4, v1, v4, 0xc0c0006
	v_lshlrev_b32_e32 v4, 16, v4
	s_delay_alu instid0(VALU_DEP_1)
	v_and_or_b32 v1, 0xffff, v1, v4
.LBB96_26:
	s_wait_alu 0xfffe
	s_or_b32 exec_lo, exec_lo, s6
	v_or_b32_e32 v20, 0x400, v41
	s_delay_alu instid0(VALU_DEP_1)
	v_cmp_gt_u32_e64 s6, s10, v20
	s_and_saveexec_b32 s7, s6
	s_cbranch_execz .LBB96_28
; %bb.27:
	v_mad_co_u64_u32 v[4:5], null, s12, v20, s[14:15]
	s_delay_alu instid0(VALU_DEP_1)
	v_mad_co_u64_u32 v[5:6], null, s13, v20, v[5:6]
	global_load_u8 v4, v[4:5], off
	s_wait_loadcnt 0x0
	v_perm_b32 v2, v4, v2, 0x3020104
.LBB96_28:
	s_wait_alu 0xfffe
	s_or_b32 exec_lo, exec_lo, s7
	v_add_nc_u32_e32 v19, 0x500, v41
	s_delay_alu instid0(VALU_DEP_1)
	v_cmp_gt_u32_e64 s7, s10, v19
	s_and_saveexec_b32 s8, s7
	s_cbranch_execz .LBB96_30
; %bb.29:
	v_mad_co_u64_u32 v[4:5], null, s12, v19, s[14:15]
	s_delay_alu instid0(VALU_DEP_1)
	v_mad_co_u64_u32 v[5:6], null, s13, v19, v[5:6]
	global_load_u8 v4, v[4:5], off
	s_wait_loadcnt 0x0
	v_perm_b32 v2, v2, v4, 0x7060004
.LBB96_30:
	s_wait_alu 0xfffe
	s_or_b32 exec_lo, exec_lo, s8
	v_add_nc_u32_e32 v17, 0x600, v41
	s_delay_alu instid0(VALU_DEP_1)
	v_cmp_gt_u32_e64 s8, s10, v17
	s_and_saveexec_b32 s9, s8
	s_cbranch_execz .LBB96_32
; %bb.31:
	v_mad_co_u64_u32 v[4:5], null, s12, v17, s[14:15]
	s_delay_alu instid0(VALU_DEP_1)
	v_mad_co_u64_u32 v[5:6], null, s13, v17, v[5:6]
	global_load_u8 v4, v[4:5], off
	s_wait_loadcnt 0x0
	v_perm_b32 v2, v2, v4, 0x7000504
.LBB96_32:
	s_wait_alu 0xfffe
	s_or_b32 exec_lo, exec_lo, s9
	s_clause 0x1
	s_load_b64 s[24:25], s[0:1], 0x288
	s_load_b64 s[22:23], s[0:1], 0x1b8
	v_add_nc_u32_e32 v18, 0x700, v41
	s_delay_alu instid0(VALU_DEP_1)
	v_cmp_gt_u32_e64 s9, s10, v18
	s_and_saveexec_b32 s10, s9
	s_cbranch_execz .LBB96_34
; %bb.33:
	v_mad_co_u64_u32 v[4:5], null, s12, v18, s[14:15]
	s_delay_alu instid0(VALU_DEP_1)
	v_mad_co_u64_u32 v[5:6], null, s13, v18, v[5:6]
	global_load_u8 v4, v[4:5], off
	s_wait_loadcnt 0x0
	v_perm_b32 v2, v2, v4, 0x60504
.LBB96_34:
	s_wait_alu 0xfffe
	s_or_b32 exec_lo, exec_lo, s10
	v_lshrrev_b32_e32 v62, 5, v41
	v_lshrrev_b32_e32 v25, 5, v22
	v_lshrrev_b32_e32 v27, 5, v20
	v_lshrrev_b32_e32 v26, 5, v21
	v_lshrrev_b32_e32 v24, 5, v23
	v_and_b32_e32 v4, 28, v62
	v_lshrrev_b32_e32 v29, 5, v17
	v_and_b32_e32 v7, 60, v27
	v_lshrrev_b32_e32 v28, 5, v19
	v_lshrrev_b32_e32 v30, 5, v18
	v_add_nc_u32_e32 v44, v4, v41
	v_and_b32_e32 v4, 60, v25
	v_and_b32_e32 v5, 60, v24
	v_add_nc_u32_e32 v48, v7, v41
	v_and_b32_e32 v7, 0x7c, v29
	v_and_b32_e32 v9, 0x7c, v30
	v_add_nc_u32_e32 v46, v4, v41
	v_and_b32_e32 v4, 60, v26
	v_lshrrev_b32_e32 v31, 2, v41
	v_lshrrev_b32_e32 v6, 8, v1
	v_add_nc_u32_e32 v45, v5, v41
	v_lshrrev_b32_e32 v5, 24, v1
	v_add_nc_u32_e32 v47, v4, v41
	v_and_b32_e32 v4, 0x7c, v28
	v_dual_mov_b32 v11, 0 :: v_dual_add_nc_u32 v50, v7, v41
	v_lshrrev_b32_e32 v8, 8, v2
	v_add_nc_u32_e32 v51, v9, v41
	s_delay_alu instid0(VALU_DEP_4)
	v_add_nc_u32_e32 v49, v4, v41
	v_lshrrev_b32_e32 v4, 24, v2
	v_lshlrev_b32_e32 v54, 3, v41
	v_mov_b32_e32 v12, 0
	ds_store_b8 v44, v3
	ds_store_b8 v45, v6 offset:256
	ds_store_b8_d16_hi v46, v1 offset:512
	ds_store_b8 v47, v5 offset:768
	ds_store_b8 v48, v2 offset:1024
	ds_store_b8 v49, v8 offset:1280
	ds_store_b8_d16_hi v50, v2 offset:1536
	ds_store_b8 v51, v4 offset:1792
	v_mov_b32_e32 v1, 0
	v_and_b32_e32 v7, 0xfc, v31
	s_wait_kmcnt 0x0
	s_mul_u64 s[10:11], s[24:25], s[20:21]
	s_wait_dscnt 0x0
	s_wait_alu 0xfffe
	s_lshl_b64 s[20:21], s[10:11], 3
	v_mov_b32_e32 v10, v1
	v_add_nc_u32_e32 v52, v7, v54
	s_load_b64 s[10:11], s[0:1], 0x358
	s_barrier_signal -1
	s_barrier_wait -1
	global_inv scope:SCOPE_SE
	ds_load_2addr_b32 v[42:43], v52 offset1:1
	v_dual_mov_b32 v2, v1 :: v_dual_mov_b32 v13, v1
	v_dual_mov_b32 v14, v1 :: v_dual_mov_b32 v15, v1
	;; [unrolled: 1-line block ×6, first 2 shown]
	s_lshl_b64 s[16:17], s[16:17], 3
	s_add_nc_u64 s[0:1], s[22:23], s[20:21]
	s_wait_loadcnt_dscnt 0x0
	s_add_nc_u64 s[16:17], s[0:1], s[16:17]
	s_barrier_signal -1
	s_barrier_wait -1
	global_inv scope:SCOPE_SE
	s_and_saveexec_b32 s0, s2
	s_cbranch_execnz .LBB96_67
; %bb.35:
	s_or_b32 exec_lo, exec_lo, s0
	s_and_saveexec_b32 s0, s3
	s_cbranch_execnz .LBB96_68
.LBB96_36:
	s_or_b32 exec_lo, exec_lo, s0
	s_and_saveexec_b32 s0, s4
	s_cbranch_execnz .LBB96_69
.LBB96_37:
	s_or_b32 exec_lo, exec_lo, s0
	s_and_saveexec_b32 s0, s5
	s_cbranch_execnz .LBB96_70
.LBB96_38:
	s_or_b32 exec_lo, exec_lo, s0
	s_and_saveexec_b32 s0, s6
	s_cbranch_execnz .LBB96_71
.LBB96_39:
	s_or_b32 exec_lo, exec_lo, s0
	s_and_saveexec_b32 s0, s7
	s_cbranch_execnz .LBB96_72
.LBB96_40:
	s_or_b32 exec_lo, exec_lo, s0
	s_and_saveexec_b32 s0, s8
	s_cbranch_execnz .LBB96_73
.LBB96_41:
	s_or_b32 exec_lo, exec_lo, s0
	s_and_saveexec_b32 s0, s9
	s_cbranch_execz .LBB96_43
.LBB96_42:
	s_wait_kmcnt 0x0
	v_mad_co_u64_u32 v[9:10], null, s10, v18, 0
	s_wait_loadcnt 0x0
	s_delay_alu instid0(VALU_DEP_1) | instskip(NEXT) | instid1(VALU_DEP_1)
	v_mad_co_u64_u32 v[17:18], null, s11, v18, v[10:11]
	v_mov_b32_e32 v10, v17
	s_delay_alu instid0(VALU_DEP_1) | instskip(NEXT) | instid1(VALU_DEP_1)
	v_lshlrev_b64_e32 v[9:10], 3, v[9:10]
	v_add_co_u32 v9, vcc_lo, s16, v9
	s_wait_alu 0xfffd
	s_delay_alu instid0(VALU_DEP_2)
	v_add_co_ci_u32_e64 v10, null, s17, v10, vcc_lo
	global_load_b64 v[9:10], v[9:10], off
.LBB96_43:
	s_or_b32 exec_lo, exec_lo, s0
	v_lshl_add_u32 v53, v62, 3, v54
	v_lshl_add_u32 v55, v24, 3, v54
	;; [unrolled: 1-line block ×5, first 2 shown]
	s_wait_loadcnt 0x0
	ds_store_b64 v53, v[11:12]
	ds_store_b64 v55, v[1:2] offset:2048
	ds_store_b64 v56, v[13:14] offset:4096
	;; [unrolled: 1-line block ×3, first 2 shown]
	v_lshlrev_b32_e32 v1, 3, v54
	v_lshl_add_u32 v59, v28, 3, v54
	v_lshl_add_u32 v60, v29, 3, v54
	;; [unrolled: 1-line block ×3, first 2 shown]
	ds_store_b64 v58, v[3:4] offset:8192
	ds_store_b64 v59, v[5:6] offset:10240
	;; [unrolled: 1-line block ×4, first 2 shown]
	v_lshl_add_u32 v63, v31, 3, v1
	s_wait_dscnt 0x0
	s_barrier_signal -1
	s_barrier_wait -1
	global_inv scope:SCOPE_SE
	ds_load_2addr_b64 v[13:16], v63 offset1:1
	ds_load_2addr_b64 v[9:12], v63 offset0:2 offset1:3
	ds_load_2addr_b64 v[5:8], v63 offset0:4 offset1:5
	;; [unrolled: 1-line block ×3, first 2 shown]
	v_bfe_u32 v67, v0, 10, 10
	v_bfe_u32 v68, v0, 20, 10
	v_mbcnt_lo_u32_b32 v65, -1, 0
	v_and_b32_e32 v66, 0x3e0, v41
	v_lshlrev_b32_e32 v64, 2, v54
	s_and_b32 vcc_lo, exec_lo, s26
	s_wait_loadcnt_dscnt 0x0
	s_barrier_signal -1
	s_barrier_wait -1
	global_inv scope:SCOPE_SE
	s_wait_alu 0xfffe
	s_cbranch_vccz .LBB96_74
; %bb.44:
	s_getpc_b64 s[0:1]
	s_sext_i32_i16 s1, s1
	s_add_co_u32 s0, s0, _ZN7rocprim17ROCPRIM_400000_NS16block_radix_sortIhLj256ELj8ElLj1ELj1ELj0ELNS0_26block_radix_rank_algorithmE1ELNS0_18block_padding_hintE2ELNS0_4arch9wavefront6targetE0EE19radix_bits_per_passE@rel32@lo+8
	s_add_co_ci_u32 s1, s1, _ZN7rocprim17ROCPRIM_400000_NS16block_radix_sortIhLj256ELj8ElLj1ELj1ELj0ELNS0_26block_radix_rank_algorithmE1ELNS0_18block_padding_hintE2ELNS0_4arch9wavefront6targetE0EE19radix_bits_per_passE@rel32@hi+16
	v_or_b32_e32 v17, v65, v66
	s_load_b32 s0, s[0:1], 0x0
	s_mov_b32 s20, 0
	v_and_or_b32 v18, 0x1f00, v54, v65
	s_mov_b32 s22, s20
	s_mov_b32 s23, s20
	v_lshlrev_b32_e32 v19, 3, v17
	s_delay_alu instid0(VALU_DEP_2)
	v_mad_u32_u24 v29, v18, 7, v18
	ds_store_b64 v19, v[42:43]
	; wave barrier
	ds_load_u8 v0, v18
	ds_load_u8 v69, v18 offset:32
	ds_load_u8 v70, v18 offset:64
	;; [unrolled: 1-line block ×7, first 2 shown]
	v_mad_u32_u24 v17, v17, 56, v19
	s_wait_loadcnt_dscnt 0x0
	s_barrier_signal -1
	s_barrier_wait -1
	global_inv scope:SCOPE_SE
	ds_store_b128 v17, v[13:16]
	ds_store_b128 v17, v[9:12] offset:16
	s_wait_kmcnt 0x0
	s_min_u32 s0, s0, 8
	ds_store_b128 v17, v[5:8] offset:32
	ds_store_b128 v17, v[1:4] offset:48
	s_lshl_b32 s0, -1, s0
	s_delay_alu instid0(SALU_CYCLE_1) | instskip(NEXT) | instid1(SALU_CYCLE_1)
	s_not_b32 s1, s0
	; wave barrier
	v_and_b32_e32 v39, s1, v0
	ds_load_2addr_b64 v[25:28], v29 offset1:32
	ds_load_2addr_b64 v[21:24], v29 offset0:64 offset1:96
	ds_load_2addr_b64 v[17:20], v29 offset0:128 offset1:160
	;; [unrolled: 1-line block ×3, first 2 shown]
	s_wait_loadcnt_dscnt 0x0
	s_barrier_signal -1
	v_and_b32_e32 v33, 1, v39
	v_lshlrev_b32_e32 v34, 30, v39
	v_lshlrev_b32_e32 v36, 29, v39
	;; [unrolled: 1-line block ×3, first 2 shown]
	s_barrier_wait -1
	v_add_co_u32 v33, s0, v33, -1
	s_wait_alu 0xf1ff
	v_cndmask_b32_e64 v35, 0, 1, s0
	v_not_b32_e32 v37, v34
	v_cmp_gt_i32_e64 s0, 0, v34
	v_not_b32_e32 v34, v36
	global_inv scope:SCOPE_SE
	v_cmp_ne_u32_e32 vcc_lo, 0, v35
	v_ashrrev_i32_e32 v35, 31, v37
	v_lshlrev_b32_e32 v37, 28, v39
	v_ashrrev_i32_e32 v34, 31, v34
	s_wait_alu 0xfffd
	v_xor_b32_e32 v33, vcc_lo, v33
	v_cmp_gt_i32_e32 vcc_lo, 0, v36
	s_wait_alu 0xf1ff
	v_xor_b32_e32 v35, s0, v35
	v_not_b32_e32 v36, v37
	s_load_b32 s0, s[18:19], 0xc
	v_and_b32_e32 v33, exec_lo, v33
	v_xor_b32_e32 v34, vcc_lo, v34
	v_cmp_gt_i32_e32 vcc_lo, 0, v37
	v_lshlrev_b32_e32 v37, 26, v39
	s_delay_alu instid0(VALU_DEP_4) | instskip(SKIP_2) | instid1(VALU_DEP_3)
	v_and_b32_e32 v33, v33, v35
	v_ashrrev_i32_e32 v35, 31, v36
	v_not_b32_e32 v36, v38
	v_and_b32_e32 v33, v33, v34
	s_wait_alu 0xfffd
	s_delay_alu instid0(VALU_DEP_3) | instskip(SKIP_3) | instid1(VALU_DEP_4)
	v_xor_b32_e32 v34, vcc_lo, v35
	v_cmp_gt_i32_e32 vcc_lo, 0, v38
	v_ashrrev_i32_e32 v35, 31, v36
	v_not_b32_e32 v36, v37
	v_and_b32_e32 v33, v33, v34
	v_lshlrev_b32_e32 v34, 25, v39
	s_wait_alu 0xfffd
	v_xor_b32_e32 v35, vcc_lo, v35
	v_cmp_gt_i32_e32 vcc_lo, 0, v37
	v_ashrrev_i32_e32 v36, 31, v36
	s_wait_kmcnt 0x0
	s_lshr_b32 s21, s0, 16
	v_not_b32_e32 v37, v34
	v_and_b32_e32 v33, v33, v35
	v_lshlrev_b32_e32 v35, 24, v39
	s_wait_alu 0xfffd
	v_xor_b32_e32 v36, vcc_lo, v36
	v_cmp_gt_i32_e32 vcc_lo, 0, v34
	v_ashrrev_i32_e32 v34, 31, v37
	v_mad_u32_u24 v38, v68, s21, v67
	v_not_b32_e32 v37, v35
	v_and_b32_e32 v36, v33, v36
	s_and_b32 s0, s0, 0xffff
	s_wait_alu 0xfffd
	v_xor_b32_e32 v40, vcc_lo, v34
	v_cmp_gt_i32_e32 vcc_lo, 0, v35
	v_ashrrev_i32_e32 v35, 31, v37
	s_wait_alu 0xfffe
	v_mad_co_u64_u32 v[33:34], null, v38, s0, v[41:42]
	v_and_b32_e32 v34, v36, v40
	s_mov_b32 s21, s20
	s_wait_alu 0xfffd
	v_xor_b32_e32 v40, vcc_lo, v35
	v_dual_mov_b32 v38, s23 :: v_dual_mov_b32 v37, s22
	s_wait_alu 0xfffe
	v_dual_mov_b32 v36, s21 :: v_dual_mov_b32 v35, s20
	s_delay_alu instid0(VALU_DEP_3)
	v_and_b32_e32 v34, v34, v40
	v_and_b32_e32 v39, 0xff, v39
	v_lshrrev_b32_e32 v33, 3, v33
	ds_store_b128 v64, v[35:38] offset:32
	ds_store_b128 v64, v[35:38] offset:48
	v_mbcnt_lo_u32_b32 v76, v34, 0
	v_lshlrev_b32_e32 v35, 5, v39
	v_and_b32_e32 v33, 0x1ffffffc, v33
	v_cmp_ne_u32_e64 s0, 0, v34
	s_wait_loadcnt_dscnt 0x0
	v_cmp_eq_u32_e32 vcc_lo, 0, v76
	s_barrier_signal -1
	v_add_nc_u32_e32 v77, v33, v35
	s_barrier_wait -1
	global_inv scope:SCOPE_SE
	s_and_b32 s20, s0, vcc_lo
	; wave barrier
	s_wait_alu 0xfffe
	s_and_saveexec_b32 s0, s20
; %bb.45:
	v_bcnt_u32_b32 v34, v34, 0
	ds_store_b32 v77, v34 offset:32
; %bb.46:
	s_wait_alu 0xfffe
	s_or_b32 exec_lo, exec_lo, s0
	v_and_b32_e32 v34, s1, v69
	; wave barrier
	s_delay_alu instid0(VALU_DEP_1)
	v_and_b32_e32 v36, 1, v34
	v_lshlrev_b32_e32 v37, 30, v34
	v_lshlrev_b32_e32 v38, 29, v34
	v_lshlrev_b32_e32 v39, 28, v34
	v_lshlrev_b32_e32 v78, 27, v34
	v_add_co_u32 v36, s0, v36, -1
	s_wait_alu 0xf1ff
	v_cndmask_b32_e64 v40, 0, 1, s0
	v_not_b32_e32 v81, v37
	v_cmp_gt_i32_e64 s0, 0, v37
	v_not_b32_e32 v37, v38
	v_lshlrev_b32_e32 v79, 26, v34
	v_cmp_ne_u32_e32 vcc_lo, 0, v40
	v_ashrrev_i32_e32 v40, 31, v81
	v_lshlrev_b32_e32 v80, 25, v34
	v_ashrrev_i32_e32 v37, 31, v37
	v_and_b32_e32 v35, 0xff, v34
	s_wait_alu 0xfffd
	v_xor_b32_e32 v36, vcc_lo, v36
	v_cmp_gt_i32_e32 vcc_lo, 0, v38
	v_not_b32_e32 v38, v39
	s_wait_alu 0xf1ff
	v_xor_b32_e32 v40, s0, v40
	v_cmp_gt_i32_e64 s0, 0, v39
	v_and_b32_e32 v36, exec_lo, v36
	v_not_b32_e32 v39, v78
	v_ashrrev_i32_e32 v38, 31, v38
	s_wait_alu 0xfffd
	v_xor_b32_e32 v37, vcc_lo, v37
	v_cmp_gt_i32_e32 vcc_lo, 0, v78
	v_and_b32_e32 v36, v36, v40
	v_not_b32_e32 v40, v79
	v_ashrrev_i32_e32 v39, 31, v39
	s_wait_alu 0xf1ff
	v_xor_b32_e32 v38, s0, v38
	v_lshlrev_b32_e32 v34, 24, v34
	v_and_b32_e32 v36, v36, v37
	v_cmp_gt_i32_e64 s0, 0, v79
	v_not_b32_e32 v37, v80
	v_ashrrev_i32_e32 v40, 31, v40
	s_wait_alu 0xfffd
	v_xor_b32_e32 v39, vcc_lo, v39
	v_and_b32_e32 v36, v36, v38
	v_cmp_gt_i32_e32 vcc_lo, 0, v80
	v_not_b32_e32 v38, v34
	v_ashrrev_i32_e32 v37, 31, v37
	s_wait_alu 0xf1ff
	v_xor_b32_e32 v40, s0, v40
	v_and_b32_e32 v36, v36, v39
	v_lshlrev_b32_e32 v35, 5, v35
	v_cmp_gt_i32_e64 s0, 0, v34
	v_ashrrev_i32_e32 v34, 31, v38
	s_wait_alu 0xfffd
	v_xor_b32_e32 v37, vcc_lo, v37
	v_and_b32_e32 v36, v36, v40
	v_add_nc_u32_e32 v80, v33, v35
	s_wait_alu 0xf1ff
	v_xor_b32_e32 v34, s0, v34
	s_delay_alu instid0(VALU_DEP_3) | instskip(SKIP_2) | instid1(VALU_DEP_1)
	v_and_b32_e32 v35, v36, v37
	ds_load_b32 v78, v80 offset:32
	; wave barrier
	v_and_b32_e32 v34, v35, v34
	v_mbcnt_lo_u32_b32 v79, v34, 0
	v_cmp_ne_u32_e64 s0, 0, v34
	s_delay_alu instid0(VALU_DEP_2)
	v_cmp_eq_u32_e32 vcc_lo, 0, v79
	s_and_b32 s20, s0, vcc_lo
	s_wait_alu 0xfffe
	s_and_saveexec_b32 s0, s20
	s_cbranch_execz .LBB96_48
; %bb.47:
	s_wait_dscnt 0x0
	v_bcnt_u32_b32 v34, v34, v78
	ds_store_b32 v80, v34 offset:32
.LBB96_48:
	s_wait_alu 0xfffe
	s_or_b32 exec_lo, exec_lo, s0
	v_and_b32_e32 v34, s1, v70
	; wave barrier
	s_delay_alu instid0(VALU_DEP_1)
	v_and_b32_e32 v36, 1, v34
	v_lshlrev_b32_e32 v37, 30, v34
	v_lshlrev_b32_e32 v38, 29, v34
	;; [unrolled: 1-line block ×4, first 2 shown]
	v_add_co_u32 v36, s0, v36, -1
	s_wait_alu 0xf1ff
	v_cndmask_b32_e64 v40, 0, 1, s0
	v_not_b32_e32 v84, v37
	v_cmp_gt_i32_e64 s0, 0, v37
	v_not_b32_e32 v37, v38
	v_lshlrev_b32_e32 v82, 26, v34
	v_cmp_ne_u32_e32 vcc_lo, 0, v40
	v_ashrrev_i32_e32 v40, 31, v84
	v_lshlrev_b32_e32 v83, 25, v34
	v_ashrrev_i32_e32 v37, 31, v37
	v_and_b32_e32 v35, 0xff, v34
	s_wait_alu 0xfffd
	v_xor_b32_e32 v36, vcc_lo, v36
	v_cmp_gt_i32_e32 vcc_lo, 0, v38
	v_not_b32_e32 v38, v39
	s_wait_alu 0xf1ff
	v_xor_b32_e32 v40, s0, v40
	v_cmp_gt_i32_e64 s0, 0, v39
	v_and_b32_e32 v36, exec_lo, v36
	v_not_b32_e32 v39, v81
	v_ashrrev_i32_e32 v38, 31, v38
	s_wait_alu 0xfffd
	v_xor_b32_e32 v37, vcc_lo, v37
	v_cmp_gt_i32_e32 vcc_lo, 0, v81
	v_and_b32_e32 v36, v36, v40
	v_not_b32_e32 v40, v82
	v_ashrrev_i32_e32 v39, 31, v39
	s_wait_alu 0xf1ff
	v_xor_b32_e32 v38, s0, v38
	v_lshlrev_b32_e32 v34, 24, v34
	v_and_b32_e32 v36, v36, v37
	v_cmp_gt_i32_e64 s0, 0, v82
	v_not_b32_e32 v37, v83
	v_ashrrev_i32_e32 v40, 31, v40
	s_wait_alu 0xfffd
	v_xor_b32_e32 v39, vcc_lo, v39
	v_and_b32_e32 v36, v36, v38
	v_cmp_gt_i32_e32 vcc_lo, 0, v83
	v_not_b32_e32 v38, v34
	v_ashrrev_i32_e32 v37, 31, v37
	s_wait_alu 0xf1ff
	v_xor_b32_e32 v40, s0, v40
	v_and_b32_e32 v36, v36, v39
	v_lshlrev_b32_e32 v35, 5, v35
	v_cmp_gt_i32_e64 s0, 0, v34
	v_ashrrev_i32_e32 v34, 31, v38
	s_wait_alu 0xfffd
	v_xor_b32_e32 v37, vcc_lo, v37
	v_and_b32_e32 v36, v36, v40
	v_add_nc_u32_e32 v83, v33, v35
	s_wait_alu 0xf1ff
	v_xor_b32_e32 v34, s0, v34
	s_delay_alu instid0(VALU_DEP_3) | instskip(SKIP_2) | instid1(VALU_DEP_1)
	v_and_b32_e32 v35, v36, v37
	ds_load_b32 v81, v83 offset:32
	; wave barrier
	v_and_b32_e32 v34, v35, v34
	v_mbcnt_lo_u32_b32 v82, v34, 0
	v_cmp_ne_u32_e64 s0, 0, v34
	s_delay_alu instid0(VALU_DEP_2)
	v_cmp_eq_u32_e32 vcc_lo, 0, v82
	s_and_b32 s20, s0, vcc_lo
	s_wait_alu 0xfffe
	s_and_saveexec_b32 s0, s20
	s_cbranch_execz .LBB96_50
; %bb.49:
	s_wait_dscnt 0x0
	v_bcnt_u32_b32 v34, v34, v81
	ds_store_b32 v83, v34 offset:32
.LBB96_50:
	s_wait_alu 0xfffe
	s_or_b32 exec_lo, exec_lo, s0
	v_and_b32_e32 v34, s1, v71
	; wave barrier
	s_delay_alu instid0(VALU_DEP_1)
	v_and_b32_e32 v36, 1, v34
	v_lshlrev_b32_e32 v37, 30, v34
	v_lshlrev_b32_e32 v38, 29, v34
	;; [unrolled: 1-line block ×4, first 2 shown]
	v_add_co_u32 v36, s0, v36, -1
	s_wait_alu 0xf1ff
	v_cndmask_b32_e64 v40, 0, 1, s0
	v_not_b32_e32 v87, v37
	v_cmp_gt_i32_e64 s0, 0, v37
	v_not_b32_e32 v37, v38
	v_lshlrev_b32_e32 v85, 26, v34
	v_cmp_ne_u32_e32 vcc_lo, 0, v40
	v_ashrrev_i32_e32 v40, 31, v87
	v_lshlrev_b32_e32 v86, 25, v34
	v_ashrrev_i32_e32 v37, 31, v37
	v_and_b32_e32 v35, 0xff, v34
	s_wait_alu 0xfffd
	v_xor_b32_e32 v36, vcc_lo, v36
	v_cmp_gt_i32_e32 vcc_lo, 0, v38
	v_not_b32_e32 v38, v39
	s_wait_alu 0xf1ff
	v_xor_b32_e32 v40, s0, v40
	v_cmp_gt_i32_e64 s0, 0, v39
	v_and_b32_e32 v36, exec_lo, v36
	v_not_b32_e32 v39, v84
	v_ashrrev_i32_e32 v38, 31, v38
	s_wait_alu 0xfffd
	v_xor_b32_e32 v37, vcc_lo, v37
	v_cmp_gt_i32_e32 vcc_lo, 0, v84
	v_and_b32_e32 v36, v36, v40
	v_not_b32_e32 v40, v85
	v_ashrrev_i32_e32 v39, 31, v39
	s_wait_alu 0xf1ff
	v_xor_b32_e32 v38, s0, v38
	v_lshlrev_b32_e32 v34, 24, v34
	v_and_b32_e32 v36, v36, v37
	v_cmp_gt_i32_e64 s0, 0, v85
	v_not_b32_e32 v37, v86
	v_ashrrev_i32_e32 v40, 31, v40
	s_wait_alu 0xfffd
	v_xor_b32_e32 v39, vcc_lo, v39
	v_and_b32_e32 v36, v36, v38
	v_cmp_gt_i32_e32 vcc_lo, 0, v86
	v_not_b32_e32 v38, v34
	v_ashrrev_i32_e32 v37, 31, v37
	s_wait_alu 0xf1ff
	v_xor_b32_e32 v40, s0, v40
	v_and_b32_e32 v36, v36, v39
	v_lshlrev_b32_e32 v35, 5, v35
	v_cmp_gt_i32_e64 s0, 0, v34
	v_ashrrev_i32_e32 v34, 31, v38
	s_wait_alu 0xfffd
	v_xor_b32_e32 v37, vcc_lo, v37
	v_and_b32_e32 v36, v36, v40
	v_add_nc_u32_e32 v86, v33, v35
	s_wait_alu 0xf1ff
	v_xor_b32_e32 v34, s0, v34
	s_delay_alu instid0(VALU_DEP_3) | instskip(SKIP_2) | instid1(VALU_DEP_1)
	v_and_b32_e32 v35, v36, v37
	ds_load_b32 v84, v86 offset:32
	; wave barrier
	v_and_b32_e32 v34, v35, v34
	v_mbcnt_lo_u32_b32 v85, v34, 0
	v_cmp_ne_u32_e64 s0, 0, v34
	s_delay_alu instid0(VALU_DEP_2)
	v_cmp_eq_u32_e32 vcc_lo, 0, v85
	s_and_b32 s20, s0, vcc_lo
	s_wait_alu 0xfffe
	s_and_saveexec_b32 s0, s20
	s_cbranch_execz .LBB96_52
; %bb.51:
	s_wait_dscnt 0x0
	v_bcnt_u32_b32 v34, v34, v84
	ds_store_b32 v86, v34 offset:32
.LBB96_52:
	s_wait_alu 0xfffe
	s_or_b32 exec_lo, exec_lo, s0
	v_and_b32_e32 v34, s1, v72
	; wave barrier
	s_delay_alu instid0(VALU_DEP_1)
	v_and_b32_e32 v36, 1, v34
	v_lshlrev_b32_e32 v37, 30, v34
	v_lshlrev_b32_e32 v38, 29, v34
	;; [unrolled: 1-line block ×4, first 2 shown]
	v_add_co_u32 v36, s0, v36, -1
	s_wait_alu 0xf1ff
	v_cndmask_b32_e64 v40, 0, 1, s0
	v_not_b32_e32 v90, v37
	v_cmp_gt_i32_e64 s0, 0, v37
	v_not_b32_e32 v37, v38
	v_lshlrev_b32_e32 v88, 26, v34
	v_cmp_ne_u32_e32 vcc_lo, 0, v40
	v_ashrrev_i32_e32 v40, 31, v90
	v_lshlrev_b32_e32 v89, 25, v34
	v_ashrrev_i32_e32 v37, 31, v37
	v_and_b32_e32 v35, 0xff, v34
	s_wait_alu 0xfffd
	v_xor_b32_e32 v36, vcc_lo, v36
	v_cmp_gt_i32_e32 vcc_lo, 0, v38
	v_not_b32_e32 v38, v39
	s_wait_alu 0xf1ff
	v_xor_b32_e32 v40, s0, v40
	v_cmp_gt_i32_e64 s0, 0, v39
	v_and_b32_e32 v36, exec_lo, v36
	v_not_b32_e32 v39, v87
	v_ashrrev_i32_e32 v38, 31, v38
	s_wait_alu 0xfffd
	v_xor_b32_e32 v37, vcc_lo, v37
	v_cmp_gt_i32_e32 vcc_lo, 0, v87
	v_and_b32_e32 v36, v36, v40
	v_not_b32_e32 v40, v88
	v_ashrrev_i32_e32 v39, 31, v39
	s_wait_alu 0xf1ff
	v_xor_b32_e32 v38, s0, v38
	v_lshlrev_b32_e32 v34, 24, v34
	v_and_b32_e32 v36, v36, v37
	v_cmp_gt_i32_e64 s0, 0, v88
	v_not_b32_e32 v37, v89
	v_ashrrev_i32_e32 v40, 31, v40
	s_wait_alu 0xfffd
	v_xor_b32_e32 v39, vcc_lo, v39
	v_and_b32_e32 v36, v36, v38
	v_cmp_gt_i32_e32 vcc_lo, 0, v89
	v_not_b32_e32 v38, v34
	v_ashrrev_i32_e32 v37, 31, v37
	s_wait_alu 0xf1ff
	v_xor_b32_e32 v40, s0, v40
	v_and_b32_e32 v36, v36, v39
	v_lshlrev_b32_e32 v35, 5, v35
	v_cmp_gt_i32_e64 s0, 0, v34
	v_ashrrev_i32_e32 v34, 31, v38
	s_wait_alu 0xfffd
	v_xor_b32_e32 v37, vcc_lo, v37
	v_and_b32_e32 v36, v36, v40
	v_add_nc_u32_e32 v89, v33, v35
	s_wait_alu 0xf1ff
	v_xor_b32_e32 v34, s0, v34
	s_delay_alu instid0(VALU_DEP_3) | instskip(SKIP_2) | instid1(VALU_DEP_1)
	v_and_b32_e32 v35, v36, v37
	ds_load_b32 v87, v89 offset:32
	; wave barrier
	v_and_b32_e32 v34, v35, v34
	v_mbcnt_lo_u32_b32 v88, v34, 0
	v_cmp_ne_u32_e64 s0, 0, v34
	s_delay_alu instid0(VALU_DEP_2)
	v_cmp_eq_u32_e32 vcc_lo, 0, v88
	s_and_b32 s20, s0, vcc_lo
	s_wait_alu 0xfffe
	s_and_saveexec_b32 s0, s20
	s_cbranch_execz .LBB96_54
; %bb.53:
	s_wait_dscnt 0x0
	v_bcnt_u32_b32 v34, v34, v87
	ds_store_b32 v89, v34 offset:32
.LBB96_54:
	s_wait_alu 0xfffe
	s_or_b32 exec_lo, exec_lo, s0
	v_and_b32_e32 v34, s1, v73
	; wave barrier
	s_delay_alu instid0(VALU_DEP_1)
	v_and_b32_e32 v36, 1, v34
	v_lshlrev_b32_e32 v37, 30, v34
	v_lshlrev_b32_e32 v38, 29, v34
	;; [unrolled: 1-line block ×4, first 2 shown]
	v_add_co_u32 v36, s0, v36, -1
	s_wait_alu 0xf1ff
	v_cndmask_b32_e64 v40, 0, 1, s0
	v_not_b32_e32 v93, v37
	v_cmp_gt_i32_e64 s0, 0, v37
	v_not_b32_e32 v37, v38
	v_lshlrev_b32_e32 v91, 26, v34
	v_cmp_ne_u32_e32 vcc_lo, 0, v40
	v_ashrrev_i32_e32 v40, 31, v93
	v_lshlrev_b32_e32 v92, 25, v34
	v_ashrrev_i32_e32 v37, 31, v37
	v_and_b32_e32 v35, 0xff, v34
	s_wait_alu 0xfffd
	v_xor_b32_e32 v36, vcc_lo, v36
	v_cmp_gt_i32_e32 vcc_lo, 0, v38
	v_not_b32_e32 v38, v39
	s_wait_alu 0xf1ff
	v_xor_b32_e32 v40, s0, v40
	v_cmp_gt_i32_e64 s0, 0, v39
	v_and_b32_e32 v36, exec_lo, v36
	v_not_b32_e32 v39, v90
	v_ashrrev_i32_e32 v38, 31, v38
	s_wait_alu 0xfffd
	v_xor_b32_e32 v37, vcc_lo, v37
	v_cmp_gt_i32_e32 vcc_lo, 0, v90
	v_and_b32_e32 v36, v36, v40
	v_not_b32_e32 v40, v91
	v_ashrrev_i32_e32 v39, 31, v39
	s_wait_alu 0xf1ff
	v_xor_b32_e32 v38, s0, v38
	v_lshlrev_b32_e32 v34, 24, v34
	v_and_b32_e32 v36, v36, v37
	v_cmp_gt_i32_e64 s0, 0, v91
	v_not_b32_e32 v37, v92
	v_ashrrev_i32_e32 v40, 31, v40
	s_wait_alu 0xfffd
	v_xor_b32_e32 v39, vcc_lo, v39
	v_and_b32_e32 v36, v36, v38
	v_cmp_gt_i32_e32 vcc_lo, 0, v92
	v_not_b32_e32 v38, v34
	v_ashrrev_i32_e32 v37, 31, v37
	s_wait_alu 0xf1ff
	v_xor_b32_e32 v40, s0, v40
	v_and_b32_e32 v36, v36, v39
	v_lshlrev_b32_e32 v35, 5, v35
	v_cmp_gt_i32_e64 s0, 0, v34
	v_ashrrev_i32_e32 v34, 31, v38
	s_wait_alu 0xfffd
	v_xor_b32_e32 v37, vcc_lo, v37
	v_and_b32_e32 v36, v36, v40
	v_add_nc_u32_e32 v92, v33, v35
	s_wait_alu 0xf1ff
	v_xor_b32_e32 v34, s0, v34
	s_delay_alu instid0(VALU_DEP_3) | instskip(SKIP_2) | instid1(VALU_DEP_1)
	v_and_b32_e32 v35, v36, v37
	ds_load_b32 v90, v92 offset:32
	; wave barrier
	v_and_b32_e32 v34, v35, v34
	v_mbcnt_lo_u32_b32 v91, v34, 0
	v_cmp_ne_u32_e64 s0, 0, v34
	s_delay_alu instid0(VALU_DEP_2)
	v_cmp_eq_u32_e32 vcc_lo, 0, v91
	s_and_b32 s20, s0, vcc_lo
	s_wait_alu 0xfffe
	s_and_saveexec_b32 s0, s20
	s_cbranch_execz .LBB96_56
; %bb.55:
	s_wait_dscnt 0x0
	v_bcnt_u32_b32 v34, v34, v90
	ds_store_b32 v92, v34 offset:32
.LBB96_56:
	s_wait_alu 0xfffe
	s_or_b32 exec_lo, exec_lo, s0
	v_and_b32_e32 v34, s1, v74
	; wave barrier
	s_delay_alu instid0(VALU_DEP_1)
	v_and_b32_e32 v36, 1, v34
	v_lshlrev_b32_e32 v37, 30, v34
	v_lshlrev_b32_e32 v38, 29, v34
	;; [unrolled: 1-line block ×4, first 2 shown]
	v_add_co_u32 v36, s0, v36, -1
	s_wait_alu 0xf1ff
	v_cndmask_b32_e64 v40, 0, 1, s0
	v_not_b32_e32 v96, v37
	v_cmp_gt_i32_e64 s0, 0, v37
	v_not_b32_e32 v37, v38
	v_lshlrev_b32_e32 v94, 26, v34
	v_cmp_ne_u32_e32 vcc_lo, 0, v40
	v_ashrrev_i32_e32 v40, 31, v96
	v_lshlrev_b32_e32 v95, 25, v34
	v_ashrrev_i32_e32 v37, 31, v37
	v_and_b32_e32 v35, 0xff, v34
	s_wait_alu 0xfffd
	v_xor_b32_e32 v36, vcc_lo, v36
	v_cmp_gt_i32_e32 vcc_lo, 0, v38
	v_not_b32_e32 v38, v39
	s_wait_alu 0xf1ff
	v_xor_b32_e32 v40, s0, v40
	v_cmp_gt_i32_e64 s0, 0, v39
	v_and_b32_e32 v36, exec_lo, v36
	v_not_b32_e32 v39, v93
	v_ashrrev_i32_e32 v38, 31, v38
	s_wait_alu 0xfffd
	v_xor_b32_e32 v37, vcc_lo, v37
	v_cmp_gt_i32_e32 vcc_lo, 0, v93
	v_and_b32_e32 v36, v36, v40
	v_not_b32_e32 v40, v94
	v_ashrrev_i32_e32 v39, 31, v39
	s_wait_alu 0xf1ff
	v_xor_b32_e32 v38, s0, v38
	v_lshlrev_b32_e32 v34, 24, v34
	v_and_b32_e32 v36, v36, v37
	v_cmp_gt_i32_e64 s0, 0, v94
	v_not_b32_e32 v37, v95
	v_ashrrev_i32_e32 v40, 31, v40
	s_wait_alu 0xfffd
	v_xor_b32_e32 v39, vcc_lo, v39
	v_and_b32_e32 v36, v36, v38
	v_cmp_gt_i32_e32 vcc_lo, 0, v95
	v_not_b32_e32 v38, v34
	v_ashrrev_i32_e32 v37, 31, v37
	s_wait_alu 0xf1ff
	v_xor_b32_e32 v40, s0, v40
	v_and_b32_e32 v36, v36, v39
	v_lshlrev_b32_e32 v35, 5, v35
	v_cmp_gt_i32_e64 s0, 0, v34
	v_ashrrev_i32_e32 v34, 31, v38
	s_wait_alu 0xfffd
	v_xor_b32_e32 v37, vcc_lo, v37
	v_and_b32_e32 v36, v36, v40
	v_add_nc_u32_e32 v95, v33, v35
	s_wait_alu 0xf1ff
	v_xor_b32_e32 v34, s0, v34
	s_delay_alu instid0(VALU_DEP_3) | instskip(SKIP_2) | instid1(VALU_DEP_1)
	v_and_b32_e32 v35, v36, v37
	ds_load_b32 v93, v95 offset:32
	; wave barrier
	v_and_b32_e32 v34, v35, v34
	v_mbcnt_lo_u32_b32 v94, v34, 0
	v_cmp_ne_u32_e64 s0, 0, v34
	s_delay_alu instid0(VALU_DEP_2)
	v_cmp_eq_u32_e32 vcc_lo, 0, v94
	s_and_b32 s20, s0, vcc_lo
	s_wait_alu 0xfffe
	s_and_saveexec_b32 s0, s20
	s_cbranch_execz .LBB96_58
; %bb.57:
	s_wait_dscnt 0x0
	v_bcnt_u32_b32 v34, v34, v93
	ds_store_b32 v95, v34 offset:32
.LBB96_58:
	s_wait_alu 0xfffe
	s_or_b32 exec_lo, exec_lo, s0
	v_and_b32_e32 v34, s1, v75
	; wave barrier
	s_delay_alu instid0(VALU_DEP_1)
	v_and_b32_e32 v36, 1, v34
	v_lshlrev_b32_e32 v37, 30, v34
	v_lshlrev_b32_e32 v38, 29, v34
	;; [unrolled: 1-line block ×4, first 2 shown]
	v_add_co_u32 v36, s0, v36, -1
	s_wait_alu 0xf1ff
	v_cndmask_b32_e64 v40, 0, 1, s0
	v_not_b32_e32 v99, v37
	v_cmp_gt_i32_e64 s0, 0, v37
	v_not_b32_e32 v37, v38
	v_lshlrev_b32_e32 v97, 26, v34
	v_cmp_ne_u32_e32 vcc_lo, 0, v40
	v_ashrrev_i32_e32 v40, 31, v99
	v_lshlrev_b32_e32 v98, 25, v34
	v_ashrrev_i32_e32 v37, 31, v37
	v_and_b32_e32 v35, 0xff, v34
	s_wait_alu 0xfffd
	v_xor_b32_e32 v36, vcc_lo, v36
	v_cmp_gt_i32_e32 vcc_lo, 0, v38
	v_not_b32_e32 v38, v39
	s_wait_alu 0xf1ff
	v_xor_b32_e32 v40, s0, v40
	v_cmp_gt_i32_e64 s0, 0, v39
	v_and_b32_e32 v36, exec_lo, v36
	v_not_b32_e32 v39, v96
	v_ashrrev_i32_e32 v38, 31, v38
	s_wait_alu 0xfffd
	v_xor_b32_e32 v37, vcc_lo, v37
	v_cmp_gt_i32_e32 vcc_lo, 0, v96
	v_and_b32_e32 v36, v36, v40
	v_not_b32_e32 v40, v97
	v_ashrrev_i32_e32 v39, 31, v39
	s_wait_alu 0xf1ff
	v_xor_b32_e32 v38, s0, v38
	v_lshlrev_b32_e32 v34, 24, v34
	v_and_b32_e32 v36, v36, v37
	v_cmp_gt_i32_e64 s0, 0, v97
	v_not_b32_e32 v37, v98
	v_ashrrev_i32_e32 v40, 31, v40
	s_wait_alu 0xfffd
	v_xor_b32_e32 v39, vcc_lo, v39
	v_and_b32_e32 v36, v36, v38
	v_cmp_gt_i32_e32 vcc_lo, 0, v98
	v_not_b32_e32 v38, v34
	v_ashrrev_i32_e32 v37, 31, v37
	s_wait_alu 0xf1ff
	v_xor_b32_e32 v40, s0, v40
	v_and_b32_e32 v36, v36, v39
	v_lshlrev_b32_e32 v35, 5, v35
	v_cmp_gt_i32_e64 s0, 0, v34
	v_ashrrev_i32_e32 v34, 31, v38
	s_wait_alu 0xfffd
	v_xor_b32_e32 v37, vcc_lo, v37
	v_and_b32_e32 v36, v36, v40
	v_add_nc_u32_e32 v98, v33, v35
	s_wait_alu 0xf1ff
	v_xor_b32_e32 v33, s0, v34
	s_delay_alu instid0(VALU_DEP_3) | instskip(SKIP_2) | instid1(VALU_DEP_1)
	v_and_b32_e32 v34, v36, v37
	ds_load_b32 v96, v98 offset:32
	; wave barrier
	v_and_b32_e32 v33, v34, v33
	v_mbcnt_lo_u32_b32 v97, v33, 0
	v_cmp_ne_u32_e64 s0, 0, v33
	s_delay_alu instid0(VALU_DEP_2)
	v_cmp_eq_u32_e32 vcc_lo, 0, v97
	s_and_b32 s1, s0, vcc_lo
	s_wait_alu 0xfffe
	s_and_saveexec_b32 s0, s1
	s_cbranch_execz .LBB96_60
; %bb.59:
	s_wait_dscnt 0x0
	v_bcnt_u32_b32 v33, v33, v96
	ds_store_b32 v98, v33 offset:32
.LBB96_60:
	s_wait_alu 0xfffe
	s_or_b32 exec_lo, exec_lo, s0
	; wave barrier
	s_wait_loadcnt_dscnt 0x0
	s_barrier_signal -1
	s_barrier_wait -1
	global_inv scope:SCOPE_SE
	ds_load_b128 v[37:40], v64 offset:32
	ds_load_b128 v[33:36], v64 offset:48
	v_min_u32_e32 v101, 0xe0, v66
	s_mov_b32 s0, exec_lo
	s_wait_dscnt 0x1
	v_add_nc_u32_e32 v99, v38, v37
	s_delay_alu instid0(VALU_DEP_1) | instskip(SKIP_1) | instid1(VALU_DEP_1)
	v_add3_u32 v99, v99, v39, v40
	s_wait_dscnt 0x0
	v_add3_u32 v99, v99, v33, v34
	s_delay_alu instid0(VALU_DEP_1) | instskip(SKIP_1) | instid1(VALU_DEP_2)
	v_add3_u32 v36, v99, v35, v36
	v_and_b32_e32 v99, 15, v65
	v_mov_b32_dpp v100, v36 row_shr:1 row_mask:0xf bank_mask:0xf
	s_delay_alu instid0(VALU_DEP_2) | instskip(SKIP_1) | instid1(VALU_DEP_2)
	v_cmp_ne_u32_e32 vcc_lo, 0, v99
	s_wait_alu 0xfffd
	v_cndmask_b32_e32 v100, 0, v100, vcc_lo
	v_cmp_lt_u32_e32 vcc_lo, 1, v99
	s_delay_alu instid0(VALU_DEP_2) | instskip(NEXT) | instid1(VALU_DEP_1)
	v_add_nc_u32_e32 v36, v100, v36
	v_mov_b32_dpp v100, v36 row_shr:2 row_mask:0xf bank_mask:0xf
	s_wait_alu 0xfffd
	s_delay_alu instid0(VALU_DEP_1) | instskip(SKIP_1) | instid1(VALU_DEP_2)
	v_cndmask_b32_e32 v100, 0, v100, vcc_lo
	v_cmp_lt_u32_e32 vcc_lo, 3, v99
	v_add_nc_u32_e32 v36, v36, v100
	s_delay_alu instid0(VALU_DEP_1) | instskip(SKIP_1) | instid1(VALU_DEP_1)
	v_mov_b32_dpp v100, v36 row_shr:4 row_mask:0xf bank_mask:0xf
	s_wait_alu 0xfffd
	v_cndmask_b32_e32 v100, 0, v100, vcc_lo
	v_cmp_lt_u32_e32 vcc_lo, 7, v99
	s_delay_alu instid0(VALU_DEP_2) | instskip(NEXT) | instid1(VALU_DEP_1)
	v_add_nc_u32_e32 v36, v36, v100
	v_mov_b32_dpp v100, v36 row_shr:8 row_mask:0xf bank_mask:0xf
	s_wait_alu 0xfffd
	s_delay_alu instid0(VALU_DEP_1) | instskip(SKIP_1) | instid1(VALU_DEP_2)
	v_cndmask_b32_e32 v99, 0, v100, vcc_lo
	v_bfe_i32 v100, v65, 4, 1
	v_add_nc_u32_e32 v36, v36, v99
	ds_swizzle_b32 v99, v36 offset:swizzle(BROADCAST,32,15)
	s_wait_dscnt 0x0
	v_and_b32_e32 v99, v100, v99
	v_or_b32_e32 v100, 31, v101
	s_delay_alu instid0(VALU_DEP_2) | instskip(NEXT) | instid1(VALU_DEP_2)
	v_add_nc_u32_e32 v36, v36, v99
	v_cmpx_eq_u32_e64 v41, v100
; %bb.61:
	v_lshlrev_b32_e32 v99, 2, v62
	ds_store_b32 v99, v36
; %bb.62:
	s_wait_alu 0xfffe
	s_or_b32 exec_lo, exec_lo, s0
	s_delay_alu instid0(SALU_CYCLE_1)
	s_mov_b32 s0, exec_lo
	s_wait_loadcnt_dscnt 0x0
	s_barrier_signal -1
	s_barrier_wait -1
	global_inv scope:SCOPE_SE
	v_cmpx_gt_u32_e32 8, v41
	s_cbranch_execz .LBB96_64
; %bb.63:
	v_and_b32_e32 v101, 7, v65
	s_delay_alu instid0(VALU_DEP_1)
	v_cmp_ne_u32_e32 vcc_lo, 0, v101
	v_lshlrev_b32_e32 v99, 2, v41
	ds_load_b32 v100, v99
	s_wait_dscnt 0x0
	v_mov_b32_dpp v102, v100 row_shr:1 row_mask:0xf bank_mask:0xf
	s_wait_alu 0xfffd
	s_delay_alu instid0(VALU_DEP_1) | instskip(SKIP_1) | instid1(VALU_DEP_2)
	v_cndmask_b32_e32 v102, 0, v102, vcc_lo
	v_cmp_lt_u32_e32 vcc_lo, 1, v101
	v_add_nc_u32_e32 v100, v102, v100
	s_delay_alu instid0(VALU_DEP_1) | instskip(SKIP_1) | instid1(VALU_DEP_1)
	v_mov_b32_dpp v102, v100 row_shr:2 row_mask:0xf bank_mask:0xf
	s_wait_alu 0xfffd
	v_cndmask_b32_e32 v102, 0, v102, vcc_lo
	v_cmp_lt_u32_e32 vcc_lo, 3, v101
	s_delay_alu instid0(VALU_DEP_2) | instskip(NEXT) | instid1(VALU_DEP_1)
	v_add_nc_u32_e32 v100, v100, v102
	v_mov_b32_dpp v102, v100 row_shr:4 row_mask:0xf bank_mask:0xf
	s_wait_alu 0xfffd
	s_delay_alu instid0(VALU_DEP_1) | instskip(NEXT) | instid1(VALU_DEP_1)
	v_cndmask_b32_e32 v101, 0, v102, vcc_lo
	v_add_nc_u32_e32 v100, v100, v101
	ds_store_b32 v99, v100
.LBB96_64:
	s_wait_alu 0xfffe
	s_or_b32 exec_lo, exec_lo, s0
	v_mov_b32_e32 v99, 0
	s_mov_b32 s0, exec_lo
	s_wait_loadcnt_dscnt 0x0
	s_barrier_signal -1
	s_barrier_wait -1
	global_inv scope:SCOPE_SE
	v_cmpx_lt_u32_e32 31, v41
; %bb.65:
	v_lshl_add_u32 v99, v62, 2, -4
	ds_load_b32 v99, v99
; %bb.66:
	s_wait_alu 0xfffe
	s_or_b32 exec_lo, exec_lo, s0
	v_sub_co_u32 v100, vcc_lo, v65, 1
	s_wait_dscnt 0x0
	v_add_nc_u32_e32 v36, v99, v36
	s_delay_alu instid0(VALU_DEP_2) | instskip(SKIP_1) | instid1(VALU_DEP_1)
	v_cmp_gt_i32_e64 s0, 0, v100
	s_wait_alu 0xf1ff
	v_cndmask_b32_e64 v100, v100, v65, s0
	s_delay_alu instid0(VALU_DEP_1)
	v_lshlrev_b32_e32 v100, 2, v100
	ds_bpermute_b32 v36, v100, v36
	s_wait_dscnt 0x0
	s_wait_alu 0xfffd
	v_cndmask_b32_e32 v36, v36, v99, vcc_lo
	v_cmp_ne_u32_e32 vcc_lo, 0, v41
	s_wait_alu 0xfffd
	s_delay_alu instid0(VALU_DEP_2) | instskip(NEXT) | instid1(VALU_DEP_1)
	v_cndmask_b32_e32 v36, 0, v36, vcc_lo
	v_add_nc_u32_e32 v37, v36, v37
	s_delay_alu instid0(VALU_DEP_1) | instskip(NEXT) | instid1(VALU_DEP_1)
	v_add_nc_u32_e32 v38, v37, v38
	v_add_nc_u32_e32 v39, v38, v39
	s_delay_alu instid0(VALU_DEP_1) | instskip(NEXT) | instid1(VALU_DEP_1)
	v_add_nc_u32_e32 v99, v39, v40
	;; [unrolled: 3-line block ×3, first 2 shown]
	v_add_nc_u32_e32 v102, v101, v35
	ds_store_b128 v64, v[36:39] offset:32
	ds_store_b128 v64, v[99:102] offset:48
	s_wait_loadcnt_dscnt 0x0
	s_barrier_signal -1
	s_barrier_wait -1
	global_inv scope:SCOPE_SE
	ds_load_b32 v33, v77 offset:32
	ds_load_b32 v34, v80 offset:32
	ds_load_b32 v35, v83 offset:32
	ds_load_b32 v36, v86 offset:32
	ds_load_b32 v37, v89 offset:32
	ds_load_b32 v38, v92 offset:32
	ds_load_b32 v39, v95 offset:32
	ds_load_b32 v40, v98 offset:32
	v_mad_u32_u24 v77, v41, 56, v54
	s_wait_loadcnt_dscnt 0x0
	s_barrier_signal -1
	s_barrier_wait -1
	global_inv scope:SCOPE_SE
	v_add_nc_u32_e32 v76, v33, v76
	v_add3_u32 v78, v79, v78, v34
	v_add3_u32 v35, v82, v81, v35
	;; [unrolled: 1-line block ×7, first 2 shown]
	ds_store_b8 v76, v0
	ds_store_b8 v78, v69
	;; [unrolled: 1-line block ×8, first 2 shown]
	v_lshlrev_b32_e32 v0, 3, v76
	v_lshlrev_b32_e32 v69, 3, v78
	;; [unrolled: 1-line block ×5, first 2 shown]
	s_wait_loadcnt_dscnt 0x0
	s_barrier_signal -1
	s_barrier_wait -1
	global_inv scope:SCOPE_SE
	ds_load_b64 v[33:34], v54
	s_wait_loadcnt_dscnt 0x0
	s_barrier_signal -1
	s_barrier_wait -1
	global_inv scope:SCOPE_SE
	v_lshlrev_b32_e32 v38, 3, v38
	v_lshlrev_b32_e32 v39, 3, v39
	;; [unrolled: 1-line block ×3, first 2 shown]
	ds_store_b64 v0, v[25:26]
	ds_store_b64 v69, v[27:28]
	;; [unrolled: 1-line block ×8, first 2 shown]
	s_wait_loadcnt_dscnt 0x0
	s_barrier_signal -1
	s_barrier_wait -1
	global_inv scope:SCOPE_SE
	ds_load_b128 v[29:32], v77
	ds_load_b128 v[25:28], v77 offset:16
	ds_load_b128 v[21:24], v77 offset:32
	;; [unrolled: 1-line block ×3, first 2 shown]
	s_branch .LBB96_98
.LBB96_67:
	s_wait_kmcnt 0x0
	v_mad_co_u64_u32 v[2:3], null, s10, v41, 0
	v_dual_mov_b32 v14, v1 :: v_dual_mov_b32 v15, v1
	v_mov_b32_e32 v16, v1
	v_dual_mov_b32 v6, v1 :: v_dual_mov_b32 v7, v1
	v_dual_mov_b32 v8, v1 :: v_dual_mov_b32 v9, v1
	v_mad_co_u64_u32 v[3:4], null, s11, v41, v[3:4]
	v_dual_mov_b32 v4, v1 :: v_dual_mov_b32 v5, v1
	v_dual_mov_b32 v10, v1 :: v_dual_mov_b32 v13, v1
	s_delay_alu instid0(VALU_DEP_3) | instskip(NEXT) | instid1(VALU_DEP_1)
	v_lshlrev_b64_e32 v[2:3], 3, v[2:3]
	v_add_co_u32 v2, vcc_lo, s16, v2
	s_delay_alu instid0(VALU_DEP_1)
	v_add_co_ci_u32_e64 v3, null, s17, v3, vcc_lo
	global_load_b64 v[11:12], v[2:3], off
	v_dual_mov_b32 v2, v1 :: v_dual_mov_b32 v3, v1
	s_or_b32 exec_lo, exec_lo, s0
	s_and_saveexec_b32 s0, s3
	s_cbranch_execz .LBB96_36
.LBB96_68:
	s_wait_kmcnt 0x0
	v_mad_co_u64_u32 v[1:2], null, s10, v23, 0
	s_delay_alu instid0(VALU_DEP_1) | instskip(NEXT) | instid1(VALU_DEP_1)
	v_mad_co_u64_u32 v[32:33], null, s11, v23, v[2:3]
	v_mov_b32_e32 v2, v32
	s_delay_alu instid0(VALU_DEP_1) | instskip(NEXT) | instid1(VALU_DEP_1)
	v_lshlrev_b64_e32 v[1:2], 3, v[1:2]
	v_add_co_u32 v1, vcc_lo, s16, v1
	s_wait_alu 0xfffd
	s_delay_alu instid0(VALU_DEP_2)
	v_add_co_ci_u32_e64 v2, null, s17, v2, vcc_lo
	global_load_b64 v[1:2], v[1:2], off
	s_or_b32 exec_lo, exec_lo, s0
	s_and_saveexec_b32 s0, s4
	s_cbranch_execz .LBB96_37
.LBB96_69:
	s_wait_kmcnt 0x0
	v_mad_co_u64_u32 v[13:14], null, s10, v22, 0
	s_delay_alu instid0(VALU_DEP_1) | instskip(NEXT) | instid1(VALU_DEP_1)
	v_mad_co_u64_u32 v[22:23], null, s11, v22, v[14:15]
	v_mov_b32_e32 v14, v22
	s_delay_alu instid0(VALU_DEP_1) | instskip(NEXT) | instid1(VALU_DEP_1)
	v_lshlrev_b64_e32 v[13:14], 3, v[13:14]
	v_add_co_u32 v13, vcc_lo, s16, v13
	s_wait_alu 0xfffd
	s_delay_alu instid0(VALU_DEP_2)
	v_add_co_ci_u32_e64 v14, null, s17, v14, vcc_lo
	global_load_b64 v[13:14], v[13:14], off
	s_or_b32 exec_lo, exec_lo, s0
	s_and_saveexec_b32 s0, s5
	s_cbranch_execz .LBB96_38
.LBB96_70:
	s_wait_kmcnt 0x0
	v_mad_co_u64_u32 v[15:16], null, s10, v21, 0
	s_delay_alu instid0(VALU_DEP_1) | instskip(NEXT) | instid1(VALU_DEP_1)
	v_mad_co_u64_u32 v[21:22], null, s11, v21, v[16:17]
	v_mov_b32_e32 v16, v21
	s_delay_alu instid0(VALU_DEP_1) | instskip(NEXT) | instid1(VALU_DEP_1)
	v_lshlrev_b64_e32 v[15:16], 3, v[15:16]
	v_add_co_u32 v15, vcc_lo, s16, v15
	s_wait_alu 0xfffd
	s_delay_alu instid0(VALU_DEP_2)
	v_add_co_ci_u32_e64 v16, null, s17, v16, vcc_lo
	global_load_b64 v[15:16], v[15:16], off
	s_or_b32 exec_lo, exec_lo, s0
	s_and_saveexec_b32 s0, s6
	s_cbranch_execz .LBB96_39
.LBB96_71:
	s_wait_kmcnt 0x0
	v_mad_co_u64_u32 v[3:4], null, s10, v20, 0
	s_delay_alu instid0(VALU_DEP_1) | instskip(NEXT) | instid1(VALU_DEP_1)
	v_mad_co_u64_u32 v[20:21], null, s11, v20, v[4:5]
	v_mov_b32_e32 v4, v20
	s_delay_alu instid0(VALU_DEP_1) | instskip(NEXT) | instid1(VALU_DEP_1)
	v_lshlrev_b64_e32 v[3:4], 3, v[3:4]
	v_add_co_u32 v3, vcc_lo, s16, v3
	s_wait_alu 0xfffd
	s_delay_alu instid0(VALU_DEP_2)
	v_add_co_ci_u32_e64 v4, null, s17, v4, vcc_lo
	global_load_b64 v[3:4], v[3:4], off
	s_or_b32 exec_lo, exec_lo, s0
	s_and_saveexec_b32 s0, s7
	s_cbranch_execz .LBB96_40
.LBB96_72:
	s_wait_kmcnt 0x0
	v_mad_co_u64_u32 v[5:6], null, s10, v19, 0
	s_delay_alu instid0(VALU_DEP_1) | instskip(NEXT) | instid1(VALU_DEP_1)
	v_mad_co_u64_u32 v[19:20], null, s11, v19, v[6:7]
	v_mov_b32_e32 v6, v19
	s_delay_alu instid0(VALU_DEP_1) | instskip(NEXT) | instid1(VALU_DEP_1)
	v_lshlrev_b64_e32 v[5:6], 3, v[5:6]
	v_add_co_u32 v5, vcc_lo, s16, v5
	s_wait_alu 0xfffd
	s_delay_alu instid0(VALU_DEP_2)
	v_add_co_ci_u32_e64 v6, null, s17, v6, vcc_lo
	global_load_b64 v[5:6], v[5:6], off
	s_or_b32 exec_lo, exec_lo, s0
	s_and_saveexec_b32 s0, s8
	s_cbranch_execz .LBB96_41
.LBB96_73:
	s_wait_kmcnt 0x0
	v_mad_co_u64_u32 v[7:8], null, s10, v17, 0
	s_delay_alu instid0(VALU_DEP_1) | instskip(NEXT) | instid1(VALU_DEP_1)
	v_mad_co_u64_u32 v[19:20], null, s11, v17, v[8:9]
	v_mov_b32_e32 v8, v19
	s_delay_alu instid0(VALU_DEP_1) | instskip(NEXT) | instid1(VALU_DEP_1)
	v_lshlrev_b64_e32 v[7:8], 3, v[7:8]
	v_add_co_u32 v7, vcc_lo, s16, v7
	s_wait_alu 0xfffd
	s_delay_alu instid0(VALU_DEP_2)
	v_add_co_ci_u32_e64 v8, null, s17, v8, vcc_lo
	global_load_b64 v[7:8], v[7:8], off
	s_or_b32 exec_lo, exec_lo, s0
	s_and_saveexec_b32 s0, s9
	s_cbranch_execnz .LBB96_42
	s_branch .LBB96_43
.LBB96_74:
                                        ; implicit-def: $vgpr19_vgpr20
                                        ; implicit-def: $vgpr23_vgpr24
                                        ; implicit-def: $vgpr27_vgpr28
                                        ; implicit-def: $vgpr31_vgpr32
                                        ; implicit-def: $vgpr34
	s_cbranch_execz .LBB96_98
; %bb.75:
	v_or_b32_e32 v0, v65, v66
	s_getpc_b64 s[0:1]
	s_sext_i32_i16 s1, s1
	s_add_co_u32 s0, s0, _ZN7rocprim17ROCPRIM_400000_NS16block_radix_sortIhLj256ELj8ElLj1ELj1ELj0ELNS0_26block_radix_rank_algorithmE1ELNS0_18block_padding_hintE2ELNS0_4arch9wavefront6targetE0EE19radix_bits_per_passE@rel32@lo+8
	s_add_co_ci_u32 s1, s1, _ZN7rocprim17ROCPRIM_400000_NS16block_radix_sortIhLj256ELj8ElLj1ELj1ELj0ELNS0_26block_radix_rank_algorithmE1ELNS0_18block_padding_hintE2ELNS0_4arch9wavefront6targetE0EE19radix_bits_per_passE@rel32@hi+16
	s_mov_b32 s20, 0
	s_load_b32 s0, s[0:1], 0x0
	s_wait_dscnt 0x0
	v_not_b32_e32 v18, v43
	v_not_b32_e32 v17, v42
	v_and_or_b32 v20, 0x1f00, v54, v65
	s_mov_b32 s21, s20
	s_mov_b32 s22, s20
	;; [unrolled: 1-line block ×3, first 2 shown]
	v_lshlrev_b32_e32 v19, 3, v0
	ds_store_b64 v19, v[17:18]
	; wave barrier
	ds_load_u8 v24, v20
	v_mad_u32_u24 v0, v0, 56, v19
	ds_load_u8 v25, v20 offset:32
	ds_load_u8 v26, v20 offset:64
	;; [unrolled: 1-line block ×7, first 2 shown]
	s_wait_loadcnt_dscnt 0x0
	s_barrier_signal -1
	s_wait_kmcnt 0x0
	s_min_u32 s0, s0, 8
	s_barrier_wait -1
	s_lshl_b32 s0, -1, s0
	global_inv scope:SCOPE_SE
	s_not_b32 s1, s0
	ds_store_b128 v0, v[13:16]
	ds_store_b128 v0, v[9:12] offset:16
	v_mad_u32_u24 v17, v20, 7, v20
	ds_store_b128 v0, v[5:8] offset:32
	ds_store_b128 v0, v[1:4] offset:48
	; wave barrier
	ds_load_2addr_b64 v[0:3], v17 offset1:32
	ds_load_2addr_b64 v[8:11], v17 offset0:64 offset1:96
	ds_load_2addr_b64 v[4:7], v17 offset0:128 offset1:160
	v_and_b32_e32 v22, s1, v24
	s_delay_alu instid0(VALU_DEP_1) | instskip(SKIP_2) | instid1(VALU_DEP_3)
	v_and_b32_e32 v12, 1, v22
	v_lshlrev_b32_e32 v16, 30, v22
	v_lshlrev_b32_e32 v20, 28, v22
	v_add_co_u32 v18, s0, v12, -1
	s_wait_alu 0xf1ff
	v_cndmask_b32_e64 v19, 0, 1, s0
	ds_load_2addr_b64 v[12:15], v17 offset0:192 offset1:224
	v_not_b32_e32 v17, v16
	v_cmp_gt_i32_e64 s0, 0, v16
	s_wait_loadcnt_dscnt 0x0
	v_cmp_ne_u32_e32 vcc_lo, 0, v19
	v_lshlrev_b32_e32 v19, 29, v22
	v_ashrrev_i32_e32 v16, 31, v17
	s_barrier_signal -1
	s_barrier_wait -1
	s_wait_alu 0xfffd
	v_xor_b32_e32 v17, vcc_lo, v18
	v_not_b32_e32 v18, v19
	s_wait_alu 0xf1ff
	v_xor_b32_e32 v16, s0, v16
	v_cmp_gt_i32_e32 vcc_lo, 0, v19
	v_not_b32_e32 v19, v20
	v_and_b32_e32 v17, exec_lo, v17
	v_ashrrev_i32_e32 v18, 31, v18
	global_inv scope:SCOPE_SE
	s_load_b32 s0, s[18:19], 0xc
	v_ashrrev_i32_e32 v19, 31, v19
	v_and_b32_e32 v16, v17, v16
	v_lshlrev_b32_e32 v17, 27, v22
	v_xor_b32_e32 v18, vcc_lo, v18
	v_cmp_gt_i32_e32 vcc_lo, 0, v20
	s_delay_alu instid0(VALU_DEP_3) | instskip(NEXT) | instid1(VALU_DEP_3)
	v_not_b32_e32 v20, v17
	v_and_b32_e32 v16, v16, v18
	v_lshlrev_b32_e32 v18, 26, v22
	s_wait_alu 0xfffd
	v_xor_b32_e32 v19, vcc_lo, v19
	v_cmp_gt_i32_e32 vcc_lo, 0, v17
	v_ashrrev_i32_e32 v17, 31, v20
	v_not_b32_e32 v20, v18
	s_delay_alu instid0(VALU_DEP_4)
	v_and_b32_e32 v16, v16, v19
	v_lshlrev_b32_e32 v19, 25, v22
	s_wait_alu 0xfffd
	v_xor_b32_e32 v17, vcc_lo, v17
	v_cmp_gt_i32_e32 vcc_lo, 0, v18
	v_ashrrev_i32_e32 v18, 31, v20
	s_wait_kmcnt 0x0
	s_lshr_b32 s18, s0, 16
	v_not_b32_e32 v20, v19
	v_and_b32_e32 v16, v16, v17
	v_lshlrev_b32_e32 v17, 24, v22
	s_wait_alu 0xfffd
	v_xor_b32_e32 v18, vcc_lo, v18
	v_cmp_gt_i32_e32 vcc_lo, 0, v19
	v_ashrrev_i32_e32 v19, 31, v20
	s_wait_alu 0xfffe
	v_mad_u32_u24 v21, v68, s18, v67
	v_not_b32_e32 v20, v17
	v_and_b32_e32 v18, v16, v18
	s_and_b32 s0, s0, 0xffff
	s_wait_alu 0xfffd
	v_xor_b32_e32 v19, vcc_lo, v19
	v_cmp_gt_i32_e32 vcc_lo, 0, v17
	v_ashrrev_i32_e32 v20, 31, v20
	s_wait_alu 0xfffe
	v_mad_co_u64_u32 v[16:17], null, v21, s0, v[41:42]
	v_and_b32_e32 v17, v18, v19
	s_wait_alu 0xfffd
	v_xor_b32_e32 v23, vcc_lo, v20
	v_dual_mov_b32 v18, s20 :: v_dual_mov_b32 v19, s21
	v_dual_mov_b32 v20, s22 :: v_dual_mov_b32 v21, s23
	s_delay_alu instid0(VALU_DEP_3)
	v_and_b32_e32 v17, v17, v23
	v_and_b32_e32 v22, 0xff, v22
	v_lshrrev_b32_e32 v16, 3, v16
	ds_store_b128 v64, v[18:21] offset:32
	ds_store_b128 v64, v[18:21] offset:48
	v_mbcnt_lo_u32_b32 v32, v17, 0
	v_lshlrev_b32_e32 v18, 5, v22
	v_and_b32_e32 v16, 0x1ffffffc, v16
	v_cmp_ne_u32_e64 s0, 0, v17
	s_wait_loadcnt_dscnt 0x0
	v_cmp_eq_u32_e32 vcc_lo, 0, v32
	s_barrier_signal -1
	v_add_nc_u32_e32 v33, v16, v18
	s_barrier_wait -1
	global_inv scope:SCOPE_SE
	s_and_b32 s18, s0, vcc_lo
	; wave barrier
	s_wait_alu 0xfffe
	s_and_saveexec_b32 s0, s18
; %bb.76:
	v_bcnt_u32_b32 v17, v17, 0
	ds_store_b32 v33, v17 offset:32
; %bb.77:
	s_wait_alu 0xfffe
	s_or_b32 exec_lo, exec_lo, s0
	v_and_b32_e32 v17, s1, v25
	; wave barrier
	s_delay_alu instid0(VALU_DEP_1)
	v_and_b32_e32 v19, 1, v17
	v_lshlrev_b32_e32 v20, 30, v17
	v_lshlrev_b32_e32 v21, 29, v17
	;; [unrolled: 1-line block ×4, first 2 shown]
	v_add_co_u32 v19, s0, v19, -1
	s_wait_alu 0xf1ff
	v_cndmask_b32_e64 v23, 0, 1, s0
	v_not_b32_e32 v37, v20
	v_cmp_gt_i32_e64 s0, 0, v20
	v_not_b32_e32 v20, v21
	v_lshlrev_b32_e32 v35, 26, v17
	v_cmp_ne_u32_e32 vcc_lo, 0, v23
	v_ashrrev_i32_e32 v23, 31, v37
	v_lshlrev_b32_e32 v36, 25, v17
	v_ashrrev_i32_e32 v20, 31, v20
	v_and_b32_e32 v18, 0xff, v17
	s_wait_alu 0xfffd
	v_xor_b32_e32 v19, vcc_lo, v19
	v_cmp_gt_i32_e32 vcc_lo, 0, v21
	v_not_b32_e32 v21, v22
	s_wait_alu 0xf1ff
	v_xor_b32_e32 v23, s0, v23
	v_cmp_gt_i32_e64 s0, 0, v22
	v_and_b32_e32 v19, exec_lo, v19
	v_not_b32_e32 v22, v34
	v_ashrrev_i32_e32 v21, 31, v21
	s_wait_alu 0xfffd
	v_xor_b32_e32 v20, vcc_lo, v20
	v_cmp_gt_i32_e32 vcc_lo, 0, v34
	v_and_b32_e32 v19, v19, v23
	v_not_b32_e32 v23, v35
	v_ashrrev_i32_e32 v22, 31, v22
	s_wait_alu 0xf1ff
	v_xor_b32_e32 v21, s0, v21
	v_lshlrev_b32_e32 v17, 24, v17
	v_and_b32_e32 v19, v19, v20
	v_cmp_gt_i32_e64 s0, 0, v35
	v_not_b32_e32 v20, v36
	v_ashrrev_i32_e32 v23, 31, v23
	s_wait_alu 0xfffd
	v_xor_b32_e32 v22, vcc_lo, v22
	v_and_b32_e32 v19, v19, v21
	v_cmp_gt_i32_e32 vcc_lo, 0, v36
	v_not_b32_e32 v21, v17
	v_ashrrev_i32_e32 v20, 31, v20
	s_wait_alu 0xf1ff
	v_xor_b32_e32 v23, s0, v23
	v_and_b32_e32 v19, v19, v22
	v_lshlrev_b32_e32 v18, 5, v18
	v_cmp_gt_i32_e64 s0, 0, v17
	v_ashrrev_i32_e32 v17, 31, v21
	s_wait_alu 0xfffd
	v_xor_b32_e32 v20, vcc_lo, v20
	v_and_b32_e32 v19, v19, v23
	v_add_nc_u32_e32 v36, v16, v18
	s_wait_alu 0xf1ff
	v_xor_b32_e32 v17, s0, v17
	s_delay_alu instid0(VALU_DEP_3) | instskip(SKIP_2) | instid1(VALU_DEP_1)
	v_and_b32_e32 v18, v19, v20
	ds_load_b32 v34, v36 offset:32
	; wave barrier
	v_and_b32_e32 v17, v18, v17
	v_mbcnt_lo_u32_b32 v35, v17, 0
	v_cmp_ne_u32_e64 s0, 0, v17
	s_delay_alu instid0(VALU_DEP_2)
	v_cmp_eq_u32_e32 vcc_lo, 0, v35
	s_and_b32 s18, s0, vcc_lo
	s_wait_alu 0xfffe
	s_and_saveexec_b32 s0, s18
	s_cbranch_execz .LBB96_79
; %bb.78:
	s_wait_dscnt 0x0
	v_bcnt_u32_b32 v17, v17, v34
	ds_store_b32 v36, v17 offset:32
.LBB96_79:
	s_wait_alu 0xfffe
	s_or_b32 exec_lo, exec_lo, s0
	v_and_b32_e32 v17, s1, v26
	; wave barrier
	s_delay_alu instid0(VALU_DEP_1)
	v_and_b32_e32 v19, 1, v17
	v_lshlrev_b32_e32 v20, 30, v17
	v_lshlrev_b32_e32 v21, 29, v17
	;; [unrolled: 1-line block ×4, first 2 shown]
	v_add_co_u32 v19, s0, v19, -1
	s_wait_alu 0xf1ff
	v_cndmask_b32_e64 v23, 0, 1, s0
	v_not_b32_e32 v40, v20
	v_cmp_gt_i32_e64 s0, 0, v20
	v_not_b32_e32 v20, v21
	v_lshlrev_b32_e32 v38, 26, v17
	v_cmp_ne_u32_e32 vcc_lo, 0, v23
	v_ashrrev_i32_e32 v23, 31, v40
	v_lshlrev_b32_e32 v39, 25, v17
	v_ashrrev_i32_e32 v20, 31, v20
	v_and_b32_e32 v18, 0xff, v17
	s_wait_alu 0xfffd
	v_xor_b32_e32 v19, vcc_lo, v19
	v_cmp_gt_i32_e32 vcc_lo, 0, v21
	v_not_b32_e32 v21, v22
	s_wait_alu 0xf1ff
	v_xor_b32_e32 v23, s0, v23
	v_cmp_gt_i32_e64 s0, 0, v22
	v_and_b32_e32 v19, exec_lo, v19
	v_not_b32_e32 v22, v37
	v_ashrrev_i32_e32 v21, 31, v21
	s_wait_alu 0xfffd
	v_xor_b32_e32 v20, vcc_lo, v20
	v_cmp_gt_i32_e32 vcc_lo, 0, v37
	v_and_b32_e32 v19, v19, v23
	v_not_b32_e32 v23, v38
	v_ashrrev_i32_e32 v22, 31, v22
	s_wait_alu 0xf1ff
	v_xor_b32_e32 v21, s0, v21
	v_lshlrev_b32_e32 v17, 24, v17
	v_and_b32_e32 v19, v19, v20
	v_cmp_gt_i32_e64 s0, 0, v38
	v_not_b32_e32 v20, v39
	v_ashrrev_i32_e32 v23, 31, v23
	s_wait_alu 0xfffd
	v_xor_b32_e32 v22, vcc_lo, v22
	v_and_b32_e32 v19, v19, v21
	v_cmp_gt_i32_e32 vcc_lo, 0, v39
	v_not_b32_e32 v21, v17
	v_ashrrev_i32_e32 v20, 31, v20
	s_wait_alu 0xf1ff
	v_xor_b32_e32 v23, s0, v23
	v_and_b32_e32 v19, v19, v22
	v_lshlrev_b32_e32 v18, 5, v18
	v_cmp_gt_i32_e64 s0, 0, v17
	v_ashrrev_i32_e32 v17, 31, v21
	s_wait_alu 0xfffd
	v_xor_b32_e32 v20, vcc_lo, v20
	v_and_b32_e32 v19, v19, v23
	v_add_nc_u32_e32 v39, v16, v18
	s_wait_alu 0xf1ff
	v_xor_b32_e32 v17, s0, v17
	s_delay_alu instid0(VALU_DEP_3) | instskip(SKIP_2) | instid1(VALU_DEP_1)
	v_and_b32_e32 v18, v19, v20
	ds_load_b32 v37, v39 offset:32
	; wave barrier
	v_and_b32_e32 v17, v18, v17
	v_mbcnt_lo_u32_b32 v38, v17, 0
	v_cmp_ne_u32_e64 s0, 0, v17
	s_delay_alu instid0(VALU_DEP_2)
	v_cmp_eq_u32_e32 vcc_lo, 0, v38
	s_and_b32 s18, s0, vcc_lo
	s_wait_alu 0xfffe
	s_and_saveexec_b32 s0, s18
	s_cbranch_execz .LBB96_81
; %bb.80:
	s_wait_dscnt 0x0
	v_bcnt_u32_b32 v17, v17, v37
	ds_store_b32 v39, v17 offset:32
.LBB96_81:
	s_wait_alu 0xfffe
	s_or_b32 exec_lo, exec_lo, s0
	v_and_b32_e32 v17, s1, v27
	; wave barrier
	s_delay_alu instid0(VALU_DEP_1)
	v_and_b32_e32 v19, 1, v17
	v_lshlrev_b32_e32 v20, 30, v17
	v_lshlrev_b32_e32 v21, 29, v17
	v_lshlrev_b32_e32 v22, 28, v17
	v_lshlrev_b32_e32 v40, 27, v17
	v_add_co_u32 v19, s0, v19, -1
	s_wait_alu 0xf1ff
	v_cndmask_b32_e64 v23, 0, 1, s0
	v_not_b32_e32 v67, v20
	v_cmp_gt_i32_e64 s0, 0, v20
	v_not_b32_e32 v20, v21
	v_lshlrev_b32_e32 v42, 26, v17
	v_cmp_ne_u32_e32 vcc_lo, 0, v23
	v_ashrrev_i32_e32 v23, 31, v67
	v_lshlrev_b32_e32 v43, 25, v17
	v_ashrrev_i32_e32 v20, 31, v20
	v_and_b32_e32 v18, 0xff, v17
	s_wait_alu 0xfffd
	v_xor_b32_e32 v19, vcc_lo, v19
	v_cmp_gt_i32_e32 vcc_lo, 0, v21
	v_not_b32_e32 v21, v22
	s_wait_alu 0xf1ff
	v_xor_b32_e32 v23, s0, v23
	v_cmp_gt_i32_e64 s0, 0, v22
	v_and_b32_e32 v19, exec_lo, v19
	v_not_b32_e32 v22, v40
	v_ashrrev_i32_e32 v21, 31, v21
	s_wait_alu 0xfffd
	v_xor_b32_e32 v20, vcc_lo, v20
	v_cmp_gt_i32_e32 vcc_lo, 0, v40
	v_and_b32_e32 v19, v19, v23
	v_not_b32_e32 v23, v42
	v_ashrrev_i32_e32 v22, 31, v22
	s_wait_alu 0xf1ff
	v_xor_b32_e32 v21, s0, v21
	v_lshlrev_b32_e32 v17, 24, v17
	v_and_b32_e32 v19, v19, v20
	v_cmp_gt_i32_e64 s0, 0, v42
	v_not_b32_e32 v20, v43
	v_ashrrev_i32_e32 v23, 31, v23
	s_wait_alu 0xfffd
	v_xor_b32_e32 v22, vcc_lo, v22
	v_and_b32_e32 v19, v19, v21
	v_cmp_gt_i32_e32 vcc_lo, 0, v43
	v_not_b32_e32 v21, v17
	v_ashrrev_i32_e32 v20, 31, v20
	s_wait_alu 0xf1ff
	v_xor_b32_e32 v23, s0, v23
	v_and_b32_e32 v19, v19, v22
	v_lshlrev_b32_e32 v18, 5, v18
	v_cmp_gt_i32_e64 s0, 0, v17
	v_ashrrev_i32_e32 v17, 31, v21
	s_wait_alu 0xfffd
	v_xor_b32_e32 v20, vcc_lo, v20
	v_and_b32_e32 v19, v19, v23
	v_add_nc_u32_e32 v43, v16, v18
	s_wait_alu 0xf1ff
	v_xor_b32_e32 v17, s0, v17
	s_delay_alu instid0(VALU_DEP_3) | instskip(SKIP_2) | instid1(VALU_DEP_1)
	v_and_b32_e32 v18, v19, v20
	ds_load_b32 v40, v43 offset:32
	; wave barrier
	v_and_b32_e32 v17, v18, v17
	v_mbcnt_lo_u32_b32 v42, v17, 0
	v_cmp_ne_u32_e64 s0, 0, v17
	s_delay_alu instid0(VALU_DEP_2)
	v_cmp_eq_u32_e32 vcc_lo, 0, v42
	s_and_b32 s18, s0, vcc_lo
	s_wait_alu 0xfffe
	s_and_saveexec_b32 s0, s18
	s_cbranch_execz .LBB96_83
; %bb.82:
	s_wait_dscnt 0x0
	v_bcnt_u32_b32 v17, v17, v40
	ds_store_b32 v43, v17 offset:32
.LBB96_83:
	s_wait_alu 0xfffe
	s_or_b32 exec_lo, exec_lo, s0
	v_and_b32_e32 v17, s1, v28
	; wave barrier
	s_delay_alu instid0(VALU_DEP_1)
	v_and_b32_e32 v19, 1, v17
	v_lshlrev_b32_e32 v20, 30, v17
	v_lshlrev_b32_e32 v21, 29, v17
	;; [unrolled: 1-line block ×4, first 2 shown]
	v_add_co_u32 v19, s0, v19, -1
	s_wait_alu 0xf1ff
	v_cndmask_b32_e64 v23, 0, 1, s0
	v_not_b32_e32 v70, v20
	v_cmp_gt_i32_e64 s0, 0, v20
	v_not_b32_e32 v20, v21
	v_lshlrev_b32_e32 v68, 26, v17
	v_cmp_ne_u32_e32 vcc_lo, 0, v23
	v_ashrrev_i32_e32 v23, 31, v70
	v_lshlrev_b32_e32 v69, 25, v17
	v_ashrrev_i32_e32 v20, 31, v20
	v_and_b32_e32 v18, 0xff, v17
	s_wait_alu 0xfffd
	v_xor_b32_e32 v19, vcc_lo, v19
	v_cmp_gt_i32_e32 vcc_lo, 0, v21
	v_not_b32_e32 v21, v22
	s_wait_alu 0xf1ff
	v_xor_b32_e32 v23, s0, v23
	v_cmp_gt_i32_e64 s0, 0, v22
	v_and_b32_e32 v19, exec_lo, v19
	v_not_b32_e32 v22, v67
	v_ashrrev_i32_e32 v21, 31, v21
	s_wait_alu 0xfffd
	v_xor_b32_e32 v20, vcc_lo, v20
	v_cmp_gt_i32_e32 vcc_lo, 0, v67
	v_and_b32_e32 v19, v19, v23
	v_not_b32_e32 v23, v68
	v_ashrrev_i32_e32 v22, 31, v22
	s_wait_alu 0xf1ff
	v_xor_b32_e32 v21, s0, v21
	v_lshlrev_b32_e32 v17, 24, v17
	v_and_b32_e32 v19, v19, v20
	v_cmp_gt_i32_e64 s0, 0, v68
	v_not_b32_e32 v20, v69
	v_ashrrev_i32_e32 v23, 31, v23
	s_wait_alu 0xfffd
	v_xor_b32_e32 v22, vcc_lo, v22
	v_and_b32_e32 v19, v19, v21
	v_cmp_gt_i32_e32 vcc_lo, 0, v69
	v_not_b32_e32 v21, v17
	v_ashrrev_i32_e32 v20, 31, v20
	s_wait_alu 0xf1ff
	v_xor_b32_e32 v23, s0, v23
	v_and_b32_e32 v19, v19, v22
	v_lshlrev_b32_e32 v18, 5, v18
	v_cmp_gt_i32_e64 s0, 0, v17
	v_ashrrev_i32_e32 v17, 31, v21
	s_wait_alu 0xfffd
	v_xor_b32_e32 v20, vcc_lo, v20
	v_and_b32_e32 v19, v19, v23
	v_add_nc_u32_e32 v69, v16, v18
	s_wait_alu 0xf1ff
	v_xor_b32_e32 v17, s0, v17
	s_delay_alu instid0(VALU_DEP_3) | instskip(SKIP_2) | instid1(VALU_DEP_1)
	v_and_b32_e32 v18, v19, v20
	ds_load_b32 v67, v69 offset:32
	; wave barrier
	v_and_b32_e32 v17, v18, v17
	v_mbcnt_lo_u32_b32 v68, v17, 0
	v_cmp_ne_u32_e64 s0, 0, v17
	s_delay_alu instid0(VALU_DEP_2)
	v_cmp_eq_u32_e32 vcc_lo, 0, v68
	s_and_b32 s18, s0, vcc_lo
	s_wait_alu 0xfffe
	s_and_saveexec_b32 s0, s18
	s_cbranch_execz .LBB96_85
; %bb.84:
	s_wait_dscnt 0x0
	v_bcnt_u32_b32 v17, v17, v67
	ds_store_b32 v69, v17 offset:32
.LBB96_85:
	s_wait_alu 0xfffe
	s_or_b32 exec_lo, exec_lo, s0
	v_and_b32_e32 v17, s1, v29
	; wave barrier
	s_delay_alu instid0(VALU_DEP_1)
	v_and_b32_e32 v19, 1, v17
	v_lshlrev_b32_e32 v20, 30, v17
	v_lshlrev_b32_e32 v21, 29, v17
	;; [unrolled: 1-line block ×4, first 2 shown]
	v_add_co_u32 v19, s0, v19, -1
	s_wait_alu 0xf1ff
	v_cndmask_b32_e64 v23, 0, 1, s0
	v_not_b32_e32 v73, v20
	v_cmp_gt_i32_e64 s0, 0, v20
	v_not_b32_e32 v20, v21
	v_lshlrev_b32_e32 v71, 26, v17
	v_cmp_ne_u32_e32 vcc_lo, 0, v23
	v_ashrrev_i32_e32 v23, 31, v73
	v_lshlrev_b32_e32 v72, 25, v17
	v_ashrrev_i32_e32 v20, 31, v20
	v_and_b32_e32 v18, 0xff, v17
	s_wait_alu 0xfffd
	v_xor_b32_e32 v19, vcc_lo, v19
	v_cmp_gt_i32_e32 vcc_lo, 0, v21
	v_not_b32_e32 v21, v22
	s_wait_alu 0xf1ff
	v_xor_b32_e32 v23, s0, v23
	v_cmp_gt_i32_e64 s0, 0, v22
	v_and_b32_e32 v19, exec_lo, v19
	v_not_b32_e32 v22, v70
	v_ashrrev_i32_e32 v21, 31, v21
	s_wait_alu 0xfffd
	v_xor_b32_e32 v20, vcc_lo, v20
	v_cmp_gt_i32_e32 vcc_lo, 0, v70
	v_and_b32_e32 v19, v19, v23
	v_not_b32_e32 v23, v71
	v_ashrrev_i32_e32 v22, 31, v22
	s_wait_alu 0xf1ff
	v_xor_b32_e32 v21, s0, v21
	v_lshlrev_b32_e32 v17, 24, v17
	v_and_b32_e32 v19, v19, v20
	v_cmp_gt_i32_e64 s0, 0, v71
	v_not_b32_e32 v20, v72
	v_ashrrev_i32_e32 v23, 31, v23
	s_wait_alu 0xfffd
	v_xor_b32_e32 v22, vcc_lo, v22
	v_and_b32_e32 v19, v19, v21
	v_cmp_gt_i32_e32 vcc_lo, 0, v72
	v_not_b32_e32 v21, v17
	v_ashrrev_i32_e32 v20, 31, v20
	s_wait_alu 0xf1ff
	v_xor_b32_e32 v23, s0, v23
	v_and_b32_e32 v19, v19, v22
	v_lshlrev_b32_e32 v18, 5, v18
	v_cmp_gt_i32_e64 s0, 0, v17
	v_ashrrev_i32_e32 v17, 31, v21
	s_wait_alu 0xfffd
	v_xor_b32_e32 v20, vcc_lo, v20
	v_and_b32_e32 v19, v19, v23
	v_add_nc_u32_e32 v72, v16, v18
	s_wait_alu 0xf1ff
	v_xor_b32_e32 v17, s0, v17
	s_delay_alu instid0(VALU_DEP_3) | instskip(SKIP_2) | instid1(VALU_DEP_1)
	v_and_b32_e32 v18, v19, v20
	ds_load_b32 v70, v72 offset:32
	; wave barrier
	v_and_b32_e32 v17, v18, v17
	v_mbcnt_lo_u32_b32 v71, v17, 0
	v_cmp_ne_u32_e64 s0, 0, v17
	s_delay_alu instid0(VALU_DEP_2)
	v_cmp_eq_u32_e32 vcc_lo, 0, v71
	s_and_b32 s18, s0, vcc_lo
	s_wait_alu 0xfffe
	s_and_saveexec_b32 s0, s18
	s_cbranch_execz .LBB96_87
; %bb.86:
	s_wait_dscnt 0x0
	v_bcnt_u32_b32 v17, v17, v70
	ds_store_b32 v72, v17 offset:32
.LBB96_87:
	s_wait_alu 0xfffe
	s_or_b32 exec_lo, exec_lo, s0
	v_and_b32_e32 v17, s1, v30
	; wave barrier
	s_delay_alu instid0(VALU_DEP_1)
	v_and_b32_e32 v19, 1, v17
	v_lshlrev_b32_e32 v20, 30, v17
	v_lshlrev_b32_e32 v21, 29, v17
	;; [unrolled: 1-line block ×4, first 2 shown]
	v_add_co_u32 v19, s0, v19, -1
	s_wait_alu 0xf1ff
	v_cndmask_b32_e64 v23, 0, 1, s0
	v_not_b32_e32 v76, v20
	v_cmp_gt_i32_e64 s0, 0, v20
	v_not_b32_e32 v20, v21
	v_lshlrev_b32_e32 v74, 26, v17
	v_cmp_ne_u32_e32 vcc_lo, 0, v23
	v_ashrrev_i32_e32 v23, 31, v76
	v_lshlrev_b32_e32 v75, 25, v17
	v_ashrrev_i32_e32 v20, 31, v20
	v_and_b32_e32 v18, 0xff, v17
	s_wait_alu 0xfffd
	v_xor_b32_e32 v19, vcc_lo, v19
	v_cmp_gt_i32_e32 vcc_lo, 0, v21
	v_not_b32_e32 v21, v22
	s_wait_alu 0xf1ff
	v_xor_b32_e32 v23, s0, v23
	v_cmp_gt_i32_e64 s0, 0, v22
	v_and_b32_e32 v19, exec_lo, v19
	v_not_b32_e32 v22, v73
	v_ashrrev_i32_e32 v21, 31, v21
	s_wait_alu 0xfffd
	v_xor_b32_e32 v20, vcc_lo, v20
	v_cmp_gt_i32_e32 vcc_lo, 0, v73
	v_and_b32_e32 v19, v19, v23
	v_not_b32_e32 v23, v74
	v_ashrrev_i32_e32 v22, 31, v22
	s_wait_alu 0xf1ff
	v_xor_b32_e32 v21, s0, v21
	v_lshlrev_b32_e32 v17, 24, v17
	v_and_b32_e32 v19, v19, v20
	v_cmp_gt_i32_e64 s0, 0, v74
	v_not_b32_e32 v20, v75
	v_ashrrev_i32_e32 v23, 31, v23
	s_wait_alu 0xfffd
	v_xor_b32_e32 v22, vcc_lo, v22
	v_and_b32_e32 v19, v19, v21
	v_cmp_gt_i32_e32 vcc_lo, 0, v75
	v_not_b32_e32 v21, v17
	v_ashrrev_i32_e32 v20, 31, v20
	s_wait_alu 0xf1ff
	v_xor_b32_e32 v23, s0, v23
	v_and_b32_e32 v19, v19, v22
	v_lshlrev_b32_e32 v18, 5, v18
	v_cmp_gt_i32_e64 s0, 0, v17
	v_ashrrev_i32_e32 v17, 31, v21
	s_wait_alu 0xfffd
	v_xor_b32_e32 v20, vcc_lo, v20
	v_and_b32_e32 v19, v19, v23
	v_add_nc_u32_e32 v75, v16, v18
	s_wait_alu 0xf1ff
	v_xor_b32_e32 v17, s0, v17
	s_delay_alu instid0(VALU_DEP_3) | instskip(SKIP_2) | instid1(VALU_DEP_1)
	v_and_b32_e32 v18, v19, v20
	ds_load_b32 v73, v75 offset:32
	; wave barrier
	v_and_b32_e32 v17, v18, v17
	v_mbcnt_lo_u32_b32 v74, v17, 0
	v_cmp_ne_u32_e64 s0, 0, v17
	s_delay_alu instid0(VALU_DEP_2)
	v_cmp_eq_u32_e32 vcc_lo, 0, v74
	s_and_b32 s18, s0, vcc_lo
	s_wait_alu 0xfffe
	s_and_saveexec_b32 s0, s18
	s_cbranch_execz .LBB96_89
; %bb.88:
	s_wait_dscnt 0x0
	v_bcnt_u32_b32 v17, v17, v73
	ds_store_b32 v75, v17 offset:32
.LBB96_89:
	s_wait_alu 0xfffe
	s_or_b32 exec_lo, exec_lo, s0
	v_and_b32_e32 v17, s1, v31
	; wave barrier
	s_delay_alu instid0(VALU_DEP_1)
	v_and_b32_e32 v19, 1, v17
	v_lshlrev_b32_e32 v20, 30, v17
	v_lshlrev_b32_e32 v21, 29, v17
	;; [unrolled: 1-line block ×4, first 2 shown]
	v_add_co_u32 v19, s0, v19, -1
	s_wait_alu 0xf1ff
	v_cndmask_b32_e64 v23, 0, 1, s0
	v_not_b32_e32 v79, v20
	v_cmp_gt_i32_e64 s0, 0, v20
	v_not_b32_e32 v20, v21
	v_lshlrev_b32_e32 v77, 26, v17
	v_cmp_ne_u32_e32 vcc_lo, 0, v23
	v_ashrrev_i32_e32 v23, 31, v79
	v_lshlrev_b32_e32 v78, 25, v17
	v_ashrrev_i32_e32 v20, 31, v20
	v_and_b32_e32 v18, 0xff, v17
	s_wait_alu 0xfffd
	v_xor_b32_e32 v19, vcc_lo, v19
	v_cmp_gt_i32_e32 vcc_lo, 0, v21
	v_not_b32_e32 v21, v22
	s_wait_alu 0xf1ff
	v_xor_b32_e32 v23, s0, v23
	v_cmp_gt_i32_e64 s0, 0, v22
	v_and_b32_e32 v19, exec_lo, v19
	v_not_b32_e32 v22, v76
	v_ashrrev_i32_e32 v21, 31, v21
	s_wait_alu 0xfffd
	v_xor_b32_e32 v20, vcc_lo, v20
	v_cmp_gt_i32_e32 vcc_lo, 0, v76
	v_and_b32_e32 v19, v19, v23
	v_not_b32_e32 v23, v77
	v_ashrrev_i32_e32 v22, 31, v22
	s_wait_alu 0xf1ff
	v_xor_b32_e32 v21, s0, v21
	v_lshlrev_b32_e32 v17, 24, v17
	v_and_b32_e32 v19, v19, v20
	v_cmp_gt_i32_e64 s0, 0, v77
	v_not_b32_e32 v20, v78
	v_ashrrev_i32_e32 v23, 31, v23
	s_wait_alu 0xfffd
	v_xor_b32_e32 v22, vcc_lo, v22
	v_and_b32_e32 v19, v19, v21
	v_cmp_gt_i32_e32 vcc_lo, 0, v78
	v_not_b32_e32 v21, v17
	v_ashrrev_i32_e32 v20, 31, v20
	s_wait_alu 0xf1ff
	v_xor_b32_e32 v23, s0, v23
	v_and_b32_e32 v19, v19, v22
	v_lshlrev_b32_e32 v18, 5, v18
	v_cmp_gt_i32_e64 s0, 0, v17
	v_ashrrev_i32_e32 v17, 31, v21
	s_wait_alu 0xfffd
	v_xor_b32_e32 v20, vcc_lo, v20
	v_and_b32_e32 v19, v19, v23
	v_add_nc_u32_e32 v78, v16, v18
	s_wait_alu 0xf1ff
	v_xor_b32_e32 v16, s0, v17
	s_delay_alu instid0(VALU_DEP_3) | instskip(SKIP_2) | instid1(VALU_DEP_1)
	v_and_b32_e32 v17, v19, v20
	ds_load_b32 v76, v78 offset:32
	; wave barrier
	v_and_b32_e32 v16, v17, v16
	v_mbcnt_lo_u32_b32 v77, v16, 0
	v_cmp_ne_u32_e64 s0, 0, v16
	s_delay_alu instid0(VALU_DEP_2)
	v_cmp_eq_u32_e32 vcc_lo, 0, v77
	s_and_b32 s1, s0, vcc_lo
	s_wait_alu 0xfffe
	s_and_saveexec_b32 s0, s1
	s_cbranch_execz .LBB96_91
; %bb.90:
	s_wait_dscnt 0x0
	v_bcnt_u32_b32 v16, v16, v76
	ds_store_b32 v78, v16 offset:32
.LBB96_91:
	s_wait_alu 0xfffe
	s_or_b32 exec_lo, exec_lo, s0
	; wave barrier
	s_wait_loadcnt_dscnt 0x0
	s_barrier_signal -1
	s_barrier_wait -1
	global_inv scope:SCOPE_SE
	ds_load_b128 v[20:23], v64 offset:32
	ds_load_b128 v[16:19], v64 offset:48
	v_min_u32_e32 v66, 0xe0, v66
	s_mov_b32 s0, exec_lo
	s_delay_alu instid0(VALU_DEP_1) | instskip(SKIP_2) | instid1(VALU_DEP_1)
	v_or_b32_e32 v66, 31, v66
	s_wait_dscnt 0x1
	v_add_nc_u32_e32 v79, v21, v20
	v_add3_u32 v79, v79, v22, v23
	s_wait_dscnt 0x0
	s_delay_alu instid0(VALU_DEP_1) | instskip(NEXT) | instid1(VALU_DEP_1)
	v_add3_u32 v79, v79, v16, v17
	v_add3_u32 v19, v79, v18, v19
	s_delay_alu instid0(VALU_DEP_1) | instskip(SKIP_1) | instid1(VALU_DEP_1)
	v_mov_b32_dpp v80, v19 row_shr:1 row_mask:0xf bank_mask:0xf
	v_and_b32_e32 v79, 15, v65
	v_cmp_ne_u32_e32 vcc_lo, 0, v79
	s_wait_alu 0xfffd
	s_delay_alu instid0(VALU_DEP_3) | instskip(SKIP_1) | instid1(VALU_DEP_2)
	v_cndmask_b32_e32 v80, 0, v80, vcc_lo
	v_cmp_lt_u32_e32 vcc_lo, 1, v79
	v_add_nc_u32_e32 v19, v80, v19
	s_delay_alu instid0(VALU_DEP_1) | instskip(SKIP_1) | instid1(VALU_DEP_1)
	v_mov_b32_dpp v80, v19 row_shr:2 row_mask:0xf bank_mask:0xf
	s_wait_alu 0xfffd
	v_cndmask_b32_e32 v80, 0, v80, vcc_lo
	v_cmp_lt_u32_e32 vcc_lo, 3, v79
	s_delay_alu instid0(VALU_DEP_2) | instskip(NEXT) | instid1(VALU_DEP_1)
	v_add_nc_u32_e32 v19, v19, v80
	v_mov_b32_dpp v80, v19 row_shr:4 row_mask:0xf bank_mask:0xf
	s_wait_alu 0xfffd
	s_delay_alu instid0(VALU_DEP_1) | instskip(SKIP_1) | instid1(VALU_DEP_2)
	v_cndmask_b32_e32 v80, 0, v80, vcc_lo
	v_cmp_lt_u32_e32 vcc_lo, 7, v79
	v_add_nc_u32_e32 v19, v19, v80
	s_delay_alu instid0(VALU_DEP_1) | instskip(SKIP_1) | instid1(VALU_DEP_1)
	v_mov_b32_dpp v80, v19 row_shr:8 row_mask:0xf bank_mask:0xf
	s_wait_alu 0xfffd
	v_cndmask_b32_e32 v79, 0, v80, vcc_lo
	v_bfe_i32 v80, v65, 4, 1
	s_delay_alu instid0(VALU_DEP_2) | instskip(SKIP_3) | instid1(VALU_DEP_1)
	v_add_nc_u32_e32 v19, v19, v79
	ds_swizzle_b32 v79, v19 offset:swizzle(BROADCAST,32,15)
	s_wait_dscnt 0x0
	v_and_b32_e32 v79, v80, v79
	v_add_nc_u32_e32 v19, v19, v79
	v_cmpx_eq_u32_e64 v41, v66
; %bb.92:
	v_lshlrev_b32_e32 v66, 2, v62
	ds_store_b32 v66, v19
; %bb.93:
	s_wait_alu 0xfffe
	s_or_b32 exec_lo, exec_lo, s0
	s_delay_alu instid0(SALU_CYCLE_1)
	s_mov_b32 s0, exec_lo
	s_wait_loadcnt_dscnt 0x0
	s_barrier_signal -1
	s_barrier_wait -1
	global_inv scope:SCOPE_SE
	v_cmpx_gt_u32_e32 8, v41
	s_cbranch_execz .LBB96_95
; %bb.94:
	v_lshlrev_b32_e32 v66, 2, v41
	v_and_b32_e32 v80, 7, v65
	ds_load_b32 v79, v66
	v_cmp_ne_u32_e32 vcc_lo, 0, v80
	s_wait_dscnt 0x0
	v_mov_b32_dpp v81, v79 row_shr:1 row_mask:0xf bank_mask:0xf
	s_wait_alu 0xfffd
	s_delay_alu instid0(VALU_DEP_1) | instskip(SKIP_1) | instid1(VALU_DEP_2)
	v_cndmask_b32_e32 v81, 0, v81, vcc_lo
	v_cmp_lt_u32_e32 vcc_lo, 1, v80
	v_add_nc_u32_e32 v79, v81, v79
	s_delay_alu instid0(VALU_DEP_1) | instskip(SKIP_1) | instid1(VALU_DEP_1)
	v_mov_b32_dpp v81, v79 row_shr:2 row_mask:0xf bank_mask:0xf
	s_wait_alu 0xfffd
	v_cndmask_b32_e32 v81, 0, v81, vcc_lo
	v_cmp_lt_u32_e32 vcc_lo, 3, v80
	s_delay_alu instid0(VALU_DEP_2) | instskip(NEXT) | instid1(VALU_DEP_1)
	v_add_nc_u32_e32 v79, v79, v81
	v_mov_b32_dpp v81, v79 row_shr:4 row_mask:0xf bank_mask:0xf
	s_wait_alu 0xfffd
	s_delay_alu instid0(VALU_DEP_1) | instskip(NEXT) | instid1(VALU_DEP_1)
	v_cndmask_b32_e32 v80, 0, v81, vcc_lo
	v_add_nc_u32_e32 v79, v79, v80
	ds_store_b32 v66, v79
.LBB96_95:
	s_wait_alu 0xfffe
	s_or_b32 exec_lo, exec_lo, s0
	v_mov_b32_e32 v66, 0
	s_mov_b32 s0, exec_lo
	s_wait_loadcnt_dscnt 0x0
	s_barrier_signal -1
	s_barrier_wait -1
	global_inv scope:SCOPE_SE
	v_cmpx_lt_u32_e32 31, v41
; %bb.96:
	v_lshl_add_u32 v62, v62, 2, -4
	ds_load_b32 v66, v62
; %bb.97:
	s_wait_alu 0xfffe
	s_or_b32 exec_lo, exec_lo, s0
	v_sub_co_u32 v62, vcc_lo, v65, 1
	s_wait_dscnt 0x0
	v_add_nc_u32_e32 v19, v66, v19
	s_delay_alu instid0(VALU_DEP_2) | instskip(SKIP_1) | instid1(VALU_DEP_1)
	v_cmp_gt_i32_e64 s0, 0, v62
	s_wait_alu 0xf1ff
	v_cndmask_b32_e64 v62, v62, v65, s0
	s_delay_alu instid0(VALU_DEP_1)
	v_lshlrev_b32_e32 v62, 2, v62
	ds_bpermute_b32 v19, v62, v19
	s_wait_dscnt 0x0
	s_wait_alu 0xfffd
	v_cndmask_b32_e32 v19, v19, v66, vcc_lo
	v_cmp_ne_u32_e32 vcc_lo, 0, v41
	s_wait_alu 0xfffd
	s_delay_alu instid0(VALU_DEP_2) | instskip(NEXT) | instid1(VALU_DEP_1)
	v_cndmask_b32_e32 v19, 0, v19, vcc_lo
	v_add_nc_u32_e32 v20, v19, v20
	s_delay_alu instid0(VALU_DEP_1) | instskip(NEXT) | instid1(VALU_DEP_1)
	v_add_nc_u32_e32 v21, v20, v21
	v_add_nc_u32_e32 v22, v21, v22
	s_delay_alu instid0(VALU_DEP_1) | instskip(NEXT) | instid1(VALU_DEP_1)
	v_add_nc_u32_e32 v79, v22, v23
	;; [unrolled: 3-line block ×3, first 2 shown]
	v_add_nc_u32_e32 v82, v81, v18
	ds_store_b128 v64, v[19:22] offset:32
	ds_store_b128 v64, v[79:82] offset:48
	s_wait_loadcnt_dscnt 0x0
	s_barrier_signal -1
	s_barrier_wait -1
	global_inv scope:SCOPE_SE
	ds_load_b32 v16, v33 offset:32
	ds_load_b32 v17, v36 offset:32
	ds_load_b32 v18, v39 offset:32
	ds_load_b32 v19, v43 offset:32
	ds_load_b32 v20, v69 offset:32
	ds_load_b32 v21, v72 offset:32
	ds_load_b32 v22, v75 offset:32
	ds_load_b32 v23, v78 offset:32
	v_mad_u32_u24 v36, v41, 56, v54
	s_wait_loadcnt_dscnt 0x0
	s_barrier_signal -1
	s_barrier_wait -1
	global_inv scope:SCOPE_SE
	v_add_nc_u32_e32 v16, v16, v32
	v_add3_u32 v17, v35, v34, v17
	v_add3_u32 v18, v38, v37, v18
	;; [unrolled: 1-line block ×7, first 2 shown]
	ds_store_b8 v16, v24
	ds_store_b8 v17, v25
	;; [unrolled: 1-line block ×8, first 2 shown]
	v_lshlrev_b32_e32 v16, 3, v16
	v_lshlrev_b32_e32 v17, 3, v17
	;; [unrolled: 1-line block ×8, first 2 shown]
	s_wait_loadcnt_dscnt 0x0
	s_barrier_signal -1
	s_barrier_wait -1
	global_inv scope:SCOPE_SE
	ds_load_b64 v[33:34], v54
	s_wait_loadcnt_dscnt 0x0
	s_barrier_signal -1
	s_barrier_wait -1
	global_inv scope:SCOPE_SE
	ds_store_b64 v16, v[0:1]
	ds_store_b64 v17, v[2:3]
	;; [unrolled: 1-line block ×8, first 2 shown]
	s_wait_loadcnt_dscnt 0x0
	s_barrier_signal -1
	s_barrier_wait -1
	global_inv scope:SCOPE_SE
	ds_load_b128 v[29:32], v36
	ds_load_b128 v[25:28], v36 offset:16
	ds_load_b128 v[21:24], v36 offset:32
	;; [unrolled: 1-line block ×3, first 2 shown]
	v_not_b32_e32 v33, v33
	v_not_b32_e32 v34, v34
.LBB96_98:
	s_wait_loadcnt_dscnt 0x0
	s_barrier_signal -1
	s_barrier_wait -1
	global_inv scope:SCOPE_SE
	ds_store_2addr_b32 v52, v33, v34 offset1:1
	s_wait_loadcnt_dscnt 0x0
	s_barrier_signal -1
	s_barrier_wait -1
	global_inv scope:SCOPE_SE
	ds_load_u8 v8, v45 offset:256
	ds_load_u8 v7, v46 offset:512
	;; [unrolled: 1-line block ×7, first 2 shown]
	v_mad_co_u64_u32 v[0:1], null, s12, v41, s[14:15]
	s_wait_dscnt 0x0
	s_delay_alu instid0(VALU_DEP_1) | instskip(NEXT) | instid1(VALU_DEP_1)
	v_mad_co_u64_u32 v[9:10], null, s13, v41, v[1:2]
	v_mov_b32_e32 v1, v9
	s_and_saveexec_b32 s0, s2
	s_cbranch_execnz .LBB96_117
; %bb.99:
	s_wait_alu 0xfffe
	s_or_b32 exec_lo, exec_lo, s0
	s_and_saveexec_b32 s0, s3
	s_cbranch_execnz .LBB96_118
.LBB96_100:
	s_wait_alu 0xfffe
	s_or_b32 exec_lo, exec_lo, s0
	s_and_saveexec_b32 s0, s4
	s_cbranch_execnz .LBB96_119
.LBB96_101:
	s_wait_alu 0xfffe
	s_or_b32 exec_lo, exec_lo, s0
	s_and_saveexec_b32 s0, s5
	s_cbranch_execnz .LBB96_120
.LBB96_102:
	s_wait_alu 0xfffe
	s_or_b32 exec_lo, exec_lo, s0
	s_and_saveexec_b32 s0, s6
	s_cbranch_execnz .LBB96_121
.LBB96_103:
	s_wait_alu 0xfffe
	s_or_b32 exec_lo, exec_lo, s0
	s_and_saveexec_b32 s0, s7
	s_cbranch_execnz .LBB96_122
.LBB96_104:
	s_wait_alu 0xfffe
	s_or_b32 exec_lo, exec_lo, s0
	s_and_saveexec_b32 s0, s8
	s_cbranch_execnz .LBB96_123
.LBB96_105:
	s_wait_alu 0xfffe
	s_or_b32 exec_lo, exec_lo, s0
	s_and_saveexec_b32 s0, s9
	s_cbranch_execz .LBB96_107
.LBB96_106:
	v_mad_co_u64_u32 v[0:1], null, 0x700, s12, v[0:1]
	s_delay_alu instid0(VALU_DEP_1) | instskip(NEXT) | instid1(VALU_DEP_1)
	v_mad_co_u64_u32 v[3:4], null, 0x700, s13, v[1:2]
	v_mov_b32_e32 v1, v3
	global_store_b8 v[0:1], v2, off
.LBB96_107:
	s_wait_alu 0xfffe
	s_or_b32 exec_lo, exec_lo, s0
	s_wait_kmcnt 0x0
	v_mad_co_u64_u32 v[2:3], null, s10, v41, 0
	s_wait_loadcnt 0x0
	s_wait_storecnt 0x0
	s_barrier_signal -1
	s_barrier_wait -1
	global_inv scope:SCOPE_SE
	ds_store_2addr_b64 v63, v[29:30], v[31:32] offset1:1
	ds_store_2addr_b64 v63, v[25:26], v[27:28] offset0:2 offset1:3
	ds_store_2addr_b64 v63, v[21:22], v[23:24] offset0:4 offset1:5
	;; [unrolled: 1-line block ×3, first 2 shown]
	s_wait_loadcnt_dscnt 0x0
	v_mov_b32_e32 v0, v3
	s_barrier_signal -1
	s_barrier_wait -1
	global_inv scope:SCOPE_SE
	v_mad_co_u64_u32 v[3:4], null, s11, v41, v[0:1]
	ds_load_b64 v[14:15], v55 offset:2048
	ds_load_b64 v[12:13], v56 offset:4096
	;; [unrolled: 1-line block ×7, first 2 shown]
	v_lshlrev_b64_e32 v[2:3], 3, v[2:3]
	s_delay_alu instid0(VALU_DEP_1) | instskip(SKIP_1) | instid1(VALU_DEP_2)
	v_add_co_u32 v2, vcc_lo, s16, v2
	s_wait_alu 0xfffd
	v_add_co_ci_u32_e64 v3, null, s17, v3, vcc_lo
	s_and_saveexec_b32 s0, s2
	s_cbranch_execnz .LBB96_124
; %bb.108:
	s_wait_alu 0xfffe
	s_or_b32 exec_lo, exec_lo, s0
	s_and_saveexec_b32 s0, s3
	s_cbranch_execnz .LBB96_125
.LBB96_109:
	s_wait_alu 0xfffe
	s_or_b32 exec_lo, exec_lo, s0
	s_and_saveexec_b32 s0, s4
	s_cbranch_execnz .LBB96_126
.LBB96_110:
	s_wait_alu 0xfffe
	s_or_b32 exec_lo, exec_lo, s0
	s_and_saveexec_b32 s0, s5
	s_cbranch_execnz .LBB96_127
.LBB96_111:
	s_wait_alu 0xfffe
	s_or_b32 exec_lo, exec_lo, s0
	s_and_saveexec_b32 s0, s6
	s_cbranch_execnz .LBB96_128
.LBB96_112:
	s_wait_alu 0xfffe
	s_or_b32 exec_lo, exec_lo, s0
	s_and_saveexec_b32 s0, s7
	s_cbranch_execnz .LBB96_129
.LBB96_113:
	s_wait_alu 0xfffe
	s_or_b32 exec_lo, exec_lo, s0
	s_and_saveexec_b32 s0, s8
	s_cbranch_execnz .LBB96_130
.LBB96_114:
	s_wait_alu 0xfffe
	s_or_b32 exec_lo, exec_lo, s0
	s_and_saveexec_b32 s0, s9
	s_cbranch_execz .LBB96_116
.LBB96_115:
	v_mad_co_u64_u32 v[2:3], null, 0x3800, s10, v[2:3]
	s_wait_dscnt 0x1
	s_delay_alu instid0(VALU_DEP_1)
	v_mad_co_u64_u32 v[3:4], null, 0x3800, s11, v[3:4]
	s_wait_dscnt 0x0
	global_store_b64 v[2:3], v[0:1], off
.LBB96_116:
	s_nop 0
	s_sendmsg sendmsg(MSG_DEALLOC_VGPRS)
	s_endpgm
.LBB96_117:
	ds_load_u8 v9, v44
	s_wait_dscnt 0x0
	global_store_b8 v[0:1], v9, off
	s_wait_alu 0xfffe
	s_or_b32 exec_lo, exec_lo, s0
	s_and_saveexec_b32 s0, s3
	s_cbranch_execz .LBB96_100
.LBB96_118:
	s_lshl_b64 s[14:15], s[12:13], 8
	s_wait_alu 0xfffe
	v_add_co_u32 v9, vcc_lo, v0, s14
	s_wait_alu 0xfffd
	v_add_co_ci_u32_e64 v10, null, s15, v1, vcc_lo
	global_store_b8 v[9:10], v8, off
	s_or_b32 exec_lo, exec_lo, s0
	s_and_saveexec_b32 s0, s4
	s_cbranch_execz .LBB96_101
.LBB96_119:
	s_lshl_b64 s[14:15], s[12:13], 9
	s_wait_alu 0xfffe
	v_add_co_u32 v8, vcc_lo, v0, s14
	s_wait_alu 0xfffd
	v_add_co_ci_u32_e64 v9, null, s15, v1, vcc_lo
	global_store_b8 v[8:9], v7, off
	s_or_b32 exec_lo, exec_lo, s0
	s_and_saveexec_b32 s0, s5
	s_cbranch_execz .LBB96_102
.LBB96_120:
	v_mad_co_u64_u32 v[7:8], null, 0x300, s12, v[0:1]
	s_delay_alu instid0(VALU_DEP_1)
	v_mad_co_u64_u32 v[8:9], null, 0x300, s13, v[8:9]
	global_store_b8 v[7:8], v6, off
	s_wait_alu 0xfffe
	s_or_b32 exec_lo, exec_lo, s0
	s_and_saveexec_b32 s0, s6
	s_cbranch_execz .LBB96_103
.LBB96_121:
	s_lshl_b64 s[14:15], s[12:13], 10
	s_wait_alu 0xfffe
	v_add_co_u32 v6, vcc_lo, v0, s14
	s_wait_alu 0xfffd
	v_add_co_ci_u32_e64 v7, null, s15, v1, vcc_lo
	global_store_b8 v[6:7], v5, off
	s_or_b32 exec_lo, exec_lo, s0
	s_and_saveexec_b32 s0, s7
	s_cbranch_execz .LBB96_104
.LBB96_122:
	v_mad_co_u64_u32 v[5:6], null, 0x500, s12, v[0:1]
	s_delay_alu instid0(VALU_DEP_1)
	v_mad_co_u64_u32 v[6:7], null, 0x500, s13, v[6:7]
	global_store_b8 v[5:6], v4, off
	s_wait_alu 0xfffe
	s_or_b32 exec_lo, exec_lo, s0
	s_and_saveexec_b32 s0, s8
	s_cbranch_execz .LBB96_105
.LBB96_123:
	v_mad_co_u64_u32 v[4:5], null, 0x600, s12, v[0:1]
	s_delay_alu instid0(VALU_DEP_1)
	v_mad_co_u64_u32 v[5:6], null, 0x600, s13, v[5:6]
	global_store_b8 v[4:5], v3, off
	s_wait_alu 0xfffe
	s_or_b32 exec_lo, exec_lo, s0
	s_and_saveexec_b32 s0, s9
	s_cbranch_execnz .LBB96_106
	s_branch .LBB96_107
.LBB96_124:
	ds_load_b64 v[16:17], v53
	s_wait_dscnt 0x0
	global_store_b64 v[2:3], v[16:17], off
	s_wait_alu 0xfffe
	s_or_b32 exec_lo, exec_lo, s0
	s_and_saveexec_b32 s0, s3
	s_cbranch_execz .LBB96_109
.LBB96_125:
	s_lshl_b64 s[2:3], s[10:11], 11
	s_wait_alu 0xfffe
	v_add_co_u32 v16, vcc_lo, v2, s2
	s_wait_alu 0xfffd
	v_add_co_ci_u32_e64 v17, null, s3, v3, vcc_lo
	s_wait_dscnt 0x6
	global_store_b64 v[16:17], v[14:15], off
	s_or_b32 exec_lo, exec_lo, s0
	s_and_saveexec_b32 s0, s4
	s_cbranch_execz .LBB96_110
.LBB96_126:
	s_lshl_b64 s[2:3], s[10:11], 12
	s_wait_dscnt 0x6
	s_wait_alu 0xfffe
	v_add_co_u32 v14, vcc_lo, v2, s2
	s_wait_alu 0xfffd
	v_add_co_ci_u32_e64 v15, null, s3, v3, vcc_lo
	s_wait_dscnt 0x5
	global_store_b64 v[14:15], v[12:13], off
	s_or_b32 exec_lo, exec_lo, s0
	s_and_saveexec_b32 s0, s5
	s_cbranch_execz .LBB96_111
.LBB96_127:
	s_wait_dscnt 0x5
	v_mad_co_u64_u32 v[12:13], null, 0x1800, s10, v[2:3]
	s_delay_alu instid0(VALU_DEP_1)
	v_mad_co_u64_u32 v[13:14], null, 0x1800, s11, v[13:14]
	s_wait_dscnt 0x4
	global_store_b64 v[12:13], v[10:11], off
	s_wait_alu 0xfffe
	s_or_b32 exec_lo, exec_lo, s0
	s_and_saveexec_b32 s0, s6
	s_cbranch_execz .LBB96_112
.LBB96_128:
	s_lshl_b64 s[2:3], s[10:11], 13
	s_wait_dscnt 0x4
	s_wait_alu 0xfffe
	v_add_co_u32 v10, vcc_lo, v2, s2
	s_wait_alu 0xfffd
	v_add_co_ci_u32_e64 v11, null, s3, v3, vcc_lo
	s_wait_dscnt 0x3
	global_store_b64 v[10:11], v[8:9], off
	s_or_b32 exec_lo, exec_lo, s0
	s_and_saveexec_b32 s0, s7
	s_cbranch_execz .LBB96_113
.LBB96_129:
	s_wait_dscnt 0x3
	v_mad_co_u64_u32 v[8:9], null, 0x2800, s10, v[2:3]
	s_delay_alu instid0(VALU_DEP_1)
	v_mad_co_u64_u32 v[9:10], null, 0x2800, s11, v[9:10]
	s_wait_dscnt 0x2
	global_store_b64 v[8:9], v[6:7], off
	s_wait_alu 0xfffe
	s_or_b32 exec_lo, exec_lo, s0
	s_and_saveexec_b32 s0, s8
	s_cbranch_execz .LBB96_114
.LBB96_130:
	s_wait_dscnt 0x2
	v_mad_co_u64_u32 v[6:7], null, 0x3000, s10, v[2:3]
	s_delay_alu instid0(VALU_DEP_1)
	v_mad_co_u64_u32 v[7:8], null, 0x3000, s11, v[7:8]
	s_wait_dscnt 0x1
	global_store_b64 v[6:7], v[4:5], off
	s_wait_alu 0xfffe
	s_or_b32 exec_lo, exec_lo, s0
	s_and_saveexec_b32 s0, s9
	s_cbranch_execnz .LBB96_115
	s_branch .LBB96_116
	.section	.rodata,"a",@progbits
	.p2align	6, 0x0
	.amdhsa_kernel _ZN2at6native18radixSortKVInPlaceILin1ELin1ELi256ELi8EhlmEEvNS_4cuda6detail10TensorInfoIT3_T5_EES6_S6_S6_NS4_IT4_S6_EES6_b
		.amdhsa_group_segment_fixed_size 16896
		.amdhsa_private_segment_fixed_size 0
		.amdhsa_kernarg_size 1128
		.amdhsa_user_sgpr_count 2
		.amdhsa_user_sgpr_dispatch_ptr 0
		.amdhsa_user_sgpr_queue_ptr 0
		.amdhsa_user_sgpr_kernarg_segment_ptr 1
		.amdhsa_user_sgpr_dispatch_id 0
		.amdhsa_user_sgpr_private_segment_size 0
		.amdhsa_wavefront_size32 1
		.amdhsa_uses_dynamic_stack 0
		.amdhsa_enable_private_segment 0
		.amdhsa_system_sgpr_workgroup_id_x 1
		.amdhsa_system_sgpr_workgroup_id_y 1
		.amdhsa_system_sgpr_workgroup_id_z 1
		.amdhsa_system_sgpr_workgroup_info 0
		.amdhsa_system_vgpr_workitem_id 2
		.amdhsa_next_free_vgpr 103
		.amdhsa_next_free_sgpr 36
		.amdhsa_reserve_vcc 1
		.amdhsa_float_round_mode_32 0
		.amdhsa_float_round_mode_16_64 0
		.amdhsa_float_denorm_mode_32 3
		.amdhsa_float_denorm_mode_16_64 3
		.amdhsa_fp16_overflow 0
		.amdhsa_workgroup_processor_mode 1
		.amdhsa_memory_ordered 1
		.amdhsa_forward_progress 1
		.amdhsa_inst_pref_size 111
		.amdhsa_round_robin_scheduling 0
		.amdhsa_exception_fp_ieee_invalid_op 0
		.amdhsa_exception_fp_denorm_src 0
		.amdhsa_exception_fp_ieee_div_zero 0
		.amdhsa_exception_fp_ieee_overflow 0
		.amdhsa_exception_fp_ieee_underflow 0
		.amdhsa_exception_fp_ieee_inexact 0
		.amdhsa_exception_int_div_zero 0
	.end_amdhsa_kernel
	.section	.text._ZN2at6native18radixSortKVInPlaceILin1ELin1ELi256ELi8EhlmEEvNS_4cuda6detail10TensorInfoIT3_T5_EES6_S6_S6_NS4_IT4_S6_EES6_b,"axG",@progbits,_ZN2at6native18radixSortKVInPlaceILin1ELin1ELi256ELi8EhlmEEvNS_4cuda6detail10TensorInfoIT3_T5_EES6_S6_S6_NS4_IT4_S6_EES6_b,comdat
.Lfunc_end96:
	.size	_ZN2at6native18radixSortKVInPlaceILin1ELin1ELi256ELi8EhlmEEvNS_4cuda6detail10TensorInfoIT3_T5_EES6_S6_S6_NS4_IT4_S6_EES6_b, .Lfunc_end96-_ZN2at6native18radixSortKVInPlaceILin1ELin1ELi256ELi8EhlmEEvNS_4cuda6detail10TensorInfoIT3_T5_EES6_S6_S6_NS4_IT4_S6_EES6_b
                                        ; -- End function
	.set _ZN2at6native18radixSortKVInPlaceILin1ELin1ELi256ELi8EhlmEEvNS_4cuda6detail10TensorInfoIT3_T5_EES6_S6_S6_NS4_IT4_S6_EES6_b.num_vgpr, 103
	.set _ZN2at6native18radixSortKVInPlaceILin1ELin1ELi256ELi8EhlmEEvNS_4cuda6detail10TensorInfoIT3_T5_EES6_S6_S6_NS4_IT4_S6_EES6_b.num_agpr, 0
	.set _ZN2at6native18radixSortKVInPlaceILin1ELin1ELi256ELi8EhlmEEvNS_4cuda6detail10TensorInfoIT3_T5_EES6_S6_S6_NS4_IT4_S6_EES6_b.numbered_sgpr, 36
	.set _ZN2at6native18radixSortKVInPlaceILin1ELin1ELi256ELi8EhlmEEvNS_4cuda6detail10TensorInfoIT3_T5_EES6_S6_S6_NS4_IT4_S6_EES6_b.num_named_barrier, 0
	.set _ZN2at6native18radixSortKVInPlaceILin1ELin1ELi256ELi8EhlmEEvNS_4cuda6detail10TensorInfoIT3_T5_EES6_S6_S6_NS4_IT4_S6_EES6_b.private_seg_size, 0
	.set _ZN2at6native18radixSortKVInPlaceILin1ELin1ELi256ELi8EhlmEEvNS_4cuda6detail10TensorInfoIT3_T5_EES6_S6_S6_NS4_IT4_S6_EES6_b.uses_vcc, 1
	.set _ZN2at6native18radixSortKVInPlaceILin1ELin1ELi256ELi8EhlmEEvNS_4cuda6detail10TensorInfoIT3_T5_EES6_S6_S6_NS4_IT4_S6_EES6_b.uses_flat_scratch, 0
	.set _ZN2at6native18radixSortKVInPlaceILin1ELin1ELi256ELi8EhlmEEvNS_4cuda6detail10TensorInfoIT3_T5_EES6_S6_S6_NS4_IT4_S6_EES6_b.has_dyn_sized_stack, 0
	.set _ZN2at6native18radixSortKVInPlaceILin1ELin1ELi256ELi8EhlmEEvNS_4cuda6detail10TensorInfoIT3_T5_EES6_S6_S6_NS4_IT4_S6_EES6_b.has_recursion, 0
	.set _ZN2at6native18radixSortKVInPlaceILin1ELin1ELi256ELi8EhlmEEvNS_4cuda6detail10TensorInfoIT3_T5_EES6_S6_S6_NS4_IT4_S6_EES6_b.has_indirect_call, 0
	.section	.AMDGPU.csdata,"",@progbits
; Kernel info:
; codeLenInByte = 14164
; TotalNumSgprs: 38
; NumVgprs: 103
; ScratchSize: 0
; MemoryBound: 0
; FloatMode: 240
; IeeeMode: 1
; LDSByteSize: 16896 bytes/workgroup (compile time only)
; SGPRBlocks: 0
; VGPRBlocks: 12
; NumSGPRsForWavesPerEU: 38
; NumVGPRsForWavesPerEU: 103
; Occupancy: 12
; WaveLimiterHint : 1
; COMPUTE_PGM_RSRC2:SCRATCH_EN: 0
; COMPUTE_PGM_RSRC2:USER_SGPR: 2
; COMPUTE_PGM_RSRC2:TRAP_HANDLER: 0
; COMPUTE_PGM_RSRC2:TGID_X_EN: 1
; COMPUTE_PGM_RSRC2:TGID_Y_EN: 1
; COMPUTE_PGM_RSRC2:TGID_Z_EN: 1
; COMPUTE_PGM_RSRC2:TIDIG_COMP_CNT: 2
	.section	.text._ZN2at6native18radixSortKVInPlaceILin1ELin1ELi128ELi8EhlmEEvNS_4cuda6detail10TensorInfoIT3_T5_EES6_S6_S6_NS4_IT4_S6_EES6_b,"axG",@progbits,_ZN2at6native18radixSortKVInPlaceILin1ELin1ELi128ELi8EhlmEEvNS_4cuda6detail10TensorInfoIT3_T5_EES6_S6_S6_NS4_IT4_S6_EES6_b,comdat
	.protected	_ZN2at6native18radixSortKVInPlaceILin1ELin1ELi128ELi8EhlmEEvNS_4cuda6detail10TensorInfoIT3_T5_EES6_S6_S6_NS4_IT4_S6_EES6_b ; -- Begin function _ZN2at6native18radixSortKVInPlaceILin1ELin1ELi128ELi8EhlmEEvNS_4cuda6detail10TensorInfoIT3_T5_EES6_S6_S6_NS4_IT4_S6_EES6_b
	.globl	_ZN2at6native18radixSortKVInPlaceILin1ELin1ELi128ELi8EhlmEEvNS_4cuda6detail10TensorInfoIT3_T5_EES6_S6_S6_NS4_IT4_S6_EES6_b
	.p2align	8
	.type	_ZN2at6native18radixSortKVInPlaceILin1ELin1ELi128ELi8EhlmEEvNS_4cuda6detail10TensorInfoIT3_T5_EES6_S6_S6_NS4_IT4_S6_EES6_b,@function
_ZN2at6native18radixSortKVInPlaceILin1ELin1ELi128ELi8EhlmEEvNS_4cuda6detail10TensorInfoIT3_T5_EES6_S6_S6_NS4_IT4_S6_EES6_b: ; @_ZN2at6native18radixSortKVInPlaceILin1ELin1ELi128ELi8EhlmEEvNS_4cuda6detail10TensorInfoIT3_T5_EES6_S6_S6_NS4_IT4_S6_EES6_b
; %bb.0:
	s_clause 0x1
	s_load_b64 s[2:3], s[0:1], 0x368
	s_load_b128 s[8:11], s[0:1], 0x1a0
	s_lshr_b32 s4, ttmp7, 16
	s_and_b32 s5, ttmp7, 0xffff
	s_wait_kmcnt 0x0
	s_mul_i32 s3, s3, s4
	s_delay_alu instid0(SALU_CYCLE_1) | instskip(NEXT) | instid1(SALU_CYCLE_1)
	s_add_co_i32 s3, s3, s5
	s_mul_i32 s2, s3, s2
	s_mov_b32 s3, 0
	s_add_co_i32 s2, s2, ttmp9
	s_delay_alu instid0(SALU_CYCLE_1)
	v_cmp_le_u64_e64 s4, s[8:9], s[2:3]
	s_and_b32 vcc_lo, exec_lo, s4
	s_cbranch_vccnz .LBB97_116
; %bb.1:
	s_clause 0x1
	s_load_b32 s9, s[0:1], 0x198
	s_load_b64 s[12:13], s[0:1], 0x1b0
	s_mov_b64 s[4:5], 0
	s_mov_b64 s[6:7], s[2:3]
	s_wait_kmcnt 0x0
	s_cmp_lt_i32 s9, 2
	s_cbranch_scc1 .LBB97_9
; %bb.2:
	s_mov_b32 s8, 0
	s_add_co_i32 s4, s9, -1
	s_wait_alu 0xfffe
	s_mov_b32 s5, s8
	s_add_co_i32 s11, s9, 1
	s_lshl_b64 s[4:5], s[4:5], 3
	s_mov_b64 s[16:17], s[2:3]
	s_add_nc_u64 s[6:7], s[0:1], s[4:5]
	s_mov_b64 s[4:5], 0
	s_add_nc_u64 s[14:15], s[6:7], 8
.LBB97_3:                               ; =>This Inner Loop Header: Depth=1
	s_load_b64 s[18:19], s[14:15], 0x0
	s_wait_kmcnt 0x0
	s_or_b64 s[6:7], s[16:17], s[18:19]
	s_wait_alu 0xfffe
	s_mov_b32 s9, s7
                                        ; implicit-def: $sgpr6_sgpr7
	s_wait_alu 0xfffe
	s_cmp_lg_u64 s[8:9], 0
	s_mov_b32 s9, -1
	s_cbranch_scc0 .LBB97_5
; %bb.4:                                ;   in Loop: Header=BB97_3 Depth=1
	s_cvt_f32_u32 s6, s18
	s_cvt_f32_u32 s7, s19
	s_sub_nc_u64 s[20:21], 0, s[18:19]
	s_mov_b32 s23, s8
	s_mov_b32 s27, s8
	s_wait_alu 0xfffe
	s_fmamk_f32 s6, s7, 0x4f800000, s6
	s_wait_alu 0xfffe
	s_delay_alu instid0(SALU_CYCLE_2) | instskip(NEXT) | instid1(TRANS32_DEP_1)
	v_s_rcp_f32 s6, s6
	s_mul_f32 s6, s6, 0x5f7ffffc
	s_wait_alu 0xfffe
	s_delay_alu instid0(SALU_CYCLE_2) | instskip(SKIP_1) | instid1(SALU_CYCLE_2)
	s_mul_f32 s7, s6, 0x2f800000
	s_wait_alu 0xfffe
	s_trunc_f32 s7, s7
	s_wait_alu 0xfffe
	s_delay_alu instid0(SALU_CYCLE_2) | instskip(SKIP_2) | instid1(SALU_CYCLE_1)
	s_fmamk_f32 s6, s7, 0xcf800000, s6
	s_cvt_u32_f32 s7, s7
	s_wait_alu 0xfffe
	s_cvt_u32_f32 s6, s6
	s_wait_alu 0xfffe
	s_delay_alu instid0(SALU_CYCLE_2) | instskip(NEXT) | instid1(SALU_CYCLE_1)
	s_mul_u64 s[24:25], s[20:21], s[6:7]
	s_mul_hi_u32 s29, s6, s25
	s_mul_i32 s28, s6, s25
	s_mul_hi_u32 s22, s6, s24
	s_mul_i32 s26, s7, s24
	s_add_nc_u64 s[22:23], s[22:23], s[28:29]
	s_mul_hi_u32 s9, s7, s24
	s_mul_hi_u32 s30, s7, s25
	s_add_co_u32 s22, s22, s26
	s_wait_alu 0xfffe
	s_add_co_ci_u32 s26, s23, s9
	s_mul_i32 s24, s7, s25
	s_add_co_ci_u32 s25, s30, 0
	s_delay_alu instid0(SALU_CYCLE_1)
	s_add_nc_u64 s[22:23], s[26:27], s[24:25]
	s_mov_b32 s25, s8
	s_add_co_u32 s6, s6, s22
	s_cselect_b32 s9, -1, 0
	s_wait_alu 0xfffe
	s_cmp_lg_u32 s9, 0
	s_add_co_ci_u32 s7, s7, s23
	s_mov_b32 s23, s8
	s_wait_alu 0xfffe
	s_mul_u64 s[20:21], s[20:21], s[6:7]
	s_delay_alu instid0(SALU_CYCLE_1)
	s_mul_hi_u32 s27, s6, s21
	s_mul_i32 s26, s6, s21
	s_mul_hi_u32 s22, s6, s20
	s_mul_i32 s24, s7, s20
	s_add_nc_u64 s[22:23], s[22:23], s[26:27]
	s_mul_hi_u32 s9, s7, s20
	s_mul_hi_u32 s28, s7, s21
	s_mul_i32 s20, s7, s21
	s_add_co_u32 s21, s22, s24
	s_wait_alu 0xfffe
	s_add_co_ci_u32 s24, s23, s9
	s_add_co_ci_u32 s21, s28, 0
	s_mov_b32 s23, s8
	s_add_nc_u64 s[20:21], s[24:25], s[20:21]
	s_delay_alu instid0(SALU_CYCLE_1)
	s_add_co_u32 s6, s6, s20
	s_cselect_b32 s9, -1, 0
	s_wait_alu 0xfffe
	s_mul_hi_u32 s22, s16, s6
	s_cmp_lg_u32 s9, 0
	s_mul_hi_u32 s9, s17, s6
	s_add_co_ci_u32 s20, s7, s21
	s_mul_i32 s21, s17, s6
	s_mul_hi_u32 s7, s16, s20
	s_mul_i32 s6, s16, s20
	s_mul_hi_u32 s26, s17, s20
	s_wait_alu 0xfffe
	s_add_nc_u64 s[6:7], s[22:23], s[6:7]
	s_mul_i32 s20, s17, s20
	s_wait_alu 0xfffe
	s_add_co_u32 s6, s6, s21
	s_add_co_ci_u32 s24, s7, s9
	s_add_co_ci_u32 s21, s26, 0
	s_delay_alu instid0(SALU_CYCLE_1) | instskip(SKIP_2) | instid1(SALU_CYCLE_1)
	s_add_nc_u64 s[6:7], s[24:25], s[20:21]
	s_wait_alu 0xfffe
	s_mul_u64 s[20:21], s[18:19], s[6:7]
	s_sub_co_u32 s9, s16, s20
	s_cselect_b32 s20, -1, 0
	s_sub_co_i32 s22, s17, s21
	s_cmp_lg_u32 s20, 0
	s_sub_co_ci_u32 s22, s22, s19
	s_wait_alu 0xfffe
	s_sub_co_u32 s23, s9, s18
	s_cselect_b32 s24, -1, 0
	s_delay_alu instid0(SALU_CYCLE_1) | instskip(SKIP_1) | instid1(SALU_CYCLE_1)
	s_cmp_lg_u32 s24, 0
	s_sub_co_ci_u32 s22, s22, 0
	s_cmp_ge_u32 s22, s19
	s_cselect_b32 s24, -1, 0
	s_cmp_ge_u32 s23, s18
	s_cselect_b32 s25, -1, 0
	s_cmp_eq_u32 s22, s19
	s_add_nc_u64 s[22:23], s[6:7], 1
	s_cselect_b32 s26, s25, s24
	s_add_nc_u64 s[24:25], s[6:7], 2
	s_cmp_lg_u32 s26, 0
	s_cselect_b32 s22, s24, s22
	s_cselect_b32 s23, s25, s23
	s_cmp_lg_u32 s20, 0
	s_sub_co_ci_u32 s20, s17, s21
	s_delay_alu instid0(SALU_CYCLE_1)
	s_cmp_ge_u32 s20, s19
	s_cselect_b32 s21, -1, 0
	s_cmp_ge_u32 s9, s18
	s_cselect_b32 s9, -1, 0
	s_cmp_eq_u32 s20, s19
	s_wait_alu 0xfffe
	s_cselect_b32 s9, s9, s21
	s_wait_alu 0xfffe
	s_cmp_lg_u32 s9, 0
	s_mov_b32 s9, 0
	s_cselect_b32 s7, s23, s7
	s_cselect_b32 s6, s22, s6
.LBB97_5:                               ;   in Loop: Header=BB97_3 Depth=1
	s_wait_alu 0xfffe
	s_and_not1_b32 vcc_lo, exec_lo, s9
	s_cbranch_vccnz .LBB97_7
; %bb.6:                                ;   in Loop: Header=BB97_3 Depth=1
	v_cvt_f32_u32_e32 v1, s18
	s_sub_co_i32 s7, 0, s18
	s_delay_alu instid0(VALU_DEP_1) | instskip(NEXT) | instid1(TRANS32_DEP_1)
	v_rcp_iflag_f32_e32 v1, v1
	v_mul_f32_e32 v1, 0x4f7ffffe, v1
	s_delay_alu instid0(VALU_DEP_1) | instskip(NEXT) | instid1(VALU_DEP_1)
	v_cvt_u32_f32_e32 v1, v1
	v_readfirstlane_b32 s6, v1
	s_wait_alu 0xfffe
	s_mul_i32 s7, s7, s6
	s_wait_alu 0xfffe
	s_mul_hi_u32 s7, s6, s7
	s_wait_alu 0xfffe
	s_add_co_i32 s6, s6, s7
	s_wait_alu 0xfffe
	s_mul_hi_u32 s6, s16, s6
	s_wait_alu 0xfffe
	s_mul_i32 s7, s6, s18
	s_add_co_i32 s9, s6, 1
	s_wait_alu 0xfffe
	s_sub_co_i32 s7, s16, s7
	s_wait_alu 0xfffe
	s_sub_co_i32 s20, s7, s18
	s_cmp_ge_u32 s7, s18
	s_cselect_b32 s6, s9, s6
	s_cselect_b32 s7, s20, s7
	s_wait_alu 0xfffe
	s_add_co_i32 s9, s6, 1
	s_cmp_ge_u32 s7, s18
	s_mov_b32 s7, s8
	s_wait_alu 0xfffe
	s_cselect_b32 s6, s9, s6
.LBB97_7:                               ;   in Loop: Header=BB97_3 Depth=1
	s_load_b64 s[20:21], s[14:15], 0xc8
	s_mul_u64 s[18:19], s[6:7], s[18:19]
	s_add_co_i32 s11, s11, -1
	s_wait_alu 0xfffe
	s_sub_nc_u64 s[16:17], s[16:17], s[18:19]
	s_cmp_gt_u32 s11, 2
	s_add_nc_u64 s[14:15], s[14:15], -8
	s_wait_kmcnt 0x0
	s_mul_u64 s[16:17], s[20:21], s[16:17]
	s_delay_alu instid0(SALU_CYCLE_1)
	s_add_nc_u64 s[4:5], s[16:17], s[4:5]
	s_cbranch_scc0 .LBB97_9
; %bb.8:                                ;   in Loop: Header=BB97_3 Depth=1
	s_mov_b64 s[16:17], s[6:7]
	s_branch .LBB97_3
.LBB97_9:
	s_load_b32 s9, s[0:1], 0x350
	s_add_nc_u64 s[18:19], s[0:1], 0x368
	s_mov_b64 s[16:17], 0
	s_wait_kmcnt 0x0
	s_cmp_lt_i32 s9, 2
	s_cbranch_scc1 .LBB97_17
; %bb.10:
	s_mov_b32 s8, 0
	s_add_co_i32 s14, s9, -1
	s_wait_alu 0xfffe
	s_mov_b32 s15, s8
	s_add_co_i32 s11, s9, 1
	s_lshl_b64 s[14:15], s[14:15], 3
	s_delay_alu instid0(SALU_CYCLE_1) | instskip(NEXT) | instid1(SALU_CYCLE_1)
	s_add_nc_u64 s[14:15], s[0:1], s[14:15]
	s_add_nc_u64 s[14:15], s[14:15], 0x1c0
.LBB97_11:                              ; =>This Inner Loop Header: Depth=1
	s_load_b64 s[22:23], s[14:15], 0x0
	s_wait_kmcnt 0x0
	s_or_b64 s[20:21], s[2:3], s[22:23]
	s_delay_alu instid0(SALU_CYCLE_1)
	s_mov_b32 s9, s21
                                        ; implicit-def: $sgpr20_sgpr21
	s_wait_alu 0xfffe
	s_cmp_lg_u64 s[8:9], 0
	s_mov_b32 s9, -1
	s_cbranch_scc0 .LBB97_13
; %bb.12:                               ;   in Loop: Header=BB97_11 Depth=1
	s_cvt_f32_u32 s9, s22
	s_cvt_f32_u32 s20, s23
	s_sub_nc_u64 s[24:25], 0, s[22:23]
	s_mov_b32 s27, s8
	s_mov_b32 s31, s8
	s_wait_alu 0xfffe
	s_fmamk_f32 s9, s20, 0x4f800000, s9
	s_wait_alu 0xfffe
	s_delay_alu instid0(SALU_CYCLE_2) | instskip(NEXT) | instid1(TRANS32_DEP_1)
	v_s_rcp_f32 s9, s9
	s_mul_f32 s9, s9, 0x5f7ffffc
	s_wait_alu 0xfffe
	s_delay_alu instid0(SALU_CYCLE_2) | instskip(NEXT) | instid1(SALU_CYCLE_3)
	s_mul_f32 s20, s9, 0x2f800000
	s_trunc_f32 s20, s20
	s_delay_alu instid0(SALU_CYCLE_3) | instskip(SKIP_2) | instid1(SALU_CYCLE_1)
	s_fmamk_f32 s9, s20, 0xcf800000, s9
	s_cvt_u32_f32 s21, s20
	s_wait_alu 0xfffe
	s_cvt_u32_f32 s20, s9
	s_delay_alu instid0(SALU_CYCLE_3) | instskip(NEXT) | instid1(SALU_CYCLE_1)
	s_mul_u64 s[28:29], s[24:25], s[20:21]
	s_mul_hi_u32 s35, s20, s29
	s_mul_i32 s34, s20, s29
	s_mul_hi_u32 s26, s20, s28
	s_mul_i32 s30, s21, s28
	s_add_nc_u64 s[26:27], s[26:27], s[34:35]
	s_mul_hi_u32 s9, s21, s28
	s_mul_hi_u32 s33, s21, s29
	s_add_co_u32 s26, s26, s30
	s_wait_alu 0xfffe
	s_add_co_ci_u32 s30, s27, s9
	s_mul_i32 s28, s21, s29
	s_add_co_ci_u32 s29, s33, 0
	s_delay_alu instid0(SALU_CYCLE_1)
	s_add_nc_u64 s[26:27], s[30:31], s[28:29]
	s_mov_b32 s29, s8
	s_add_co_u32 s20, s20, s26
	s_cselect_b32 s9, -1, 0
	s_wait_alu 0xfffe
	s_cmp_lg_u32 s9, 0
	s_add_co_ci_u32 s21, s21, s27
	s_mov_b32 s27, s8
	s_mul_u64 s[24:25], s[24:25], s[20:21]
	s_delay_alu instid0(SALU_CYCLE_1)
	s_mul_hi_u32 s31, s20, s25
	s_mul_i32 s30, s20, s25
	s_mul_hi_u32 s26, s20, s24
	s_mul_i32 s28, s21, s24
	s_add_nc_u64 s[26:27], s[26:27], s[30:31]
	s_mul_hi_u32 s9, s21, s24
	s_mul_hi_u32 s33, s21, s25
	s_mul_i32 s24, s21, s25
	s_add_co_u32 s25, s26, s28
	s_wait_alu 0xfffe
	s_add_co_ci_u32 s28, s27, s9
	s_add_co_ci_u32 s25, s33, 0
	s_mov_b32 s27, s8
	s_add_nc_u64 s[24:25], s[28:29], s[24:25]
	s_delay_alu instid0(SALU_CYCLE_1)
	s_add_co_u32 s9, s20, s24
	s_cselect_b32 s20, -1, 0
	s_wait_alu 0xfffe
	s_mul_hi_u32 s26, s2, s9
	s_cmp_lg_u32 s20, 0
	s_mul_hi_u32 s28, s3, s9
	s_add_co_ci_u32 s24, s21, s25
	s_mul_i32 s9, s3, s9
	s_mul_hi_u32 s21, s2, s24
	s_mul_i32 s20, s2, s24
	s_mul_hi_u32 s25, s3, s24
	s_add_nc_u64 s[20:21], s[26:27], s[20:21]
	s_mul_i32 s24, s3, s24
	s_wait_alu 0xfffe
	s_add_co_u32 s9, s20, s9
	s_add_co_ci_u32 s28, s21, s28
	s_add_co_ci_u32 s25, s25, 0
	s_delay_alu instid0(SALU_CYCLE_1) | instskip(NEXT) | instid1(SALU_CYCLE_1)
	s_add_nc_u64 s[20:21], s[28:29], s[24:25]
	s_mul_u64 s[24:25], s[22:23], s[20:21]
	s_delay_alu instid0(SALU_CYCLE_1)
	s_sub_co_u32 s9, s2, s24
	s_cselect_b32 s24, -1, 0
	s_sub_co_i32 s26, s3, s25
	s_cmp_lg_u32 s24, 0
	s_sub_co_ci_u32 s26, s26, s23
	s_wait_alu 0xfffe
	s_sub_co_u32 s27, s9, s22
	s_cselect_b32 s28, -1, 0
	s_delay_alu instid0(SALU_CYCLE_1) | instskip(SKIP_1) | instid1(SALU_CYCLE_1)
	s_cmp_lg_u32 s28, 0
	s_sub_co_ci_u32 s26, s26, 0
	s_cmp_ge_u32 s26, s23
	s_cselect_b32 s28, -1, 0
	s_cmp_ge_u32 s27, s22
	s_cselect_b32 s29, -1, 0
	s_cmp_eq_u32 s26, s23
	s_add_nc_u64 s[26:27], s[20:21], 1
	s_cselect_b32 s30, s29, s28
	s_add_nc_u64 s[28:29], s[20:21], 2
	s_cmp_lg_u32 s30, 0
	s_cselect_b32 s26, s28, s26
	s_cselect_b32 s27, s29, s27
	s_cmp_lg_u32 s24, 0
	s_sub_co_ci_u32 s24, s3, s25
	s_delay_alu instid0(SALU_CYCLE_1)
	s_cmp_ge_u32 s24, s23
	s_cselect_b32 s25, -1, 0
	s_cmp_ge_u32 s9, s22
	s_cselect_b32 s9, -1, 0
	s_cmp_eq_u32 s24, s23
	s_wait_alu 0xfffe
	s_cselect_b32 s9, s9, s25
	s_wait_alu 0xfffe
	s_cmp_lg_u32 s9, 0
	s_mov_b32 s9, 0
	s_cselect_b32 s21, s27, s21
	s_cselect_b32 s20, s26, s20
.LBB97_13:                              ;   in Loop: Header=BB97_11 Depth=1
	s_wait_alu 0xfffe
	s_and_not1_b32 vcc_lo, exec_lo, s9
	s_cbranch_vccnz .LBB97_15
; %bb.14:                               ;   in Loop: Header=BB97_11 Depth=1
	v_cvt_f32_u32_e32 v1, s22
	s_sub_co_i32 s20, 0, s22
	s_delay_alu instid0(VALU_DEP_1) | instskip(NEXT) | instid1(TRANS32_DEP_1)
	v_rcp_iflag_f32_e32 v1, v1
	v_mul_f32_e32 v1, 0x4f7ffffe, v1
	s_delay_alu instid0(VALU_DEP_1) | instskip(NEXT) | instid1(VALU_DEP_1)
	v_cvt_u32_f32_e32 v1, v1
	v_readfirstlane_b32 s9, v1
	s_mul_i32 s20, s20, s9
	s_delay_alu instid0(SALU_CYCLE_1) | instskip(NEXT) | instid1(SALU_CYCLE_1)
	s_mul_hi_u32 s20, s9, s20
	s_add_co_i32 s9, s9, s20
	s_wait_alu 0xfffe
	s_mul_hi_u32 s9, s2, s9
	s_wait_alu 0xfffe
	s_mul_i32 s20, s9, s22
	s_add_co_i32 s21, s9, 1
	s_sub_co_i32 s20, s2, s20
	s_delay_alu instid0(SALU_CYCLE_1)
	s_sub_co_i32 s24, s20, s22
	s_cmp_ge_u32 s20, s22
	s_cselect_b32 s9, s21, s9
	s_cselect_b32 s20, s24, s20
	s_wait_alu 0xfffe
	s_add_co_i32 s21, s9, 1
	s_cmp_ge_u32 s20, s22
	s_cselect_b32 s20, s21, s9
	s_mov_b32 s21, s8
.LBB97_15:                              ;   in Loop: Header=BB97_11 Depth=1
	s_load_b64 s[24:25], s[14:15], 0xc8
	s_mul_u64 s[22:23], s[20:21], s[22:23]
	s_add_co_i32 s11, s11, -1
	s_wait_alu 0xfffe
	s_sub_nc_u64 s[2:3], s[2:3], s[22:23]
	s_cmp_gt_u32 s11, 2
	s_add_nc_u64 s[14:15], s[14:15], -8
	s_wait_kmcnt 0x0
	s_wait_alu 0xfffe
	s_mul_u64 s[2:3], s[24:25], s[2:3]
	s_wait_alu 0xfffe
	s_add_nc_u64 s[16:17], s[2:3], s[16:17]
	s_cbranch_scc0 .LBB97_18
; %bb.16:                               ;   in Loop: Header=BB97_11 Depth=1
	s_mov_b64 s[2:3], s[20:21]
	s_branch .LBB97_11
.LBB97_17:
	s_mov_b64 s[20:21], s[2:3]
.LBB97_18:
	s_clause 0x2
	s_load_b64 s[2:3], s[0:1], 0xd0
	s_load_b32 s11, s[0:1], 0x360
	s_load_b64 s[8:9], s[0:1], 0x0
	s_wait_kmcnt 0x0
	s_mul_u64 s[6:7], s[2:3], s[6:7]
	s_bitcmp1_b32 s11, 0
	s_wait_alu 0xfffe
	s_add_nc_u64 s[6:7], s[8:9], s[6:7]
	s_cselect_b32 s11, -1, 0
	s_wait_alu 0xfffe
	s_add_nc_u64 s[14:15], s[6:7], s[4:5]
	s_xor_b32 s26, s11, -1
	s_delay_alu instid0(SALU_CYCLE_1) | instskip(SKIP_1) | instid1(VALU_DEP_2)
	v_cndmask_b32_e64 v1, 0, -1, s26
	v_cndmask_b32_e64 v3, 0, -1, s26
	v_lshlrev_b32_e32 v2, 8, v1
	v_and_b32_e32 v1, 0xff, v1
	s_delay_alu instid0(VALU_DEP_1) | instskip(NEXT) | instid1(VALU_DEP_1)
	v_or_b32_e32 v1, v1, v2
	v_and_b32_e32 v2, 0xffff, v1
	v_lshlrev_b32_e32 v1, 16, v1
	s_delay_alu instid0(VALU_DEP_1) | instskip(NEXT) | instid1(VALU_DEP_1)
	v_or_b32_e32 v1, v2, v1
	v_dual_mov_b32 v2, v1 :: v_dual_and_b32 v41, 0x3ff, v0
	s_delay_alu instid0(VALU_DEP_1)
	v_cmp_gt_u32_e64 s2, s10, v41
	s_and_saveexec_b32 s3, s2
	s_cbranch_execz .LBB97_20
; %bb.19:
	v_mad_co_u64_u32 v[2:3], null, s12, v41, s[14:15]
	v_mov_b32_e32 v5, v1
	s_delay_alu instid0(VALU_DEP_2) | instskip(SKIP_3) | instid1(VALU_DEP_1)
	v_mad_co_u64_u32 v[3:4], null, s13, v41, v[3:4]
	global_load_u8 v3, v[2:3], off
	s_wait_loadcnt 0x0
	v_perm_b32 v4, v3, v1, 0x3020104
	v_dual_mov_b32 v1, v4 :: v_dual_mov_b32 v2, v5
.LBB97_20:
	s_wait_alu 0xfffe
	s_or_b32 exec_lo, exec_lo, s3
	v_add_nc_u32_e32 v23, 0x80, v41
	s_delay_alu instid0(VALU_DEP_1)
	v_cmp_gt_u32_e64 s3, s10, v23
	s_and_saveexec_b32 s4, s3
	s_cbranch_execz .LBB97_22
; %bb.21:
	v_mad_co_u64_u32 v[4:5], null, s12, v23, s[14:15]
	s_delay_alu instid0(VALU_DEP_1)
	v_mad_co_u64_u32 v[5:6], null, s13, v23, v[5:6]
	global_load_u8 v4, v[4:5], off
	s_wait_loadcnt 0x0
	v_perm_b32 v1, v1, v4, 0x7060004
.LBB97_22:
	s_or_b32 exec_lo, exec_lo, s4
	v_add_nc_u32_e32 v22, 0x100, v41
	s_delay_alu instid0(VALU_DEP_1)
	v_cmp_gt_u32_e64 s4, s10, v22
	s_and_saveexec_b32 s5, s4
	s_cbranch_execz .LBB97_24
; %bb.23:
	v_mad_co_u64_u32 v[4:5], null, s12, v22, s[14:15]
	s_delay_alu instid0(VALU_DEP_1) | instskip(SKIP_3) | instid1(VALU_DEP_1)
	v_mad_co_u64_u32 v[5:6], null, s13, v22, v[5:6]
	global_load_u8 v4, v[4:5], off
	s_wait_loadcnt 0x0
	v_perm_b32 v4, v4, v1, 0xc0c0304
	v_lshlrev_b32_e32 v4, 16, v4
	s_delay_alu instid0(VALU_DEP_1)
	v_and_or_b32 v1, 0xffff, v1, v4
.LBB97_24:
	s_or_b32 exec_lo, exec_lo, s5
	v_add_nc_u32_e32 v21, 0x180, v41
	s_delay_alu instid0(VALU_DEP_1)
	v_cmp_gt_u32_e64 s5, s10, v21
	s_and_saveexec_b32 s6, s5
	s_cbranch_execz .LBB97_26
; %bb.25:
	v_mad_co_u64_u32 v[4:5], null, s12, v21, s[14:15]
	s_delay_alu instid0(VALU_DEP_1) | instskip(SKIP_3) | instid1(VALU_DEP_1)
	v_mad_co_u64_u32 v[5:6], null, s13, v21, v[5:6]
	global_load_u8 v4, v[4:5], off
	s_wait_loadcnt 0x0
	v_perm_b32 v4, v1, v4, 0xc0c0006
	v_lshlrev_b32_e32 v4, 16, v4
	s_delay_alu instid0(VALU_DEP_1)
	v_and_or_b32 v1, 0xffff, v1, v4
.LBB97_26:
	s_wait_alu 0xfffe
	s_or_b32 exec_lo, exec_lo, s6
	v_add_nc_u32_e32 v20, 0x200, v41
	s_delay_alu instid0(VALU_DEP_1)
	v_cmp_gt_u32_e64 s6, s10, v20
	s_and_saveexec_b32 s7, s6
	s_cbranch_execz .LBB97_28
; %bb.27:
	v_mad_co_u64_u32 v[4:5], null, s12, v20, s[14:15]
	s_delay_alu instid0(VALU_DEP_1)
	v_mad_co_u64_u32 v[5:6], null, s13, v20, v[5:6]
	global_load_u8 v4, v[4:5], off
	s_wait_loadcnt 0x0
	v_perm_b32 v2, v4, v2, 0x3020104
.LBB97_28:
	s_wait_alu 0xfffe
	s_or_b32 exec_lo, exec_lo, s7
	v_add_nc_u32_e32 v19, 0x280, v41
	s_delay_alu instid0(VALU_DEP_1)
	v_cmp_gt_u32_e64 s7, s10, v19
	s_and_saveexec_b32 s8, s7
	s_cbranch_execz .LBB97_30
; %bb.29:
	v_mad_co_u64_u32 v[4:5], null, s12, v19, s[14:15]
	s_delay_alu instid0(VALU_DEP_1)
	v_mad_co_u64_u32 v[5:6], null, s13, v19, v[5:6]
	global_load_u8 v4, v[4:5], off
	s_wait_loadcnt 0x0
	v_perm_b32 v2, v2, v4, 0x7060004
.LBB97_30:
	;; [unrolled: 15-line block ×3, first 2 shown]
	s_wait_alu 0xfffe
	s_or_b32 exec_lo, exec_lo, s9
	s_clause 0x1
	s_load_b64 s[24:25], s[0:1], 0x288
	s_load_b64 s[22:23], s[0:1], 0x1b8
	v_add_nc_u32_e32 v18, 0x380, v41
	s_delay_alu instid0(VALU_DEP_1)
	v_cmp_gt_u32_e64 s9, s10, v18
	s_and_saveexec_b32 s10, s9
	s_cbranch_execz .LBB97_34
; %bb.33:
	v_mad_co_u64_u32 v[4:5], null, s12, v18, s[14:15]
	s_delay_alu instid0(VALU_DEP_1)
	v_mad_co_u64_u32 v[5:6], null, s13, v18, v[5:6]
	global_load_u8 v4, v[4:5], off
	s_wait_loadcnt 0x0
	v_perm_b32 v2, v2, v4, 0x60504
.LBB97_34:
	s_wait_alu 0xfffe
	s_or_b32 exec_lo, exec_lo, s10
	v_lshrrev_b32_e32 v62, 5, v41
	v_lshrrev_b32_e32 v25, 5, v22
	;; [unrolled: 1-line block ×5, first 2 shown]
	v_and_b32_e32 v4, 28, v62
	v_lshrrev_b32_e32 v29, 5, v17
	v_and_b32_e32 v7, 60, v27
	v_lshrrev_b32_e32 v28, 5, v19
	v_lshrrev_b32_e32 v30, 5, v18
	v_add_nc_u32_e32 v44, v4, v41
	v_and_b32_e32 v4, 60, v25
	v_and_b32_e32 v5, 60, v24
	v_add_nc_u32_e32 v48, v7, v41
	v_and_b32_e32 v7, 60, v29
	v_and_b32_e32 v9, 60, v30
	v_add_nc_u32_e32 v46, v4, v41
	v_and_b32_e32 v4, 60, v26
	v_lshrrev_b32_e32 v31, 2, v41
	v_lshrrev_b32_e32 v6, 8, v1
	v_add_nc_u32_e32 v45, v5, v41
	v_lshrrev_b32_e32 v5, 24, v1
	v_add_nc_u32_e32 v47, v4, v41
	v_and_b32_e32 v4, 60, v28
	v_dual_mov_b32 v11, 0 :: v_dual_add_nc_u32 v50, v7, v41
	v_lshrrev_b32_e32 v8, 8, v2
	v_add_nc_u32_e32 v51, v9, v41
	s_delay_alu instid0(VALU_DEP_4)
	v_add_nc_u32_e32 v49, v4, v41
	v_lshrrev_b32_e32 v4, 24, v2
	v_lshlrev_b32_e32 v54, 3, v41
	v_mov_b32_e32 v12, 0
	ds_store_b8 v44, v3
	ds_store_b8 v45, v6 offset:128
	ds_store_b8_d16_hi v46, v1 offset:256
	ds_store_b8 v47, v5 offset:384
	ds_store_b8 v48, v2 offset:512
	;; [unrolled: 1-line block ×3, first 2 shown]
	ds_store_b8_d16_hi v50, v2 offset:768
	ds_store_b8 v51, v4 offset:896
	v_mov_b32_e32 v1, 0
	v_and_b32_e32 v7, 0xfc, v31
	s_wait_kmcnt 0x0
	s_mul_u64 s[10:11], s[24:25], s[20:21]
	s_wait_dscnt 0x0
	s_wait_alu 0xfffe
	s_lshl_b64 s[20:21], s[10:11], 3
	v_mov_b32_e32 v10, v1
	v_add_nc_u32_e32 v52, v7, v54
	s_load_b64 s[10:11], s[0:1], 0x358
	s_barrier_signal -1
	s_barrier_wait -1
	global_inv scope:SCOPE_SE
	ds_load_2addr_b32 v[42:43], v52 offset1:1
	v_dual_mov_b32 v2, v1 :: v_dual_mov_b32 v13, v1
	v_dual_mov_b32 v14, v1 :: v_dual_mov_b32 v15, v1
	;; [unrolled: 1-line block ×6, first 2 shown]
	s_lshl_b64 s[16:17], s[16:17], 3
	s_add_nc_u64 s[0:1], s[22:23], s[20:21]
	s_wait_loadcnt_dscnt 0x0
	s_add_nc_u64 s[16:17], s[0:1], s[16:17]
	s_barrier_signal -1
	s_barrier_wait -1
	global_inv scope:SCOPE_SE
	s_and_saveexec_b32 s0, s2
	s_cbranch_execnz .LBB97_67
; %bb.35:
	s_or_b32 exec_lo, exec_lo, s0
	s_and_saveexec_b32 s0, s3
	s_cbranch_execnz .LBB97_68
.LBB97_36:
	s_or_b32 exec_lo, exec_lo, s0
	s_and_saveexec_b32 s0, s4
	s_cbranch_execnz .LBB97_69
.LBB97_37:
	s_or_b32 exec_lo, exec_lo, s0
	s_and_saveexec_b32 s0, s5
	s_cbranch_execnz .LBB97_70
.LBB97_38:
	s_or_b32 exec_lo, exec_lo, s0
	s_and_saveexec_b32 s0, s6
	s_cbranch_execnz .LBB97_71
.LBB97_39:
	s_or_b32 exec_lo, exec_lo, s0
	s_and_saveexec_b32 s0, s7
	s_cbranch_execnz .LBB97_72
.LBB97_40:
	s_or_b32 exec_lo, exec_lo, s0
	s_and_saveexec_b32 s0, s8
	s_cbranch_execnz .LBB97_73
.LBB97_41:
	s_or_b32 exec_lo, exec_lo, s0
	s_and_saveexec_b32 s0, s9
	s_cbranch_execz .LBB97_43
.LBB97_42:
	s_wait_kmcnt 0x0
	v_mad_co_u64_u32 v[9:10], null, s10, v18, 0
	s_wait_loadcnt 0x0
	s_delay_alu instid0(VALU_DEP_1) | instskip(NEXT) | instid1(VALU_DEP_1)
	v_mad_co_u64_u32 v[17:18], null, s11, v18, v[10:11]
	v_mov_b32_e32 v10, v17
	s_delay_alu instid0(VALU_DEP_1) | instskip(NEXT) | instid1(VALU_DEP_1)
	v_lshlrev_b64_e32 v[9:10], 3, v[9:10]
	v_add_co_u32 v9, vcc_lo, s16, v9
	s_wait_alu 0xfffd
	s_delay_alu instid0(VALU_DEP_2)
	v_add_co_ci_u32_e64 v10, null, s17, v10, vcc_lo
	global_load_b64 v[9:10], v[9:10], off
.LBB97_43:
	s_or_b32 exec_lo, exec_lo, s0
	v_lshl_add_u32 v53, v62, 3, v54
	v_lshl_add_u32 v55, v24, 3, v54
	;; [unrolled: 1-line block ×5, first 2 shown]
	s_wait_loadcnt 0x0
	ds_store_b64 v53, v[11:12]
	ds_store_b64 v55, v[1:2] offset:1024
	ds_store_b64 v56, v[13:14] offset:2048
	;; [unrolled: 1-line block ×3, first 2 shown]
	v_lshlrev_b32_e32 v1, 3, v54
	v_lshl_add_u32 v59, v28, 3, v54
	v_lshl_add_u32 v60, v29, 3, v54
	;; [unrolled: 1-line block ×3, first 2 shown]
	ds_store_b64 v58, v[3:4] offset:4096
	ds_store_b64 v59, v[5:6] offset:5120
	ds_store_b64 v60, v[7:8] offset:6144
	ds_store_b64 v61, v[9:10] offset:7168
	v_lshl_add_u32 v63, v31, 3, v1
	s_wait_dscnt 0x0
	s_barrier_signal -1
	s_barrier_wait -1
	global_inv scope:SCOPE_SE
	ds_load_2addr_b64 v[13:16], v63 offset1:1
	ds_load_2addr_b64 v[9:12], v63 offset0:2 offset1:3
	ds_load_2addr_b64 v[5:8], v63 offset0:4 offset1:5
	;; [unrolled: 1-line block ×3, first 2 shown]
	v_bfe_u32 v67, v0, 10, 10
	v_bfe_u32 v68, v0, 20, 10
	v_mbcnt_lo_u32_b32 v65, -1, 0
	v_and_b32_e32 v66, 0x3e0, v41
	v_lshlrev_b32_e32 v64, 2, v54
	s_and_b32 vcc_lo, exec_lo, s26
	s_wait_loadcnt_dscnt 0x0
	s_barrier_signal -1
	s_barrier_wait -1
	global_inv scope:SCOPE_SE
	s_wait_alu 0xfffe
	s_cbranch_vccz .LBB97_74
; %bb.44:
	s_getpc_b64 s[0:1]
	s_sext_i32_i16 s1, s1
	s_add_co_u32 s0, s0, _ZN7rocprim17ROCPRIM_400000_NS16block_radix_sortIhLj128ELj8ElLj1ELj1ELj0ELNS0_26block_radix_rank_algorithmE1ELNS0_18block_padding_hintE2ELNS0_4arch9wavefront6targetE0EE19radix_bits_per_passE@rel32@lo+8
	s_add_co_ci_u32 s1, s1, _ZN7rocprim17ROCPRIM_400000_NS16block_radix_sortIhLj128ELj8ElLj1ELj1ELj0ELNS0_26block_radix_rank_algorithmE1ELNS0_18block_padding_hintE2ELNS0_4arch9wavefront6targetE0EE19radix_bits_per_passE@rel32@hi+16
	v_or_b32_e32 v17, v65, v66
	s_load_b32 s0, s[0:1], 0x0
	s_mov_b32 s20, 0
	v_and_or_b32 v18, 0x1f00, v54, v65
	s_mov_b32 s22, s20
	s_mov_b32 s23, s20
	v_lshlrev_b32_e32 v19, 3, v17
	s_delay_alu instid0(VALU_DEP_2)
	v_mad_u32_u24 v29, v18, 7, v18
	ds_store_b64 v19, v[42:43]
	; wave barrier
	ds_load_u8 v0, v18
	ds_load_u8 v69, v18 offset:32
	ds_load_u8 v70, v18 offset:64
	;; [unrolled: 1-line block ×7, first 2 shown]
	v_mad_u32_u24 v17, v17, 56, v19
	s_wait_loadcnt_dscnt 0x0
	s_barrier_signal -1
	s_barrier_wait -1
	global_inv scope:SCOPE_SE
	ds_store_b128 v17, v[13:16]
	ds_store_b128 v17, v[9:12] offset:16
	s_wait_kmcnt 0x0
	s_min_u32 s0, s0, 8
	ds_store_b128 v17, v[5:8] offset:32
	ds_store_b128 v17, v[1:4] offset:48
	s_lshl_b32 s0, -1, s0
	s_delay_alu instid0(SALU_CYCLE_1) | instskip(NEXT) | instid1(SALU_CYCLE_1)
	s_not_b32 s1, s0
	; wave barrier
	v_and_b32_e32 v39, s1, v0
	ds_load_2addr_b64 v[25:28], v29 offset1:32
	ds_load_2addr_b64 v[21:24], v29 offset0:64 offset1:96
	ds_load_2addr_b64 v[17:20], v29 offset0:128 offset1:160
	;; [unrolled: 1-line block ×3, first 2 shown]
	s_wait_loadcnt_dscnt 0x0
	s_barrier_signal -1
	v_and_b32_e32 v33, 1, v39
	v_lshlrev_b32_e32 v34, 30, v39
	v_lshlrev_b32_e32 v36, 29, v39
	;; [unrolled: 1-line block ×3, first 2 shown]
	s_barrier_wait -1
	v_add_co_u32 v33, s0, v33, -1
	s_wait_alu 0xf1ff
	v_cndmask_b32_e64 v35, 0, 1, s0
	v_not_b32_e32 v37, v34
	v_cmp_gt_i32_e64 s0, 0, v34
	v_not_b32_e32 v34, v36
	global_inv scope:SCOPE_SE
	v_cmp_ne_u32_e32 vcc_lo, 0, v35
	v_ashrrev_i32_e32 v35, 31, v37
	v_lshlrev_b32_e32 v37, 28, v39
	v_ashrrev_i32_e32 v34, 31, v34
	s_wait_alu 0xfffd
	v_xor_b32_e32 v33, vcc_lo, v33
	v_cmp_gt_i32_e32 vcc_lo, 0, v36
	s_wait_alu 0xf1ff
	v_xor_b32_e32 v35, s0, v35
	v_not_b32_e32 v36, v37
	s_load_b32 s0, s[18:19], 0xc
	v_and_b32_e32 v33, exec_lo, v33
	v_xor_b32_e32 v34, vcc_lo, v34
	v_cmp_gt_i32_e32 vcc_lo, 0, v37
	v_lshlrev_b32_e32 v37, 26, v39
	s_delay_alu instid0(VALU_DEP_4) | instskip(SKIP_2) | instid1(VALU_DEP_3)
	v_and_b32_e32 v33, v33, v35
	v_ashrrev_i32_e32 v35, 31, v36
	v_not_b32_e32 v36, v38
	v_and_b32_e32 v33, v33, v34
	s_wait_alu 0xfffd
	s_delay_alu instid0(VALU_DEP_3) | instskip(SKIP_3) | instid1(VALU_DEP_4)
	v_xor_b32_e32 v34, vcc_lo, v35
	v_cmp_gt_i32_e32 vcc_lo, 0, v38
	v_ashrrev_i32_e32 v35, 31, v36
	v_not_b32_e32 v36, v37
	v_and_b32_e32 v33, v33, v34
	v_lshlrev_b32_e32 v34, 25, v39
	s_wait_alu 0xfffd
	v_xor_b32_e32 v35, vcc_lo, v35
	v_cmp_gt_i32_e32 vcc_lo, 0, v37
	v_ashrrev_i32_e32 v36, 31, v36
	s_wait_kmcnt 0x0
	s_lshr_b32 s21, s0, 16
	v_not_b32_e32 v37, v34
	v_and_b32_e32 v33, v33, v35
	v_lshlrev_b32_e32 v35, 24, v39
	s_wait_alu 0xfffd
	v_xor_b32_e32 v36, vcc_lo, v36
	v_cmp_gt_i32_e32 vcc_lo, 0, v34
	v_ashrrev_i32_e32 v34, 31, v37
	v_mad_u32_u24 v38, v68, s21, v67
	v_not_b32_e32 v37, v35
	v_and_b32_e32 v36, v33, v36
	s_and_b32 s0, s0, 0xffff
	s_wait_alu 0xfffd
	v_xor_b32_e32 v40, vcc_lo, v34
	v_cmp_gt_i32_e32 vcc_lo, 0, v35
	v_ashrrev_i32_e32 v35, 31, v37
	s_wait_alu 0xfffe
	v_mad_co_u64_u32 v[33:34], null, v38, s0, v[41:42]
	v_and_b32_e32 v34, v36, v40
	s_mov_b32 s21, s20
	s_wait_alu 0xfffd
	v_xor_b32_e32 v40, vcc_lo, v35
	v_dual_mov_b32 v38, s23 :: v_dual_mov_b32 v37, s22
	s_wait_alu 0xfffe
	v_dual_mov_b32 v36, s21 :: v_dual_mov_b32 v35, s20
	s_delay_alu instid0(VALU_DEP_3)
	v_and_b32_e32 v34, v34, v40
	v_and_b32_e32 v39, 0xff, v39
	v_lshrrev_b32_e32 v33, 3, v33
	ds_store_b128 v64, v[35:38] offset:16
	ds_store_b128 v64, v[35:38] offset:32
	v_mbcnt_lo_u32_b32 v76, v34, 0
	v_lshlrev_b32_e32 v35, 4, v39
	v_and_b32_e32 v33, 0x1ffffffc, v33
	v_cmp_ne_u32_e64 s0, 0, v34
	s_wait_loadcnt_dscnt 0x0
	v_cmp_eq_u32_e32 vcc_lo, 0, v76
	s_barrier_signal -1
	v_add_nc_u32_e32 v77, v33, v35
	s_barrier_wait -1
	global_inv scope:SCOPE_SE
	s_and_b32 s20, s0, vcc_lo
	; wave barrier
	s_wait_alu 0xfffe
	s_and_saveexec_b32 s0, s20
; %bb.45:
	v_bcnt_u32_b32 v34, v34, 0
	ds_store_b32 v77, v34 offset:16
; %bb.46:
	s_wait_alu 0xfffe
	s_or_b32 exec_lo, exec_lo, s0
	v_and_b32_e32 v34, s1, v69
	; wave barrier
	s_delay_alu instid0(VALU_DEP_1)
	v_and_b32_e32 v36, 1, v34
	v_lshlrev_b32_e32 v37, 30, v34
	v_lshlrev_b32_e32 v38, 29, v34
	;; [unrolled: 1-line block ×4, first 2 shown]
	v_add_co_u32 v36, s0, v36, -1
	s_wait_alu 0xf1ff
	v_cndmask_b32_e64 v40, 0, 1, s0
	v_not_b32_e32 v81, v37
	v_cmp_gt_i32_e64 s0, 0, v37
	v_not_b32_e32 v37, v38
	v_lshlrev_b32_e32 v79, 26, v34
	v_cmp_ne_u32_e32 vcc_lo, 0, v40
	v_ashrrev_i32_e32 v40, 31, v81
	v_lshlrev_b32_e32 v80, 25, v34
	v_ashrrev_i32_e32 v37, 31, v37
	v_and_b32_e32 v35, 0xff, v34
	s_wait_alu 0xfffd
	v_xor_b32_e32 v36, vcc_lo, v36
	v_cmp_gt_i32_e32 vcc_lo, 0, v38
	v_not_b32_e32 v38, v39
	s_wait_alu 0xf1ff
	v_xor_b32_e32 v40, s0, v40
	v_cmp_gt_i32_e64 s0, 0, v39
	v_and_b32_e32 v36, exec_lo, v36
	v_not_b32_e32 v39, v78
	v_ashrrev_i32_e32 v38, 31, v38
	s_wait_alu 0xfffd
	v_xor_b32_e32 v37, vcc_lo, v37
	v_cmp_gt_i32_e32 vcc_lo, 0, v78
	v_and_b32_e32 v36, v36, v40
	v_not_b32_e32 v40, v79
	v_ashrrev_i32_e32 v39, 31, v39
	s_wait_alu 0xf1ff
	v_xor_b32_e32 v38, s0, v38
	v_lshlrev_b32_e32 v34, 24, v34
	v_and_b32_e32 v36, v36, v37
	v_cmp_gt_i32_e64 s0, 0, v79
	v_not_b32_e32 v37, v80
	v_ashrrev_i32_e32 v40, 31, v40
	s_wait_alu 0xfffd
	v_xor_b32_e32 v39, vcc_lo, v39
	v_and_b32_e32 v36, v36, v38
	v_cmp_gt_i32_e32 vcc_lo, 0, v80
	v_not_b32_e32 v38, v34
	v_ashrrev_i32_e32 v37, 31, v37
	s_wait_alu 0xf1ff
	v_xor_b32_e32 v40, s0, v40
	v_and_b32_e32 v36, v36, v39
	v_lshlrev_b32_e32 v35, 4, v35
	v_cmp_gt_i32_e64 s0, 0, v34
	v_ashrrev_i32_e32 v34, 31, v38
	s_wait_alu 0xfffd
	v_xor_b32_e32 v37, vcc_lo, v37
	v_and_b32_e32 v36, v36, v40
	v_add_nc_u32_e32 v80, v33, v35
	s_wait_alu 0xf1ff
	v_xor_b32_e32 v34, s0, v34
	s_delay_alu instid0(VALU_DEP_3) | instskip(SKIP_2) | instid1(VALU_DEP_1)
	v_and_b32_e32 v35, v36, v37
	ds_load_b32 v78, v80 offset:16
	; wave barrier
	v_and_b32_e32 v34, v35, v34
	v_mbcnt_lo_u32_b32 v79, v34, 0
	v_cmp_ne_u32_e64 s0, 0, v34
	s_delay_alu instid0(VALU_DEP_2)
	v_cmp_eq_u32_e32 vcc_lo, 0, v79
	s_and_b32 s20, s0, vcc_lo
	s_wait_alu 0xfffe
	s_and_saveexec_b32 s0, s20
	s_cbranch_execz .LBB97_48
; %bb.47:
	s_wait_dscnt 0x0
	v_bcnt_u32_b32 v34, v34, v78
	ds_store_b32 v80, v34 offset:16
.LBB97_48:
	s_wait_alu 0xfffe
	s_or_b32 exec_lo, exec_lo, s0
	v_and_b32_e32 v34, s1, v70
	; wave barrier
	s_delay_alu instid0(VALU_DEP_1)
	v_and_b32_e32 v36, 1, v34
	v_lshlrev_b32_e32 v37, 30, v34
	v_lshlrev_b32_e32 v38, 29, v34
	;; [unrolled: 1-line block ×4, first 2 shown]
	v_add_co_u32 v36, s0, v36, -1
	s_wait_alu 0xf1ff
	v_cndmask_b32_e64 v40, 0, 1, s0
	v_not_b32_e32 v84, v37
	v_cmp_gt_i32_e64 s0, 0, v37
	v_not_b32_e32 v37, v38
	v_lshlrev_b32_e32 v82, 26, v34
	v_cmp_ne_u32_e32 vcc_lo, 0, v40
	v_ashrrev_i32_e32 v40, 31, v84
	v_lshlrev_b32_e32 v83, 25, v34
	v_ashrrev_i32_e32 v37, 31, v37
	v_and_b32_e32 v35, 0xff, v34
	s_wait_alu 0xfffd
	v_xor_b32_e32 v36, vcc_lo, v36
	v_cmp_gt_i32_e32 vcc_lo, 0, v38
	v_not_b32_e32 v38, v39
	s_wait_alu 0xf1ff
	v_xor_b32_e32 v40, s0, v40
	v_cmp_gt_i32_e64 s0, 0, v39
	v_and_b32_e32 v36, exec_lo, v36
	v_not_b32_e32 v39, v81
	v_ashrrev_i32_e32 v38, 31, v38
	s_wait_alu 0xfffd
	v_xor_b32_e32 v37, vcc_lo, v37
	v_cmp_gt_i32_e32 vcc_lo, 0, v81
	v_and_b32_e32 v36, v36, v40
	v_not_b32_e32 v40, v82
	v_ashrrev_i32_e32 v39, 31, v39
	s_wait_alu 0xf1ff
	v_xor_b32_e32 v38, s0, v38
	v_lshlrev_b32_e32 v34, 24, v34
	v_and_b32_e32 v36, v36, v37
	v_cmp_gt_i32_e64 s0, 0, v82
	v_not_b32_e32 v37, v83
	v_ashrrev_i32_e32 v40, 31, v40
	s_wait_alu 0xfffd
	v_xor_b32_e32 v39, vcc_lo, v39
	v_and_b32_e32 v36, v36, v38
	v_cmp_gt_i32_e32 vcc_lo, 0, v83
	v_not_b32_e32 v38, v34
	v_ashrrev_i32_e32 v37, 31, v37
	s_wait_alu 0xf1ff
	v_xor_b32_e32 v40, s0, v40
	v_and_b32_e32 v36, v36, v39
	v_lshlrev_b32_e32 v35, 4, v35
	v_cmp_gt_i32_e64 s0, 0, v34
	v_ashrrev_i32_e32 v34, 31, v38
	s_wait_alu 0xfffd
	v_xor_b32_e32 v37, vcc_lo, v37
	v_and_b32_e32 v36, v36, v40
	v_add_nc_u32_e32 v83, v33, v35
	s_wait_alu 0xf1ff
	v_xor_b32_e32 v34, s0, v34
	s_delay_alu instid0(VALU_DEP_3) | instskip(SKIP_2) | instid1(VALU_DEP_1)
	v_and_b32_e32 v35, v36, v37
	ds_load_b32 v81, v83 offset:16
	; wave barrier
	v_and_b32_e32 v34, v35, v34
	v_mbcnt_lo_u32_b32 v82, v34, 0
	v_cmp_ne_u32_e64 s0, 0, v34
	s_delay_alu instid0(VALU_DEP_2)
	v_cmp_eq_u32_e32 vcc_lo, 0, v82
	s_and_b32 s20, s0, vcc_lo
	s_wait_alu 0xfffe
	s_and_saveexec_b32 s0, s20
	s_cbranch_execz .LBB97_50
; %bb.49:
	s_wait_dscnt 0x0
	v_bcnt_u32_b32 v34, v34, v81
	ds_store_b32 v83, v34 offset:16
.LBB97_50:
	s_wait_alu 0xfffe
	s_or_b32 exec_lo, exec_lo, s0
	v_and_b32_e32 v34, s1, v71
	; wave barrier
	s_delay_alu instid0(VALU_DEP_1)
	v_and_b32_e32 v36, 1, v34
	v_lshlrev_b32_e32 v37, 30, v34
	v_lshlrev_b32_e32 v38, 29, v34
	;; [unrolled: 1-line block ×4, first 2 shown]
	v_add_co_u32 v36, s0, v36, -1
	s_wait_alu 0xf1ff
	v_cndmask_b32_e64 v40, 0, 1, s0
	v_not_b32_e32 v87, v37
	v_cmp_gt_i32_e64 s0, 0, v37
	v_not_b32_e32 v37, v38
	v_lshlrev_b32_e32 v85, 26, v34
	v_cmp_ne_u32_e32 vcc_lo, 0, v40
	v_ashrrev_i32_e32 v40, 31, v87
	v_lshlrev_b32_e32 v86, 25, v34
	v_ashrrev_i32_e32 v37, 31, v37
	v_and_b32_e32 v35, 0xff, v34
	s_wait_alu 0xfffd
	v_xor_b32_e32 v36, vcc_lo, v36
	v_cmp_gt_i32_e32 vcc_lo, 0, v38
	v_not_b32_e32 v38, v39
	s_wait_alu 0xf1ff
	v_xor_b32_e32 v40, s0, v40
	v_cmp_gt_i32_e64 s0, 0, v39
	v_and_b32_e32 v36, exec_lo, v36
	v_not_b32_e32 v39, v84
	v_ashrrev_i32_e32 v38, 31, v38
	s_wait_alu 0xfffd
	v_xor_b32_e32 v37, vcc_lo, v37
	v_cmp_gt_i32_e32 vcc_lo, 0, v84
	v_and_b32_e32 v36, v36, v40
	v_not_b32_e32 v40, v85
	v_ashrrev_i32_e32 v39, 31, v39
	s_wait_alu 0xf1ff
	v_xor_b32_e32 v38, s0, v38
	v_lshlrev_b32_e32 v34, 24, v34
	v_and_b32_e32 v36, v36, v37
	v_cmp_gt_i32_e64 s0, 0, v85
	v_not_b32_e32 v37, v86
	v_ashrrev_i32_e32 v40, 31, v40
	s_wait_alu 0xfffd
	v_xor_b32_e32 v39, vcc_lo, v39
	v_and_b32_e32 v36, v36, v38
	v_cmp_gt_i32_e32 vcc_lo, 0, v86
	v_not_b32_e32 v38, v34
	v_ashrrev_i32_e32 v37, 31, v37
	s_wait_alu 0xf1ff
	v_xor_b32_e32 v40, s0, v40
	v_and_b32_e32 v36, v36, v39
	v_lshlrev_b32_e32 v35, 4, v35
	v_cmp_gt_i32_e64 s0, 0, v34
	v_ashrrev_i32_e32 v34, 31, v38
	s_wait_alu 0xfffd
	v_xor_b32_e32 v37, vcc_lo, v37
	v_and_b32_e32 v36, v36, v40
	v_add_nc_u32_e32 v86, v33, v35
	s_wait_alu 0xf1ff
	v_xor_b32_e32 v34, s0, v34
	s_delay_alu instid0(VALU_DEP_3) | instskip(SKIP_2) | instid1(VALU_DEP_1)
	v_and_b32_e32 v35, v36, v37
	ds_load_b32 v84, v86 offset:16
	; wave barrier
	v_and_b32_e32 v34, v35, v34
	v_mbcnt_lo_u32_b32 v85, v34, 0
	v_cmp_ne_u32_e64 s0, 0, v34
	s_delay_alu instid0(VALU_DEP_2)
	v_cmp_eq_u32_e32 vcc_lo, 0, v85
	s_and_b32 s20, s0, vcc_lo
	s_wait_alu 0xfffe
	s_and_saveexec_b32 s0, s20
	s_cbranch_execz .LBB97_52
; %bb.51:
	s_wait_dscnt 0x0
	v_bcnt_u32_b32 v34, v34, v84
	ds_store_b32 v86, v34 offset:16
.LBB97_52:
	s_wait_alu 0xfffe
	s_or_b32 exec_lo, exec_lo, s0
	v_and_b32_e32 v34, s1, v72
	; wave barrier
	s_delay_alu instid0(VALU_DEP_1)
	v_and_b32_e32 v36, 1, v34
	v_lshlrev_b32_e32 v37, 30, v34
	v_lshlrev_b32_e32 v38, 29, v34
	;; [unrolled: 1-line block ×4, first 2 shown]
	v_add_co_u32 v36, s0, v36, -1
	s_wait_alu 0xf1ff
	v_cndmask_b32_e64 v40, 0, 1, s0
	v_not_b32_e32 v90, v37
	v_cmp_gt_i32_e64 s0, 0, v37
	v_not_b32_e32 v37, v38
	v_lshlrev_b32_e32 v88, 26, v34
	v_cmp_ne_u32_e32 vcc_lo, 0, v40
	v_ashrrev_i32_e32 v40, 31, v90
	v_lshlrev_b32_e32 v89, 25, v34
	v_ashrrev_i32_e32 v37, 31, v37
	v_and_b32_e32 v35, 0xff, v34
	s_wait_alu 0xfffd
	v_xor_b32_e32 v36, vcc_lo, v36
	v_cmp_gt_i32_e32 vcc_lo, 0, v38
	v_not_b32_e32 v38, v39
	s_wait_alu 0xf1ff
	v_xor_b32_e32 v40, s0, v40
	v_cmp_gt_i32_e64 s0, 0, v39
	v_and_b32_e32 v36, exec_lo, v36
	v_not_b32_e32 v39, v87
	v_ashrrev_i32_e32 v38, 31, v38
	s_wait_alu 0xfffd
	v_xor_b32_e32 v37, vcc_lo, v37
	v_cmp_gt_i32_e32 vcc_lo, 0, v87
	v_and_b32_e32 v36, v36, v40
	v_not_b32_e32 v40, v88
	v_ashrrev_i32_e32 v39, 31, v39
	s_wait_alu 0xf1ff
	v_xor_b32_e32 v38, s0, v38
	v_lshlrev_b32_e32 v34, 24, v34
	v_and_b32_e32 v36, v36, v37
	v_cmp_gt_i32_e64 s0, 0, v88
	v_not_b32_e32 v37, v89
	v_ashrrev_i32_e32 v40, 31, v40
	s_wait_alu 0xfffd
	v_xor_b32_e32 v39, vcc_lo, v39
	v_and_b32_e32 v36, v36, v38
	v_cmp_gt_i32_e32 vcc_lo, 0, v89
	v_not_b32_e32 v38, v34
	v_ashrrev_i32_e32 v37, 31, v37
	s_wait_alu 0xf1ff
	v_xor_b32_e32 v40, s0, v40
	v_and_b32_e32 v36, v36, v39
	v_lshlrev_b32_e32 v35, 4, v35
	v_cmp_gt_i32_e64 s0, 0, v34
	v_ashrrev_i32_e32 v34, 31, v38
	s_wait_alu 0xfffd
	v_xor_b32_e32 v37, vcc_lo, v37
	v_and_b32_e32 v36, v36, v40
	v_add_nc_u32_e32 v89, v33, v35
	s_wait_alu 0xf1ff
	v_xor_b32_e32 v34, s0, v34
	s_delay_alu instid0(VALU_DEP_3) | instskip(SKIP_2) | instid1(VALU_DEP_1)
	v_and_b32_e32 v35, v36, v37
	ds_load_b32 v87, v89 offset:16
	; wave barrier
	v_and_b32_e32 v34, v35, v34
	v_mbcnt_lo_u32_b32 v88, v34, 0
	v_cmp_ne_u32_e64 s0, 0, v34
	s_delay_alu instid0(VALU_DEP_2)
	v_cmp_eq_u32_e32 vcc_lo, 0, v88
	s_and_b32 s20, s0, vcc_lo
	s_wait_alu 0xfffe
	s_and_saveexec_b32 s0, s20
	s_cbranch_execz .LBB97_54
; %bb.53:
	s_wait_dscnt 0x0
	v_bcnt_u32_b32 v34, v34, v87
	ds_store_b32 v89, v34 offset:16
.LBB97_54:
	s_wait_alu 0xfffe
	s_or_b32 exec_lo, exec_lo, s0
	v_and_b32_e32 v34, s1, v73
	; wave barrier
	s_delay_alu instid0(VALU_DEP_1)
	v_and_b32_e32 v36, 1, v34
	v_lshlrev_b32_e32 v37, 30, v34
	v_lshlrev_b32_e32 v38, 29, v34
	v_lshlrev_b32_e32 v39, 28, v34
	v_lshlrev_b32_e32 v90, 27, v34
	v_add_co_u32 v36, s0, v36, -1
	s_wait_alu 0xf1ff
	v_cndmask_b32_e64 v40, 0, 1, s0
	v_not_b32_e32 v93, v37
	v_cmp_gt_i32_e64 s0, 0, v37
	v_not_b32_e32 v37, v38
	v_lshlrev_b32_e32 v91, 26, v34
	v_cmp_ne_u32_e32 vcc_lo, 0, v40
	v_ashrrev_i32_e32 v40, 31, v93
	v_lshlrev_b32_e32 v92, 25, v34
	v_ashrrev_i32_e32 v37, 31, v37
	v_and_b32_e32 v35, 0xff, v34
	s_wait_alu 0xfffd
	v_xor_b32_e32 v36, vcc_lo, v36
	v_cmp_gt_i32_e32 vcc_lo, 0, v38
	v_not_b32_e32 v38, v39
	s_wait_alu 0xf1ff
	v_xor_b32_e32 v40, s0, v40
	v_cmp_gt_i32_e64 s0, 0, v39
	v_and_b32_e32 v36, exec_lo, v36
	v_not_b32_e32 v39, v90
	v_ashrrev_i32_e32 v38, 31, v38
	s_wait_alu 0xfffd
	v_xor_b32_e32 v37, vcc_lo, v37
	v_cmp_gt_i32_e32 vcc_lo, 0, v90
	v_and_b32_e32 v36, v36, v40
	v_not_b32_e32 v40, v91
	v_ashrrev_i32_e32 v39, 31, v39
	s_wait_alu 0xf1ff
	v_xor_b32_e32 v38, s0, v38
	v_lshlrev_b32_e32 v34, 24, v34
	v_and_b32_e32 v36, v36, v37
	v_cmp_gt_i32_e64 s0, 0, v91
	v_not_b32_e32 v37, v92
	v_ashrrev_i32_e32 v40, 31, v40
	s_wait_alu 0xfffd
	v_xor_b32_e32 v39, vcc_lo, v39
	v_and_b32_e32 v36, v36, v38
	v_cmp_gt_i32_e32 vcc_lo, 0, v92
	v_not_b32_e32 v38, v34
	v_ashrrev_i32_e32 v37, 31, v37
	s_wait_alu 0xf1ff
	v_xor_b32_e32 v40, s0, v40
	v_and_b32_e32 v36, v36, v39
	v_lshlrev_b32_e32 v35, 4, v35
	v_cmp_gt_i32_e64 s0, 0, v34
	v_ashrrev_i32_e32 v34, 31, v38
	s_wait_alu 0xfffd
	v_xor_b32_e32 v37, vcc_lo, v37
	v_and_b32_e32 v36, v36, v40
	v_add_nc_u32_e32 v92, v33, v35
	s_wait_alu 0xf1ff
	v_xor_b32_e32 v34, s0, v34
	s_delay_alu instid0(VALU_DEP_3) | instskip(SKIP_2) | instid1(VALU_DEP_1)
	v_and_b32_e32 v35, v36, v37
	ds_load_b32 v90, v92 offset:16
	; wave barrier
	v_and_b32_e32 v34, v35, v34
	v_mbcnt_lo_u32_b32 v91, v34, 0
	v_cmp_ne_u32_e64 s0, 0, v34
	s_delay_alu instid0(VALU_DEP_2)
	v_cmp_eq_u32_e32 vcc_lo, 0, v91
	s_and_b32 s20, s0, vcc_lo
	s_wait_alu 0xfffe
	s_and_saveexec_b32 s0, s20
	s_cbranch_execz .LBB97_56
; %bb.55:
	s_wait_dscnt 0x0
	v_bcnt_u32_b32 v34, v34, v90
	ds_store_b32 v92, v34 offset:16
.LBB97_56:
	s_wait_alu 0xfffe
	s_or_b32 exec_lo, exec_lo, s0
	v_and_b32_e32 v34, s1, v74
	; wave barrier
	s_delay_alu instid0(VALU_DEP_1)
	v_and_b32_e32 v36, 1, v34
	v_lshlrev_b32_e32 v37, 30, v34
	v_lshlrev_b32_e32 v38, 29, v34
	;; [unrolled: 1-line block ×4, first 2 shown]
	v_add_co_u32 v36, s0, v36, -1
	s_wait_alu 0xf1ff
	v_cndmask_b32_e64 v40, 0, 1, s0
	v_not_b32_e32 v96, v37
	v_cmp_gt_i32_e64 s0, 0, v37
	v_not_b32_e32 v37, v38
	v_lshlrev_b32_e32 v94, 26, v34
	v_cmp_ne_u32_e32 vcc_lo, 0, v40
	v_ashrrev_i32_e32 v40, 31, v96
	v_lshlrev_b32_e32 v95, 25, v34
	v_ashrrev_i32_e32 v37, 31, v37
	v_and_b32_e32 v35, 0xff, v34
	s_wait_alu 0xfffd
	v_xor_b32_e32 v36, vcc_lo, v36
	v_cmp_gt_i32_e32 vcc_lo, 0, v38
	v_not_b32_e32 v38, v39
	s_wait_alu 0xf1ff
	v_xor_b32_e32 v40, s0, v40
	v_cmp_gt_i32_e64 s0, 0, v39
	v_and_b32_e32 v36, exec_lo, v36
	v_not_b32_e32 v39, v93
	v_ashrrev_i32_e32 v38, 31, v38
	s_wait_alu 0xfffd
	v_xor_b32_e32 v37, vcc_lo, v37
	v_cmp_gt_i32_e32 vcc_lo, 0, v93
	v_and_b32_e32 v36, v36, v40
	v_not_b32_e32 v40, v94
	v_ashrrev_i32_e32 v39, 31, v39
	s_wait_alu 0xf1ff
	v_xor_b32_e32 v38, s0, v38
	v_lshlrev_b32_e32 v34, 24, v34
	v_and_b32_e32 v36, v36, v37
	v_cmp_gt_i32_e64 s0, 0, v94
	v_not_b32_e32 v37, v95
	v_ashrrev_i32_e32 v40, 31, v40
	s_wait_alu 0xfffd
	v_xor_b32_e32 v39, vcc_lo, v39
	v_and_b32_e32 v36, v36, v38
	v_cmp_gt_i32_e32 vcc_lo, 0, v95
	v_not_b32_e32 v38, v34
	v_ashrrev_i32_e32 v37, 31, v37
	s_wait_alu 0xf1ff
	v_xor_b32_e32 v40, s0, v40
	v_and_b32_e32 v36, v36, v39
	v_lshlrev_b32_e32 v35, 4, v35
	v_cmp_gt_i32_e64 s0, 0, v34
	v_ashrrev_i32_e32 v34, 31, v38
	s_wait_alu 0xfffd
	v_xor_b32_e32 v37, vcc_lo, v37
	v_and_b32_e32 v36, v36, v40
	v_add_nc_u32_e32 v95, v33, v35
	s_wait_alu 0xf1ff
	v_xor_b32_e32 v34, s0, v34
	s_delay_alu instid0(VALU_DEP_3) | instskip(SKIP_2) | instid1(VALU_DEP_1)
	v_and_b32_e32 v35, v36, v37
	ds_load_b32 v93, v95 offset:16
	; wave barrier
	v_and_b32_e32 v34, v35, v34
	v_mbcnt_lo_u32_b32 v94, v34, 0
	v_cmp_ne_u32_e64 s0, 0, v34
	s_delay_alu instid0(VALU_DEP_2)
	v_cmp_eq_u32_e32 vcc_lo, 0, v94
	s_and_b32 s20, s0, vcc_lo
	s_wait_alu 0xfffe
	s_and_saveexec_b32 s0, s20
	s_cbranch_execz .LBB97_58
; %bb.57:
	s_wait_dscnt 0x0
	v_bcnt_u32_b32 v34, v34, v93
	ds_store_b32 v95, v34 offset:16
.LBB97_58:
	s_wait_alu 0xfffe
	s_or_b32 exec_lo, exec_lo, s0
	v_and_b32_e32 v34, s1, v75
	; wave barrier
	s_delay_alu instid0(VALU_DEP_1)
	v_and_b32_e32 v36, 1, v34
	v_lshlrev_b32_e32 v37, 30, v34
	v_lshlrev_b32_e32 v38, 29, v34
	;; [unrolled: 1-line block ×4, first 2 shown]
	v_add_co_u32 v36, s0, v36, -1
	s_wait_alu 0xf1ff
	v_cndmask_b32_e64 v40, 0, 1, s0
	v_not_b32_e32 v99, v37
	v_cmp_gt_i32_e64 s0, 0, v37
	v_not_b32_e32 v37, v38
	v_lshlrev_b32_e32 v97, 26, v34
	v_cmp_ne_u32_e32 vcc_lo, 0, v40
	v_ashrrev_i32_e32 v40, 31, v99
	v_lshlrev_b32_e32 v98, 25, v34
	v_ashrrev_i32_e32 v37, 31, v37
	v_and_b32_e32 v35, 0xff, v34
	s_wait_alu 0xfffd
	v_xor_b32_e32 v36, vcc_lo, v36
	v_cmp_gt_i32_e32 vcc_lo, 0, v38
	v_not_b32_e32 v38, v39
	s_wait_alu 0xf1ff
	v_xor_b32_e32 v40, s0, v40
	v_cmp_gt_i32_e64 s0, 0, v39
	v_and_b32_e32 v36, exec_lo, v36
	v_not_b32_e32 v39, v96
	v_ashrrev_i32_e32 v38, 31, v38
	s_wait_alu 0xfffd
	v_xor_b32_e32 v37, vcc_lo, v37
	v_cmp_gt_i32_e32 vcc_lo, 0, v96
	v_and_b32_e32 v36, v36, v40
	v_not_b32_e32 v40, v97
	v_ashrrev_i32_e32 v39, 31, v39
	s_wait_alu 0xf1ff
	v_xor_b32_e32 v38, s0, v38
	v_lshlrev_b32_e32 v34, 24, v34
	v_and_b32_e32 v36, v36, v37
	v_cmp_gt_i32_e64 s0, 0, v97
	v_not_b32_e32 v37, v98
	v_ashrrev_i32_e32 v40, 31, v40
	s_wait_alu 0xfffd
	v_xor_b32_e32 v39, vcc_lo, v39
	v_and_b32_e32 v36, v36, v38
	v_cmp_gt_i32_e32 vcc_lo, 0, v98
	v_not_b32_e32 v38, v34
	v_ashrrev_i32_e32 v37, 31, v37
	s_wait_alu 0xf1ff
	v_xor_b32_e32 v40, s0, v40
	v_and_b32_e32 v36, v36, v39
	v_lshlrev_b32_e32 v35, 4, v35
	v_cmp_gt_i32_e64 s0, 0, v34
	v_ashrrev_i32_e32 v34, 31, v38
	s_wait_alu 0xfffd
	v_xor_b32_e32 v37, vcc_lo, v37
	v_and_b32_e32 v36, v36, v40
	v_add_nc_u32_e32 v98, v33, v35
	s_wait_alu 0xf1ff
	v_xor_b32_e32 v33, s0, v34
	s_delay_alu instid0(VALU_DEP_3) | instskip(SKIP_2) | instid1(VALU_DEP_1)
	v_and_b32_e32 v34, v36, v37
	ds_load_b32 v96, v98 offset:16
	; wave barrier
	v_and_b32_e32 v33, v34, v33
	v_mbcnt_lo_u32_b32 v97, v33, 0
	v_cmp_ne_u32_e64 s0, 0, v33
	s_delay_alu instid0(VALU_DEP_2)
	v_cmp_eq_u32_e32 vcc_lo, 0, v97
	s_and_b32 s1, s0, vcc_lo
	s_wait_alu 0xfffe
	s_and_saveexec_b32 s0, s1
	s_cbranch_execz .LBB97_60
; %bb.59:
	s_wait_dscnt 0x0
	v_bcnt_u32_b32 v33, v33, v96
	ds_store_b32 v98, v33 offset:16
.LBB97_60:
	s_wait_alu 0xfffe
	s_or_b32 exec_lo, exec_lo, s0
	; wave barrier
	s_wait_loadcnt_dscnt 0x0
	s_barrier_signal -1
	s_barrier_wait -1
	global_inv scope:SCOPE_SE
	ds_load_b128 v[37:40], v64 offset:16
	ds_load_b128 v[33:36], v64 offset:32
	v_min_u32_e32 v101, 0x60, v66
	s_mov_b32 s0, exec_lo
	s_wait_dscnt 0x1
	v_add_nc_u32_e32 v99, v38, v37
	s_delay_alu instid0(VALU_DEP_1) | instskip(SKIP_1) | instid1(VALU_DEP_1)
	v_add3_u32 v99, v99, v39, v40
	s_wait_dscnt 0x0
	v_add3_u32 v99, v99, v33, v34
	s_delay_alu instid0(VALU_DEP_1) | instskip(SKIP_1) | instid1(VALU_DEP_2)
	v_add3_u32 v36, v99, v35, v36
	v_and_b32_e32 v99, 15, v65
	v_mov_b32_dpp v100, v36 row_shr:1 row_mask:0xf bank_mask:0xf
	s_delay_alu instid0(VALU_DEP_2) | instskip(SKIP_1) | instid1(VALU_DEP_2)
	v_cmp_ne_u32_e32 vcc_lo, 0, v99
	s_wait_alu 0xfffd
	v_cndmask_b32_e32 v100, 0, v100, vcc_lo
	v_cmp_lt_u32_e32 vcc_lo, 1, v99
	s_delay_alu instid0(VALU_DEP_2) | instskip(NEXT) | instid1(VALU_DEP_1)
	v_add_nc_u32_e32 v36, v100, v36
	v_mov_b32_dpp v100, v36 row_shr:2 row_mask:0xf bank_mask:0xf
	s_wait_alu 0xfffd
	s_delay_alu instid0(VALU_DEP_1) | instskip(SKIP_1) | instid1(VALU_DEP_2)
	v_cndmask_b32_e32 v100, 0, v100, vcc_lo
	v_cmp_lt_u32_e32 vcc_lo, 3, v99
	v_add_nc_u32_e32 v36, v36, v100
	s_delay_alu instid0(VALU_DEP_1) | instskip(SKIP_1) | instid1(VALU_DEP_1)
	v_mov_b32_dpp v100, v36 row_shr:4 row_mask:0xf bank_mask:0xf
	s_wait_alu 0xfffd
	v_cndmask_b32_e32 v100, 0, v100, vcc_lo
	v_cmp_lt_u32_e32 vcc_lo, 7, v99
	s_delay_alu instid0(VALU_DEP_2) | instskip(NEXT) | instid1(VALU_DEP_1)
	v_add_nc_u32_e32 v36, v36, v100
	v_mov_b32_dpp v100, v36 row_shr:8 row_mask:0xf bank_mask:0xf
	s_wait_alu 0xfffd
	s_delay_alu instid0(VALU_DEP_1) | instskip(SKIP_1) | instid1(VALU_DEP_2)
	v_cndmask_b32_e32 v99, 0, v100, vcc_lo
	v_bfe_i32 v100, v65, 4, 1
	v_add_nc_u32_e32 v36, v36, v99
	ds_swizzle_b32 v99, v36 offset:swizzle(BROADCAST,32,15)
	s_wait_dscnt 0x0
	v_and_b32_e32 v99, v100, v99
	v_or_b32_e32 v100, 31, v101
	s_delay_alu instid0(VALU_DEP_2) | instskip(NEXT) | instid1(VALU_DEP_2)
	v_add_nc_u32_e32 v36, v36, v99
	v_cmpx_eq_u32_e64 v41, v100
; %bb.61:
	v_lshlrev_b32_e32 v99, 2, v62
	ds_store_b32 v99, v36
; %bb.62:
	s_wait_alu 0xfffe
	s_or_b32 exec_lo, exec_lo, s0
	s_delay_alu instid0(SALU_CYCLE_1)
	s_mov_b32 s0, exec_lo
	s_wait_loadcnt_dscnt 0x0
	s_barrier_signal -1
	s_barrier_wait -1
	global_inv scope:SCOPE_SE
	v_cmpx_gt_u32_e32 4, v41
	s_cbranch_execz .LBB97_64
; %bb.63:
	v_and_b32_e32 v101, 3, v65
	s_delay_alu instid0(VALU_DEP_1)
	v_cmp_ne_u32_e32 vcc_lo, 0, v101
	v_lshlrev_b32_e32 v99, 2, v41
	ds_load_b32 v100, v99
	s_wait_dscnt 0x0
	v_mov_b32_dpp v102, v100 row_shr:1 row_mask:0xf bank_mask:0xf
	s_wait_alu 0xfffd
	s_delay_alu instid0(VALU_DEP_1) | instskip(SKIP_1) | instid1(VALU_DEP_2)
	v_cndmask_b32_e32 v102, 0, v102, vcc_lo
	v_cmp_lt_u32_e32 vcc_lo, 1, v101
	v_add_nc_u32_e32 v100, v102, v100
	s_delay_alu instid0(VALU_DEP_1) | instskip(SKIP_1) | instid1(VALU_DEP_1)
	v_mov_b32_dpp v102, v100 row_shr:2 row_mask:0xf bank_mask:0xf
	s_wait_alu 0xfffd
	v_cndmask_b32_e32 v101, 0, v102, vcc_lo
	s_delay_alu instid0(VALU_DEP_1)
	v_add_nc_u32_e32 v100, v100, v101
	ds_store_b32 v99, v100
.LBB97_64:
	s_wait_alu 0xfffe
	s_or_b32 exec_lo, exec_lo, s0
	v_mov_b32_e32 v99, 0
	s_mov_b32 s0, exec_lo
	s_wait_loadcnt_dscnt 0x0
	s_barrier_signal -1
	s_barrier_wait -1
	global_inv scope:SCOPE_SE
	v_cmpx_lt_u32_e32 31, v41
; %bb.65:
	v_lshl_add_u32 v99, v62, 2, -4
	ds_load_b32 v99, v99
; %bb.66:
	s_wait_alu 0xfffe
	s_or_b32 exec_lo, exec_lo, s0
	v_sub_co_u32 v100, vcc_lo, v65, 1
	s_wait_dscnt 0x0
	v_add_nc_u32_e32 v36, v99, v36
	s_delay_alu instid0(VALU_DEP_2) | instskip(SKIP_1) | instid1(VALU_DEP_1)
	v_cmp_gt_i32_e64 s0, 0, v100
	s_wait_alu 0xf1ff
	v_cndmask_b32_e64 v100, v100, v65, s0
	s_delay_alu instid0(VALU_DEP_1)
	v_lshlrev_b32_e32 v100, 2, v100
	ds_bpermute_b32 v36, v100, v36
	s_wait_dscnt 0x0
	s_wait_alu 0xfffd
	v_cndmask_b32_e32 v36, v36, v99, vcc_lo
	v_cmp_ne_u32_e32 vcc_lo, 0, v41
	s_wait_alu 0xfffd
	s_delay_alu instid0(VALU_DEP_2) | instskip(NEXT) | instid1(VALU_DEP_1)
	v_cndmask_b32_e32 v36, 0, v36, vcc_lo
	v_add_nc_u32_e32 v37, v36, v37
	s_delay_alu instid0(VALU_DEP_1) | instskip(NEXT) | instid1(VALU_DEP_1)
	v_add_nc_u32_e32 v38, v37, v38
	v_add_nc_u32_e32 v39, v38, v39
	s_delay_alu instid0(VALU_DEP_1) | instskip(NEXT) | instid1(VALU_DEP_1)
	v_add_nc_u32_e32 v99, v39, v40
	;; [unrolled: 3-line block ×3, first 2 shown]
	v_add_nc_u32_e32 v102, v101, v35
	ds_store_b128 v64, v[36:39] offset:16
	ds_store_b128 v64, v[99:102] offset:32
	s_wait_loadcnt_dscnt 0x0
	s_barrier_signal -1
	s_barrier_wait -1
	global_inv scope:SCOPE_SE
	ds_load_b32 v33, v77 offset:16
	ds_load_b32 v34, v80 offset:16
	;; [unrolled: 1-line block ×8, first 2 shown]
	v_mad_u32_u24 v77, v41, 56, v54
	s_wait_loadcnt_dscnt 0x0
	s_barrier_signal -1
	s_barrier_wait -1
	global_inv scope:SCOPE_SE
	v_add_nc_u32_e32 v76, v33, v76
	v_add3_u32 v78, v79, v78, v34
	v_add3_u32 v35, v82, v81, v35
	;; [unrolled: 1-line block ×7, first 2 shown]
	ds_store_b8 v76, v0
	ds_store_b8 v78, v69
	;; [unrolled: 1-line block ×8, first 2 shown]
	v_lshlrev_b32_e32 v0, 3, v76
	v_lshlrev_b32_e32 v69, 3, v78
	;; [unrolled: 1-line block ×5, first 2 shown]
	s_wait_loadcnt_dscnt 0x0
	s_barrier_signal -1
	s_barrier_wait -1
	global_inv scope:SCOPE_SE
	ds_load_b64 v[33:34], v54
	s_wait_loadcnt_dscnt 0x0
	s_barrier_signal -1
	s_barrier_wait -1
	global_inv scope:SCOPE_SE
	v_lshlrev_b32_e32 v38, 3, v38
	v_lshlrev_b32_e32 v39, 3, v39
	;; [unrolled: 1-line block ×3, first 2 shown]
	ds_store_b64 v0, v[25:26]
	ds_store_b64 v69, v[27:28]
	;; [unrolled: 1-line block ×8, first 2 shown]
	s_wait_loadcnt_dscnt 0x0
	s_barrier_signal -1
	s_barrier_wait -1
	global_inv scope:SCOPE_SE
	ds_load_b128 v[29:32], v77
	ds_load_b128 v[25:28], v77 offset:16
	ds_load_b128 v[21:24], v77 offset:32
	;; [unrolled: 1-line block ×3, first 2 shown]
	s_branch .LBB97_98
.LBB97_67:
	s_wait_kmcnt 0x0
	v_mad_co_u64_u32 v[2:3], null, s10, v41, 0
	v_dual_mov_b32 v14, v1 :: v_dual_mov_b32 v15, v1
	v_mov_b32_e32 v16, v1
	v_dual_mov_b32 v6, v1 :: v_dual_mov_b32 v7, v1
	v_dual_mov_b32 v8, v1 :: v_dual_mov_b32 v9, v1
	v_mad_co_u64_u32 v[3:4], null, s11, v41, v[3:4]
	v_dual_mov_b32 v4, v1 :: v_dual_mov_b32 v5, v1
	v_dual_mov_b32 v10, v1 :: v_dual_mov_b32 v13, v1
	s_delay_alu instid0(VALU_DEP_3) | instskip(NEXT) | instid1(VALU_DEP_1)
	v_lshlrev_b64_e32 v[2:3], 3, v[2:3]
	v_add_co_u32 v2, vcc_lo, s16, v2
	s_delay_alu instid0(VALU_DEP_1)
	v_add_co_ci_u32_e64 v3, null, s17, v3, vcc_lo
	global_load_b64 v[11:12], v[2:3], off
	v_dual_mov_b32 v2, v1 :: v_dual_mov_b32 v3, v1
	s_or_b32 exec_lo, exec_lo, s0
	s_and_saveexec_b32 s0, s3
	s_cbranch_execz .LBB97_36
.LBB97_68:
	s_wait_kmcnt 0x0
	v_mad_co_u64_u32 v[1:2], null, s10, v23, 0
	s_delay_alu instid0(VALU_DEP_1) | instskip(NEXT) | instid1(VALU_DEP_1)
	v_mad_co_u64_u32 v[32:33], null, s11, v23, v[2:3]
	v_mov_b32_e32 v2, v32
	s_delay_alu instid0(VALU_DEP_1) | instskip(NEXT) | instid1(VALU_DEP_1)
	v_lshlrev_b64_e32 v[1:2], 3, v[1:2]
	v_add_co_u32 v1, vcc_lo, s16, v1
	s_wait_alu 0xfffd
	s_delay_alu instid0(VALU_DEP_2)
	v_add_co_ci_u32_e64 v2, null, s17, v2, vcc_lo
	global_load_b64 v[1:2], v[1:2], off
	s_or_b32 exec_lo, exec_lo, s0
	s_and_saveexec_b32 s0, s4
	s_cbranch_execz .LBB97_37
.LBB97_69:
	s_wait_kmcnt 0x0
	v_mad_co_u64_u32 v[13:14], null, s10, v22, 0
	s_delay_alu instid0(VALU_DEP_1) | instskip(NEXT) | instid1(VALU_DEP_1)
	v_mad_co_u64_u32 v[22:23], null, s11, v22, v[14:15]
	v_mov_b32_e32 v14, v22
	s_delay_alu instid0(VALU_DEP_1) | instskip(NEXT) | instid1(VALU_DEP_1)
	v_lshlrev_b64_e32 v[13:14], 3, v[13:14]
	v_add_co_u32 v13, vcc_lo, s16, v13
	s_wait_alu 0xfffd
	s_delay_alu instid0(VALU_DEP_2)
	v_add_co_ci_u32_e64 v14, null, s17, v14, vcc_lo
	global_load_b64 v[13:14], v[13:14], off
	s_or_b32 exec_lo, exec_lo, s0
	s_and_saveexec_b32 s0, s5
	s_cbranch_execz .LBB97_38
.LBB97_70:
	s_wait_kmcnt 0x0
	v_mad_co_u64_u32 v[15:16], null, s10, v21, 0
	s_delay_alu instid0(VALU_DEP_1) | instskip(NEXT) | instid1(VALU_DEP_1)
	v_mad_co_u64_u32 v[21:22], null, s11, v21, v[16:17]
	v_mov_b32_e32 v16, v21
	s_delay_alu instid0(VALU_DEP_1) | instskip(NEXT) | instid1(VALU_DEP_1)
	v_lshlrev_b64_e32 v[15:16], 3, v[15:16]
	v_add_co_u32 v15, vcc_lo, s16, v15
	s_wait_alu 0xfffd
	s_delay_alu instid0(VALU_DEP_2)
	v_add_co_ci_u32_e64 v16, null, s17, v16, vcc_lo
	global_load_b64 v[15:16], v[15:16], off
	s_or_b32 exec_lo, exec_lo, s0
	s_and_saveexec_b32 s0, s6
	s_cbranch_execz .LBB97_39
.LBB97_71:
	s_wait_kmcnt 0x0
	v_mad_co_u64_u32 v[3:4], null, s10, v20, 0
	s_delay_alu instid0(VALU_DEP_1) | instskip(NEXT) | instid1(VALU_DEP_1)
	v_mad_co_u64_u32 v[20:21], null, s11, v20, v[4:5]
	v_mov_b32_e32 v4, v20
	s_delay_alu instid0(VALU_DEP_1) | instskip(NEXT) | instid1(VALU_DEP_1)
	v_lshlrev_b64_e32 v[3:4], 3, v[3:4]
	v_add_co_u32 v3, vcc_lo, s16, v3
	s_wait_alu 0xfffd
	s_delay_alu instid0(VALU_DEP_2)
	v_add_co_ci_u32_e64 v4, null, s17, v4, vcc_lo
	global_load_b64 v[3:4], v[3:4], off
	s_or_b32 exec_lo, exec_lo, s0
	s_and_saveexec_b32 s0, s7
	s_cbranch_execz .LBB97_40
.LBB97_72:
	s_wait_kmcnt 0x0
	v_mad_co_u64_u32 v[5:6], null, s10, v19, 0
	s_delay_alu instid0(VALU_DEP_1) | instskip(NEXT) | instid1(VALU_DEP_1)
	v_mad_co_u64_u32 v[19:20], null, s11, v19, v[6:7]
	v_mov_b32_e32 v6, v19
	s_delay_alu instid0(VALU_DEP_1) | instskip(NEXT) | instid1(VALU_DEP_1)
	v_lshlrev_b64_e32 v[5:6], 3, v[5:6]
	v_add_co_u32 v5, vcc_lo, s16, v5
	s_wait_alu 0xfffd
	s_delay_alu instid0(VALU_DEP_2)
	v_add_co_ci_u32_e64 v6, null, s17, v6, vcc_lo
	global_load_b64 v[5:6], v[5:6], off
	s_or_b32 exec_lo, exec_lo, s0
	s_and_saveexec_b32 s0, s8
	s_cbranch_execz .LBB97_41
.LBB97_73:
	s_wait_kmcnt 0x0
	v_mad_co_u64_u32 v[7:8], null, s10, v17, 0
	s_delay_alu instid0(VALU_DEP_1) | instskip(NEXT) | instid1(VALU_DEP_1)
	v_mad_co_u64_u32 v[19:20], null, s11, v17, v[8:9]
	v_mov_b32_e32 v8, v19
	s_delay_alu instid0(VALU_DEP_1) | instskip(NEXT) | instid1(VALU_DEP_1)
	v_lshlrev_b64_e32 v[7:8], 3, v[7:8]
	v_add_co_u32 v7, vcc_lo, s16, v7
	s_wait_alu 0xfffd
	s_delay_alu instid0(VALU_DEP_2)
	v_add_co_ci_u32_e64 v8, null, s17, v8, vcc_lo
	global_load_b64 v[7:8], v[7:8], off
	s_or_b32 exec_lo, exec_lo, s0
	s_and_saveexec_b32 s0, s9
	s_cbranch_execnz .LBB97_42
	s_branch .LBB97_43
.LBB97_74:
                                        ; implicit-def: $vgpr19_vgpr20
                                        ; implicit-def: $vgpr23_vgpr24
                                        ; implicit-def: $vgpr27_vgpr28
                                        ; implicit-def: $vgpr31_vgpr32
                                        ; implicit-def: $vgpr34
	s_cbranch_execz .LBB97_98
; %bb.75:
	v_or_b32_e32 v0, v65, v66
	s_getpc_b64 s[0:1]
	s_sext_i32_i16 s1, s1
	s_add_co_u32 s0, s0, _ZN7rocprim17ROCPRIM_400000_NS16block_radix_sortIhLj128ELj8ElLj1ELj1ELj0ELNS0_26block_radix_rank_algorithmE1ELNS0_18block_padding_hintE2ELNS0_4arch9wavefront6targetE0EE19radix_bits_per_passE@rel32@lo+8
	s_add_co_ci_u32 s1, s1, _ZN7rocprim17ROCPRIM_400000_NS16block_radix_sortIhLj128ELj8ElLj1ELj1ELj0ELNS0_26block_radix_rank_algorithmE1ELNS0_18block_padding_hintE2ELNS0_4arch9wavefront6targetE0EE19radix_bits_per_passE@rel32@hi+16
	s_mov_b32 s20, 0
	s_load_b32 s0, s[0:1], 0x0
	s_wait_dscnt 0x0
	v_not_b32_e32 v18, v43
	v_not_b32_e32 v17, v42
	v_and_or_b32 v20, 0x1f00, v54, v65
	s_mov_b32 s21, s20
	s_mov_b32 s22, s20
	;; [unrolled: 1-line block ×3, first 2 shown]
	v_lshlrev_b32_e32 v19, 3, v0
	ds_store_b64 v19, v[17:18]
	; wave barrier
	ds_load_u8 v24, v20
	v_mad_u32_u24 v0, v0, 56, v19
	ds_load_u8 v25, v20 offset:32
	ds_load_u8 v26, v20 offset:64
	;; [unrolled: 1-line block ×7, first 2 shown]
	s_wait_loadcnt_dscnt 0x0
	s_barrier_signal -1
	s_wait_kmcnt 0x0
	s_min_u32 s0, s0, 8
	s_barrier_wait -1
	s_lshl_b32 s0, -1, s0
	global_inv scope:SCOPE_SE
	s_not_b32 s1, s0
	ds_store_b128 v0, v[13:16]
	ds_store_b128 v0, v[9:12] offset:16
	v_mad_u32_u24 v17, v20, 7, v20
	ds_store_b128 v0, v[5:8] offset:32
	ds_store_b128 v0, v[1:4] offset:48
	; wave barrier
	ds_load_2addr_b64 v[0:3], v17 offset1:32
	ds_load_2addr_b64 v[8:11], v17 offset0:64 offset1:96
	ds_load_2addr_b64 v[4:7], v17 offset0:128 offset1:160
	v_and_b32_e32 v22, s1, v24
	s_delay_alu instid0(VALU_DEP_1) | instskip(SKIP_2) | instid1(VALU_DEP_3)
	v_and_b32_e32 v12, 1, v22
	v_lshlrev_b32_e32 v16, 30, v22
	v_lshlrev_b32_e32 v20, 28, v22
	v_add_co_u32 v18, s0, v12, -1
	s_wait_alu 0xf1ff
	v_cndmask_b32_e64 v19, 0, 1, s0
	ds_load_2addr_b64 v[12:15], v17 offset0:192 offset1:224
	v_not_b32_e32 v17, v16
	v_cmp_gt_i32_e64 s0, 0, v16
	s_wait_loadcnt_dscnt 0x0
	v_cmp_ne_u32_e32 vcc_lo, 0, v19
	v_lshlrev_b32_e32 v19, 29, v22
	v_ashrrev_i32_e32 v16, 31, v17
	s_barrier_signal -1
	s_barrier_wait -1
	s_wait_alu 0xfffd
	v_xor_b32_e32 v17, vcc_lo, v18
	v_not_b32_e32 v18, v19
	s_wait_alu 0xf1ff
	v_xor_b32_e32 v16, s0, v16
	v_cmp_gt_i32_e32 vcc_lo, 0, v19
	v_not_b32_e32 v19, v20
	v_and_b32_e32 v17, exec_lo, v17
	v_ashrrev_i32_e32 v18, 31, v18
	global_inv scope:SCOPE_SE
	s_load_b32 s0, s[18:19], 0xc
	v_ashrrev_i32_e32 v19, 31, v19
	v_and_b32_e32 v16, v17, v16
	v_lshlrev_b32_e32 v17, 27, v22
	v_xor_b32_e32 v18, vcc_lo, v18
	v_cmp_gt_i32_e32 vcc_lo, 0, v20
	s_delay_alu instid0(VALU_DEP_3) | instskip(NEXT) | instid1(VALU_DEP_3)
	v_not_b32_e32 v20, v17
	v_and_b32_e32 v16, v16, v18
	v_lshlrev_b32_e32 v18, 26, v22
	s_wait_alu 0xfffd
	v_xor_b32_e32 v19, vcc_lo, v19
	v_cmp_gt_i32_e32 vcc_lo, 0, v17
	v_ashrrev_i32_e32 v17, 31, v20
	v_not_b32_e32 v20, v18
	s_delay_alu instid0(VALU_DEP_4)
	v_and_b32_e32 v16, v16, v19
	v_lshlrev_b32_e32 v19, 25, v22
	s_wait_alu 0xfffd
	v_xor_b32_e32 v17, vcc_lo, v17
	v_cmp_gt_i32_e32 vcc_lo, 0, v18
	v_ashrrev_i32_e32 v18, 31, v20
	s_wait_kmcnt 0x0
	s_lshr_b32 s18, s0, 16
	v_not_b32_e32 v20, v19
	v_and_b32_e32 v16, v16, v17
	v_lshlrev_b32_e32 v17, 24, v22
	s_wait_alu 0xfffd
	v_xor_b32_e32 v18, vcc_lo, v18
	v_cmp_gt_i32_e32 vcc_lo, 0, v19
	v_ashrrev_i32_e32 v19, 31, v20
	s_wait_alu 0xfffe
	v_mad_u32_u24 v21, v68, s18, v67
	v_not_b32_e32 v20, v17
	v_and_b32_e32 v18, v16, v18
	s_and_b32 s0, s0, 0xffff
	s_wait_alu 0xfffd
	v_xor_b32_e32 v19, vcc_lo, v19
	v_cmp_gt_i32_e32 vcc_lo, 0, v17
	v_ashrrev_i32_e32 v20, 31, v20
	s_wait_alu 0xfffe
	v_mad_co_u64_u32 v[16:17], null, v21, s0, v[41:42]
	v_and_b32_e32 v17, v18, v19
	s_wait_alu 0xfffd
	v_xor_b32_e32 v23, vcc_lo, v20
	v_dual_mov_b32 v18, s20 :: v_dual_mov_b32 v19, s21
	v_dual_mov_b32 v20, s22 :: v_dual_mov_b32 v21, s23
	s_delay_alu instid0(VALU_DEP_3)
	v_and_b32_e32 v17, v17, v23
	v_and_b32_e32 v22, 0xff, v22
	v_lshrrev_b32_e32 v16, 3, v16
	ds_store_b128 v64, v[18:21] offset:16
	ds_store_b128 v64, v[18:21] offset:32
	v_mbcnt_lo_u32_b32 v32, v17, 0
	v_lshlrev_b32_e32 v18, 4, v22
	v_and_b32_e32 v16, 0x1ffffffc, v16
	v_cmp_ne_u32_e64 s0, 0, v17
	s_wait_loadcnt_dscnt 0x0
	v_cmp_eq_u32_e32 vcc_lo, 0, v32
	s_barrier_signal -1
	v_add_nc_u32_e32 v33, v16, v18
	s_barrier_wait -1
	global_inv scope:SCOPE_SE
	s_and_b32 s18, s0, vcc_lo
	; wave barrier
	s_wait_alu 0xfffe
	s_and_saveexec_b32 s0, s18
; %bb.76:
	v_bcnt_u32_b32 v17, v17, 0
	ds_store_b32 v33, v17 offset:16
; %bb.77:
	s_wait_alu 0xfffe
	s_or_b32 exec_lo, exec_lo, s0
	v_and_b32_e32 v17, s1, v25
	; wave barrier
	s_delay_alu instid0(VALU_DEP_1)
	v_and_b32_e32 v19, 1, v17
	v_lshlrev_b32_e32 v20, 30, v17
	v_lshlrev_b32_e32 v21, 29, v17
	;; [unrolled: 1-line block ×4, first 2 shown]
	v_add_co_u32 v19, s0, v19, -1
	s_wait_alu 0xf1ff
	v_cndmask_b32_e64 v23, 0, 1, s0
	v_not_b32_e32 v37, v20
	v_cmp_gt_i32_e64 s0, 0, v20
	v_not_b32_e32 v20, v21
	v_lshlrev_b32_e32 v35, 26, v17
	v_cmp_ne_u32_e32 vcc_lo, 0, v23
	v_ashrrev_i32_e32 v23, 31, v37
	v_lshlrev_b32_e32 v36, 25, v17
	v_ashrrev_i32_e32 v20, 31, v20
	v_and_b32_e32 v18, 0xff, v17
	s_wait_alu 0xfffd
	v_xor_b32_e32 v19, vcc_lo, v19
	v_cmp_gt_i32_e32 vcc_lo, 0, v21
	v_not_b32_e32 v21, v22
	s_wait_alu 0xf1ff
	v_xor_b32_e32 v23, s0, v23
	v_cmp_gt_i32_e64 s0, 0, v22
	v_and_b32_e32 v19, exec_lo, v19
	v_not_b32_e32 v22, v34
	v_ashrrev_i32_e32 v21, 31, v21
	s_wait_alu 0xfffd
	v_xor_b32_e32 v20, vcc_lo, v20
	v_cmp_gt_i32_e32 vcc_lo, 0, v34
	v_and_b32_e32 v19, v19, v23
	v_not_b32_e32 v23, v35
	v_ashrrev_i32_e32 v22, 31, v22
	s_wait_alu 0xf1ff
	v_xor_b32_e32 v21, s0, v21
	v_lshlrev_b32_e32 v17, 24, v17
	v_and_b32_e32 v19, v19, v20
	v_cmp_gt_i32_e64 s0, 0, v35
	v_not_b32_e32 v20, v36
	v_ashrrev_i32_e32 v23, 31, v23
	s_wait_alu 0xfffd
	v_xor_b32_e32 v22, vcc_lo, v22
	v_and_b32_e32 v19, v19, v21
	v_cmp_gt_i32_e32 vcc_lo, 0, v36
	v_not_b32_e32 v21, v17
	v_ashrrev_i32_e32 v20, 31, v20
	s_wait_alu 0xf1ff
	v_xor_b32_e32 v23, s0, v23
	v_and_b32_e32 v19, v19, v22
	v_lshlrev_b32_e32 v18, 4, v18
	v_cmp_gt_i32_e64 s0, 0, v17
	v_ashrrev_i32_e32 v17, 31, v21
	s_wait_alu 0xfffd
	v_xor_b32_e32 v20, vcc_lo, v20
	v_and_b32_e32 v19, v19, v23
	v_add_nc_u32_e32 v36, v16, v18
	s_wait_alu 0xf1ff
	v_xor_b32_e32 v17, s0, v17
	s_delay_alu instid0(VALU_DEP_3) | instskip(SKIP_2) | instid1(VALU_DEP_1)
	v_and_b32_e32 v18, v19, v20
	ds_load_b32 v34, v36 offset:16
	; wave barrier
	v_and_b32_e32 v17, v18, v17
	v_mbcnt_lo_u32_b32 v35, v17, 0
	v_cmp_ne_u32_e64 s0, 0, v17
	s_delay_alu instid0(VALU_DEP_2)
	v_cmp_eq_u32_e32 vcc_lo, 0, v35
	s_and_b32 s18, s0, vcc_lo
	s_wait_alu 0xfffe
	s_and_saveexec_b32 s0, s18
	s_cbranch_execz .LBB97_79
; %bb.78:
	s_wait_dscnt 0x0
	v_bcnt_u32_b32 v17, v17, v34
	ds_store_b32 v36, v17 offset:16
.LBB97_79:
	s_wait_alu 0xfffe
	s_or_b32 exec_lo, exec_lo, s0
	v_and_b32_e32 v17, s1, v26
	; wave barrier
	s_delay_alu instid0(VALU_DEP_1)
	v_and_b32_e32 v19, 1, v17
	v_lshlrev_b32_e32 v20, 30, v17
	v_lshlrev_b32_e32 v21, 29, v17
	;; [unrolled: 1-line block ×4, first 2 shown]
	v_add_co_u32 v19, s0, v19, -1
	s_wait_alu 0xf1ff
	v_cndmask_b32_e64 v23, 0, 1, s0
	v_not_b32_e32 v40, v20
	v_cmp_gt_i32_e64 s0, 0, v20
	v_not_b32_e32 v20, v21
	v_lshlrev_b32_e32 v38, 26, v17
	v_cmp_ne_u32_e32 vcc_lo, 0, v23
	v_ashrrev_i32_e32 v23, 31, v40
	v_lshlrev_b32_e32 v39, 25, v17
	v_ashrrev_i32_e32 v20, 31, v20
	v_and_b32_e32 v18, 0xff, v17
	s_wait_alu 0xfffd
	v_xor_b32_e32 v19, vcc_lo, v19
	v_cmp_gt_i32_e32 vcc_lo, 0, v21
	v_not_b32_e32 v21, v22
	s_wait_alu 0xf1ff
	v_xor_b32_e32 v23, s0, v23
	v_cmp_gt_i32_e64 s0, 0, v22
	v_and_b32_e32 v19, exec_lo, v19
	v_not_b32_e32 v22, v37
	v_ashrrev_i32_e32 v21, 31, v21
	s_wait_alu 0xfffd
	v_xor_b32_e32 v20, vcc_lo, v20
	v_cmp_gt_i32_e32 vcc_lo, 0, v37
	v_and_b32_e32 v19, v19, v23
	v_not_b32_e32 v23, v38
	v_ashrrev_i32_e32 v22, 31, v22
	s_wait_alu 0xf1ff
	v_xor_b32_e32 v21, s0, v21
	v_lshlrev_b32_e32 v17, 24, v17
	v_and_b32_e32 v19, v19, v20
	v_cmp_gt_i32_e64 s0, 0, v38
	v_not_b32_e32 v20, v39
	v_ashrrev_i32_e32 v23, 31, v23
	s_wait_alu 0xfffd
	v_xor_b32_e32 v22, vcc_lo, v22
	v_and_b32_e32 v19, v19, v21
	v_cmp_gt_i32_e32 vcc_lo, 0, v39
	v_not_b32_e32 v21, v17
	v_ashrrev_i32_e32 v20, 31, v20
	s_wait_alu 0xf1ff
	v_xor_b32_e32 v23, s0, v23
	v_and_b32_e32 v19, v19, v22
	v_lshlrev_b32_e32 v18, 4, v18
	v_cmp_gt_i32_e64 s0, 0, v17
	v_ashrrev_i32_e32 v17, 31, v21
	s_wait_alu 0xfffd
	v_xor_b32_e32 v20, vcc_lo, v20
	v_and_b32_e32 v19, v19, v23
	v_add_nc_u32_e32 v39, v16, v18
	s_wait_alu 0xf1ff
	v_xor_b32_e32 v17, s0, v17
	s_delay_alu instid0(VALU_DEP_3) | instskip(SKIP_2) | instid1(VALU_DEP_1)
	v_and_b32_e32 v18, v19, v20
	ds_load_b32 v37, v39 offset:16
	; wave barrier
	v_and_b32_e32 v17, v18, v17
	v_mbcnt_lo_u32_b32 v38, v17, 0
	v_cmp_ne_u32_e64 s0, 0, v17
	s_delay_alu instid0(VALU_DEP_2)
	v_cmp_eq_u32_e32 vcc_lo, 0, v38
	s_and_b32 s18, s0, vcc_lo
	s_wait_alu 0xfffe
	s_and_saveexec_b32 s0, s18
	s_cbranch_execz .LBB97_81
; %bb.80:
	s_wait_dscnt 0x0
	v_bcnt_u32_b32 v17, v17, v37
	ds_store_b32 v39, v17 offset:16
.LBB97_81:
	s_wait_alu 0xfffe
	s_or_b32 exec_lo, exec_lo, s0
	v_and_b32_e32 v17, s1, v27
	; wave barrier
	s_delay_alu instid0(VALU_DEP_1)
	v_and_b32_e32 v19, 1, v17
	v_lshlrev_b32_e32 v20, 30, v17
	v_lshlrev_b32_e32 v21, 29, v17
	;; [unrolled: 1-line block ×4, first 2 shown]
	v_add_co_u32 v19, s0, v19, -1
	s_wait_alu 0xf1ff
	v_cndmask_b32_e64 v23, 0, 1, s0
	v_not_b32_e32 v67, v20
	v_cmp_gt_i32_e64 s0, 0, v20
	v_not_b32_e32 v20, v21
	v_lshlrev_b32_e32 v42, 26, v17
	v_cmp_ne_u32_e32 vcc_lo, 0, v23
	v_ashrrev_i32_e32 v23, 31, v67
	v_lshlrev_b32_e32 v43, 25, v17
	v_ashrrev_i32_e32 v20, 31, v20
	v_and_b32_e32 v18, 0xff, v17
	s_wait_alu 0xfffd
	v_xor_b32_e32 v19, vcc_lo, v19
	v_cmp_gt_i32_e32 vcc_lo, 0, v21
	v_not_b32_e32 v21, v22
	s_wait_alu 0xf1ff
	v_xor_b32_e32 v23, s0, v23
	v_cmp_gt_i32_e64 s0, 0, v22
	v_and_b32_e32 v19, exec_lo, v19
	v_not_b32_e32 v22, v40
	v_ashrrev_i32_e32 v21, 31, v21
	s_wait_alu 0xfffd
	v_xor_b32_e32 v20, vcc_lo, v20
	v_cmp_gt_i32_e32 vcc_lo, 0, v40
	v_and_b32_e32 v19, v19, v23
	v_not_b32_e32 v23, v42
	v_ashrrev_i32_e32 v22, 31, v22
	s_wait_alu 0xf1ff
	v_xor_b32_e32 v21, s0, v21
	v_lshlrev_b32_e32 v17, 24, v17
	v_and_b32_e32 v19, v19, v20
	v_cmp_gt_i32_e64 s0, 0, v42
	v_not_b32_e32 v20, v43
	v_ashrrev_i32_e32 v23, 31, v23
	s_wait_alu 0xfffd
	v_xor_b32_e32 v22, vcc_lo, v22
	v_and_b32_e32 v19, v19, v21
	v_cmp_gt_i32_e32 vcc_lo, 0, v43
	v_not_b32_e32 v21, v17
	v_ashrrev_i32_e32 v20, 31, v20
	s_wait_alu 0xf1ff
	v_xor_b32_e32 v23, s0, v23
	v_and_b32_e32 v19, v19, v22
	v_lshlrev_b32_e32 v18, 4, v18
	v_cmp_gt_i32_e64 s0, 0, v17
	v_ashrrev_i32_e32 v17, 31, v21
	s_wait_alu 0xfffd
	v_xor_b32_e32 v20, vcc_lo, v20
	v_and_b32_e32 v19, v19, v23
	v_add_nc_u32_e32 v43, v16, v18
	s_wait_alu 0xf1ff
	v_xor_b32_e32 v17, s0, v17
	s_delay_alu instid0(VALU_DEP_3) | instskip(SKIP_2) | instid1(VALU_DEP_1)
	v_and_b32_e32 v18, v19, v20
	ds_load_b32 v40, v43 offset:16
	; wave barrier
	v_and_b32_e32 v17, v18, v17
	v_mbcnt_lo_u32_b32 v42, v17, 0
	v_cmp_ne_u32_e64 s0, 0, v17
	s_delay_alu instid0(VALU_DEP_2)
	v_cmp_eq_u32_e32 vcc_lo, 0, v42
	s_and_b32 s18, s0, vcc_lo
	s_wait_alu 0xfffe
	s_and_saveexec_b32 s0, s18
	s_cbranch_execz .LBB97_83
; %bb.82:
	s_wait_dscnt 0x0
	v_bcnt_u32_b32 v17, v17, v40
	ds_store_b32 v43, v17 offset:16
.LBB97_83:
	s_wait_alu 0xfffe
	s_or_b32 exec_lo, exec_lo, s0
	v_and_b32_e32 v17, s1, v28
	; wave barrier
	s_delay_alu instid0(VALU_DEP_1)
	v_and_b32_e32 v19, 1, v17
	v_lshlrev_b32_e32 v20, 30, v17
	v_lshlrev_b32_e32 v21, 29, v17
	v_lshlrev_b32_e32 v22, 28, v17
	v_lshlrev_b32_e32 v67, 27, v17
	v_add_co_u32 v19, s0, v19, -1
	s_wait_alu 0xf1ff
	v_cndmask_b32_e64 v23, 0, 1, s0
	v_not_b32_e32 v70, v20
	v_cmp_gt_i32_e64 s0, 0, v20
	v_not_b32_e32 v20, v21
	v_lshlrev_b32_e32 v68, 26, v17
	v_cmp_ne_u32_e32 vcc_lo, 0, v23
	v_ashrrev_i32_e32 v23, 31, v70
	v_lshlrev_b32_e32 v69, 25, v17
	v_ashrrev_i32_e32 v20, 31, v20
	v_and_b32_e32 v18, 0xff, v17
	s_wait_alu 0xfffd
	v_xor_b32_e32 v19, vcc_lo, v19
	v_cmp_gt_i32_e32 vcc_lo, 0, v21
	v_not_b32_e32 v21, v22
	s_wait_alu 0xf1ff
	v_xor_b32_e32 v23, s0, v23
	v_cmp_gt_i32_e64 s0, 0, v22
	v_and_b32_e32 v19, exec_lo, v19
	v_not_b32_e32 v22, v67
	v_ashrrev_i32_e32 v21, 31, v21
	s_wait_alu 0xfffd
	v_xor_b32_e32 v20, vcc_lo, v20
	v_cmp_gt_i32_e32 vcc_lo, 0, v67
	v_and_b32_e32 v19, v19, v23
	v_not_b32_e32 v23, v68
	v_ashrrev_i32_e32 v22, 31, v22
	s_wait_alu 0xf1ff
	v_xor_b32_e32 v21, s0, v21
	v_lshlrev_b32_e32 v17, 24, v17
	v_and_b32_e32 v19, v19, v20
	v_cmp_gt_i32_e64 s0, 0, v68
	v_not_b32_e32 v20, v69
	v_ashrrev_i32_e32 v23, 31, v23
	s_wait_alu 0xfffd
	v_xor_b32_e32 v22, vcc_lo, v22
	v_and_b32_e32 v19, v19, v21
	v_cmp_gt_i32_e32 vcc_lo, 0, v69
	v_not_b32_e32 v21, v17
	v_ashrrev_i32_e32 v20, 31, v20
	s_wait_alu 0xf1ff
	v_xor_b32_e32 v23, s0, v23
	v_and_b32_e32 v19, v19, v22
	v_lshlrev_b32_e32 v18, 4, v18
	v_cmp_gt_i32_e64 s0, 0, v17
	v_ashrrev_i32_e32 v17, 31, v21
	s_wait_alu 0xfffd
	v_xor_b32_e32 v20, vcc_lo, v20
	v_and_b32_e32 v19, v19, v23
	v_add_nc_u32_e32 v69, v16, v18
	s_wait_alu 0xf1ff
	v_xor_b32_e32 v17, s0, v17
	s_delay_alu instid0(VALU_DEP_3) | instskip(SKIP_2) | instid1(VALU_DEP_1)
	v_and_b32_e32 v18, v19, v20
	ds_load_b32 v67, v69 offset:16
	; wave barrier
	v_and_b32_e32 v17, v18, v17
	v_mbcnt_lo_u32_b32 v68, v17, 0
	v_cmp_ne_u32_e64 s0, 0, v17
	s_delay_alu instid0(VALU_DEP_2)
	v_cmp_eq_u32_e32 vcc_lo, 0, v68
	s_and_b32 s18, s0, vcc_lo
	s_wait_alu 0xfffe
	s_and_saveexec_b32 s0, s18
	s_cbranch_execz .LBB97_85
; %bb.84:
	s_wait_dscnt 0x0
	v_bcnt_u32_b32 v17, v17, v67
	ds_store_b32 v69, v17 offset:16
.LBB97_85:
	s_wait_alu 0xfffe
	s_or_b32 exec_lo, exec_lo, s0
	v_and_b32_e32 v17, s1, v29
	; wave barrier
	s_delay_alu instid0(VALU_DEP_1)
	v_and_b32_e32 v19, 1, v17
	v_lshlrev_b32_e32 v20, 30, v17
	v_lshlrev_b32_e32 v21, 29, v17
	;; [unrolled: 1-line block ×4, first 2 shown]
	v_add_co_u32 v19, s0, v19, -1
	s_wait_alu 0xf1ff
	v_cndmask_b32_e64 v23, 0, 1, s0
	v_not_b32_e32 v73, v20
	v_cmp_gt_i32_e64 s0, 0, v20
	v_not_b32_e32 v20, v21
	v_lshlrev_b32_e32 v71, 26, v17
	v_cmp_ne_u32_e32 vcc_lo, 0, v23
	v_ashrrev_i32_e32 v23, 31, v73
	v_lshlrev_b32_e32 v72, 25, v17
	v_ashrrev_i32_e32 v20, 31, v20
	v_and_b32_e32 v18, 0xff, v17
	s_wait_alu 0xfffd
	v_xor_b32_e32 v19, vcc_lo, v19
	v_cmp_gt_i32_e32 vcc_lo, 0, v21
	v_not_b32_e32 v21, v22
	s_wait_alu 0xf1ff
	v_xor_b32_e32 v23, s0, v23
	v_cmp_gt_i32_e64 s0, 0, v22
	v_and_b32_e32 v19, exec_lo, v19
	v_not_b32_e32 v22, v70
	v_ashrrev_i32_e32 v21, 31, v21
	s_wait_alu 0xfffd
	v_xor_b32_e32 v20, vcc_lo, v20
	v_cmp_gt_i32_e32 vcc_lo, 0, v70
	v_and_b32_e32 v19, v19, v23
	v_not_b32_e32 v23, v71
	v_ashrrev_i32_e32 v22, 31, v22
	s_wait_alu 0xf1ff
	v_xor_b32_e32 v21, s0, v21
	v_lshlrev_b32_e32 v17, 24, v17
	v_and_b32_e32 v19, v19, v20
	v_cmp_gt_i32_e64 s0, 0, v71
	v_not_b32_e32 v20, v72
	v_ashrrev_i32_e32 v23, 31, v23
	s_wait_alu 0xfffd
	v_xor_b32_e32 v22, vcc_lo, v22
	v_and_b32_e32 v19, v19, v21
	v_cmp_gt_i32_e32 vcc_lo, 0, v72
	v_not_b32_e32 v21, v17
	v_ashrrev_i32_e32 v20, 31, v20
	s_wait_alu 0xf1ff
	v_xor_b32_e32 v23, s0, v23
	v_and_b32_e32 v19, v19, v22
	v_lshlrev_b32_e32 v18, 4, v18
	v_cmp_gt_i32_e64 s0, 0, v17
	v_ashrrev_i32_e32 v17, 31, v21
	s_wait_alu 0xfffd
	v_xor_b32_e32 v20, vcc_lo, v20
	v_and_b32_e32 v19, v19, v23
	v_add_nc_u32_e32 v72, v16, v18
	s_wait_alu 0xf1ff
	v_xor_b32_e32 v17, s0, v17
	s_delay_alu instid0(VALU_DEP_3) | instskip(SKIP_2) | instid1(VALU_DEP_1)
	v_and_b32_e32 v18, v19, v20
	ds_load_b32 v70, v72 offset:16
	; wave barrier
	v_and_b32_e32 v17, v18, v17
	v_mbcnt_lo_u32_b32 v71, v17, 0
	v_cmp_ne_u32_e64 s0, 0, v17
	s_delay_alu instid0(VALU_DEP_2)
	v_cmp_eq_u32_e32 vcc_lo, 0, v71
	s_and_b32 s18, s0, vcc_lo
	s_wait_alu 0xfffe
	s_and_saveexec_b32 s0, s18
	s_cbranch_execz .LBB97_87
; %bb.86:
	s_wait_dscnt 0x0
	v_bcnt_u32_b32 v17, v17, v70
	ds_store_b32 v72, v17 offset:16
.LBB97_87:
	s_wait_alu 0xfffe
	s_or_b32 exec_lo, exec_lo, s0
	v_and_b32_e32 v17, s1, v30
	; wave barrier
	s_delay_alu instid0(VALU_DEP_1)
	v_and_b32_e32 v19, 1, v17
	v_lshlrev_b32_e32 v20, 30, v17
	v_lshlrev_b32_e32 v21, 29, v17
	;; [unrolled: 1-line block ×4, first 2 shown]
	v_add_co_u32 v19, s0, v19, -1
	s_wait_alu 0xf1ff
	v_cndmask_b32_e64 v23, 0, 1, s0
	v_not_b32_e32 v76, v20
	v_cmp_gt_i32_e64 s0, 0, v20
	v_not_b32_e32 v20, v21
	v_lshlrev_b32_e32 v74, 26, v17
	v_cmp_ne_u32_e32 vcc_lo, 0, v23
	v_ashrrev_i32_e32 v23, 31, v76
	v_lshlrev_b32_e32 v75, 25, v17
	v_ashrrev_i32_e32 v20, 31, v20
	v_and_b32_e32 v18, 0xff, v17
	s_wait_alu 0xfffd
	v_xor_b32_e32 v19, vcc_lo, v19
	v_cmp_gt_i32_e32 vcc_lo, 0, v21
	v_not_b32_e32 v21, v22
	s_wait_alu 0xf1ff
	v_xor_b32_e32 v23, s0, v23
	v_cmp_gt_i32_e64 s0, 0, v22
	v_and_b32_e32 v19, exec_lo, v19
	v_not_b32_e32 v22, v73
	v_ashrrev_i32_e32 v21, 31, v21
	s_wait_alu 0xfffd
	v_xor_b32_e32 v20, vcc_lo, v20
	v_cmp_gt_i32_e32 vcc_lo, 0, v73
	v_and_b32_e32 v19, v19, v23
	v_not_b32_e32 v23, v74
	v_ashrrev_i32_e32 v22, 31, v22
	s_wait_alu 0xf1ff
	v_xor_b32_e32 v21, s0, v21
	v_lshlrev_b32_e32 v17, 24, v17
	v_and_b32_e32 v19, v19, v20
	v_cmp_gt_i32_e64 s0, 0, v74
	v_not_b32_e32 v20, v75
	v_ashrrev_i32_e32 v23, 31, v23
	s_wait_alu 0xfffd
	v_xor_b32_e32 v22, vcc_lo, v22
	v_and_b32_e32 v19, v19, v21
	v_cmp_gt_i32_e32 vcc_lo, 0, v75
	v_not_b32_e32 v21, v17
	v_ashrrev_i32_e32 v20, 31, v20
	s_wait_alu 0xf1ff
	v_xor_b32_e32 v23, s0, v23
	v_and_b32_e32 v19, v19, v22
	v_lshlrev_b32_e32 v18, 4, v18
	v_cmp_gt_i32_e64 s0, 0, v17
	v_ashrrev_i32_e32 v17, 31, v21
	s_wait_alu 0xfffd
	v_xor_b32_e32 v20, vcc_lo, v20
	v_and_b32_e32 v19, v19, v23
	v_add_nc_u32_e32 v75, v16, v18
	s_wait_alu 0xf1ff
	v_xor_b32_e32 v17, s0, v17
	s_delay_alu instid0(VALU_DEP_3) | instskip(SKIP_2) | instid1(VALU_DEP_1)
	v_and_b32_e32 v18, v19, v20
	ds_load_b32 v73, v75 offset:16
	; wave barrier
	v_and_b32_e32 v17, v18, v17
	v_mbcnt_lo_u32_b32 v74, v17, 0
	v_cmp_ne_u32_e64 s0, 0, v17
	s_delay_alu instid0(VALU_DEP_2)
	v_cmp_eq_u32_e32 vcc_lo, 0, v74
	s_and_b32 s18, s0, vcc_lo
	s_wait_alu 0xfffe
	s_and_saveexec_b32 s0, s18
	s_cbranch_execz .LBB97_89
; %bb.88:
	s_wait_dscnt 0x0
	v_bcnt_u32_b32 v17, v17, v73
	ds_store_b32 v75, v17 offset:16
.LBB97_89:
	s_wait_alu 0xfffe
	s_or_b32 exec_lo, exec_lo, s0
	v_and_b32_e32 v17, s1, v31
	; wave barrier
	s_delay_alu instid0(VALU_DEP_1)
	v_and_b32_e32 v19, 1, v17
	v_lshlrev_b32_e32 v20, 30, v17
	v_lshlrev_b32_e32 v21, 29, v17
	;; [unrolled: 1-line block ×4, first 2 shown]
	v_add_co_u32 v19, s0, v19, -1
	s_wait_alu 0xf1ff
	v_cndmask_b32_e64 v23, 0, 1, s0
	v_not_b32_e32 v79, v20
	v_cmp_gt_i32_e64 s0, 0, v20
	v_not_b32_e32 v20, v21
	v_lshlrev_b32_e32 v77, 26, v17
	v_cmp_ne_u32_e32 vcc_lo, 0, v23
	v_ashrrev_i32_e32 v23, 31, v79
	v_lshlrev_b32_e32 v78, 25, v17
	v_ashrrev_i32_e32 v20, 31, v20
	v_and_b32_e32 v18, 0xff, v17
	s_wait_alu 0xfffd
	v_xor_b32_e32 v19, vcc_lo, v19
	v_cmp_gt_i32_e32 vcc_lo, 0, v21
	v_not_b32_e32 v21, v22
	s_wait_alu 0xf1ff
	v_xor_b32_e32 v23, s0, v23
	v_cmp_gt_i32_e64 s0, 0, v22
	v_and_b32_e32 v19, exec_lo, v19
	v_not_b32_e32 v22, v76
	v_ashrrev_i32_e32 v21, 31, v21
	s_wait_alu 0xfffd
	v_xor_b32_e32 v20, vcc_lo, v20
	v_cmp_gt_i32_e32 vcc_lo, 0, v76
	v_and_b32_e32 v19, v19, v23
	v_not_b32_e32 v23, v77
	v_ashrrev_i32_e32 v22, 31, v22
	s_wait_alu 0xf1ff
	v_xor_b32_e32 v21, s0, v21
	v_lshlrev_b32_e32 v17, 24, v17
	v_and_b32_e32 v19, v19, v20
	v_cmp_gt_i32_e64 s0, 0, v77
	v_not_b32_e32 v20, v78
	v_ashrrev_i32_e32 v23, 31, v23
	s_wait_alu 0xfffd
	v_xor_b32_e32 v22, vcc_lo, v22
	v_and_b32_e32 v19, v19, v21
	v_cmp_gt_i32_e32 vcc_lo, 0, v78
	v_not_b32_e32 v21, v17
	v_ashrrev_i32_e32 v20, 31, v20
	s_wait_alu 0xf1ff
	v_xor_b32_e32 v23, s0, v23
	v_and_b32_e32 v19, v19, v22
	v_lshlrev_b32_e32 v18, 4, v18
	v_cmp_gt_i32_e64 s0, 0, v17
	v_ashrrev_i32_e32 v17, 31, v21
	s_wait_alu 0xfffd
	v_xor_b32_e32 v20, vcc_lo, v20
	v_and_b32_e32 v19, v19, v23
	v_add_nc_u32_e32 v78, v16, v18
	s_wait_alu 0xf1ff
	v_xor_b32_e32 v16, s0, v17
	s_delay_alu instid0(VALU_DEP_3) | instskip(SKIP_2) | instid1(VALU_DEP_1)
	v_and_b32_e32 v17, v19, v20
	ds_load_b32 v76, v78 offset:16
	; wave barrier
	v_and_b32_e32 v16, v17, v16
	v_mbcnt_lo_u32_b32 v77, v16, 0
	v_cmp_ne_u32_e64 s0, 0, v16
	s_delay_alu instid0(VALU_DEP_2)
	v_cmp_eq_u32_e32 vcc_lo, 0, v77
	s_and_b32 s1, s0, vcc_lo
	s_wait_alu 0xfffe
	s_and_saveexec_b32 s0, s1
	s_cbranch_execz .LBB97_91
; %bb.90:
	s_wait_dscnt 0x0
	v_bcnt_u32_b32 v16, v16, v76
	ds_store_b32 v78, v16 offset:16
.LBB97_91:
	s_wait_alu 0xfffe
	s_or_b32 exec_lo, exec_lo, s0
	; wave barrier
	s_wait_loadcnt_dscnt 0x0
	s_barrier_signal -1
	s_barrier_wait -1
	global_inv scope:SCOPE_SE
	ds_load_b128 v[20:23], v64 offset:16
	ds_load_b128 v[16:19], v64 offset:32
	v_min_u32_e32 v66, 0x60, v66
	s_mov_b32 s0, exec_lo
	s_delay_alu instid0(VALU_DEP_1) | instskip(SKIP_2) | instid1(VALU_DEP_1)
	v_or_b32_e32 v66, 31, v66
	s_wait_dscnt 0x1
	v_add_nc_u32_e32 v79, v21, v20
	v_add3_u32 v79, v79, v22, v23
	s_wait_dscnt 0x0
	s_delay_alu instid0(VALU_DEP_1) | instskip(NEXT) | instid1(VALU_DEP_1)
	v_add3_u32 v79, v79, v16, v17
	v_add3_u32 v19, v79, v18, v19
	s_delay_alu instid0(VALU_DEP_1) | instskip(SKIP_1) | instid1(VALU_DEP_1)
	v_mov_b32_dpp v80, v19 row_shr:1 row_mask:0xf bank_mask:0xf
	v_and_b32_e32 v79, 15, v65
	v_cmp_ne_u32_e32 vcc_lo, 0, v79
	s_wait_alu 0xfffd
	s_delay_alu instid0(VALU_DEP_3) | instskip(SKIP_1) | instid1(VALU_DEP_2)
	v_cndmask_b32_e32 v80, 0, v80, vcc_lo
	v_cmp_lt_u32_e32 vcc_lo, 1, v79
	v_add_nc_u32_e32 v19, v80, v19
	s_delay_alu instid0(VALU_DEP_1) | instskip(SKIP_1) | instid1(VALU_DEP_1)
	v_mov_b32_dpp v80, v19 row_shr:2 row_mask:0xf bank_mask:0xf
	s_wait_alu 0xfffd
	v_cndmask_b32_e32 v80, 0, v80, vcc_lo
	v_cmp_lt_u32_e32 vcc_lo, 3, v79
	s_delay_alu instid0(VALU_DEP_2) | instskip(NEXT) | instid1(VALU_DEP_1)
	v_add_nc_u32_e32 v19, v19, v80
	v_mov_b32_dpp v80, v19 row_shr:4 row_mask:0xf bank_mask:0xf
	s_wait_alu 0xfffd
	s_delay_alu instid0(VALU_DEP_1) | instskip(SKIP_1) | instid1(VALU_DEP_2)
	v_cndmask_b32_e32 v80, 0, v80, vcc_lo
	v_cmp_lt_u32_e32 vcc_lo, 7, v79
	v_add_nc_u32_e32 v19, v19, v80
	s_delay_alu instid0(VALU_DEP_1) | instskip(SKIP_1) | instid1(VALU_DEP_1)
	v_mov_b32_dpp v80, v19 row_shr:8 row_mask:0xf bank_mask:0xf
	s_wait_alu 0xfffd
	v_cndmask_b32_e32 v79, 0, v80, vcc_lo
	v_bfe_i32 v80, v65, 4, 1
	s_delay_alu instid0(VALU_DEP_2) | instskip(SKIP_3) | instid1(VALU_DEP_1)
	v_add_nc_u32_e32 v19, v19, v79
	ds_swizzle_b32 v79, v19 offset:swizzle(BROADCAST,32,15)
	s_wait_dscnt 0x0
	v_and_b32_e32 v79, v80, v79
	v_add_nc_u32_e32 v19, v19, v79
	v_cmpx_eq_u32_e64 v41, v66
; %bb.92:
	v_lshlrev_b32_e32 v66, 2, v62
	ds_store_b32 v66, v19
; %bb.93:
	s_wait_alu 0xfffe
	s_or_b32 exec_lo, exec_lo, s0
	s_delay_alu instid0(SALU_CYCLE_1)
	s_mov_b32 s0, exec_lo
	s_wait_loadcnt_dscnt 0x0
	s_barrier_signal -1
	s_barrier_wait -1
	global_inv scope:SCOPE_SE
	v_cmpx_gt_u32_e32 4, v41
	s_cbranch_execz .LBB97_95
; %bb.94:
	v_lshlrev_b32_e32 v66, 2, v41
	v_and_b32_e32 v80, 3, v65
	ds_load_b32 v79, v66
	v_cmp_ne_u32_e32 vcc_lo, 0, v80
	s_wait_dscnt 0x0
	v_mov_b32_dpp v81, v79 row_shr:1 row_mask:0xf bank_mask:0xf
	s_wait_alu 0xfffd
	s_delay_alu instid0(VALU_DEP_1) | instskip(SKIP_1) | instid1(VALU_DEP_2)
	v_cndmask_b32_e32 v81, 0, v81, vcc_lo
	v_cmp_lt_u32_e32 vcc_lo, 1, v80
	v_add_nc_u32_e32 v79, v81, v79
	s_delay_alu instid0(VALU_DEP_1) | instskip(SKIP_1) | instid1(VALU_DEP_1)
	v_mov_b32_dpp v81, v79 row_shr:2 row_mask:0xf bank_mask:0xf
	s_wait_alu 0xfffd
	v_cndmask_b32_e32 v80, 0, v81, vcc_lo
	s_delay_alu instid0(VALU_DEP_1)
	v_add_nc_u32_e32 v79, v79, v80
	ds_store_b32 v66, v79
.LBB97_95:
	s_wait_alu 0xfffe
	s_or_b32 exec_lo, exec_lo, s0
	v_mov_b32_e32 v66, 0
	s_mov_b32 s0, exec_lo
	s_wait_loadcnt_dscnt 0x0
	s_barrier_signal -1
	s_barrier_wait -1
	global_inv scope:SCOPE_SE
	v_cmpx_lt_u32_e32 31, v41
; %bb.96:
	v_lshl_add_u32 v62, v62, 2, -4
	ds_load_b32 v66, v62
; %bb.97:
	s_wait_alu 0xfffe
	s_or_b32 exec_lo, exec_lo, s0
	v_sub_co_u32 v62, vcc_lo, v65, 1
	s_wait_dscnt 0x0
	v_add_nc_u32_e32 v19, v66, v19
	s_delay_alu instid0(VALU_DEP_2) | instskip(SKIP_1) | instid1(VALU_DEP_1)
	v_cmp_gt_i32_e64 s0, 0, v62
	s_wait_alu 0xf1ff
	v_cndmask_b32_e64 v62, v62, v65, s0
	s_delay_alu instid0(VALU_DEP_1)
	v_lshlrev_b32_e32 v62, 2, v62
	ds_bpermute_b32 v19, v62, v19
	s_wait_dscnt 0x0
	s_wait_alu 0xfffd
	v_cndmask_b32_e32 v19, v19, v66, vcc_lo
	v_cmp_ne_u32_e32 vcc_lo, 0, v41
	s_wait_alu 0xfffd
	s_delay_alu instid0(VALU_DEP_2) | instskip(NEXT) | instid1(VALU_DEP_1)
	v_cndmask_b32_e32 v19, 0, v19, vcc_lo
	v_add_nc_u32_e32 v20, v19, v20
	s_delay_alu instid0(VALU_DEP_1) | instskip(NEXT) | instid1(VALU_DEP_1)
	v_add_nc_u32_e32 v21, v20, v21
	v_add_nc_u32_e32 v22, v21, v22
	s_delay_alu instid0(VALU_DEP_1) | instskip(NEXT) | instid1(VALU_DEP_1)
	v_add_nc_u32_e32 v79, v22, v23
	;; [unrolled: 3-line block ×3, first 2 shown]
	v_add_nc_u32_e32 v82, v81, v18
	ds_store_b128 v64, v[19:22] offset:16
	ds_store_b128 v64, v[79:82] offset:32
	s_wait_loadcnt_dscnt 0x0
	s_barrier_signal -1
	s_barrier_wait -1
	global_inv scope:SCOPE_SE
	ds_load_b32 v16, v33 offset:16
	ds_load_b32 v17, v36 offset:16
	;; [unrolled: 1-line block ×8, first 2 shown]
	v_mad_u32_u24 v36, v41, 56, v54
	s_wait_loadcnt_dscnt 0x0
	s_barrier_signal -1
	s_barrier_wait -1
	global_inv scope:SCOPE_SE
	v_add_nc_u32_e32 v16, v16, v32
	v_add3_u32 v17, v35, v34, v17
	v_add3_u32 v18, v38, v37, v18
	v_add3_u32 v19, v42, v40, v19
	v_add3_u32 v20, v68, v67, v20
	v_add3_u32 v21, v71, v70, v21
	v_add3_u32 v22, v74, v73, v22
	v_add3_u32 v23, v77, v76, v23
	ds_store_b8 v16, v24
	ds_store_b8 v17, v25
	;; [unrolled: 1-line block ×8, first 2 shown]
	v_lshlrev_b32_e32 v16, 3, v16
	v_lshlrev_b32_e32 v17, 3, v17
	;; [unrolled: 1-line block ×8, first 2 shown]
	s_wait_loadcnt_dscnt 0x0
	s_barrier_signal -1
	s_barrier_wait -1
	global_inv scope:SCOPE_SE
	ds_load_b64 v[33:34], v54
	s_wait_loadcnt_dscnt 0x0
	s_barrier_signal -1
	s_barrier_wait -1
	global_inv scope:SCOPE_SE
	ds_store_b64 v16, v[0:1]
	ds_store_b64 v17, v[2:3]
	;; [unrolled: 1-line block ×8, first 2 shown]
	s_wait_loadcnt_dscnt 0x0
	s_barrier_signal -1
	s_barrier_wait -1
	global_inv scope:SCOPE_SE
	ds_load_b128 v[29:32], v36
	ds_load_b128 v[25:28], v36 offset:16
	ds_load_b128 v[21:24], v36 offset:32
	;; [unrolled: 1-line block ×3, first 2 shown]
	v_not_b32_e32 v33, v33
	v_not_b32_e32 v34, v34
.LBB97_98:
	s_wait_loadcnt_dscnt 0x0
	s_barrier_signal -1
	s_barrier_wait -1
	global_inv scope:SCOPE_SE
	ds_store_2addr_b32 v52, v33, v34 offset1:1
	s_wait_loadcnt_dscnt 0x0
	s_barrier_signal -1
	s_barrier_wait -1
	global_inv scope:SCOPE_SE
	ds_load_u8 v8, v45 offset:128
	ds_load_u8 v7, v46 offset:256
	;; [unrolled: 1-line block ×7, first 2 shown]
	v_mad_co_u64_u32 v[0:1], null, s12, v41, s[14:15]
	s_wait_dscnt 0x0
	s_delay_alu instid0(VALU_DEP_1) | instskip(NEXT) | instid1(VALU_DEP_1)
	v_mad_co_u64_u32 v[9:10], null, s13, v41, v[1:2]
	v_mov_b32_e32 v1, v9
	s_and_saveexec_b32 s0, s2
	s_cbranch_execnz .LBB97_117
; %bb.99:
	s_wait_alu 0xfffe
	s_or_b32 exec_lo, exec_lo, s0
	s_and_saveexec_b32 s0, s3
	s_cbranch_execnz .LBB97_118
.LBB97_100:
	s_wait_alu 0xfffe
	s_or_b32 exec_lo, exec_lo, s0
	s_and_saveexec_b32 s0, s4
	s_cbranch_execnz .LBB97_119
.LBB97_101:
	s_wait_alu 0xfffe
	s_or_b32 exec_lo, exec_lo, s0
	s_and_saveexec_b32 s0, s5
	s_cbranch_execnz .LBB97_120
.LBB97_102:
	s_wait_alu 0xfffe
	s_or_b32 exec_lo, exec_lo, s0
	s_and_saveexec_b32 s0, s6
	s_cbranch_execnz .LBB97_121
.LBB97_103:
	s_wait_alu 0xfffe
	s_or_b32 exec_lo, exec_lo, s0
	s_and_saveexec_b32 s0, s7
	s_cbranch_execnz .LBB97_122
.LBB97_104:
	s_wait_alu 0xfffe
	s_or_b32 exec_lo, exec_lo, s0
	s_and_saveexec_b32 s0, s8
	s_cbranch_execnz .LBB97_123
.LBB97_105:
	s_wait_alu 0xfffe
	s_or_b32 exec_lo, exec_lo, s0
	s_and_saveexec_b32 s0, s9
	s_cbranch_execz .LBB97_107
.LBB97_106:
	v_mad_co_u64_u32 v[0:1], null, 0x380, s12, v[0:1]
	s_delay_alu instid0(VALU_DEP_1) | instskip(NEXT) | instid1(VALU_DEP_1)
	v_mad_co_u64_u32 v[3:4], null, 0x380, s13, v[1:2]
	v_mov_b32_e32 v1, v3
	global_store_b8 v[0:1], v2, off
.LBB97_107:
	s_wait_alu 0xfffe
	s_or_b32 exec_lo, exec_lo, s0
	s_wait_kmcnt 0x0
	v_mad_co_u64_u32 v[2:3], null, s10, v41, 0
	s_wait_loadcnt 0x0
	s_wait_storecnt 0x0
	s_barrier_signal -1
	s_barrier_wait -1
	global_inv scope:SCOPE_SE
	ds_store_2addr_b64 v63, v[29:30], v[31:32] offset1:1
	ds_store_2addr_b64 v63, v[25:26], v[27:28] offset0:2 offset1:3
	ds_store_2addr_b64 v63, v[21:22], v[23:24] offset0:4 offset1:5
	;; [unrolled: 1-line block ×3, first 2 shown]
	s_wait_loadcnt_dscnt 0x0
	v_mov_b32_e32 v0, v3
	s_barrier_signal -1
	s_barrier_wait -1
	global_inv scope:SCOPE_SE
	v_mad_co_u64_u32 v[3:4], null, s11, v41, v[0:1]
	ds_load_b64 v[14:15], v55 offset:1024
	ds_load_b64 v[12:13], v56 offset:2048
	;; [unrolled: 1-line block ×7, first 2 shown]
	v_lshlrev_b64_e32 v[2:3], 3, v[2:3]
	s_delay_alu instid0(VALU_DEP_1) | instskip(SKIP_1) | instid1(VALU_DEP_2)
	v_add_co_u32 v2, vcc_lo, s16, v2
	s_wait_alu 0xfffd
	v_add_co_ci_u32_e64 v3, null, s17, v3, vcc_lo
	s_and_saveexec_b32 s0, s2
	s_cbranch_execnz .LBB97_124
; %bb.108:
	s_wait_alu 0xfffe
	s_or_b32 exec_lo, exec_lo, s0
	s_and_saveexec_b32 s0, s3
	s_cbranch_execnz .LBB97_125
.LBB97_109:
	s_wait_alu 0xfffe
	s_or_b32 exec_lo, exec_lo, s0
	s_and_saveexec_b32 s0, s4
	s_cbranch_execnz .LBB97_126
.LBB97_110:
	s_wait_alu 0xfffe
	s_or_b32 exec_lo, exec_lo, s0
	s_and_saveexec_b32 s0, s5
	s_cbranch_execnz .LBB97_127
.LBB97_111:
	s_wait_alu 0xfffe
	s_or_b32 exec_lo, exec_lo, s0
	s_and_saveexec_b32 s0, s6
	s_cbranch_execnz .LBB97_128
.LBB97_112:
	s_wait_alu 0xfffe
	s_or_b32 exec_lo, exec_lo, s0
	s_and_saveexec_b32 s0, s7
	s_cbranch_execnz .LBB97_129
.LBB97_113:
	s_wait_alu 0xfffe
	s_or_b32 exec_lo, exec_lo, s0
	s_and_saveexec_b32 s0, s8
	s_cbranch_execnz .LBB97_130
.LBB97_114:
	s_wait_alu 0xfffe
	s_or_b32 exec_lo, exec_lo, s0
	s_and_saveexec_b32 s0, s9
	s_cbranch_execz .LBB97_116
.LBB97_115:
	v_mad_co_u64_u32 v[2:3], null, 0x1c00, s10, v[2:3]
	s_wait_dscnt 0x1
	s_delay_alu instid0(VALU_DEP_1)
	v_mad_co_u64_u32 v[3:4], null, 0x1c00, s11, v[3:4]
	s_wait_dscnt 0x0
	global_store_b64 v[2:3], v[0:1], off
.LBB97_116:
	s_nop 0
	s_sendmsg sendmsg(MSG_DEALLOC_VGPRS)
	s_endpgm
.LBB97_117:
	ds_load_u8 v9, v44
	s_wait_dscnt 0x0
	global_store_b8 v[0:1], v9, off
	s_wait_alu 0xfffe
	s_or_b32 exec_lo, exec_lo, s0
	s_and_saveexec_b32 s0, s3
	s_cbranch_execz .LBB97_100
.LBB97_118:
	s_lshl_b64 s[14:15], s[12:13], 7
	s_wait_alu 0xfffe
	v_add_co_u32 v9, vcc_lo, v0, s14
	s_wait_alu 0xfffd
	v_add_co_ci_u32_e64 v10, null, s15, v1, vcc_lo
	global_store_b8 v[9:10], v8, off
	s_or_b32 exec_lo, exec_lo, s0
	s_and_saveexec_b32 s0, s4
	s_cbranch_execz .LBB97_101
.LBB97_119:
	s_lshl_b64 s[14:15], s[12:13], 8
	s_wait_alu 0xfffe
	v_add_co_u32 v8, vcc_lo, v0, s14
	s_wait_alu 0xfffd
	v_add_co_ci_u32_e64 v9, null, s15, v1, vcc_lo
	global_store_b8 v[8:9], v7, off
	s_or_b32 exec_lo, exec_lo, s0
	s_and_saveexec_b32 s0, s5
	s_cbranch_execz .LBB97_102
.LBB97_120:
	v_mad_co_u64_u32 v[7:8], null, 0x180, s12, v[0:1]
	s_delay_alu instid0(VALU_DEP_1)
	v_mad_co_u64_u32 v[8:9], null, 0x180, s13, v[8:9]
	global_store_b8 v[7:8], v6, off
	s_wait_alu 0xfffe
	s_or_b32 exec_lo, exec_lo, s0
	s_and_saveexec_b32 s0, s6
	s_cbranch_execz .LBB97_103
.LBB97_121:
	s_lshl_b64 s[14:15], s[12:13], 9
	s_wait_alu 0xfffe
	v_add_co_u32 v6, vcc_lo, v0, s14
	s_wait_alu 0xfffd
	v_add_co_ci_u32_e64 v7, null, s15, v1, vcc_lo
	global_store_b8 v[6:7], v5, off
	s_or_b32 exec_lo, exec_lo, s0
	s_and_saveexec_b32 s0, s7
	s_cbranch_execz .LBB97_104
.LBB97_122:
	v_mad_co_u64_u32 v[5:6], null, 0x280, s12, v[0:1]
	s_delay_alu instid0(VALU_DEP_1)
	v_mad_co_u64_u32 v[6:7], null, 0x280, s13, v[6:7]
	global_store_b8 v[5:6], v4, off
	s_wait_alu 0xfffe
	s_or_b32 exec_lo, exec_lo, s0
	s_and_saveexec_b32 s0, s8
	s_cbranch_execz .LBB97_105
.LBB97_123:
	v_mad_co_u64_u32 v[4:5], null, 0x300, s12, v[0:1]
	s_delay_alu instid0(VALU_DEP_1)
	v_mad_co_u64_u32 v[5:6], null, 0x300, s13, v[5:6]
	global_store_b8 v[4:5], v3, off
	s_wait_alu 0xfffe
	s_or_b32 exec_lo, exec_lo, s0
	s_and_saveexec_b32 s0, s9
	s_cbranch_execnz .LBB97_106
	s_branch .LBB97_107
.LBB97_124:
	ds_load_b64 v[16:17], v53
	s_wait_dscnt 0x0
	global_store_b64 v[2:3], v[16:17], off
	s_wait_alu 0xfffe
	s_or_b32 exec_lo, exec_lo, s0
	s_and_saveexec_b32 s0, s3
	s_cbranch_execz .LBB97_109
.LBB97_125:
	s_lshl_b64 s[2:3], s[10:11], 10
	s_wait_alu 0xfffe
	v_add_co_u32 v16, vcc_lo, v2, s2
	s_wait_alu 0xfffd
	v_add_co_ci_u32_e64 v17, null, s3, v3, vcc_lo
	s_wait_dscnt 0x6
	global_store_b64 v[16:17], v[14:15], off
	s_or_b32 exec_lo, exec_lo, s0
	s_and_saveexec_b32 s0, s4
	s_cbranch_execz .LBB97_110
.LBB97_126:
	s_lshl_b64 s[2:3], s[10:11], 11
	s_wait_dscnt 0x6
	s_wait_alu 0xfffe
	v_add_co_u32 v14, vcc_lo, v2, s2
	s_wait_alu 0xfffd
	v_add_co_ci_u32_e64 v15, null, s3, v3, vcc_lo
	s_wait_dscnt 0x5
	global_store_b64 v[14:15], v[12:13], off
	s_or_b32 exec_lo, exec_lo, s0
	s_and_saveexec_b32 s0, s5
	s_cbranch_execz .LBB97_111
.LBB97_127:
	s_wait_dscnt 0x5
	v_mad_co_u64_u32 v[12:13], null, 0xc00, s10, v[2:3]
	s_delay_alu instid0(VALU_DEP_1)
	v_mad_co_u64_u32 v[13:14], null, 0xc00, s11, v[13:14]
	s_wait_dscnt 0x4
	global_store_b64 v[12:13], v[10:11], off
	s_wait_alu 0xfffe
	s_or_b32 exec_lo, exec_lo, s0
	s_and_saveexec_b32 s0, s6
	s_cbranch_execz .LBB97_112
.LBB97_128:
	s_lshl_b64 s[2:3], s[10:11], 12
	s_wait_dscnt 0x4
	s_wait_alu 0xfffe
	v_add_co_u32 v10, vcc_lo, v2, s2
	s_wait_alu 0xfffd
	v_add_co_ci_u32_e64 v11, null, s3, v3, vcc_lo
	s_wait_dscnt 0x3
	global_store_b64 v[10:11], v[8:9], off
	s_or_b32 exec_lo, exec_lo, s0
	s_and_saveexec_b32 s0, s7
	s_cbranch_execz .LBB97_113
.LBB97_129:
	s_wait_dscnt 0x3
	v_mad_co_u64_u32 v[8:9], null, 0x1400, s10, v[2:3]
	s_delay_alu instid0(VALU_DEP_1)
	v_mad_co_u64_u32 v[9:10], null, 0x1400, s11, v[9:10]
	s_wait_dscnt 0x2
	global_store_b64 v[8:9], v[6:7], off
	s_wait_alu 0xfffe
	s_or_b32 exec_lo, exec_lo, s0
	s_and_saveexec_b32 s0, s8
	s_cbranch_execz .LBB97_114
.LBB97_130:
	s_wait_dscnt 0x2
	v_mad_co_u64_u32 v[6:7], null, 0x1800, s10, v[2:3]
	s_delay_alu instid0(VALU_DEP_1)
	v_mad_co_u64_u32 v[7:8], null, 0x1800, s11, v[7:8]
	s_wait_dscnt 0x1
	global_store_b64 v[6:7], v[4:5], off
	s_wait_alu 0xfffe
	s_or_b32 exec_lo, exec_lo, s0
	s_and_saveexec_b32 s0, s9
	s_cbranch_execnz .LBB97_115
	s_branch .LBB97_116
	.section	.rodata,"a",@progbits
	.p2align	6, 0x0
	.amdhsa_kernel _ZN2at6native18radixSortKVInPlaceILin1ELin1ELi128ELi8EhlmEEvNS_4cuda6detail10TensorInfoIT3_T5_EES6_S6_S6_NS4_IT4_S6_EES6_b
		.amdhsa_group_segment_fixed_size 8448
		.amdhsa_private_segment_fixed_size 0
		.amdhsa_kernarg_size 1128
		.amdhsa_user_sgpr_count 2
		.amdhsa_user_sgpr_dispatch_ptr 0
		.amdhsa_user_sgpr_queue_ptr 0
		.amdhsa_user_sgpr_kernarg_segment_ptr 1
		.amdhsa_user_sgpr_dispatch_id 0
		.amdhsa_user_sgpr_private_segment_size 0
		.amdhsa_wavefront_size32 1
		.amdhsa_uses_dynamic_stack 0
		.amdhsa_enable_private_segment 0
		.amdhsa_system_sgpr_workgroup_id_x 1
		.amdhsa_system_sgpr_workgroup_id_y 1
		.amdhsa_system_sgpr_workgroup_id_z 1
		.amdhsa_system_sgpr_workgroup_info 0
		.amdhsa_system_vgpr_workitem_id 2
		.amdhsa_next_free_vgpr 103
		.amdhsa_next_free_sgpr 36
		.amdhsa_reserve_vcc 1
		.amdhsa_float_round_mode_32 0
		.amdhsa_float_round_mode_16_64 0
		.amdhsa_float_denorm_mode_32 3
		.amdhsa_float_denorm_mode_16_64 3
		.amdhsa_fp16_overflow 0
		.amdhsa_workgroup_processor_mode 1
		.amdhsa_memory_ordered 1
		.amdhsa_forward_progress 1
		.amdhsa_inst_pref_size 111
		.amdhsa_round_robin_scheduling 0
		.amdhsa_exception_fp_ieee_invalid_op 0
		.amdhsa_exception_fp_denorm_src 0
		.amdhsa_exception_fp_ieee_div_zero 0
		.amdhsa_exception_fp_ieee_overflow 0
		.amdhsa_exception_fp_ieee_underflow 0
		.amdhsa_exception_fp_ieee_inexact 0
		.amdhsa_exception_int_div_zero 0
	.end_amdhsa_kernel
	.section	.text._ZN2at6native18radixSortKVInPlaceILin1ELin1ELi128ELi8EhlmEEvNS_4cuda6detail10TensorInfoIT3_T5_EES6_S6_S6_NS4_IT4_S6_EES6_b,"axG",@progbits,_ZN2at6native18radixSortKVInPlaceILin1ELin1ELi128ELi8EhlmEEvNS_4cuda6detail10TensorInfoIT3_T5_EES6_S6_S6_NS4_IT4_S6_EES6_b,comdat
.Lfunc_end97:
	.size	_ZN2at6native18radixSortKVInPlaceILin1ELin1ELi128ELi8EhlmEEvNS_4cuda6detail10TensorInfoIT3_T5_EES6_S6_S6_NS4_IT4_S6_EES6_b, .Lfunc_end97-_ZN2at6native18radixSortKVInPlaceILin1ELin1ELi128ELi8EhlmEEvNS_4cuda6detail10TensorInfoIT3_T5_EES6_S6_S6_NS4_IT4_S6_EES6_b
                                        ; -- End function
	.set _ZN2at6native18radixSortKVInPlaceILin1ELin1ELi128ELi8EhlmEEvNS_4cuda6detail10TensorInfoIT3_T5_EES6_S6_S6_NS4_IT4_S6_EES6_b.num_vgpr, 103
	.set _ZN2at6native18radixSortKVInPlaceILin1ELin1ELi128ELi8EhlmEEvNS_4cuda6detail10TensorInfoIT3_T5_EES6_S6_S6_NS4_IT4_S6_EES6_b.num_agpr, 0
	.set _ZN2at6native18radixSortKVInPlaceILin1ELin1ELi128ELi8EhlmEEvNS_4cuda6detail10TensorInfoIT3_T5_EES6_S6_S6_NS4_IT4_S6_EES6_b.numbered_sgpr, 36
	.set _ZN2at6native18radixSortKVInPlaceILin1ELin1ELi128ELi8EhlmEEvNS_4cuda6detail10TensorInfoIT3_T5_EES6_S6_S6_NS4_IT4_S6_EES6_b.num_named_barrier, 0
	.set _ZN2at6native18radixSortKVInPlaceILin1ELin1ELi128ELi8EhlmEEvNS_4cuda6detail10TensorInfoIT3_T5_EES6_S6_S6_NS4_IT4_S6_EES6_b.private_seg_size, 0
	.set _ZN2at6native18radixSortKVInPlaceILin1ELin1ELi128ELi8EhlmEEvNS_4cuda6detail10TensorInfoIT3_T5_EES6_S6_S6_NS4_IT4_S6_EES6_b.uses_vcc, 1
	.set _ZN2at6native18radixSortKVInPlaceILin1ELin1ELi128ELi8EhlmEEvNS_4cuda6detail10TensorInfoIT3_T5_EES6_S6_S6_NS4_IT4_S6_EES6_b.uses_flat_scratch, 0
	.set _ZN2at6native18radixSortKVInPlaceILin1ELin1ELi128ELi8EhlmEEvNS_4cuda6detail10TensorInfoIT3_T5_EES6_S6_S6_NS4_IT4_S6_EES6_b.has_dyn_sized_stack, 0
	.set _ZN2at6native18radixSortKVInPlaceILin1ELin1ELi128ELi8EhlmEEvNS_4cuda6detail10TensorInfoIT3_T5_EES6_S6_S6_NS4_IT4_S6_EES6_b.has_recursion, 0
	.set _ZN2at6native18radixSortKVInPlaceILin1ELin1ELi128ELi8EhlmEEvNS_4cuda6detail10TensorInfoIT3_T5_EES6_S6_S6_NS4_IT4_S6_EES6_b.has_indirect_call, 0
	.section	.AMDGPU.csdata,"",@progbits
; Kernel info:
; codeLenInByte = 14096
; TotalNumSgprs: 38
; NumVgprs: 103
; ScratchSize: 0
; MemoryBound: 0
; FloatMode: 240
; IeeeMode: 1
; LDSByteSize: 8448 bytes/workgroup (compile time only)
; SGPRBlocks: 0
; VGPRBlocks: 12
; NumSGPRsForWavesPerEU: 38
; NumVGPRsForWavesPerEU: 103
; Occupancy: 12
; WaveLimiterHint : 1
; COMPUTE_PGM_RSRC2:SCRATCH_EN: 0
; COMPUTE_PGM_RSRC2:USER_SGPR: 2
; COMPUTE_PGM_RSRC2:TRAP_HANDLER: 0
; COMPUTE_PGM_RSRC2:TGID_X_EN: 1
; COMPUTE_PGM_RSRC2:TGID_Y_EN: 1
; COMPUTE_PGM_RSRC2:TGID_Z_EN: 1
; COMPUTE_PGM_RSRC2:TIDIG_COMP_CNT: 2
	.section	.text._ZN2at6native18radixSortKVInPlaceILin1ELin1ELi32ELi4EhlmEEvNS_4cuda6detail10TensorInfoIT3_T5_EES6_S6_S6_NS4_IT4_S6_EES6_b,"axG",@progbits,_ZN2at6native18radixSortKVInPlaceILin1ELin1ELi32ELi4EhlmEEvNS_4cuda6detail10TensorInfoIT3_T5_EES6_S6_S6_NS4_IT4_S6_EES6_b,comdat
	.protected	_ZN2at6native18radixSortKVInPlaceILin1ELin1ELi32ELi4EhlmEEvNS_4cuda6detail10TensorInfoIT3_T5_EES6_S6_S6_NS4_IT4_S6_EES6_b ; -- Begin function _ZN2at6native18radixSortKVInPlaceILin1ELin1ELi32ELi4EhlmEEvNS_4cuda6detail10TensorInfoIT3_T5_EES6_S6_S6_NS4_IT4_S6_EES6_b
	.globl	_ZN2at6native18radixSortKVInPlaceILin1ELin1ELi32ELi4EhlmEEvNS_4cuda6detail10TensorInfoIT3_T5_EES6_S6_S6_NS4_IT4_S6_EES6_b
	.p2align	8
	.type	_ZN2at6native18radixSortKVInPlaceILin1ELin1ELi32ELi4EhlmEEvNS_4cuda6detail10TensorInfoIT3_T5_EES6_S6_S6_NS4_IT4_S6_EES6_b,@function
_ZN2at6native18radixSortKVInPlaceILin1ELin1ELi32ELi4EhlmEEvNS_4cuda6detail10TensorInfoIT3_T5_EES6_S6_S6_NS4_IT4_S6_EES6_b: ; @_ZN2at6native18radixSortKVInPlaceILin1ELin1ELi32ELi4EhlmEEvNS_4cuda6detail10TensorInfoIT3_T5_EES6_S6_S6_NS4_IT4_S6_EES6_b
; %bb.0:
	s_clause 0x1
	s_load_b64 s[2:3], s[0:1], 0x368
	s_load_b128 s[4:7], s[0:1], 0x1a0
	s_wait_kmcnt 0x0
	s_lshr_b32 s7, ttmp7, 16
	s_and_b32 s8, ttmp7, 0xffff
	s_mul_i32 s3, s3, s7
	s_delay_alu instid0(SALU_CYCLE_1) | instskip(NEXT) | instid1(SALU_CYCLE_1)
	s_add_co_i32 s3, s3, s8
	s_mul_i32 s2, s3, s2
	s_mov_b32 s3, 0
	s_add_co_i32 s2, s2, ttmp9
	s_delay_alu instid0(SALU_CYCLE_1)
	v_cmp_le_u64_e64 s4, s[4:5], s[2:3]
	s_and_b32 vcc_lo, exec_lo, s4
	s_cbranch_vccnz .LBB98_68
; %bb.1:
	s_clause 0x1
	s_load_b32 s7, s[0:1], 0x198
	s_load_b64 s[10:11], s[0:1], 0x1b0
	s_mov_b64 s[4:5], 0
	s_mov_b64 s[12:13], s[2:3]
	s_wait_kmcnt 0x0
	s_cmp_lt_i32 s7, 2
	s_cbranch_scc1 .LBB98_9
; %bb.2:
	s_mov_b32 s8, 0
	s_add_co_i32 s4, s7, -1
	s_mov_b32 s5, s8
	s_add_co_i32 s7, s7, 1
	s_wait_alu 0xfffe
	s_lshl_b64 s[4:5], s[4:5], 3
	s_mov_b64 s[16:17], s[2:3]
	s_wait_alu 0xfffe
	s_add_nc_u64 s[12:13], s[0:1], s[4:5]
	s_mov_b64 s[4:5], 0
	s_add_nc_u64 s[14:15], s[12:13], 8
.LBB98_3:                               ; =>This Inner Loop Header: Depth=1
	s_load_b64 s[18:19], s[14:15], 0x0
	s_wait_kmcnt 0x0
	s_or_b64 s[12:13], s[16:17], s[18:19]
	s_delay_alu instid0(SALU_CYCLE_1)
	s_mov_b32 s9, s13
                                        ; implicit-def: $sgpr12_sgpr13
	s_wait_alu 0xfffe
	s_cmp_lg_u64 s[8:9], 0
	s_mov_b32 s9, -1
	s_cbranch_scc0 .LBB98_5
; %bb.4:                                ;   in Loop: Header=BB98_3 Depth=1
	s_cvt_f32_u32 s9, s18
	s_cvt_f32_u32 s12, s19
	s_sub_nc_u64 s[20:21], 0, s[18:19]
	s_mov_b32 s23, s8
	s_mov_b32 s27, s8
	s_wait_alu 0xfffe
	s_fmamk_f32 s9, s12, 0x4f800000, s9
	s_wait_alu 0xfffe
	s_delay_alu instid0(SALU_CYCLE_2) | instskip(NEXT) | instid1(TRANS32_DEP_1)
	v_s_rcp_f32 s9, s9
	s_mul_f32 s9, s9, 0x5f7ffffc
	s_wait_alu 0xfffe
	s_delay_alu instid0(SALU_CYCLE_2) | instskip(NEXT) | instid1(SALU_CYCLE_3)
	s_mul_f32 s12, s9, 0x2f800000
	s_trunc_f32 s12, s12
	s_delay_alu instid0(SALU_CYCLE_3) | instskip(SKIP_2) | instid1(SALU_CYCLE_1)
	s_fmamk_f32 s9, s12, 0xcf800000, s9
	s_cvt_u32_f32 s13, s12
	s_wait_alu 0xfffe
	s_cvt_u32_f32 s12, s9
	s_delay_alu instid0(SALU_CYCLE_3) | instskip(NEXT) | instid1(SALU_CYCLE_1)
	s_mul_u64 s[24:25], s[20:21], s[12:13]
	s_mul_hi_u32 s29, s12, s25
	s_mul_i32 s28, s12, s25
	s_mul_hi_u32 s22, s12, s24
	s_mul_i32 s26, s13, s24
	s_add_nc_u64 s[22:23], s[22:23], s[28:29]
	s_mul_hi_u32 s9, s13, s24
	s_mul_hi_u32 s30, s13, s25
	s_add_co_u32 s22, s22, s26
	s_wait_alu 0xfffe
	s_add_co_ci_u32 s26, s23, s9
	s_mul_i32 s24, s13, s25
	s_add_co_ci_u32 s25, s30, 0
	s_delay_alu instid0(SALU_CYCLE_1)
	s_add_nc_u64 s[22:23], s[26:27], s[24:25]
	s_mov_b32 s25, s8
	s_add_co_u32 s12, s12, s22
	s_cselect_b32 s9, -1, 0
	s_wait_alu 0xfffe
	s_cmp_lg_u32 s9, 0
	s_add_co_ci_u32 s13, s13, s23
	s_mov_b32 s23, s8
	s_mul_u64 s[20:21], s[20:21], s[12:13]
	s_delay_alu instid0(SALU_CYCLE_1)
	s_mul_hi_u32 s27, s12, s21
	s_mul_i32 s26, s12, s21
	s_mul_hi_u32 s22, s12, s20
	s_mul_i32 s24, s13, s20
	s_add_nc_u64 s[22:23], s[22:23], s[26:27]
	s_mul_hi_u32 s9, s13, s20
	s_mul_hi_u32 s28, s13, s21
	s_mul_i32 s20, s13, s21
	s_add_co_u32 s21, s22, s24
	s_wait_alu 0xfffe
	s_add_co_ci_u32 s24, s23, s9
	s_add_co_ci_u32 s21, s28, 0
	s_mov_b32 s23, s8
	s_add_nc_u64 s[20:21], s[24:25], s[20:21]
	s_delay_alu instid0(SALU_CYCLE_1)
	s_add_co_u32 s9, s12, s20
	s_cselect_b32 s12, -1, 0
	s_wait_alu 0xfffe
	s_mul_hi_u32 s22, s16, s9
	s_cmp_lg_u32 s12, 0
	s_mul_hi_u32 s24, s17, s9
	s_add_co_ci_u32 s20, s13, s21
	s_mul_i32 s9, s17, s9
	s_mul_hi_u32 s13, s16, s20
	s_mul_i32 s12, s16, s20
	s_mul_hi_u32 s21, s17, s20
	s_add_nc_u64 s[12:13], s[22:23], s[12:13]
	s_mul_i32 s20, s17, s20
	s_wait_alu 0xfffe
	s_add_co_u32 s9, s12, s9
	s_add_co_ci_u32 s24, s13, s24
	s_add_co_ci_u32 s21, s21, 0
	s_delay_alu instid0(SALU_CYCLE_1) | instskip(NEXT) | instid1(SALU_CYCLE_1)
	s_add_nc_u64 s[12:13], s[24:25], s[20:21]
	s_mul_u64 s[20:21], s[18:19], s[12:13]
	s_delay_alu instid0(SALU_CYCLE_1)
	s_sub_co_u32 s9, s16, s20
	s_cselect_b32 s20, -1, 0
	s_sub_co_i32 s22, s17, s21
	s_cmp_lg_u32 s20, 0
	s_sub_co_ci_u32 s22, s22, s19
	s_wait_alu 0xfffe
	s_sub_co_u32 s23, s9, s18
	s_cselect_b32 s24, -1, 0
	s_delay_alu instid0(SALU_CYCLE_1) | instskip(SKIP_1) | instid1(SALU_CYCLE_1)
	s_cmp_lg_u32 s24, 0
	s_sub_co_ci_u32 s22, s22, 0
	s_cmp_ge_u32 s22, s19
	s_cselect_b32 s24, -1, 0
	s_cmp_ge_u32 s23, s18
	s_cselect_b32 s25, -1, 0
	s_cmp_eq_u32 s22, s19
	s_add_nc_u64 s[22:23], s[12:13], 1
	s_cselect_b32 s26, s25, s24
	s_add_nc_u64 s[24:25], s[12:13], 2
	s_cmp_lg_u32 s26, 0
	s_cselect_b32 s22, s24, s22
	s_cselect_b32 s23, s25, s23
	s_cmp_lg_u32 s20, 0
	s_sub_co_ci_u32 s20, s17, s21
	s_delay_alu instid0(SALU_CYCLE_1)
	s_cmp_ge_u32 s20, s19
	s_cselect_b32 s21, -1, 0
	s_cmp_ge_u32 s9, s18
	s_cselect_b32 s9, -1, 0
	s_cmp_eq_u32 s20, s19
	s_wait_alu 0xfffe
	s_cselect_b32 s9, s9, s21
	s_wait_alu 0xfffe
	s_cmp_lg_u32 s9, 0
	s_mov_b32 s9, 0
	s_cselect_b32 s13, s23, s13
	s_cselect_b32 s12, s22, s12
.LBB98_5:                               ;   in Loop: Header=BB98_3 Depth=1
	s_wait_alu 0xfffe
	s_and_not1_b32 vcc_lo, exec_lo, s9
	s_cbranch_vccnz .LBB98_7
; %bb.6:                                ;   in Loop: Header=BB98_3 Depth=1
	v_cvt_f32_u32_e32 v1, s18
	s_sub_co_i32 s12, 0, s18
	s_delay_alu instid0(VALU_DEP_1) | instskip(NEXT) | instid1(TRANS32_DEP_1)
	v_rcp_iflag_f32_e32 v1, v1
	v_mul_f32_e32 v1, 0x4f7ffffe, v1
	s_delay_alu instid0(VALU_DEP_1) | instskip(NEXT) | instid1(VALU_DEP_1)
	v_cvt_u32_f32_e32 v1, v1
	v_readfirstlane_b32 s9, v1
	s_mul_i32 s12, s12, s9
	s_delay_alu instid0(SALU_CYCLE_1) | instskip(NEXT) | instid1(SALU_CYCLE_1)
	s_mul_hi_u32 s12, s9, s12
	s_add_co_i32 s9, s9, s12
	s_wait_alu 0xfffe
	s_mul_hi_u32 s9, s16, s9
	s_wait_alu 0xfffe
	s_mul_i32 s12, s9, s18
	s_add_co_i32 s13, s9, 1
	s_sub_co_i32 s12, s16, s12
	s_delay_alu instid0(SALU_CYCLE_1)
	s_sub_co_i32 s20, s12, s18
	s_cmp_ge_u32 s12, s18
	s_cselect_b32 s9, s13, s9
	s_cselect_b32 s12, s20, s12
	s_wait_alu 0xfffe
	s_add_co_i32 s13, s9, 1
	s_cmp_ge_u32 s12, s18
	s_cselect_b32 s12, s13, s9
	s_mov_b32 s13, s8
.LBB98_7:                               ;   in Loop: Header=BB98_3 Depth=1
	s_load_b64 s[20:21], s[14:15], 0xc8
	s_mul_u64 s[18:19], s[12:13], s[18:19]
	s_add_co_i32 s7, s7, -1
	s_wait_alu 0xfffe
	s_sub_nc_u64 s[16:17], s[16:17], s[18:19]
	s_cmp_gt_u32 s7, 2
	s_add_nc_u64 s[14:15], s[14:15], -8
	s_wait_kmcnt 0x0
	s_mul_u64 s[16:17], s[20:21], s[16:17]
	s_delay_alu instid0(SALU_CYCLE_1)
	s_add_nc_u64 s[4:5], s[16:17], s[4:5]
	s_cbranch_scc0 .LBB98_9
; %bb.8:                                ;   in Loop: Header=BB98_3 Depth=1
	s_mov_b64 s[16:17], s[12:13]
	s_branch .LBB98_3
.LBB98_9:
	s_load_b32 s7, s[0:1], 0x350
	s_add_nc_u64 s[18:19], s[0:1], 0x368
	s_mov_b64 s[8:9], 0
	s_wait_kmcnt 0x0
	s_cmp_lt_i32 s7, 2
	s_cbranch_scc1 .LBB98_17
; %bb.10:
	s_mov_b32 s14, 0
	s_add_co_i32 s8, s7, -1
	s_mov_b32 s9, s14
	s_add_co_i32 s7, s7, 1
	s_wait_alu 0xfffe
	s_lshl_b64 s[8:9], s[8:9], 3
	s_wait_alu 0xfffe
	s_add_nc_u64 s[8:9], s[0:1], s[8:9]
	s_wait_alu 0xfffe
	s_add_nc_u64 s[16:17], s[8:9], 0x1c0
	s_mov_b64 s[8:9], 0
.LBB98_11:                              ; =>This Inner Loop Header: Depth=1
	s_load_b64 s[20:21], s[16:17], 0x0
	s_wait_kmcnt 0x0
	s_or_b64 s[22:23], s[2:3], s[20:21]
	s_delay_alu instid0(SALU_CYCLE_1)
	s_mov_b32 s15, s23
                                        ; implicit-def: $sgpr22_sgpr23
	s_wait_alu 0xfffe
	s_cmp_lg_u64 s[14:15], 0
	s_mov_b32 s15, -1
	s_cbranch_scc0 .LBB98_13
; %bb.12:                               ;   in Loop: Header=BB98_11 Depth=1
	s_cvt_f32_u32 s15, s20
	s_cvt_f32_u32 s22, s21
	s_sub_nc_u64 s[24:25], 0, s[20:21]
	s_mov_b32 s27, s14
	s_mov_b32 s31, s14
	s_wait_alu 0xfffe
	s_fmamk_f32 s15, s22, 0x4f800000, s15
	s_wait_alu 0xfffe
	s_delay_alu instid0(SALU_CYCLE_2) | instskip(NEXT) | instid1(TRANS32_DEP_1)
	v_s_rcp_f32 s15, s15
	s_mul_f32 s15, s15, 0x5f7ffffc
	s_wait_alu 0xfffe
	s_delay_alu instid0(SALU_CYCLE_2) | instskip(NEXT) | instid1(SALU_CYCLE_3)
	s_mul_f32 s22, s15, 0x2f800000
	s_trunc_f32 s22, s22
	s_delay_alu instid0(SALU_CYCLE_3) | instskip(SKIP_2) | instid1(SALU_CYCLE_1)
	s_fmamk_f32 s15, s22, 0xcf800000, s15
	s_cvt_u32_f32 s23, s22
	s_wait_alu 0xfffe
	s_cvt_u32_f32 s22, s15
	s_delay_alu instid0(SALU_CYCLE_3) | instskip(NEXT) | instid1(SALU_CYCLE_1)
	s_mul_u64 s[28:29], s[24:25], s[22:23]
	s_mul_hi_u32 s35, s22, s29
	s_mul_i32 s34, s22, s29
	s_mul_hi_u32 s26, s22, s28
	s_mul_i32 s30, s23, s28
	s_add_nc_u64 s[26:27], s[26:27], s[34:35]
	s_mul_hi_u32 s15, s23, s28
	s_mul_hi_u32 s33, s23, s29
	s_add_co_u32 s26, s26, s30
	s_wait_alu 0xfffe
	s_add_co_ci_u32 s30, s27, s15
	s_mul_i32 s28, s23, s29
	s_add_co_ci_u32 s29, s33, 0
	s_delay_alu instid0(SALU_CYCLE_1)
	s_add_nc_u64 s[26:27], s[30:31], s[28:29]
	s_mov_b32 s29, s14
	s_add_co_u32 s22, s22, s26
	s_cselect_b32 s15, -1, 0
	s_wait_alu 0xfffe
	s_cmp_lg_u32 s15, 0
	s_add_co_ci_u32 s23, s23, s27
	s_mov_b32 s27, s14
	s_mul_u64 s[24:25], s[24:25], s[22:23]
	s_delay_alu instid0(SALU_CYCLE_1)
	s_mul_hi_u32 s31, s22, s25
	s_mul_i32 s30, s22, s25
	s_mul_hi_u32 s26, s22, s24
	s_mul_i32 s28, s23, s24
	s_add_nc_u64 s[26:27], s[26:27], s[30:31]
	s_mul_hi_u32 s15, s23, s24
	s_mul_hi_u32 s33, s23, s25
	s_mul_i32 s24, s23, s25
	s_add_co_u32 s25, s26, s28
	s_wait_alu 0xfffe
	s_add_co_ci_u32 s28, s27, s15
	s_add_co_ci_u32 s25, s33, 0
	s_mov_b32 s27, s14
	s_add_nc_u64 s[24:25], s[28:29], s[24:25]
	s_delay_alu instid0(SALU_CYCLE_1)
	s_add_co_u32 s15, s22, s24
	s_cselect_b32 s22, -1, 0
	s_wait_alu 0xfffe
	s_mul_hi_u32 s26, s2, s15
	s_cmp_lg_u32 s22, 0
	s_mul_hi_u32 s28, s3, s15
	s_add_co_ci_u32 s24, s23, s25
	s_mul_i32 s15, s3, s15
	s_mul_hi_u32 s23, s2, s24
	s_mul_i32 s22, s2, s24
	s_mul_hi_u32 s25, s3, s24
	s_add_nc_u64 s[22:23], s[26:27], s[22:23]
	s_mul_i32 s24, s3, s24
	s_wait_alu 0xfffe
	s_add_co_u32 s15, s22, s15
	s_add_co_ci_u32 s28, s23, s28
	s_add_co_ci_u32 s25, s25, 0
	s_delay_alu instid0(SALU_CYCLE_1) | instskip(NEXT) | instid1(SALU_CYCLE_1)
	s_add_nc_u64 s[22:23], s[28:29], s[24:25]
	s_mul_u64 s[24:25], s[20:21], s[22:23]
	s_delay_alu instid0(SALU_CYCLE_1)
	s_sub_co_u32 s15, s2, s24
	s_cselect_b32 s24, -1, 0
	s_sub_co_i32 s26, s3, s25
	s_cmp_lg_u32 s24, 0
	s_sub_co_ci_u32 s26, s26, s21
	s_wait_alu 0xfffe
	s_sub_co_u32 s27, s15, s20
	s_cselect_b32 s28, -1, 0
	s_delay_alu instid0(SALU_CYCLE_1) | instskip(SKIP_1) | instid1(SALU_CYCLE_1)
	s_cmp_lg_u32 s28, 0
	s_sub_co_ci_u32 s26, s26, 0
	s_cmp_ge_u32 s26, s21
	s_cselect_b32 s28, -1, 0
	s_cmp_ge_u32 s27, s20
	s_cselect_b32 s29, -1, 0
	s_cmp_eq_u32 s26, s21
	s_add_nc_u64 s[26:27], s[22:23], 1
	s_cselect_b32 s30, s29, s28
	s_add_nc_u64 s[28:29], s[22:23], 2
	s_cmp_lg_u32 s30, 0
	s_cselect_b32 s26, s28, s26
	s_cselect_b32 s27, s29, s27
	s_cmp_lg_u32 s24, 0
	s_sub_co_ci_u32 s24, s3, s25
	s_delay_alu instid0(SALU_CYCLE_1)
	s_cmp_ge_u32 s24, s21
	s_cselect_b32 s25, -1, 0
	s_cmp_ge_u32 s15, s20
	s_cselect_b32 s15, -1, 0
	s_cmp_eq_u32 s24, s21
	s_wait_alu 0xfffe
	s_cselect_b32 s15, s15, s25
	s_wait_alu 0xfffe
	s_cmp_lg_u32 s15, 0
	s_mov_b32 s15, 0
	s_cselect_b32 s23, s27, s23
	s_cselect_b32 s22, s26, s22
.LBB98_13:                              ;   in Loop: Header=BB98_11 Depth=1
	s_wait_alu 0xfffe
	s_and_not1_b32 vcc_lo, exec_lo, s15
	s_cbranch_vccnz .LBB98_15
; %bb.14:                               ;   in Loop: Header=BB98_11 Depth=1
	v_cvt_f32_u32_e32 v1, s20
	s_sub_co_i32 s22, 0, s20
	s_delay_alu instid0(VALU_DEP_1) | instskip(NEXT) | instid1(TRANS32_DEP_1)
	v_rcp_iflag_f32_e32 v1, v1
	v_mul_f32_e32 v1, 0x4f7ffffe, v1
	s_delay_alu instid0(VALU_DEP_1) | instskip(NEXT) | instid1(VALU_DEP_1)
	v_cvt_u32_f32_e32 v1, v1
	v_readfirstlane_b32 s15, v1
	s_mul_i32 s22, s22, s15
	s_delay_alu instid0(SALU_CYCLE_1) | instskip(NEXT) | instid1(SALU_CYCLE_1)
	s_mul_hi_u32 s22, s15, s22
	s_add_co_i32 s15, s15, s22
	s_wait_alu 0xfffe
	s_mul_hi_u32 s15, s2, s15
	s_wait_alu 0xfffe
	s_mul_i32 s22, s15, s20
	s_add_co_i32 s23, s15, 1
	s_sub_co_i32 s22, s2, s22
	s_delay_alu instid0(SALU_CYCLE_1)
	s_sub_co_i32 s24, s22, s20
	s_cmp_ge_u32 s22, s20
	s_cselect_b32 s15, s23, s15
	s_cselect_b32 s22, s24, s22
	s_wait_alu 0xfffe
	s_add_co_i32 s23, s15, 1
	s_cmp_ge_u32 s22, s20
	s_cselect_b32 s22, s23, s15
	s_mov_b32 s23, s14
.LBB98_15:                              ;   in Loop: Header=BB98_11 Depth=1
	s_load_b64 s[24:25], s[16:17], 0xc8
	s_mul_u64 s[20:21], s[22:23], s[20:21]
	s_add_co_i32 s7, s7, -1
	s_wait_alu 0xfffe
	s_sub_nc_u64 s[2:3], s[2:3], s[20:21]
	s_cmp_gt_u32 s7, 2
	s_add_nc_u64 s[16:17], s[16:17], -8
	s_wait_kmcnt 0x0
	s_wait_alu 0xfffe
	s_mul_u64 s[2:3], s[24:25], s[2:3]
	s_wait_alu 0xfffe
	s_add_nc_u64 s[8:9], s[2:3], s[8:9]
	s_cbranch_scc0 .LBB98_18
; %bb.16:                               ;   in Loop: Header=BB98_11 Depth=1
	s_mov_b64 s[2:3], s[22:23]
	s_branch .LBB98_11
.LBB98_17:
	s_mov_b64 s[22:23], s[2:3]
.LBB98_18:
	s_clause 0x2
	s_load_b64 s[2:3], s[0:1], 0xd0
	s_load_b32 s7, s[0:1], 0x360
	s_load_b64 s[14:15], s[0:1], 0x0
	s_wait_kmcnt 0x0
	s_mul_u64 s[12:13], s[2:3], s[12:13]
	s_bitcmp1_b32 s7, 0
	s_add_nc_u64 s[12:13], s[14:15], s[12:13]
	s_cselect_b32 s7, -1, 0
	s_add_nc_u64 s[14:15], s[12:13], s[4:5]
	s_xor_b32 s7, s7, -1
	s_delay_alu instid0(SALU_CYCLE_1) | instskip(SKIP_1) | instid1(VALU_DEP_2)
	v_cndmask_b32_e64 v2, 0, -1, s7
	v_cndmask_b32_e64 v1, 0, -1, s7
	v_readfirstlane_b32 s16, v2
	s_lshl_b32 s17, s16, 8
	s_and_b32 s16, s16, 0xff
	s_delay_alu instid0(SALU_CYCLE_1) | instskip(NEXT) | instid1(SALU_CYCLE_1)
	s_or_b32 s16, s16, s17
	s_and_b32 s17, s16, 0xffff
	s_lshl_b32 s16, s16, 16
	s_delay_alu instid0(SALU_CYCLE_1) | instskip(SKIP_2) | instid1(VALU_DEP_1)
	s_or_b32 s3, s17, s16
	s_wait_alu 0xfffe
	v_dual_mov_b32 v2, s3 :: v_dual_and_b32 v9, 0x3ff, v0
	v_cmp_gt_u32_e64 s2, s6, v9
	s_and_saveexec_b32 s4, s2
	s_cbranch_execz .LBB98_20
; %bb.19:
	v_mad_co_u64_u32 v[1:2], null, s10, v9, s[14:15]
	s_delay_alu instid0(VALU_DEP_1)
	v_mad_co_u64_u32 v[2:3], null, s11, v9, v[2:3]
	global_load_u8 v1, v[1:2], off
	s_wait_loadcnt 0x0
	v_perm_b32 v2, v1, s3, 0x3020104
.LBB98_20:
	s_wait_alu 0xfffe
	s_or_b32 exec_lo, exec_lo, s4
	v_add_nc_u32_e32 v5, 32, v9
	s_delay_alu instid0(VALU_DEP_1)
	v_cmp_gt_u32_e64 s3, s6, v5
	s_and_saveexec_b32 s4, s3
	s_cbranch_execz .LBB98_22
; %bb.21:
	v_mad_co_u64_u32 v[3:4], null, s10, v5, s[14:15]
	s_delay_alu instid0(VALU_DEP_1) | instskip(NEXT) | instid1(VALU_DEP_1)
	v_mad_co_u64_u32 v[6:7], null, s11, v5, v[4:5]
	v_mov_b32_e32 v4, v6
	global_load_u8 v3, v[3:4], off
	s_wait_loadcnt 0x0
	v_perm_b32 v2, v2, v3, 0x7060004
.LBB98_22:
	s_wait_alu 0xfffe
	s_or_b32 exec_lo, exec_lo, s4
	v_add_nc_u32_e32 v11, 64, v9
	s_delay_alu instid0(VALU_DEP_1)
	v_cmp_gt_u32_e64 s4, s6, v11
	s_and_saveexec_b32 s5, s4
	s_cbranch_execz .LBB98_24
; %bb.23:
	v_mad_co_u64_u32 v[3:4], null, s10, v11, s[14:15]
	s_delay_alu instid0(VALU_DEP_1) | instskip(NEXT) | instid1(VALU_DEP_1)
	v_mad_co_u64_u32 v[6:7], null, s11, v11, v[4:5]
	v_mov_b32_e32 v4, v6
	global_load_u8 v3, v[3:4], off
	s_wait_loadcnt 0x0
	v_perm_b32 v2, v2, v3, 0x7000504
.LBB98_24:
	s_wait_alu 0xfffe
	s_or_b32 exec_lo, exec_lo, s5
	s_clause 0x1
	s_load_b64 s[20:21], s[0:1], 0x288
	s_load_b64 s[16:17], s[0:1], 0x1b8
	v_add_nc_u32_e32 v12, 0x60, v9
	s_delay_alu instid0(VALU_DEP_1)
	v_cmp_gt_u32_e64 s5, s6, v12
	s_and_saveexec_b32 s6, s5
	s_cbranch_execz .LBB98_26
; %bb.25:
	v_mad_co_u64_u32 v[3:4], null, s10, v12, s[14:15]
	s_delay_alu instid0(VALU_DEP_1) | instskip(NEXT) | instid1(VALU_DEP_1)
	v_mad_co_u64_u32 v[6:7], null, s11, v12, v[4:5]
	v_mov_b32_e32 v4, v6
	global_load_u8 v3, v[3:4], off
	s_wait_loadcnt 0x0
	v_perm_b32 v2, v2, v3, 0x60504
.LBB98_26:
	s_wait_alu 0xfffe
	s_or_b32 exec_lo, exec_lo, s6
	v_lshrrev_b32_e32 v13, 5, v5
	v_lshrrev_b32_e32 v10, 5, v9
	;; [unrolled: 1-line block ×5, first 2 shown]
	v_and_b32_e32 v6, 60, v13
	v_and_b32_e32 v4, 28, v10
	;; [unrolled: 1-line block ×3, first 2 shown]
	v_lshlrev_b32_e32 v27, 2, v9
	v_lshrrev_b32_e32 v3, 8, v2
	v_add_nc_u32_e32 v19, v6, v9
	v_and_b32_e32 v6, 0x7c, v16
	v_add_nc_u32_e32 v18, v4, v9
	v_and_b32_e32 v4, 60, v15
	v_add_nc_u32_e32 v20, v7, v9
	v_lshrrev_b32_e32 v7, 24, v2
	v_add_nc_u32_e32 v22, v6, v27
	s_load_b64 s[12:13], s[0:1], 0x358
	v_add_nc_u32_e32 v21, v4, v9
	ds_store_b8 v18, v1
	ds_store_b8 v19, v3 offset:32
	ds_store_b8_d16_hi v20, v2 offset:64
	ds_store_b8 v21, v7 offset:96
	s_wait_dscnt 0x0
	; wave barrier
	global_inv scope:SCOPE_SE
	ds_load_b32 v33, v22
	s_wait_kmcnt 0x0
	s_mul_u64 s[0:1], s[20:21], s[22:23]
	v_mov_b32_e32 v1, 0
	s_lshl_b64 s[0:1], s[0:1], 3
	v_dual_mov_b32 v3, 0 :: v_dual_mov_b32 v2, 0
	v_mov_b32_e32 v4, 0
	s_add_nc_u64 s[0:1], s[16:17], s[0:1]
	s_lshl_b64 s[8:9], s[8:9], 3
	s_wait_loadcnt_dscnt 0x0
	s_wait_alu 0xfffe
	s_add_nc_u64 s[16:17], s[0:1], s[8:9]
	; wave barrier
	global_inv scope:SCOPE_SE
	s_and_saveexec_b32 s0, s2
	s_cbranch_execz .LBB98_28
; %bb.27:
	v_mad_co_u64_u32 v[3:4], null, s12, v9, 0
	s_delay_alu instid0(VALU_DEP_1) | instskip(NEXT) | instid1(VALU_DEP_1)
	v_mad_co_u64_u32 v[6:7], null, s13, v9, v[4:5]
	v_mov_b32_e32 v4, v6
	s_delay_alu instid0(VALU_DEP_1) | instskip(NEXT) | instid1(VALU_DEP_1)
	v_lshlrev_b64_e32 v[3:4], 3, v[3:4]
	v_add_co_u32 v3, vcc_lo, s16, v3
	s_delay_alu instid0(VALU_DEP_1)
	v_add_co_ci_u32_e64 v4, null, s17, v4, vcc_lo
	global_load_b64 v[3:4], v[3:4], off
.LBB98_28:
	s_or_b32 exec_lo, exec_lo, s0
	s_and_saveexec_b32 s0, s3
	s_cbranch_execz .LBB98_30
; %bb.29:
	v_mad_co_u64_u32 v[1:2], null, s12, v5, 0
	s_wait_loadcnt 0x0
	s_delay_alu instid0(VALU_DEP_1) | instskip(NEXT) | instid1(VALU_DEP_1)
	v_mad_co_u64_u32 v[5:6], null, s13, v5, v[2:3]
	v_mov_b32_e32 v2, v5
	s_delay_alu instid0(VALU_DEP_1) | instskip(NEXT) | instid1(VALU_DEP_1)
	v_lshlrev_b64_e32 v[1:2], 3, v[1:2]
	v_add_co_u32 v1, vcc_lo, s16, v1
	s_wait_alu 0xfffd
	s_delay_alu instid0(VALU_DEP_2)
	v_add_co_ci_u32_e64 v2, null, s17, v2, vcc_lo
	global_load_b64 v[1:2], v[1:2], off
.LBB98_30:
	s_or_b32 exec_lo, exec_lo, s0
	v_mov_b32_e32 v5, 0
	v_dual_mov_b32 v6, 0 :: v_dual_mov_b32 v7, 0
	v_mov_b32_e32 v8, 0
	s_and_saveexec_b32 s0, s4
	s_cbranch_execz .LBB98_32
; %bb.31:
	v_mad_co_u64_u32 v[7:8], null, s12, v11, 0
	s_delay_alu instid0(VALU_DEP_1) | instskip(NEXT) | instid1(VALU_DEP_1)
	v_mad_co_u64_u32 v[23:24], null, s13, v11, v[8:9]
	v_mov_b32_e32 v8, v23
	s_delay_alu instid0(VALU_DEP_1) | instskip(NEXT) | instid1(VALU_DEP_1)
	v_lshlrev_b64_e32 v[7:8], 3, v[7:8]
	v_add_co_u32 v7, vcc_lo, s16, v7
	s_wait_alu 0xfffd
	s_delay_alu instid0(VALU_DEP_2)
	v_add_co_ci_u32_e64 v8, null, s17, v8, vcc_lo
	global_load_b64 v[7:8], v[7:8], off
.LBB98_32:
	s_or_b32 exec_lo, exec_lo, s0
	s_and_saveexec_b32 s0, s5
	s_cbranch_execz .LBB98_34
; %bb.33:
	v_mad_co_u64_u32 v[5:6], null, s12, v12, 0
	s_wait_loadcnt 0x0
	s_delay_alu instid0(VALU_DEP_1) | instskip(NEXT) | instid1(VALU_DEP_1)
	v_mad_co_u64_u32 v[11:12], null, s13, v12, v[6:7]
	v_mov_b32_e32 v6, v11
	s_delay_alu instid0(VALU_DEP_1) | instskip(NEXT) | instid1(VALU_DEP_1)
	v_lshlrev_b64_e32 v[5:6], 3, v[5:6]
	v_add_co_u32 v5, vcc_lo, s16, v5
	s_wait_alu 0xfffd
	s_delay_alu instid0(VALU_DEP_2)
	v_add_co_ci_u32_e64 v6, null, s17, v6, vcc_lo
	global_load_b64 v[5:6], v[5:6], off
.LBB98_34:
	s_or_b32 exec_lo, exec_lo, s0
	v_lshlrev_b32_e32 v11, 3, v9
	v_lshlrev_b32_e32 v29, 3, v27
	v_lshrrev_b32_e32 v35, 16, v33
	v_lshrrev_b32_e32 v36, 8, v33
	;; [unrolled: 1-line block ×3, first 2 shown]
	v_lshl_add_u32 v23, v10, 3, v11
	v_lshl_add_u32 v28, v16, 3, v29
	;; [unrolled: 1-line block ×5, first 2 shown]
	s_wait_loadcnt 0x0
	ds_store_b64 v23, v[3:4]
	ds_store_b64 v24, v[1:2] offset:256
	ds_store_b64 v25, v[7:8] offset:512
	;; [unrolled: 1-line block ×3, first 2 shown]
	s_wait_dscnt 0x0
	; wave barrier
	global_inv scope:SCOPE_SE
	ds_load_2addr_b64 v[5:8], v28 offset1:1
	ds_load_2addr_b64 v[1:4], v28 offset0:2 offset1:3
	v_bfe_u32 v32, v0, 10, 10
	v_bfe_u32 v0, v0, 20, 10
	v_mbcnt_lo_u32_b32 v31, -1, 0
	v_lshlrev_b32_e32 v30, 5, v9
	s_and_b32 vcc_lo, exec_lo, s7
	; wave barrier
	s_wait_loadcnt_dscnt 0x0
	global_inv scope:SCOPE_SE
	s_wait_alu 0xfffe
	s_cbranch_vccz .LBB98_46
; %bb.35:
	v_and_b32_e32 v37, 3, v31
	v_and_b32_e32 v12, 28, v31
	;; [unrolled: 1-line block ×4, first 2 shown]
	s_getpc_b64 s[8:9]
	s_wait_alu 0xfffe
	s_sext_i32_i16 s9, s9
	s_add_co_u32 s8, s8, _ZN7rocprim17ROCPRIM_400000_NS16block_radix_sortIhLj32ELj4ElLj1ELj1ELj0ELNS0_26block_radix_rank_algorithmE1ELNS0_18block_padding_hintE2ELNS0_4arch9wavefront6targetE0EE19radix_bits_per_passE@rel32@lo+12
	s_wait_alu 0xfffe
	s_add_co_ci_u32 s9, s9, _ZN7rocprim17ROCPRIM_400000_NS16block_radix_sortIhLj32ELj4ElLj1ELj1ELj0ELNS0_26block_radix_rank_algorithmE1ELNS0_18block_padding_hintE2ELNS0_4arch9wavefront6targetE0EE19radix_bits_per_passE@rel32@hi+24
	v_cmp_eq_u32_e32 vcc_lo, 3, v37
	v_and_b32_e32 v10, 0xff, v33
	ds_bpermute_b32 v15, v12, v11
	ds_bpermute_b32 v16, v12, v14
	v_and_b32_e32 v17, 0xffff, v34
	v_cmp_eq_u32_e64 s6, 0, v37
	ds_bpermute_b32 v13, v12, v10
	v_cmp_eq_u32_e64 s1, 1, v37
	v_cmp_eq_u32_e64 s0, 2, v37
	ds_bpermute_b32 v38, v12, v17
	s_load_b32 s8, s[8:9], 0x0
	; wave barrier
	s_wait_loadcnt_dscnt 0x0
	global_inv scope:SCOPE_SE
	s_load_b32 s7, s[18:19], 0xc
	ds_bpermute_b32 v56, v12, v5
	ds_bpermute_b32 v57, v12, v6
	;; [unrolled: 1-line block ×7, first 2 shown]
	ds_bpermute_b32 v58, v12, v5 offset:32
	v_and_b32_e32 v15, 0xff, v15
	v_and_b32_e32 v16, 0xff, v16
	ds_bpermute_b32 v59, v12, v6 offset:32
	ds_bpermute_b32 v48, v12, v7 offset:32
	v_and_b32_e32 v13, 0xff, v13
	ds_bpermute_b32 v49, v12, v8 offset:32
	ds_bpermute_b32 v45, v12, v1 offset:32
	;; [unrolled: 1-line block ×3, first 2 shown]
	s_wait_kmcnt 0x0
	s_min_u32 s8, s8, 8
	v_cndmask_b32_e64 v13, 0, v13, s6
	s_wait_alu 0xfffe
	s_lshl_b32 s8, -1, s8
	s_and_b32 s20, s7, 0xffff
	s_wait_alu 0xfffe
	s_not_b32 s9, s8
	s_lshr_b32 s8, s7, 16
	v_cndmask_b32_e64 v13, v13, v15, s1
	ds_bpermute_b32 v44, v12, v4 offset:32
	ds_bpermute_b32 v60, v12, v5 offset:64
	ds_bpermute_b32 v62, v12, v6 offset:64
	ds_bpermute_b32 v54, v12, v7 offset:64
	v_cndmask_b32_e64 v13, v13, v16, s0
	ds_bpermute_b32 v55, v12, v8 offset:64
	ds_bpermute_b32 v51, v12, v1 offset:64
	;; [unrolled: 1-line block ×4, first 2 shown]
	v_perm_b32 v15, v38, v13, 0x3020104
	ds_bpermute_b32 v38, v12, v3
	ds_bpermute_b32 v63, v12, v5 offset:96
	ds_bpermute_b32 v64, v12, v6 offset:96
	;; [unrolled: 1-line block ×3, first 2 shown]
	v_cndmask_b32_e32 v13, v13, v15, vcc_lo
	ds_bpermute_b32 v39, v12, v10 offset:32
	ds_bpermute_b32 v15, v12, v11 offset:32
	;; [unrolled: 1-line block ×3, first 2 shown]
	v_and_b32_e32 v37, 0xff, v13
	s_wait_dscnt 0x2
	v_lshlrev_b16 v16, 8, v39
	s_wait_dscnt 0x1
	v_lshlrev_b16 v15, 8, v15
	ds_bpermute_b32 v39, v12, v3 offset:64
	v_or_b32_e32 v16, v37, v16
	ds_bpermute_b32 v37, v12, v14 offset:32
	v_and_b32_e32 v16, 0xffff, v16
	s_delay_alu instid0(VALU_DEP_1) | instskip(NEXT) | instid1(VALU_DEP_1)
	v_cndmask_b32_e64 v13, v13, v16, s6
	v_and_b32_e32 v16, 0xff, v13
	s_delay_alu instid0(VALU_DEP_1) | instskip(NEXT) | instid1(VALU_DEP_1)
	v_or_b32_e32 v15, v16, v15
	v_and_b32_e32 v15, 0xffff, v15
	s_delay_alu instid0(VALU_DEP_1) | instskip(NEXT) | instid1(VALU_DEP_1)
	v_and_or_b32 v15, 0xffff0000, v13, v15
	v_cndmask_b32_e64 v13, v13, v15, s1
	s_wait_dscnt 0x0
	v_lshlrev_b16 v15, 8, v37
	ds_bpermute_b32 v37, v12, v17 offset:32
	v_and_b32_e32 v16, 0xff, v13
	s_delay_alu instid0(VALU_DEP_1) | instskip(NEXT) | instid1(VALU_DEP_1)
	v_or_b32_e32 v15, v16, v15
	v_and_b32_e32 v15, 0xffff, v15
	s_delay_alu instid0(VALU_DEP_1) | instskip(NEXT) | instid1(VALU_DEP_1)
	v_and_or_b32 v15, 0xffff0000, v13, v15
	v_cndmask_b32_e64 v13, v13, v15, s0
	s_wait_dscnt 0x0
	v_lshlrev_b16 v15, 8, v37
	ds_bpermute_b32 v37, v12, v10 offset:64
	ds_bpermute_b32 v10, v12, v10 offset:96
	v_and_b32_e32 v16, 0xff, v13
	s_delay_alu instid0(VALU_DEP_1) | instskip(NEXT) | instid1(VALU_DEP_1)
	v_or_b32_e32 v15, v16, v15
	v_and_b32_e32 v15, 0xffff, v15
	s_delay_alu instid0(VALU_DEP_1) | instskip(SKIP_2) | instid1(VALU_DEP_2)
	v_and_or_b32 v15, 0xffff0000, v13, v15
	s_wait_dscnt 0x0
	v_lshlrev_b16 v10, 8, v10
	v_cndmask_b32_e32 v13, v13, v15, vcc_lo
	ds_bpermute_b32 v15, v12, v11 offset:64
	ds_bpermute_b32 v11, v12, v11 offset:96
	v_perm_b32 v16, v37, v13, 0xc0c0304
	ds_bpermute_b32 v37, v12, v3 offset:32
	v_lshlrev_b32_e32 v16, 16, v16
	s_delay_alu instid0(VALU_DEP_1) | instskip(NEXT) | instid1(VALU_DEP_1)
	v_and_or_b32 v16, 0xffff, v13, v16
	v_cndmask_b32_e64 v13, v13, v16, s6
	ds_bpermute_b32 v16, v12, v14 offset:64
	s_wait_dscnt 0x2
	v_lshlrev_b16 v11, 8, v11
	v_perm_b32 v15, v15, v13, 0xc0c0304
	s_delay_alu instid0(VALU_DEP_1) | instskip(NEXT) | instid1(VALU_DEP_1)
	v_lshlrev_b32_e32 v15, 16, v15
	v_and_or_b32 v15, 0xffff, v13, v15
	s_delay_alu instid0(VALU_DEP_1) | instskip(SKIP_3) | instid1(VALU_DEP_1)
	v_cndmask_b32_e64 v13, v13, v15, s1
	ds_bpermute_b32 v15, v12, v17 offset:64
	s_wait_dscnt 0x1
	v_perm_b32 v16, v16, v13, 0xc0c0304
	v_lshlrev_b32_e32 v16, 16, v16
	s_delay_alu instid0(VALU_DEP_1) | instskip(NEXT) | instid1(VALU_DEP_1)
	v_and_or_b32 v16, 0xffff, v13, v16
	v_cndmask_b32_e64 v13, v13, v16, s0
	s_wait_dscnt 0x0
	s_delay_alu instid0(VALU_DEP_1) | instskip(NEXT) | instid1(VALU_DEP_1)
	v_perm_b32 v15, v15, v13, 0xc0c0304
	v_lshlrev_b32_e32 v15, 16, v15
	s_delay_alu instid0(VALU_DEP_1) | instskip(NEXT) | instid1(VALU_DEP_1)
	v_and_or_b32 v15, 0xffff, v13, v15
	v_cndmask_b32_e32 v13, v13, v15, vcc_lo
	s_delay_alu instid0(VALU_DEP_1) | instskip(NEXT) | instid1(VALU_DEP_1)
	v_lshrrev_b32_e32 v15, 16, v13
	v_and_b32_e32 v15, 0xff, v15
	s_delay_alu instid0(VALU_DEP_1) | instskip(NEXT) | instid1(VALU_DEP_1)
	v_or_b32_e32 v10, v15, v10
	v_lshlrev_b32_e32 v10, 16, v10
	s_delay_alu instid0(VALU_DEP_1) | instskip(NEXT) | instid1(VALU_DEP_1)
	v_and_or_b32 v10, 0xffff, v13, v10
	v_cndmask_b32_e64 v10, v13, v10, s6
	s_delay_alu instid0(VALU_DEP_1) | instskip(NEXT) | instid1(VALU_DEP_1)
	v_lshrrev_b32_e32 v13, 16, v10
	v_and_b32_e32 v13, 0xff, v13
	s_delay_alu instid0(VALU_DEP_1) | instskip(SKIP_2) | instid1(VALU_DEP_1)
	v_or_b32_e32 v11, v13, v11
	ds_bpermute_b32 v13, v12, v14 offset:96
	v_lshlrev_b32_e32 v11, 16, v11
	v_and_or_b32 v11, 0xffff, v10, v11
	s_delay_alu instid0(VALU_DEP_1) | instskip(NEXT) | instid1(VALU_DEP_1)
	v_cndmask_b32_e64 v10, v10, v11, s1
	v_lshrrev_b32_e32 v11, 16, v10
	s_wait_dscnt 0x0
	v_lshlrev_b16 v13, 8, v13
	s_delay_alu instid0(VALU_DEP_2) | instskip(NEXT) | instid1(VALU_DEP_1)
	v_and_b32_e32 v11, 0xff, v11
	v_or_b32_e32 v11, v11, v13
	ds_bpermute_b32 v13, v12, v17 offset:96
	v_lshlrev_b32_e32 v11, 16, v11
	s_delay_alu instid0(VALU_DEP_1) | instskip(NEXT) | instid1(VALU_DEP_1)
	v_and_or_b32 v11, 0xffff, v10, v11
	v_cndmask_b32_e64 v10, v10, v11, s0
	s_delay_alu instid0(VALU_DEP_1) | instskip(SKIP_2) | instid1(VALU_DEP_2)
	v_lshrrev_b32_e32 v11, 16, v10
	s_wait_dscnt 0x0
	v_lshlrev_b16 v13, 8, v13
	v_and_b32_e32 v11, 0xff, v11
	s_delay_alu instid0(VALU_DEP_1) | instskip(NEXT) | instid1(VALU_DEP_1)
	v_or_b32_e32 v11, v11, v13
	v_lshlrev_b32_e32 v11, 16, v11
	s_delay_alu instid0(VALU_DEP_1) | instskip(NEXT) | instid1(VALU_DEP_1)
	v_and_or_b32 v11, 0xffff, v10, v11
	v_cndmask_b32_e32 v46, v10, v11, vcc_lo
	s_wait_alu 0xfffe
	v_mad_u32_u24 v10, v0, s8, v32
	s_delay_alu instid0(VALU_DEP_2) | instskip(NEXT) | instid1(VALU_DEP_1)
	v_and_b32_e32 v13, s9, v46
	v_and_b32_e32 v11, 1, v13
	v_lshlrev_b32_e32 v14, 30, v13
	v_lshlrev_b32_e32 v15, 29, v13
	;; [unrolled: 1-line block ×4, first 2 shown]
	v_add_co_u32 v11, s7, v11, -1
	s_wait_alu 0xf1ff
	v_cndmask_b32_e64 v17, 0, 1, s7
	v_not_b32_e32 v68, v14
	v_cmp_gt_i32_e64 s8, 0, v14
	v_not_b32_e32 v14, v15
	v_lshlrev_b32_e32 v66, 26, v13
	v_cmp_ne_u32_e64 s7, 0, v17
	v_ashrrev_i32_e32 v68, 31, v68
	v_lshlrev_b32_e32 v67, 25, v13
	v_ashrrev_i32_e32 v14, 31, v14
	v_lshlrev_b32_e32 v17, 24, v13
	s_wait_alu 0xf1ff
	v_xor_b32_e32 v11, s7, v11
	v_cmp_gt_i32_e64 s7, 0, v15
	v_not_b32_e32 v15, v16
	v_xor_b32_e32 v68, s8, v68
	v_cmp_gt_i32_e64 s8, 0, v16
	v_and_b32_e32 v11, exec_lo, v11
	v_not_b32_e32 v16, v65
	v_ashrrev_i32_e32 v15, 31, v15
	s_wait_alu 0xf1ff
	v_xor_b32_e32 v14, s7, v14
	v_cmp_gt_i32_e64 s7, 0, v65
	v_and_b32_e32 v11, v11, v68
	v_not_b32_e32 v65, v66
	v_ashrrev_i32_e32 v16, 31, v16
	v_xor_b32_e32 v15, s8, v15
	v_cmp_gt_i32_e64 s8, 0, v66
	v_and_b32_e32 v11, v11, v14
	v_not_b32_e32 v14, v67
	v_ashrrev_i32_e32 v65, 31, v65
	s_wait_alu 0xf1ff
	v_xor_b32_e32 v16, s7, v16
	v_cmp_gt_i32_e64 s7, 0, v67
	v_and_b32_e32 v11, v11, v15
	v_not_b32_e32 v15, v17
	v_ashrrev_i32_e32 v14, 31, v14
	v_xor_b32_e32 v65, s8, v65
	v_cmp_gt_i32_e64 s8, 0, v17
	v_and_b32_e32 v16, v11, v16
	v_mad_co_u64_u32 v[10:11], null, v10, s20, v[9:10]
	v_ashrrev_i32_e32 v11, 31, v15
	s_wait_alu 0xf1ff
	v_xor_b32_e32 v14, s7, v14
	v_and_b32_e32 v15, v16, v65
	ds_bpermute_b32 v66, v12, v1 offset:96
	ds_bpermute_b32 v68, v12, v2 offset:96
	v_xor_b32_e32 v11, s8, v11
	ds_bpermute_b32 v65, v12, v3 offset:96
	v_and_b32_e32 v14, v15, v14
	ds_bpermute_b32 v67, v12, v4 offset:96
	v_lshrrev_b32_e32 v10, 3, v10
	v_dual_mov_b32 v12, 0 :: v_dual_and_b32 v13, 0xff, v13
	v_and_b32_e32 v11, v14, v11
	ds_store_2addr_b32 v30, v12, v12 offset0:1 offset1:2
	ds_store_2addr_b32 v30, v12, v12 offset0:3 offset1:4
	;; [unrolled: 1-line block ×4, first 2 shown]
	v_mbcnt_lo_u32_b32 v70, v11, 0
	v_and_b32_e32 v10, 0x1ffffffc, v10
	v_cmp_ne_u32_e64 s8, 0, v11
	; wave barrier
	s_wait_loadcnt_dscnt 0x0
	global_inv scope:SCOPE_SE
	v_cmp_eq_u32_e64 s7, 0, v70
	v_lshl_add_u32 v72, v13, 2, v10
	; wave barrier
	s_and_b32 s8, s8, s7
	s_wait_alu 0xfffe
	s_and_saveexec_b32 s7, s8
; %bb.36:
	v_bcnt_u32_b32 v11, v11, 0
	ds_store_b32 v72, v11 offset:4
; %bb.37:
	s_wait_alu 0xfffe
	s_or_b32 exec_lo, exec_lo, s7
	v_lshrrev_b32_e32 v71, 8, v46
	; wave barrier
	s_delay_alu instid0(VALU_DEP_1) | instskip(NEXT) | instid1(VALU_DEP_1)
	v_and_b32_e32 v11, s9, v71
	v_and_b32_e32 v12, 1, v11
	v_lshlrev_b32_e32 v13, 30, v11
	v_lshlrev_b32_e32 v14, 29, v11
	;; [unrolled: 1-line block ×4, first 2 shown]
	v_add_co_u32 v12, s7, v12, -1
	s_wait_alu 0xf1ff
	v_cndmask_b32_e64 v16, 0, 1, s7
	v_not_b32_e32 v75, v13
	v_cmp_gt_i32_e64 s8, 0, v13
	v_not_b32_e32 v13, v14
	v_lshlrev_b32_e32 v73, 26, v11
	v_cmp_ne_u32_e64 s7, 0, v16
	v_ashrrev_i32_e32 v75, 31, v75
	v_lshlrev_b32_e32 v74, 25, v11
	v_ashrrev_i32_e32 v13, 31, v13
	v_lshlrev_b32_e32 v16, 24, v11
	s_wait_alu 0xf1ff
	v_xor_b32_e32 v12, s7, v12
	v_cmp_gt_i32_e64 s7, 0, v14
	v_not_b32_e32 v14, v15
	v_xor_b32_e32 v75, s8, v75
	v_cmp_gt_i32_e64 s8, 0, v15
	v_and_b32_e32 v12, exec_lo, v12
	v_not_b32_e32 v15, v17
	v_ashrrev_i32_e32 v14, 31, v14
	s_wait_alu 0xf1ff
	v_xor_b32_e32 v13, s7, v13
	v_cmp_gt_i32_e64 s7, 0, v17
	v_and_b32_e32 v12, v12, v75
	v_not_b32_e32 v17, v73
	v_ashrrev_i32_e32 v15, 31, v15
	v_xor_b32_e32 v14, s8, v14
	v_cmp_gt_i32_e64 s8, 0, v73
	v_and_b32_e32 v12, v12, v13
	v_not_b32_e32 v13, v74
	v_ashrrev_i32_e32 v17, 31, v17
	s_wait_alu 0xf1ff
	v_xor_b32_e32 v15, s7, v15
	v_cmp_gt_i32_e64 s7, 0, v74
	v_and_b32_e32 v12, v12, v14
	v_not_b32_e32 v14, v16
	v_ashrrev_i32_e32 v13, 31, v13
	v_xor_b32_e32 v17, s8, v17
	v_and_b32_e32 v11, 0xff, v11
	v_and_b32_e32 v12, v12, v15
	v_cmp_gt_i32_e64 s8, 0, v16
	v_ashrrev_i32_e32 v14, 31, v14
	s_wait_alu 0xf1ff
	v_xor_b32_e32 v13, s7, v13
	v_lshl_add_u32 v76, v11, 2, v10
	v_and_b32_e32 v12, v12, v17
	v_xor_b32_e32 v11, s8, v14
	ds_load_b32 v73, v76 offset:4
	v_and_b32_e32 v12, v12, v13
	; wave barrier
	s_delay_alu instid0(VALU_DEP_1) | instskip(NEXT) | instid1(VALU_DEP_1)
	v_and_b32_e32 v11, v12, v11
	v_mbcnt_lo_u32_b32 v74, v11, 0
	v_cmp_ne_u32_e64 s8, 0, v11
	s_delay_alu instid0(VALU_DEP_2)
	v_cmp_eq_u32_e64 s7, 0, v74
	s_and_b32 s8, s8, s7
	s_wait_alu 0xfffe
	s_and_saveexec_b32 s7, s8
	s_cbranch_execz .LBB98_39
; %bb.38:
	s_wait_dscnt 0x0
	v_bcnt_u32_b32 v11, v11, v73
	ds_store_b32 v76, v11 offset:4
.LBB98_39:
	s_wait_alu 0xfffe
	s_or_b32 exec_lo, exec_lo, s7
	v_lshrrev_b32_e32 v75, 16, v46
	; wave barrier
	s_delay_alu instid0(VALU_DEP_1) | instskip(NEXT) | instid1(VALU_DEP_1)
	v_and_b32_e32 v11, s9, v75
	v_and_b32_e32 v12, 1, v11
	v_lshlrev_b32_e32 v13, 30, v11
	v_lshlrev_b32_e32 v14, 29, v11
	;; [unrolled: 1-line block ×4, first 2 shown]
	v_add_co_u32 v12, s7, v12, -1
	s_wait_alu 0xf1ff
	v_cndmask_b32_e64 v16, 0, 1, s7
	v_not_b32_e32 v79, v13
	v_cmp_gt_i32_e64 s8, 0, v13
	v_not_b32_e32 v13, v14
	v_lshlrev_b32_e32 v77, 26, v11
	v_cmp_ne_u32_e64 s7, 0, v16
	v_ashrrev_i32_e32 v79, 31, v79
	v_lshlrev_b32_e32 v78, 25, v11
	v_ashrrev_i32_e32 v13, 31, v13
	v_lshlrev_b32_e32 v16, 24, v11
	s_wait_alu 0xf1ff
	v_xor_b32_e32 v12, s7, v12
	v_cmp_gt_i32_e64 s7, 0, v14
	v_not_b32_e32 v14, v15
	v_xor_b32_e32 v79, s8, v79
	v_cmp_gt_i32_e64 s8, 0, v15
	v_and_b32_e32 v12, exec_lo, v12
	v_not_b32_e32 v15, v17
	v_ashrrev_i32_e32 v14, 31, v14
	s_wait_alu 0xf1ff
	v_xor_b32_e32 v13, s7, v13
	v_cmp_gt_i32_e64 s7, 0, v17
	v_and_b32_e32 v12, v12, v79
	v_not_b32_e32 v17, v77
	v_ashrrev_i32_e32 v15, 31, v15
	v_xor_b32_e32 v14, s8, v14
	v_cmp_gt_i32_e64 s8, 0, v77
	v_and_b32_e32 v12, v12, v13
	v_not_b32_e32 v13, v78
	v_ashrrev_i32_e32 v17, 31, v17
	s_wait_alu 0xf1ff
	v_xor_b32_e32 v15, s7, v15
	v_cmp_gt_i32_e64 s7, 0, v78
	v_and_b32_e32 v12, v12, v14
	v_not_b32_e32 v14, v16
	v_ashrrev_i32_e32 v13, 31, v13
	v_xor_b32_e32 v17, s8, v17
	v_and_b32_e32 v11, 0xff, v11
	v_and_b32_e32 v12, v12, v15
	v_cmp_gt_i32_e64 s8, 0, v16
	v_ashrrev_i32_e32 v14, 31, v14
	s_wait_alu 0xf1ff
	v_xor_b32_e32 v13, s7, v13
	v_lshl_add_u32 v80, v11, 2, v10
	v_and_b32_e32 v12, v12, v17
	v_xor_b32_e32 v11, s8, v14
	ds_load_b32 v77, v80 offset:4
	v_and_b32_e32 v12, v12, v13
	; wave barrier
	s_delay_alu instid0(VALU_DEP_1) | instskip(NEXT) | instid1(VALU_DEP_1)
	v_and_b32_e32 v11, v12, v11
	v_mbcnt_lo_u32_b32 v78, v11, 0
	v_cmp_ne_u32_e64 s8, 0, v11
	s_delay_alu instid0(VALU_DEP_2)
	v_cmp_eq_u32_e64 s7, 0, v78
	s_and_b32 s8, s8, s7
	s_wait_alu 0xfffe
	s_and_saveexec_b32 s7, s8
	s_cbranch_execz .LBB98_41
; %bb.40:
	s_wait_dscnt 0x0
	v_bcnt_u32_b32 v11, v11, v77
	ds_store_b32 v80, v11 offset:4
.LBB98_41:
	s_wait_alu 0xfffe
	s_or_b32 exec_lo, exec_lo, s7
	v_lshrrev_b32_e32 v79, 24, v46
	; wave barrier
	s_delay_alu instid0(VALU_DEP_1) | instskip(NEXT) | instid1(VALU_DEP_1)
	v_and_b32_e32 v11, s9, v79
	v_and_b32_e32 v12, 1, v11
	v_lshlrev_b32_e32 v13, 30, v11
	v_lshlrev_b32_e32 v14, 29, v11
	;; [unrolled: 1-line block ×4, first 2 shown]
	v_add_co_u32 v12, s7, v12, -1
	s_wait_alu 0xf1ff
	v_cndmask_b32_e64 v16, 0, 1, s7
	v_not_b32_e32 v83, v13
	v_cmp_gt_i32_e64 s8, 0, v13
	v_not_b32_e32 v13, v14
	v_lshlrev_b32_e32 v81, 26, v11
	v_cmp_ne_u32_e64 s7, 0, v16
	v_ashrrev_i32_e32 v83, 31, v83
	v_lshlrev_b32_e32 v82, 25, v11
	v_ashrrev_i32_e32 v13, 31, v13
	v_lshlrev_b32_e32 v16, 24, v11
	s_wait_alu 0xf1ff
	v_xor_b32_e32 v12, s7, v12
	v_cmp_gt_i32_e64 s7, 0, v14
	v_not_b32_e32 v14, v15
	v_xor_b32_e32 v83, s8, v83
	v_cmp_gt_i32_e64 s8, 0, v15
	v_and_b32_e32 v12, exec_lo, v12
	v_not_b32_e32 v15, v17
	v_ashrrev_i32_e32 v14, 31, v14
	s_wait_alu 0xf1ff
	v_xor_b32_e32 v13, s7, v13
	v_cmp_gt_i32_e64 s7, 0, v17
	v_and_b32_e32 v12, v12, v83
	v_not_b32_e32 v17, v81
	v_ashrrev_i32_e32 v15, 31, v15
	v_xor_b32_e32 v14, s8, v14
	v_cmp_gt_i32_e64 s8, 0, v81
	v_and_b32_e32 v12, v12, v13
	v_not_b32_e32 v13, v82
	v_ashrrev_i32_e32 v17, 31, v17
	s_wait_alu 0xf1ff
	v_xor_b32_e32 v15, s7, v15
	v_cmp_gt_i32_e64 s7, 0, v82
	v_and_b32_e32 v12, v12, v14
	v_not_b32_e32 v14, v16
	v_ashrrev_i32_e32 v13, 31, v13
	v_xor_b32_e32 v17, s8, v17
	v_cmp_gt_i32_e64 s8, 0, v16
	v_and_b32_e32 v12, v12, v15
	v_ashrrev_i32_e32 v14, 31, v14
	s_wait_alu 0xf1ff
	v_xor_b32_e32 v13, s7, v13
	v_lshl_add_u32 v83, v11, 2, v10
	v_and_b32_e32 v12, v12, v17
	v_xor_b32_e32 v10, s8, v14
	ds_load_b32 v81, v83 offset:4
	v_and_b32_e32 v11, v12, v13
	; wave barrier
	s_delay_alu instid0(VALU_DEP_1) | instskip(NEXT) | instid1(VALU_DEP_1)
	v_and_b32_e32 v10, v11, v10
	v_mbcnt_lo_u32_b32 v82, v10, 0
	v_cmp_ne_u32_e64 s8, 0, v10
	s_delay_alu instid0(VALU_DEP_2)
	v_cmp_eq_u32_e64 s7, 0, v82
	s_and_b32 s8, s8, s7
	s_wait_alu 0xfffe
	s_and_saveexec_b32 s7, s8
	s_cbranch_execz .LBB98_43
; %bb.42:
	s_wait_dscnt 0x0
	v_bcnt_u32_b32 v10, v10, v81
	ds_store_b32 v83, v10 offset:4
.LBB98_43:
	s_wait_alu 0xfffe
	s_or_b32 exec_lo, exec_lo, s7
	; wave barrier
	; wave barrier
	s_wait_loadcnt_dscnt 0x0
	global_inv scope:SCOPE_SE
	ds_load_2addr_b32 v[16:17], v30 offset0:1 offset1:2
	ds_load_2addr_b32 v[14:15], v30 offset0:3 offset1:4
	;; [unrolled: 1-line block ×4, first 2 shown]
	s_mov_b32 s8, 0
	s_mov_b32 s9, exec_lo
	s_wait_dscnt 0x3
	v_add_nc_u32_e32 v84, v17, v16
	s_wait_dscnt 0x2
	s_delay_alu instid0(VALU_DEP_1) | instskip(SKIP_1) | instid1(VALU_DEP_1)
	v_add3_u32 v84, v84, v14, v15
	s_wait_dscnt 0x1
	v_add3_u32 v84, v84, v12, v13
	s_wait_dscnt 0x0
	s_delay_alu instid0(VALU_DEP_1) | instskip(SKIP_1) | instid1(VALU_DEP_2)
	v_add3_u32 v11, v84, v10, v11
	v_and_b32_e32 v84, 15, v31
	v_mov_b32_dpp v85, v11 row_shr:1 row_mask:0xf bank_mask:0xf
	s_delay_alu instid0(VALU_DEP_2) | instskip(SKIP_1) | instid1(VALU_DEP_1)
	v_cmp_ne_u32_e64 s7, 0, v84
	s_wait_alu 0xf1ff
	v_cndmask_b32_e64 v85, 0, v85, s7
	v_cmp_lt_u32_e64 s7, 1, v84
	s_delay_alu instid0(VALU_DEP_2) | instskip(NEXT) | instid1(VALU_DEP_1)
	v_add_nc_u32_e32 v11, v85, v11
	v_mov_b32_dpp v85, v11 row_shr:2 row_mask:0xf bank_mask:0xf
	s_wait_alu 0xf1ff
	s_delay_alu instid0(VALU_DEP_1) | instskip(SKIP_1) | instid1(VALU_DEP_2)
	v_cndmask_b32_e64 v85, 0, v85, s7
	v_cmp_lt_u32_e64 s7, 3, v84
	v_add_nc_u32_e32 v11, v11, v85
	s_delay_alu instid0(VALU_DEP_1) | instskip(SKIP_1) | instid1(VALU_DEP_1)
	v_mov_b32_dpp v85, v11 row_shr:4 row_mask:0xf bank_mask:0xf
	s_wait_alu 0xf1ff
	v_cndmask_b32_e64 v85, 0, v85, s7
	v_cmp_lt_u32_e64 s7, 7, v84
	s_delay_alu instid0(VALU_DEP_2) | instskip(NEXT) | instid1(VALU_DEP_1)
	v_add_nc_u32_e32 v11, v11, v85
	v_mov_b32_dpp v85, v11 row_shr:8 row_mask:0xf bank_mask:0xf
	s_wait_alu 0xf1ff
	s_delay_alu instid0(VALU_DEP_1) | instskip(SKIP_1) | instid1(VALU_DEP_2)
	v_cndmask_b32_e64 v84, 0, v85, s7
	v_bfe_i32 v85, v31, 4, 1
	v_add_nc_u32_e32 v11, v11, v84
	ds_swizzle_b32 v84, v11 offset:swizzle(BROADCAST,32,15)
	s_wait_dscnt 0x0
	v_and_b32_e32 v84, v85, v84
	s_delay_alu instid0(VALU_DEP_1)
	v_add_nc_u32_e32 v11, v11, v84
	v_cmpx_eq_u32_e32 31, v9
; %bb.44:
	v_mov_b32_e32 v84, 0
	ds_store_b32 v84, v11
; %bb.45:
	s_wait_alu 0xfffe
	s_or_b32 exec_lo, exec_lo, s9
	v_sub_co_u32 v84, s9, v31, 1
	v_cndmask_b32_e64 v56, 0, v56, s6
	v_cndmask_b32_e64 v57, 0, v57, s6
	s_wait_loadcnt_dscnt 0x0
	s_delay_alu instid0(VALU_DEP_3)
	v_cmp_gt_i32_e64 s7, 0, v84
	; wave barrier
	global_inv scope:SCOPE_SE
	v_cndmask_b32_e64 v50, v56, v50, s1
	v_cndmask_b32_e64 v53, v57, v53, s1
	;; [unrolled: 1-line block ×3, first 2 shown]
	s_wait_alu 0xf1ff
	v_cndmask_b32_e64 v84, v84, v31, s7
	v_cmp_eq_u32_e64 s7, 0, v9
	v_cndmask_b32_e64 v42, v50, v42, s0
	v_cndmask_b32_e64 v43, v53, v43, s0
	;; [unrolled: 1-line block ×3, first 2 shown]
	v_lshlrev_b32_e32 v84, 2, v84
	s_or_b32 s7, s7, s9
	v_cndmask_b32_e64 v62, 0, v62, s6
	v_cndmask_b32_e64 v60, 0, v60, s6
	;; [unrolled: 1-line block ×3, first 2 shown]
	ds_bpermute_b32 v11, v84, v11
	v_cndmask_b32_e64 v64, 0, v64, s6
	s_wait_dscnt 0x0
	s_wait_alu 0xfffe
	v_cndmask_b32_e64 v11, v11, 0, s7
	s_delay_alu instid0(VALU_DEP_1) | instskip(NEXT) | instid1(VALU_DEP_1)
	v_add_nc_u32_e32 v16, v11, v16
	v_add_nc_u32_e32 v17, v16, v17
	s_delay_alu instid0(VALU_DEP_1) | instskip(NEXT) | instid1(VALU_DEP_1)
	v_add_nc_u32_e32 v14, v17, v14
	v_add_nc_u32_e32 v15, v14, v15
	;; [unrolled: 3-line block ×3, first 2 shown]
	s_delay_alu instid0(VALU_DEP_1)
	v_add_nc_u32_e32 v10, v13, v10
	ds_store_2addr_b32 v30, v11, v16 offset0:1 offset1:2
	ds_store_2addr_b32 v30, v17, v14 offset0:3 offset1:4
	;; [unrolled: 1-line block ×4, first 2 shown]
	; wave barrier
	s_wait_loadcnt_dscnt 0x0
	global_inv scope:SCOPE_SE
	ds_load_b32 v12, v72 offset:4
	ds_load_b32 v13, v76 offset:4
	;; [unrolled: 1-line block ×4, first 2 shown]
	v_cndmask_b32_e64 v10, v59, v49, s1
	v_cndmask_b32_e64 v11, v58, v48, s1
	;; [unrolled: 1-line block ×3, first 2 shown]
	; wave barrier
	s_wait_loadcnt_dscnt 0x0
	global_inv scope:SCOPE_SE
	v_cndmask_b32_e64 v47, v10, v47, s0
	v_cndmask_b32_e64 v45, v11, v45, s0
	v_dual_cndmask_b32 v11, v43, v40 :: v_dual_cndmask_b32 v10, v42, v38
	v_cndmask_b32_e64 v50, v14, v52, s0
	s_delay_alu instid0(VALU_DEP_4)
	v_cndmask_b32_e32 v14, v47, v44, vcc_lo
	v_cndmask_b32_e64 v17, v60, v54, s1
	v_cndmask_b32_e64 v48, v64, v69, s1
	;; [unrolled: 1-line block ×3, first 2 shown]
	v_add_nc_u32_e32 v40, v12, v70
	v_add3_u32 v42, v74, v73, v13
	v_add3_u32 v43, v78, v77, v15
	;; [unrolled: 1-line block ×3, first 2 shown]
	ds_store_b8 v40, v46
	ds_store_b8 v42, v71
	;; [unrolled: 1-line block ×4, first 2 shown]
	; wave barrier
	s_wait_loadcnt_dscnt 0x0
	global_inv scope:SCOPE_SE
	ds_load_b32 v12, v27
	v_cndmask_b32_e64 v17, v17, v51, s0
	v_cndmask_b32_e64 v38, v48, v68, s0
	v_cndmask_b32_e64 v46, v49, v66, s0
	v_cndmask_b32_e32 v16, v50, v41, vcc_lo
	v_cndmask_b32_e32 v13, v45, v37, vcc_lo
	;; [unrolled: 1-line block ×3, first 2 shown]
	v_lshlrev_b32_e32 v17, 3, v40
	v_lshlrev_b32_e32 v39, 3, v42
	;; [unrolled: 1-line block ×3, first 2 shown]
	v_cndmask_b32_e32 v38, v38, v67, vcc_lo
	v_cndmask_b32_e32 v37, v46, v65, vcc_lo
	v_lshlrev_b32_e32 v41, 3, v44
	; wave barrier
	s_wait_loadcnt_dscnt 0x0
	global_inv scope:SCOPE_SE
	ds_store_b64 v17, v[10:11]
	ds_store_b64 v39, v[13:14]
	;; [unrolled: 1-line block ×4, first 2 shown]
	; wave barrier
	s_wait_loadcnt_dscnt 0x0
	global_inv scope:SCOPE_SE
	s_and_b32 vcc_lo, exec_lo, s8
	s_wait_alu 0xfffe
	s_cbranch_vccnz .LBB98_47
	s_branch .LBB98_58
.LBB98_46:
                                        ; implicit-def: $vgpr12
	s_cbranch_execz .LBB98_58
.LBB98_47:
	v_xor_b32_e32 v10, -1, v33
	v_xor_b32_e32 v11, -1, v36
	v_and_b32_e32 v53, 28, v31
	v_xor_b32_e32 v12, -1, v35
	v_and_b32_e32 v17, 3, v31
	v_and_b32_e32 v10, 0xff, v10
	;; [unrolled: 1-line block ×3, first 2 shown]
	v_xor_b32_e32 v16, -1, v34
	s_getpc_b64 s[8:9]
	s_wait_alu 0xfffe
	s_sext_i32_i16 s9, s9
	s_add_co_u32 s8, s8, _ZN7rocprim17ROCPRIM_400000_NS16block_radix_sortIhLj32ELj4ElLj1ELj1ELj0ELNS0_26block_radix_rank_algorithmE1ELNS0_18block_padding_hintE2ELNS0_4arch9wavefront6targetE0EE19radix_bits_per_passE@rel32@lo+12
	s_wait_alu 0xfffe
	s_add_co_ci_u32 s9, s9, _ZN7rocprim17ROCPRIM_400000_NS16block_radix_sortIhLj32ELj4ElLj1ELj1ELj0ELNS0_26block_radix_rank_algorithmE1ELNS0_18block_padding_hintE2ELNS0_4arch9wavefront6targetE0EE19radix_bits_per_passE@rel32@hi+24
	v_cmp_eq_u32_e32 vcc_lo, 3, v17
	ds_bpermute_b32 v13, v53, v10
	v_and_b32_e32 v12, 0xff, v12
	ds_bpermute_b32 v14, v53, v11
	v_and_b32_e32 v16, 0xff, v16
	v_cmp_eq_u32_e64 s6, 0, v17
	v_cmp_eq_u32_e64 s1, 1, v17
	ds_bpermute_b32 v15, v53, v12
	ds_bpermute_b32 v34, v53, v10 offset:32
	ds_bpermute_b32 v33, v53, v16
	v_cmp_eq_u32_e64 s0, 2, v17
	s_load_b32 s8, s[8:9], 0x0
	; wave barrier
	s_wait_loadcnt_dscnt 0x0
	global_inv scope:SCOPE_SE
	s_load_b32 s7, s[18:19], 0xc
	ds_bpermute_b32 v45, v53, v5
	ds_bpermute_b32 v47, v53, v5 offset:32
	ds_bpermute_b32 v49, v53, v5 offset:64
	;; [unrolled: 1-line block ×3, first 2 shown]
	ds_bpermute_b32 v46, v53, v6
	ds_bpermute_b32 v48, v53, v6 offset:32
	v_and_b32_e32 v13, 0xff, v13
	ds_bpermute_b32 v50, v53, v6 offset:64
	v_and_b32_e32 v14, 0xff, v14
	ds_bpermute_b32 v52, v53, v6 offset:96
	ds_bpermute_b32 v35, v53, v7
	v_cndmask_b32_e64 v13, 0, v13, s6
	v_and_b32_e32 v15, 0xff, v15
	ds_bpermute_b32 v40, v53, v7 offset:32
	ds_bpermute_b32 v43, v53, v7 offset:64
	;; [unrolled: 1-line block ×3, first 2 shown]
	v_cndmask_b32_e64 v13, v13, v14, s1
	s_wait_kmcnt 0x0
	s_min_u32 s8, s8, 8
	ds_bpermute_b32 v36, v53, v8
	s_wait_alu 0xfffe
	s_lshl_b32 s8, -1, s8
	s_and_b32 s18, s7, 0xffff
	v_cndmask_b32_e64 v13, v13, v15, s0
	v_lshlrev_b16 v15, 8, v34
	s_wait_alu 0xfffe
	s_not_b32 s9, s8
	s_lshr_b32 s8, s7, 16
	ds_bpermute_b32 v34, v53, v2
	v_perm_b32 v14, v33, v13, 0x3020104
	s_wait_alu 0xfffe
	v_mad_u32_u24 v0, v0, s8, v32
	ds_bpermute_b32 v33, v53, v4
	ds_bpermute_b32 v41, v53, v8 offset:32
	ds_bpermute_b32 v38, v53, v2 offset:32
	v_cndmask_b32_e32 v13, v13, v14, vcc_lo
	ds_bpermute_b32 v14, v53, v11 offset:32
	ds_bpermute_b32 v44, v53, v8 offset:64
	v_and_b32_e32 v17, 0xff, v13
	s_delay_alu instid0(VALU_DEP_1) | instskip(SKIP_2) | instid1(VALU_DEP_1)
	v_or_b32_e32 v15, v17, v15
	ds_bpermute_b32 v17, v53, v12 offset:32
	v_and_b32_e32 v15, 0xffff, v15
	v_cndmask_b32_e64 v13, v13, v15, s6
	s_wait_dscnt 0x2
	v_lshlrev_b16 v14, 8, v14
	s_delay_alu instid0(VALU_DEP_2) | instskip(NEXT) | instid1(VALU_DEP_1)
	v_and_b32_e32 v15, 0xff, v13
	v_or_b32_e32 v14, v15, v14
	s_delay_alu instid0(VALU_DEP_1) | instskip(NEXT) | instid1(VALU_DEP_1)
	v_and_b32_e32 v14, 0xffff, v14
	v_and_or_b32 v14, 0xffff0000, v13, v14
	s_delay_alu instid0(VALU_DEP_1) | instskip(SKIP_4) | instid1(VALU_DEP_1)
	v_cndmask_b32_e64 v13, v13, v14, s1
	s_wait_dscnt 0x0
	v_lshlrev_b16 v14, 8, v17
	ds_bpermute_b32 v17, v53, v16 offset:32
	v_and_b32_e32 v15, 0xff, v13
	v_or_b32_e32 v14, v15, v14
	s_delay_alu instid0(VALU_DEP_1) | instskip(NEXT) | instid1(VALU_DEP_1)
	v_and_b32_e32 v14, 0xffff, v14
	v_and_or_b32 v14, 0xffff0000, v13, v14
	s_delay_alu instid0(VALU_DEP_1)
	v_cndmask_b32_e64 v13, v13, v14, s0
	s_wait_dscnt 0x0
	v_lshlrev_b16 v14, 8, v17
	ds_bpermute_b32 v17, v53, v10 offset:64
	ds_bpermute_b32 v10, v53, v10 offset:96
	v_and_b32_e32 v15, 0xff, v13
	s_delay_alu instid0(VALU_DEP_1) | instskip(NEXT) | instid1(VALU_DEP_1)
	v_or_b32_e32 v14, v15, v14
	v_and_b32_e32 v14, 0xffff, v14
	s_delay_alu instid0(VALU_DEP_1) | instskip(SKIP_2) | instid1(VALU_DEP_2)
	v_and_or_b32 v14, 0xffff0000, v13, v14
	s_wait_dscnt 0x0
	v_lshlrev_b16 v10, 8, v10
	v_cndmask_b32_e32 v13, v13, v14, vcc_lo
	ds_bpermute_b32 v14, v53, v11 offset:64
	ds_bpermute_b32 v11, v53, v11 offset:96
	v_perm_b32 v15, v17, v13, 0xc0c0304
	ds_bpermute_b32 v17, v53, v1
	v_lshlrev_b32_e32 v15, 16, v15
	s_delay_alu instid0(VALU_DEP_1) | instskip(NEXT) | instid1(VALU_DEP_1)
	v_and_or_b32 v15, 0xffff, v13, v15
	v_cndmask_b32_e64 v13, v13, v15, s6
	ds_bpermute_b32 v15, v53, v12 offset:64
	s_wait_dscnt 0x2
	v_lshlrev_b16 v11, 8, v11
	ds_bpermute_b32 v12, v53, v12 offset:96
	v_perm_b32 v14, v14, v13, 0xc0c0304
	s_delay_alu instid0(VALU_DEP_1) | instskip(NEXT) | instid1(VALU_DEP_1)
	v_lshlrev_b32_e32 v14, 16, v14
	v_and_or_b32 v14, 0xffff, v13, v14
	s_delay_alu instid0(VALU_DEP_1) | instskip(SKIP_4) | instid1(VALU_DEP_1)
	v_cndmask_b32_e64 v13, v13, v14, s1
	ds_bpermute_b32 v14, v53, v16 offset:64
	s_wait_dscnt 0x1
	v_lshlrev_b16 v12, 8, v12
	v_perm_b32 v15, v15, v13, 0xc0c0304
	v_lshlrev_b32_e32 v15, 16, v15
	s_delay_alu instid0(VALU_DEP_1) | instskip(NEXT) | instid1(VALU_DEP_1)
	v_and_or_b32 v15, 0xffff, v13, v15
	v_cndmask_b32_e64 v13, v13, v15, s0
	ds_bpermute_b32 v15, v53, v2 offset:64
	s_wait_dscnt 0x1
	v_perm_b32 v14, v14, v13, 0xc0c0304
	s_delay_alu instid0(VALU_DEP_1) | instskip(NEXT) | instid1(VALU_DEP_1)
	v_lshlrev_b32_e32 v14, 16, v14
	v_and_or_b32 v14, 0xffff, v13, v14
	s_delay_alu instid0(VALU_DEP_1) | instskip(NEXT) | instid1(VALU_DEP_1)
	v_cndmask_b32_e32 v13, v13, v14, vcc_lo
	v_lshrrev_b32_e32 v14, 16, v13
	s_delay_alu instid0(VALU_DEP_1) | instskip(NEXT) | instid1(VALU_DEP_1)
	v_and_b32_e32 v14, 0xff, v14
	v_or_b32_e32 v10, v14, v10
	ds_bpermute_b32 v14, v53, v4 offset:64
	v_lshlrev_b32_e32 v10, 16, v10
	s_delay_alu instid0(VALU_DEP_1) | instskip(NEXT) | instid1(VALU_DEP_1)
	v_and_or_b32 v10, 0xffff, v13, v10
	v_cndmask_b32_e64 v10, v13, v10, s6
	s_delay_alu instid0(VALU_DEP_1) | instskip(NEXT) | instid1(VALU_DEP_1)
	v_lshrrev_b32_e32 v13, 16, v10
	v_and_b32_e32 v13, 0xff, v13
	s_delay_alu instid0(VALU_DEP_1) | instskip(SKIP_2) | instid1(VALU_DEP_1)
	v_or_b32_e32 v11, v13, v11
	ds_bpermute_b32 v13, v53, v1 offset:64
	v_lshlrev_b32_e32 v11, 16, v11
	v_and_or_b32 v11, 0xffff, v10, v11
	s_delay_alu instid0(VALU_DEP_1) | instskip(NEXT) | instid1(VALU_DEP_1)
	v_cndmask_b32_e64 v10, v10, v11, s1
	v_lshrrev_b32_e32 v11, 16, v10
	s_delay_alu instid0(VALU_DEP_1) | instskip(NEXT) | instid1(VALU_DEP_1)
	v_and_b32_e32 v11, 0xff, v11
	v_or_b32_e32 v11, v11, v12
	ds_bpermute_b32 v12, v53, v16 offset:96
	ds_bpermute_b32 v16, v53, v3
	v_lshlrev_b32_e32 v11, 16, v11
	s_delay_alu instid0(VALU_DEP_1) | instskip(NEXT) | instid1(VALU_DEP_1)
	v_and_or_b32 v11, 0xffff, v10, v11
	v_cndmask_b32_e64 v39, v10, v11, s0
	s_delay_alu instid0(VALU_DEP_1) | instskip(SKIP_2) | instid1(VALU_DEP_2)
	v_lshrrev_b32_e32 v10, 16, v39
	s_wait_dscnt 0x1
	v_lshlrev_b16 v11, 8, v12
	v_and_b32_e32 v10, 0xff, v10
	s_delay_alu instid0(VALU_DEP_1) | instskip(SKIP_3) | instid1(VALU_DEP_1)
	v_or_b32_e32 v12, v10, v11
	ds_bpermute_b32 v10, v53, v3 offset:32
	ds_bpermute_b32 v11, v53, v4 offset:32
	v_lshlrev_b32_e32 v12, 16, v12
	v_and_or_b32 v42, 0xffff, v39, v12
	ds_bpermute_b32 v12, v53, v3 offset:64
	v_cndmask_b32_e32 v39, v39, v42, vcc_lo
	ds_bpermute_b32 v42, v53, v7 offset:96
	v_and_b32_e32 v56, s9, v39
	s_delay_alu instid0(VALU_DEP_1)
	v_and_b32_e32 v5, 1, v56
	v_lshlrev_b32_e32 v6, 30, v56
	v_lshlrev_b32_e32 v7, 29, v56
	;; [unrolled: 1-line block ×4, first 2 shown]
	v_add_co_u32 v5, s7, v5, -1
	s_wait_alu 0xf1ff
	v_cndmask_b32_e64 v54, 0, 1, s7
	v_not_b32_e32 v59, v6
	v_cmp_gt_i32_e64 s8, 0, v6
	v_not_b32_e32 v6, v7
	v_lshlrev_b32_e32 v57, 26, v56
	v_cmp_ne_u32_e64 s7, 0, v54
	v_ashrrev_i32_e32 v59, 31, v59
	v_lshlrev_b32_e32 v58, 25, v56
	v_ashrrev_i32_e32 v6, 31, v6
	v_lshlrev_b32_e32 v54, 24, v56
	s_wait_alu 0xf1ff
	v_xor_b32_e32 v5, s7, v5
	v_cmp_gt_i32_e64 s7, 0, v7
	v_not_b32_e32 v7, v32
	v_xor_b32_e32 v59, s8, v59
	v_cmp_gt_i32_e64 s8, 0, v32
	v_and_b32_e32 v5, exec_lo, v5
	v_not_b32_e32 v32, v55
	v_ashrrev_i32_e32 v7, 31, v7
	s_wait_alu 0xf1ff
	v_xor_b32_e32 v6, s7, v6
	v_cmp_gt_i32_e64 s7, 0, v55
	v_and_b32_e32 v5, v5, v59
	v_not_b32_e32 v55, v57
	v_ashrrev_i32_e32 v32, 31, v32
	v_xor_b32_e32 v7, s8, v7
	v_cmp_gt_i32_e64 s8, 0, v57
	v_and_b32_e32 v5, v5, v6
	v_not_b32_e32 v6, v58
	v_ashrrev_i32_e32 v55, 31, v55
	s_wait_alu 0xf1ff
	v_xor_b32_e32 v32, s7, v32
	v_cmp_gt_i32_e64 s7, 0, v58
	v_and_b32_e32 v5, v5, v7
	v_not_b32_e32 v7, v54
	v_ashrrev_i32_e32 v57, 31, v6
	v_xor_b32_e32 v55, s8, v55
	v_cmp_gt_i32_e64 s8, 0, v54
	v_and_b32_e32 v32, v5, v32
	s_wait_dscnt 0x3
	v_mad_co_u64_u32 v[5:6], null, v0, s18, v[9:10]
	v_ashrrev_i32_e32 v0, 31, v7
	s_wait_alu 0xf1ff
	v_xor_b32_e32 v6, s7, v57
	v_and_b32_e32 v7, v32, v55
	ds_bpermute_b32 v32, v53, v1 offset:96
	ds_bpermute_b32 v55, v53, v8 offset:96
	v_xor_b32_e32 v0, s8, v0
	ds_bpermute_b32 v54, v53, v2 offset:96
	v_and_b32_e32 v1, v7, v6
	ds_bpermute_b32 v8, v53, v3 offset:96
	ds_bpermute_b32 v53, v53, v4 offset:96
	v_lshrrev_b32_e32 v2, 3, v5
	v_mov_b32_e32 v3, 0
	v_and_b32_e32 v1, v1, v0
	ds_store_2addr_b32 v30, v3, v3 offset0:1 offset1:2
	ds_store_2addr_b32 v30, v3, v3 offset0:3 offset1:4
	;; [unrolled: 1-line block ×4, first 2 shown]
	v_and_b32_e32 v0, 0x1ffffffc, v2
	v_and_b32_e32 v2, 0xff, v56
	v_mbcnt_lo_u32_b32 v56, v1, 0
	v_cmp_ne_u32_e64 s8, 0, v1
	; wave barrier
	s_wait_loadcnt_dscnt 0x0
	global_inv scope:SCOPE_SE
	v_lshl_add_u32 v58, v2, 2, v0
	v_cmp_eq_u32_e64 s7, 0, v56
	; wave barrier
	s_and_b32 s8, s8, s7
	s_wait_alu 0xfffe
	s_and_saveexec_b32 s7, s8
; %bb.48:
	v_bcnt_u32_b32 v1, v1, 0
	ds_store_b32 v58, v1 offset:4
; %bb.49:
	s_wait_alu 0xfffe
	s_or_b32 exec_lo, exec_lo, s7
	v_lshrrev_b32_e32 v57, 8, v39
	; wave barrier
	s_delay_alu instid0(VALU_DEP_1) | instskip(NEXT) | instid1(VALU_DEP_1)
	v_and_b32_e32 v1, s9, v57
	v_and_b32_e32 v2, 1, v1
	v_lshlrev_b32_e32 v3, 30, v1
	v_lshlrev_b32_e32 v4, 29, v1
	;; [unrolled: 1-line block ×4, first 2 shown]
	v_add_co_u32 v2, s7, v2, -1
	s_wait_alu 0xf1ff
	v_cndmask_b32_e64 v6, 0, 1, s7
	v_not_b32_e32 v61, v3
	v_cmp_gt_i32_e64 s8, 0, v3
	v_not_b32_e32 v3, v4
	v_lshlrev_b32_e32 v59, 26, v1
	v_cmp_ne_u32_e64 s7, 0, v6
	v_ashrrev_i32_e32 v61, 31, v61
	v_lshlrev_b32_e32 v60, 25, v1
	v_ashrrev_i32_e32 v3, 31, v3
	v_lshlrev_b32_e32 v6, 24, v1
	s_wait_alu 0xf1ff
	v_xor_b32_e32 v2, s7, v2
	v_cmp_gt_i32_e64 s7, 0, v4
	v_not_b32_e32 v4, v5
	v_xor_b32_e32 v61, s8, v61
	v_cmp_gt_i32_e64 s8, 0, v5
	v_and_b32_e32 v2, exec_lo, v2
	v_not_b32_e32 v5, v7
	v_ashrrev_i32_e32 v4, 31, v4
	s_wait_alu 0xf1ff
	v_xor_b32_e32 v3, s7, v3
	v_cmp_gt_i32_e64 s7, 0, v7
	v_and_b32_e32 v2, v2, v61
	v_not_b32_e32 v7, v59
	v_ashrrev_i32_e32 v5, 31, v5
	v_xor_b32_e32 v4, s8, v4
	v_cmp_gt_i32_e64 s8, 0, v59
	v_and_b32_e32 v2, v2, v3
	v_not_b32_e32 v3, v60
	v_ashrrev_i32_e32 v7, 31, v7
	s_wait_alu 0xf1ff
	v_xor_b32_e32 v5, s7, v5
	v_cmp_gt_i32_e64 s7, 0, v60
	v_and_b32_e32 v2, v2, v4
	v_not_b32_e32 v4, v6
	v_ashrrev_i32_e32 v3, 31, v3
	v_xor_b32_e32 v7, s8, v7
	v_and_b32_e32 v1, 0xff, v1
	v_and_b32_e32 v2, v2, v5
	v_cmp_gt_i32_e64 s8, 0, v6
	v_ashrrev_i32_e32 v4, 31, v4
	s_wait_alu 0xf1ff
	v_xor_b32_e32 v3, s7, v3
	v_lshl_add_u32 v62, v1, 2, v0
	v_and_b32_e32 v2, v2, v7
	v_xor_b32_e32 v1, s8, v4
	ds_load_b32 v59, v62 offset:4
	v_and_b32_e32 v2, v2, v3
	; wave barrier
	s_delay_alu instid0(VALU_DEP_1) | instskip(NEXT) | instid1(VALU_DEP_1)
	v_and_b32_e32 v1, v2, v1
	v_mbcnt_lo_u32_b32 v60, v1, 0
	v_cmp_ne_u32_e64 s8, 0, v1
	s_delay_alu instid0(VALU_DEP_2)
	v_cmp_eq_u32_e64 s7, 0, v60
	s_and_b32 s8, s8, s7
	s_wait_alu 0xfffe
	s_and_saveexec_b32 s7, s8
	s_cbranch_execz .LBB98_51
; %bb.50:
	s_wait_dscnt 0x0
	v_bcnt_u32_b32 v1, v1, v59
	ds_store_b32 v62, v1 offset:4
.LBB98_51:
	s_wait_alu 0xfffe
	s_or_b32 exec_lo, exec_lo, s7
	v_lshrrev_b32_e32 v61, 16, v39
	; wave barrier
	s_delay_alu instid0(VALU_DEP_1) | instskip(NEXT) | instid1(VALU_DEP_1)
	v_and_b32_e32 v1, s9, v61
	v_and_b32_e32 v2, 1, v1
	v_lshlrev_b32_e32 v3, 30, v1
	v_lshlrev_b32_e32 v4, 29, v1
	v_lshlrev_b32_e32 v5, 28, v1
	v_lshlrev_b32_e32 v7, 27, v1
	v_add_co_u32 v2, s7, v2, -1
	s_wait_alu 0xf1ff
	v_cndmask_b32_e64 v6, 0, 1, s7
	v_not_b32_e32 v65, v3
	v_cmp_gt_i32_e64 s8, 0, v3
	v_not_b32_e32 v3, v4
	v_lshlrev_b32_e32 v63, 26, v1
	v_cmp_ne_u32_e64 s7, 0, v6
	v_ashrrev_i32_e32 v65, 31, v65
	v_lshlrev_b32_e32 v64, 25, v1
	v_ashrrev_i32_e32 v3, 31, v3
	v_lshlrev_b32_e32 v6, 24, v1
	s_wait_alu 0xf1ff
	v_xor_b32_e32 v2, s7, v2
	v_cmp_gt_i32_e64 s7, 0, v4
	v_not_b32_e32 v4, v5
	v_xor_b32_e32 v65, s8, v65
	v_cmp_gt_i32_e64 s8, 0, v5
	v_and_b32_e32 v2, exec_lo, v2
	v_not_b32_e32 v5, v7
	v_ashrrev_i32_e32 v4, 31, v4
	s_wait_alu 0xf1ff
	v_xor_b32_e32 v3, s7, v3
	v_cmp_gt_i32_e64 s7, 0, v7
	v_and_b32_e32 v2, v2, v65
	v_not_b32_e32 v7, v63
	v_ashrrev_i32_e32 v5, 31, v5
	v_xor_b32_e32 v4, s8, v4
	v_cmp_gt_i32_e64 s8, 0, v63
	v_and_b32_e32 v2, v2, v3
	v_not_b32_e32 v3, v64
	v_ashrrev_i32_e32 v7, 31, v7
	s_wait_alu 0xf1ff
	v_xor_b32_e32 v5, s7, v5
	v_cmp_gt_i32_e64 s7, 0, v64
	v_and_b32_e32 v2, v2, v4
	v_not_b32_e32 v4, v6
	v_ashrrev_i32_e32 v3, 31, v3
	v_xor_b32_e32 v7, s8, v7
	v_and_b32_e32 v1, 0xff, v1
	v_and_b32_e32 v2, v2, v5
	v_cmp_gt_i32_e64 s8, 0, v6
	v_ashrrev_i32_e32 v4, 31, v4
	s_wait_alu 0xf1ff
	v_xor_b32_e32 v3, s7, v3
	v_lshl_add_u32 v66, v1, 2, v0
	v_and_b32_e32 v2, v2, v7
	v_xor_b32_e32 v1, s8, v4
	ds_load_b32 v63, v66 offset:4
	v_and_b32_e32 v2, v2, v3
	; wave barrier
	s_delay_alu instid0(VALU_DEP_1) | instskip(NEXT) | instid1(VALU_DEP_1)
	v_and_b32_e32 v1, v2, v1
	v_mbcnt_lo_u32_b32 v64, v1, 0
	v_cmp_ne_u32_e64 s8, 0, v1
	s_delay_alu instid0(VALU_DEP_2)
	v_cmp_eq_u32_e64 s7, 0, v64
	s_and_b32 s8, s8, s7
	s_wait_alu 0xfffe
	s_and_saveexec_b32 s7, s8
	s_cbranch_execz .LBB98_53
; %bb.52:
	s_wait_dscnt 0x0
	v_bcnt_u32_b32 v1, v1, v63
	ds_store_b32 v66, v1 offset:4
.LBB98_53:
	s_wait_alu 0xfffe
	s_or_b32 exec_lo, exec_lo, s7
	v_lshrrev_b32_e32 v65, 24, v39
	; wave barrier
	s_delay_alu instid0(VALU_DEP_1) | instskip(NEXT) | instid1(VALU_DEP_1)
	v_and_b32_e32 v1, s9, v65
	v_and_b32_e32 v2, 1, v1
	v_lshlrev_b32_e32 v3, 30, v1
	v_lshlrev_b32_e32 v4, 29, v1
	;; [unrolled: 1-line block ×4, first 2 shown]
	v_add_co_u32 v2, s7, v2, -1
	s_wait_alu 0xf1ff
	v_cndmask_b32_e64 v6, 0, 1, s7
	v_not_b32_e32 v69, v3
	v_cmp_gt_i32_e64 s8, 0, v3
	v_not_b32_e32 v3, v4
	v_lshlrev_b32_e32 v67, 26, v1
	v_cmp_ne_u32_e64 s7, 0, v6
	v_ashrrev_i32_e32 v69, 31, v69
	v_lshlrev_b32_e32 v68, 25, v1
	v_ashrrev_i32_e32 v3, 31, v3
	v_lshlrev_b32_e32 v6, 24, v1
	s_wait_alu 0xf1ff
	v_xor_b32_e32 v2, s7, v2
	v_cmp_gt_i32_e64 s7, 0, v4
	v_not_b32_e32 v4, v5
	v_xor_b32_e32 v69, s8, v69
	v_cmp_gt_i32_e64 s8, 0, v5
	v_and_b32_e32 v2, exec_lo, v2
	v_not_b32_e32 v5, v7
	v_ashrrev_i32_e32 v4, 31, v4
	s_wait_alu 0xf1ff
	v_xor_b32_e32 v3, s7, v3
	v_cmp_gt_i32_e64 s7, 0, v7
	v_and_b32_e32 v2, v2, v69
	v_not_b32_e32 v7, v67
	v_ashrrev_i32_e32 v5, 31, v5
	v_xor_b32_e32 v4, s8, v4
	v_cmp_gt_i32_e64 s8, 0, v67
	v_and_b32_e32 v2, v2, v3
	v_not_b32_e32 v3, v68
	v_ashrrev_i32_e32 v7, 31, v7
	s_wait_alu 0xf1ff
	v_xor_b32_e32 v5, s7, v5
	v_cmp_gt_i32_e64 s7, 0, v68
	v_and_b32_e32 v2, v2, v4
	v_not_b32_e32 v4, v6
	v_ashrrev_i32_e32 v3, 31, v3
	v_xor_b32_e32 v7, s8, v7
	v_cmp_gt_i32_e64 s8, 0, v6
	v_and_b32_e32 v2, v2, v5
	v_ashrrev_i32_e32 v4, 31, v4
	s_wait_alu 0xf1ff
	v_xor_b32_e32 v3, s7, v3
	v_lshl_add_u32 v69, v1, 2, v0
	v_and_b32_e32 v2, v2, v7
	v_xor_b32_e32 v0, s8, v4
	ds_load_b32 v67, v69 offset:4
	v_and_b32_e32 v1, v2, v3
	; wave barrier
	s_delay_alu instid0(VALU_DEP_1) | instskip(NEXT) | instid1(VALU_DEP_1)
	v_and_b32_e32 v0, v1, v0
	v_mbcnt_lo_u32_b32 v68, v0, 0
	v_cmp_ne_u32_e64 s8, 0, v0
	s_delay_alu instid0(VALU_DEP_2)
	v_cmp_eq_u32_e64 s7, 0, v68
	s_and_b32 s8, s8, s7
	s_wait_alu 0xfffe
	s_and_saveexec_b32 s7, s8
	s_cbranch_execz .LBB98_55
; %bb.54:
	s_wait_dscnt 0x0
	v_bcnt_u32_b32 v0, v0, v67
	ds_store_b32 v69, v0 offset:4
.LBB98_55:
	s_wait_alu 0xfffe
	s_or_b32 exec_lo, exec_lo, s7
	; wave barrier
	; wave barrier
	s_wait_loadcnt_dscnt 0x0
	global_inv scope:SCOPE_SE
	ds_load_2addr_b32 v[6:7], v30 offset0:1 offset1:2
	ds_load_2addr_b32 v[4:5], v30 offset0:3 offset1:4
	;; [unrolled: 1-line block ×4, first 2 shown]
	s_mov_b32 s8, exec_lo
	s_wait_dscnt 0x3
	v_add_nc_u32_e32 v70, v7, v6
	s_wait_dscnt 0x2
	s_delay_alu instid0(VALU_DEP_1) | instskip(SKIP_1) | instid1(VALU_DEP_1)
	v_add3_u32 v70, v70, v4, v5
	s_wait_dscnt 0x1
	v_add3_u32 v70, v70, v2, v3
	s_wait_dscnt 0x0
	s_delay_alu instid0(VALU_DEP_1) | instskip(SKIP_1) | instid1(VALU_DEP_2)
	v_add3_u32 v1, v70, v0, v1
	v_and_b32_e32 v70, 15, v31
	v_mov_b32_dpp v71, v1 row_shr:1 row_mask:0xf bank_mask:0xf
	s_delay_alu instid0(VALU_DEP_2) | instskip(SKIP_1) | instid1(VALU_DEP_1)
	v_cmp_ne_u32_e64 s7, 0, v70
	s_wait_alu 0xf1ff
	v_cndmask_b32_e64 v71, 0, v71, s7
	v_cmp_lt_u32_e64 s7, 1, v70
	s_delay_alu instid0(VALU_DEP_2) | instskip(NEXT) | instid1(VALU_DEP_1)
	v_add_nc_u32_e32 v1, v71, v1
	v_mov_b32_dpp v71, v1 row_shr:2 row_mask:0xf bank_mask:0xf
	s_wait_alu 0xf1ff
	s_delay_alu instid0(VALU_DEP_1) | instskip(SKIP_1) | instid1(VALU_DEP_2)
	v_cndmask_b32_e64 v71, 0, v71, s7
	v_cmp_lt_u32_e64 s7, 3, v70
	v_add_nc_u32_e32 v1, v1, v71
	s_delay_alu instid0(VALU_DEP_1) | instskip(SKIP_1) | instid1(VALU_DEP_1)
	v_mov_b32_dpp v71, v1 row_shr:4 row_mask:0xf bank_mask:0xf
	s_wait_alu 0xf1ff
	v_cndmask_b32_e64 v71, 0, v71, s7
	v_cmp_lt_u32_e64 s7, 7, v70
	s_delay_alu instid0(VALU_DEP_2) | instskip(NEXT) | instid1(VALU_DEP_1)
	v_add_nc_u32_e32 v1, v1, v71
	v_mov_b32_dpp v71, v1 row_shr:8 row_mask:0xf bank_mask:0xf
	s_wait_alu 0xf1ff
	s_delay_alu instid0(VALU_DEP_1) | instskip(SKIP_1) | instid1(VALU_DEP_2)
	v_cndmask_b32_e64 v70, 0, v71, s7
	v_bfe_i32 v71, v31, 4, 1
	v_add_nc_u32_e32 v1, v1, v70
	ds_swizzle_b32 v70, v1 offset:swizzle(BROADCAST,32,15)
	s_wait_dscnt 0x0
	v_and_b32_e32 v70, v71, v70
	s_delay_alu instid0(VALU_DEP_1)
	v_add_nc_u32_e32 v1, v1, v70
	v_cmpx_eq_u32_e32 31, v9
; %bb.56:
	v_mov_b32_e32 v70, 0
	ds_store_b32 v70, v1
; %bb.57:
	s_wait_alu 0xfffe
	s_or_b32 exec_lo, exec_lo, s8
	v_sub_co_u32 v70, s8, v31, 1
	; wave barrier
	s_wait_loadcnt_dscnt 0x0
	global_inv scope:SCOPE_SE
	v_cmp_gt_i32_e64 s7, 0, v70
	s_wait_alu 0xf1ff
	s_delay_alu instid0(VALU_DEP_1) | instskip(SKIP_1) | instid1(VALU_DEP_2)
	v_cndmask_b32_e64 v31, v70, v31, s7
	v_cmp_eq_u32_e64 s7, 0, v9
	v_lshlrev_b32_e32 v31, 2, v31
	s_or_b32 s7, s7, s8
	ds_bpermute_b32 v1, v31, v1
	v_cndmask_b32_e64 v31, 0, v45, s6
	v_cndmask_b32_e64 v45, 0, v46, s6
	;; [unrolled: 1-line block ×6, first 2 shown]
	s_wait_dscnt 0x0
	s_wait_alu 0xfffe
	v_cndmask_b32_e64 v1, v1, 0, s7
	s_delay_alu instid0(VALU_DEP_1) | instskip(NEXT) | instid1(VALU_DEP_1)
	v_add_nc_u32_e32 v6, v1, v6
	v_add_nc_u32_e32 v7, v6, v7
	s_delay_alu instid0(VALU_DEP_1) | instskip(NEXT) | instid1(VALU_DEP_1)
	v_add_nc_u32_e32 v4, v7, v4
	v_add_nc_u32_e32 v5, v4, v5
	;; [unrolled: 3-line block ×3, first 2 shown]
	s_delay_alu instid0(VALU_DEP_1)
	v_add_nc_u32_e32 v0, v3, v0
	ds_store_2addr_b32 v30, v1, v6 offset0:1 offset1:2
	ds_store_2addr_b32 v30, v7, v4 offset0:3 offset1:4
	;; [unrolled: 1-line block ×4, first 2 shown]
	; wave barrier
	s_wait_loadcnt_dscnt 0x0
	global_inv scope:SCOPE_SE
	ds_load_b32 v2, v58 offset:4
	ds_load_b32 v3, v62 offset:4
	;; [unrolled: 1-line block ×4, first 2 shown]
	v_cndmask_b32_e64 v7, v31, v35, s1
	v_cndmask_b32_e64 v1, v45, v36, s1
	;; [unrolled: 1-line block ×10, first 2 shown]
	s_delay_alu instid0(VALU_DEP_4)
	v_dual_cndmask_b32 v0, v7, v16 :: v_dual_cndmask_b32 v1, v1, v33
	; wave barrier
	s_wait_loadcnt_dscnt 0x0
	global_inv scope:SCOPE_SE
	v_cndmask_b32_e64 v35, v49, v44, s1
	v_cndmask_b32_e64 v36, v48, v43, s1
	v_add_nc_u32_e32 v16, v2, v56
	v_add3_u32 v33, v60, v59, v3
	v_add3_u32 v34, v64, v63, v4
	;; [unrolled: 1-line block ×3, first 2 shown]
	ds_store_b8 v16, v39
	ds_store_b8 v33, v57
	;; [unrolled: 1-line block ×4, first 2 shown]
	; wave barrier
	s_wait_loadcnt_dscnt 0x0
	global_inv scope:SCOPE_SE
	ds_load_b32 v27, v27
	v_cndmask_b32_e64 v30, v30, v38, s0
	v_cndmask_b32_e64 v2, v6, v42, s1
	;; [unrolled: 1-line block ×5, first 2 shown]
	v_cndmask_b32_e32 v3, v30, v11, vcc_lo
	v_cndmask_b32_e64 v11, v2, v32, s0
	s_delay_alu instid0(VALU_DEP_4) | instskip(SKIP_2) | instid1(VALU_DEP_4)
	v_dual_cndmask_b32 v5, v4, v14 :: v_dual_cndmask_b32 v4, v6, v12
	v_cndmask_b32_e32 v2, v31, v10, vcc_lo
	v_cndmask_b32_e32 v7, v7, v53, vcc_lo
	;; [unrolled: 1-line block ×3, first 2 shown]
	v_lshlrev_b32_e32 v8, 3, v16
	v_lshlrev_b32_e32 v11, 3, v34
	;; [unrolled: 1-line block ×4, first 2 shown]
	; wave barrier
	s_wait_loadcnt_dscnt 0x0
	global_inv scope:SCOPE_SE
	ds_store_b64 v8, v[0:1]
	ds_store_b64 v10, v[2:3]
	v_not_b32_e32 v12, v27
	ds_store_b64 v11, v[4:5]
	ds_store_b64 v13, v[6:7]
	; wave barrier
	s_wait_loadcnt_dscnt 0x0
	global_inv scope:SCOPE_SE
.LBB98_58:
	ds_load_b128 v[4:7], v29
	ds_load_b128 v[0:3], v29 offset:16
	; wave barrier
	s_wait_loadcnt_dscnt 0x0
	global_inv scope:SCOPE_SE
	ds_store_b32 v22, v12
	; wave barrier
	s_wait_loadcnt_dscnt 0x0
	global_inv scope:SCOPE_SE
	ds_load_u8 v13, v19 offset:32
	ds_load_u8 v12, v20 offset:64
	;; [unrolled: 1-line block ×3, first 2 shown]
	v_mad_co_u64_u32 v[10:11], null, s10, v9, s[14:15]
	s_wait_dscnt 0x1
	s_delay_alu instid0(VALU_DEP_1) | instskip(NEXT) | instid1(VALU_DEP_1)
	v_mad_co_u64_u32 v[14:15], null, s11, v9, v[11:12]
	v_mov_b32_e32 v11, v14
	s_and_saveexec_b32 s0, s2
	s_cbranch_execnz .LBB98_69
; %bb.59:
	s_wait_alu 0xfffe
	s_or_b32 exec_lo, exec_lo, s0
	s_and_saveexec_b32 s0, s3
	s_cbranch_execnz .LBB98_70
.LBB98_60:
	s_wait_alu 0xfffe
	s_or_b32 exec_lo, exec_lo, s0
	s_and_saveexec_b32 s0, s4
	s_cbranch_execnz .LBB98_71
.LBB98_61:
	s_wait_alu 0xfffe
	s_or_b32 exec_lo, exec_lo, s0
	s_and_saveexec_b32 s0, s5
	s_cbranch_execz .LBB98_63
.LBB98_62:
	v_mad_co_u64_u32 v[10:11], null, 0x60, s10, v[10:11]
	s_delay_alu instid0(VALU_DEP_1)
	v_mad_co_u64_u32 v[11:12], null, 0x60, s11, v[11:12]
	s_wait_dscnt 0x0
	global_store_b8 v[10:11], v8, off
.LBB98_63:
	s_wait_alu 0xfffe
	s_or_b32 exec_lo, exec_lo, s0
	v_mad_co_u64_u32 v[10:11], null, s12, v9, 0
	s_wait_storecnt 0x0
	; wave barrier
	s_wait_loadcnt_dscnt 0x0
	global_inv scope:SCOPE_SE
	ds_store_2addr_b64 v28, v[4:5], v[6:7] offset1:1
	ds_store_2addr_b64 v28, v[0:1], v[2:3] offset0:2 offset1:3
	; wave barrier
	s_wait_loadcnt_dscnt 0x0
	global_inv scope:SCOPE_SE
	ds_load_b64 v[6:7], v24 offset:256
	ds_load_b64 v[4:5], v25 offset:512
	;; [unrolled: 1-line block ×3, first 2 shown]
	v_mov_b32_e32 v8, v11
	s_delay_alu instid0(VALU_DEP_1) | instskip(NEXT) | instid1(VALU_DEP_1)
	v_mad_co_u64_u32 v[8:9], null, s13, v9, v[8:9]
	v_mov_b32_e32 v11, v8
	s_delay_alu instid0(VALU_DEP_1) | instskip(NEXT) | instid1(VALU_DEP_1)
	v_lshlrev_b64_e32 v[2:3], 3, v[10:11]
	v_add_co_u32 v2, vcc_lo, s16, v2
	s_wait_alu 0xfffd
	s_delay_alu instid0(VALU_DEP_2)
	v_add_co_ci_u32_e64 v3, null, s17, v3, vcc_lo
	s_and_saveexec_b32 s0, s2
	s_cbranch_execnz .LBB98_72
; %bb.64:
	s_wait_alu 0xfffe
	s_or_b32 exec_lo, exec_lo, s0
	s_and_saveexec_b32 s0, s3
	s_cbranch_execnz .LBB98_73
.LBB98_65:
	s_wait_alu 0xfffe
	s_or_b32 exec_lo, exec_lo, s0
	s_and_saveexec_b32 s0, s4
	s_cbranch_execnz .LBB98_74
.LBB98_66:
	s_wait_alu 0xfffe
	s_or_b32 exec_lo, exec_lo, s0
	s_and_saveexec_b32 s0, s5
	s_cbranch_execz .LBB98_68
.LBB98_67:
	v_mad_co_u64_u32 v[2:3], null, 0x300, s12, v[2:3]
	s_wait_dscnt 0x1
	s_delay_alu instid0(VALU_DEP_1)
	v_mad_co_u64_u32 v[3:4], null, 0x300, s13, v[3:4]
	s_wait_dscnt 0x0
	global_store_b64 v[2:3], v[0:1], off
.LBB98_68:
	s_endpgm
.LBB98_69:
	ds_load_u8 v14, v18
	s_wait_dscnt 0x0
	global_store_b8 v[10:11], v14, off
	s_wait_alu 0xfffe
	s_or_b32 exec_lo, exec_lo, s0
	s_and_saveexec_b32 s0, s3
	s_cbranch_execz .LBB98_60
.LBB98_70:
	s_lshl_b64 s[6:7], s[10:11], 5
	s_wait_alu 0xfffe
	v_add_co_u32 v14, vcc_lo, v10, s6
	s_wait_alu 0xfffd
	v_add_co_ci_u32_e64 v15, null, s7, v11, vcc_lo
	global_store_b8 v[14:15], v13, off
	s_or_b32 exec_lo, exec_lo, s0
	s_and_saveexec_b32 s0, s4
	s_cbranch_execz .LBB98_61
.LBB98_71:
	s_lshl_b64 s[6:7], s[10:11], 6
	s_wait_alu 0xfffe
	v_add_co_u32 v13, vcc_lo, v10, s6
	s_wait_alu 0xfffd
	v_add_co_ci_u32_e64 v14, null, s7, v11, vcc_lo
	global_store_b8 v[13:14], v12, off
	s_or_b32 exec_lo, exec_lo, s0
	s_and_saveexec_b32 s0, s5
	s_cbranch_execnz .LBB98_62
	s_branch .LBB98_63
.LBB98_72:
	ds_load_b64 v[8:9], v23
	s_wait_dscnt 0x0
	global_store_b64 v[2:3], v[8:9], off
	s_wait_alu 0xfffe
	s_or_b32 exec_lo, exec_lo, s0
	s_and_saveexec_b32 s0, s3
	s_cbranch_execz .LBB98_65
.LBB98_73:
	s_lshl_b64 s[2:3], s[12:13], 8
	s_wait_alu 0xfffe
	v_add_co_u32 v8, vcc_lo, v2, s2
	s_wait_alu 0xfffd
	v_add_co_ci_u32_e64 v9, null, s3, v3, vcc_lo
	s_wait_dscnt 0x2
	global_store_b64 v[8:9], v[6:7], off
	s_or_b32 exec_lo, exec_lo, s0
	s_and_saveexec_b32 s0, s4
	s_cbranch_execz .LBB98_66
.LBB98_74:
	s_lshl_b64 s[2:3], s[12:13], 9
	s_wait_dscnt 0x2
	s_wait_alu 0xfffe
	v_add_co_u32 v6, vcc_lo, v2, s2
	s_wait_alu 0xfffd
	v_add_co_ci_u32_e64 v7, null, s3, v3, vcc_lo
	s_wait_dscnt 0x1
	global_store_b64 v[6:7], v[4:5], off
	s_or_b32 exec_lo, exec_lo, s0
	s_and_saveexec_b32 s0, s5
	s_cbranch_execnz .LBB98_67
	s_branch .LBB98_68
	.section	.rodata,"a",@progbits
	.p2align	6, 0x0
	.amdhsa_kernel _ZN2at6native18radixSortKVInPlaceILin1ELin1ELi32ELi4EhlmEEvNS_4cuda6detail10TensorInfoIT3_T5_EES6_S6_S6_NS4_IT4_S6_EES6_b
		.amdhsa_group_segment_fixed_size 1056
		.amdhsa_private_segment_fixed_size 0
		.amdhsa_kernarg_size 1128
		.amdhsa_user_sgpr_count 2
		.amdhsa_user_sgpr_dispatch_ptr 0
		.amdhsa_user_sgpr_queue_ptr 0
		.amdhsa_user_sgpr_kernarg_segment_ptr 1
		.amdhsa_user_sgpr_dispatch_id 0
		.amdhsa_user_sgpr_private_segment_size 0
		.amdhsa_wavefront_size32 1
		.amdhsa_uses_dynamic_stack 0
		.amdhsa_enable_private_segment 0
		.amdhsa_system_sgpr_workgroup_id_x 1
		.amdhsa_system_sgpr_workgroup_id_y 1
		.amdhsa_system_sgpr_workgroup_id_z 1
		.amdhsa_system_sgpr_workgroup_info 0
		.amdhsa_system_vgpr_workitem_id 2
		.amdhsa_next_free_vgpr 86
		.amdhsa_next_free_sgpr 36
		.amdhsa_reserve_vcc 1
		.amdhsa_float_round_mode_32 0
		.amdhsa_float_round_mode_16_64 0
		.amdhsa_float_denorm_mode_32 3
		.amdhsa_float_denorm_mode_16_64 3
		.amdhsa_fp16_overflow 0
		.amdhsa_workgroup_processor_mode 1
		.amdhsa_memory_ordered 1
		.amdhsa_forward_progress 1
		.amdhsa_inst_pref_size 87
		.amdhsa_round_robin_scheduling 0
		.amdhsa_exception_fp_ieee_invalid_op 0
		.amdhsa_exception_fp_denorm_src 0
		.amdhsa_exception_fp_ieee_div_zero 0
		.amdhsa_exception_fp_ieee_overflow 0
		.amdhsa_exception_fp_ieee_underflow 0
		.amdhsa_exception_fp_ieee_inexact 0
		.amdhsa_exception_int_div_zero 0
	.end_amdhsa_kernel
	.section	.text._ZN2at6native18radixSortKVInPlaceILin1ELin1ELi32ELi4EhlmEEvNS_4cuda6detail10TensorInfoIT3_T5_EES6_S6_S6_NS4_IT4_S6_EES6_b,"axG",@progbits,_ZN2at6native18radixSortKVInPlaceILin1ELin1ELi32ELi4EhlmEEvNS_4cuda6detail10TensorInfoIT3_T5_EES6_S6_S6_NS4_IT4_S6_EES6_b,comdat
.Lfunc_end98:
	.size	_ZN2at6native18radixSortKVInPlaceILin1ELin1ELi32ELi4EhlmEEvNS_4cuda6detail10TensorInfoIT3_T5_EES6_S6_S6_NS4_IT4_S6_EES6_b, .Lfunc_end98-_ZN2at6native18radixSortKVInPlaceILin1ELin1ELi32ELi4EhlmEEvNS_4cuda6detail10TensorInfoIT3_T5_EES6_S6_S6_NS4_IT4_S6_EES6_b
                                        ; -- End function
	.set _ZN2at6native18radixSortKVInPlaceILin1ELin1ELi32ELi4EhlmEEvNS_4cuda6detail10TensorInfoIT3_T5_EES6_S6_S6_NS4_IT4_S6_EES6_b.num_vgpr, 86
	.set _ZN2at6native18radixSortKVInPlaceILin1ELin1ELi32ELi4EhlmEEvNS_4cuda6detail10TensorInfoIT3_T5_EES6_S6_S6_NS4_IT4_S6_EES6_b.num_agpr, 0
	.set _ZN2at6native18radixSortKVInPlaceILin1ELin1ELi32ELi4EhlmEEvNS_4cuda6detail10TensorInfoIT3_T5_EES6_S6_S6_NS4_IT4_S6_EES6_b.numbered_sgpr, 36
	.set _ZN2at6native18radixSortKVInPlaceILin1ELin1ELi32ELi4EhlmEEvNS_4cuda6detail10TensorInfoIT3_T5_EES6_S6_S6_NS4_IT4_S6_EES6_b.num_named_barrier, 0
	.set _ZN2at6native18radixSortKVInPlaceILin1ELin1ELi32ELi4EhlmEEvNS_4cuda6detail10TensorInfoIT3_T5_EES6_S6_S6_NS4_IT4_S6_EES6_b.private_seg_size, 0
	.set _ZN2at6native18radixSortKVInPlaceILin1ELin1ELi32ELi4EhlmEEvNS_4cuda6detail10TensorInfoIT3_T5_EES6_S6_S6_NS4_IT4_S6_EES6_b.uses_vcc, 1
	.set _ZN2at6native18radixSortKVInPlaceILin1ELin1ELi32ELi4EhlmEEvNS_4cuda6detail10TensorInfoIT3_T5_EES6_S6_S6_NS4_IT4_S6_EES6_b.uses_flat_scratch, 0
	.set _ZN2at6native18radixSortKVInPlaceILin1ELin1ELi32ELi4EhlmEEvNS_4cuda6detail10TensorInfoIT3_T5_EES6_S6_S6_NS4_IT4_S6_EES6_b.has_dyn_sized_stack, 0
	.set _ZN2at6native18radixSortKVInPlaceILin1ELin1ELi32ELi4EhlmEEvNS_4cuda6detail10TensorInfoIT3_T5_EES6_S6_S6_NS4_IT4_S6_EES6_b.has_recursion, 0
	.set _ZN2at6native18radixSortKVInPlaceILin1ELin1ELi32ELi4EhlmEEvNS_4cuda6detail10TensorInfoIT3_T5_EES6_S6_S6_NS4_IT4_S6_EES6_b.has_indirect_call, 0
	.section	.AMDGPU.csdata,"",@progbits
; Kernel info:
; codeLenInByte = 11100
; TotalNumSgprs: 38
; NumVgprs: 86
; ScratchSize: 0
; MemoryBound: 0
; FloatMode: 240
; IeeeMode: 1
; LDSByteSize: 1056 bytes/workgroup (compile time only)
; SGPRBlocks: 0
; VGPRBlocks: 10
; NumSGPRsForWavesPerEU: 38
; NumVGPRsForWavesPerEU: 86
; Occupancy: 16
; WaveLimiterHint : 1
; COMPUTE_PGM_RSRC2:SCRATCH_EN: 0
; COMPUTE_PGM_RSRC2:USER_SGPR: 2
; COMPUTE_PGM_RSRC2:TRAP_HANDLER: 0
; COMPUTE_PGM_RSRC2:TGID_X_EN: 1
; COMPUTE_PGM_RSRC2:TGID_Y_EN: 1
; COMPUTE_PGM_RSRC2:TGID_Z_EN: 1
; COMPUTE_PGM_RSRC2:TIDIG_COMP_CNT: 2
	.section	.text._ZN2at6native18radixSortKVInPlaceILin1ELin1ELi16ELi2EhlmEEvNS_4cuda6detail10TensorInfoIT3_T5_EES6_S6_S6_NS4_IT4_S6_EES6_b,"axG",@progbits,_ZN2at6native18radixSortKVInPlaceILin1ELin1ELi16ELi2EhlmEEvNS_4cuda6detail10TensorInfoIT3_T5_EES6_S6_S6_NS4_IT4_S6_EES6_b,comdat
	.protected	_ZN2at6native18radixSortKVInPlaceILin1ELin1ELi16ELi2EhlmEEvNS_4cuda6detail10TensorInfoIT3_T5_EES6_S6_S6_NS4_IT4_S6_EES6_b ; -- Begin function _ZN2at6native18radixSortKVInPlaceILin1ELin1ELi16ELi2EhlmEEvNS_4cuda6detail10TensorInfoIT3_T5_EES6_S6_S6_NS4_IT4_S6_EES6_b
	.globl	_ZN2at6native18radixSortKVInPlaceILin1ELin1ELi16ELi2EhlmEEvNS_4cuda6detail10TensorInfoIT3_T5_EES6_S6_S6_NS4_IT4_S6_EES6_b
	.p2align	8
	.type	_ZN2at6native18radixSortKVInPlaceILin1ELin1ELi16ELi2EhlmEEvNS_4cuda6detail10TensorInfoIT3_T5_EES6_S6_S6_NS4_IT4_S6_EES6_b,@function
_ZN2at6native18radixSortKVInPlaceILin1ELin1ELi16ELi2EhlmEEvNS_4cuda6detail10TensorInfoIT3_T5_EES6_S6_S6_NS4_IT4_S6_EES6_b: ; @_ZN2at6native18radixSortKVInPlaceILin1ELin1ELi16ELi2EhlmEEvNS_4cuda6detail10TensorInfoIT3_T5_EES6_S6_S6_NS4_IT4_S6_EES6_b
; %bb.0:
	s_clause 0x1
	s_load_b64 s[2:3], s[0:1], 0x368
	s_load_b128 s[4:7], s[0:1], 0x1a0
	s_wait_kmcnt 0x0
	s_lshr_b32 s7, ttmp7, 16
	s_and_b32 s8, ttmp7, 0xffff
	s_mul_i32 s3, s3, s7
	s_delay_alu instid0(SALU_CYCLE_1) | instskip(NEXT) | instid1(SALU_CYCLE_1)
	s_add_co_i32 s3, s3, s8
	s_mul_i32 s2, s3, s2
	s_mov_b32 s3, 0
	s_add_co_i32 s2, s2, ttmp9
	s_delay_alu instid0(SALU_CYCLE_1)
	v_cmp_le_u64_e64 s4, s[4:5], s[2:3]
	s_and_b32 vcc_lo, exec_lo, s4
	s_cbranch_vccnz .LBB99_82
; %bb.1:
	s_clause 0x1
	s_load_b32 s7, s[0:1], 0x198
	s_load_b64 s[8:9], s[0:1], 0x1b0
	s_mov_b64 s[4:5], 0
	s_mov_b64 s[10:11], s[2:3]
	s_wait_kmcnt 0x0
	s_cmp_lt_i32 s7, 2
	s_cbranch_scc1 .LBB99_9
; %bb.2:
	s_mov_b32 s12, 0
	s_add_co_i32 s4, s7, -1
	s_mov_b32 s5, s12
	s_add_co_i32 s7, s7, 1
	s_wait_alu 0xfffe
	s_lshl_b64 s[4:5], s[4:5], 3
	s_mov_b64 s[16:17], s[2:3]
	s_wait_alu 0xfffe
	s_add_nc_u64 s[10:11], s[0:1], s[4:5]
	s_mov_b64 s[4:5], 0
	s_add_nc_u64 s[14:15], s[10:11], 8
.LBB99_3:                               ; =>This Inner Loop Header: Depth=1
	s_load_b64 s[18:19], s[14:15], 0x0
	s_wait_kmcnt 0x0
	s_or_b64 s[10:11], s[16:17], s[18:19]
	s_wait_alu 0xfffe
	s_mov_b32 s13, s11
                                        ; implicit-def: $sgpr10_sgpr11
	s_delay_alu instid0(SALU_CYCLE_1)
	s_cmp_lg_u64 s[12:13], 0
	s_mov_b32 s13, -1
	s_cbranch_scc0 .LBB99_5
; %bb.4:                                ;   in Loop: Header=BB99_3 Depth=1
	s_cvt_f32_u32 s10, s18
	s_cvt_f32_u32 s11, s19
	s_sub_nc_u64 s[20:21], 0, s[18:19]
	s_mov_b32 s23, s12
	s_mov_b32 s27, s12
	s_wait_alu 0xfffe
	s_fmamk_f32 s10, s11, 0x4f800000, s10
	s_wait_alu 0xfffe
	s_delay_alu instid0(SALU_CYCLE_2) | instskip(NEXT) | instid1(TRANS32_DEP_1)
	v_s_rcp_f32 s10, s10
	s_mul_f32 s10, s10, 0x5f7ffffc
	s_wait_alu 0xfffe
	s_delay_alu instid0(SALU_CYCLE_2) | instskip(SKIP_1) | instid1(SALU_CYCLE_2)
	s_mul_f32 s11, s10, 0x2f800000
	s_wait_alu 0xfffe
	s_trunc_f32 s11, s11
	s_wait_alu 0xfffe
	s_delay_alu instid0(SALU_CYCLE_2) | instskip(SKIP_2) | instid1(SALU_CYCLE_1)
	s_fmamk_f32 s10, s11, 0xcf800000, s10
	s_cvt_u32_f32 s11, s11
	s_wait_alu 0xfffe
	s_cvt_u32_f32 s10, s10
	s_wait_alu 0xfffe
	s_delay_alu instid0(SALU_CYCLE_2) | instskip(NEXT) | instid1(SALU_CYCLE_1)
	s_mul_u64 s[24:25], s[20:21], s[10:11]
	s_mul_hi_u32 s29, s10, s25
	s_mul_i32 s28, s10, s25
	s_mul_hi_u32 s22, s10, s24
	s_mul_i32 s26, s11, s24
	s_add_nc_u64 s[22:23], s[22:23], s[28:29]
	s_mul_hi_u32 s13, s11, s24
	s_mul_hi_u32 s30, s11, s25
	s_add_co_u32 s22, s22, s26
	s_add_co_ci_u32 s26, s23, s13
	s_mul_i32 s24, s11, s25
	s_add_co_ci_u32 s25, s30, 0
	s_delay_alu instid0(SALU_CYCLE_1) | instskip(SKIP_3) | instid1(SALU_CYCLE_1)
	s_add_nc_u64 s[22:23], s[26:27], s[24:25]
	s_mov_b32 s25, s12
	s_add_co_u32 s10, s10, s22
	s_cselect_b32 s13, -1, 0
	s_cmp_lg_u32 s13, 0
	s_add_co_ci_u32 s11, s11, s23
	s_mov_b32 s23, s12
	s_wait_alu 0xfffe
	s_mul_u64 s[20:21], s[20:21], s[10:11]
	s_delay_alu instid0(SALU_CYCLE_1)
	s_mul_hi_u32 s27, s10, s21
	s_mul_i32 s26, s10, s21
	s_mul_hi_u32 s22, s10, s20
	s_mul_i32 s24, s11, s20
	s_add_nc_u64 s[22:23], s[22:23], s[26:27]
	s_mul_hi_u32 s13, s11, s20
	s_mul_hi_u32 s28, s11, s21
	s_mul_i32 s20, s11, s21
	s_add_co_u32 s21, s22, s24
	s_add_co_ci_u32 s24, s23, s13
	s_add_co_ci_u32 s21, s28, 0
	s_mov_b32 s23, s12
	s_add_nc_u64 s[20:21], s[24:25], s[20:21]
	s_delay_alu instid0(SALU_CYCLE_1)
	s_add_co_u32 s10, s10, s20
	s_cselect_b32 s13, -1, 0
	s_wait_alu 0xfffe
	s_mul_hi_u32 s22, s16, s10
	s_cmp_lg_u32 s13, 0
	s_mul_hi_u32 s13, s17, s10
	s_add_co_ci_u32 s20, s11, s21
	s_mul_i32 s21, s17, s10
	s_mul_hi_u32 s11, s16, s20
	s_mul_i32 s10, s16, s20
	s_mul_hi_u32 s26, s17, s20
	s_wait_alu 0xfffe
	s_add_nc_u64 s[10:11], s[22:23], s[10:11]
	s_mul_i32 s20, s17, s20
	s_wait_alu 0xfffe
	s_add_co_u32 s10, s10, s21
	s_add_co_ci_u32 s24, s11, s13
	s_add_co_ci_u32 s21, s26, 0
	s_delay_alu instid0(SALU_CYCLE_1) | instskip(SKIP_2) | instid1(SALU_CYCLE_1)
	s_add_nc_u64 s[10:11], s[24:25], s[20:21]
	s_wait_alu 0xfffe
	s_mul_u64 s[20:21], s[18:19], s[10:11]
	s_sub_co_u32 s13, s16, s20
	s_cselect_b32 s20, -1, 0
	s_sub_co_i32 s22, s17, s21
	s_cmp_lg_u32 s20, 0
	s_sub_co_ci_u32 s22, s22, s19
	s_sub_co_u32 s23, s13, s18
	s_cselect_b32 s24, -1, 0
	s_delay_alu instid0(SALU_CYCLE_1) | instskip(SKIP_1) | instid1(SALU_CYCLE_1)
	s_cmp_lg_u32 s24, 0
	s_sub_co_ci_u32 s22, s22, 0
	s_cmp_ge_u32 s22, s19
	s_cselect_b32 s24, -1, 0
	s_cmp_ge_u32 s23, s18
	s_cselect_b32 s25, -1, 0
	s_cmp_eq_u32 s22, s19
	s_add_nc_u64 s[22:23], s[10:11], 1
	s_cselect_b32 s26, s25, s24
	s_add_nc_u64 s[24:25], s[10:11], 2
	s_cmp_lg_u32 s26, 0
	s_cselect_b32 s22, s24, s22
	s_cselect_b32 s23, s25, s23
	s_cmp_lg_u32 s20, 0
	s_sub_co_ci_u32 s20, s17, s21
	s_delay_alu instid0(SALU_CYCLE_1)
	s_cmp_ge_u32 s20, s19
	s_cselect_b32 s21, -1, 0
	s_cmp_ge_u32 s13, s18
	s_cselect_b32 s13, -1, 0
	s_cmp_eq_u32 s20, s19
	s_cselect_b32 s13, s13, s21
	s_delay_alu instid0(SALU_CYCLE_1)
	s_cmp_lg_u32 s13, 0
	s_mov_b32 s13, 0
	s_cselect_b32 s11, s23, s11
	s_cselect_b32 s10, s22, s10
.LBB99_5:                               ;   in Loop: Header=BB99_3 Depth=1
	s_and_not1_b32 vcc_lo, exec_lo, s13
	s_cbranch_vccnz .LBB99_7
; %bb.6:                                ;   in Loop: Header=BB99_3 Depth=1
	v_cvt_f32_u32_e32 v1, s18
	s_sub_co_i32 s11, 0, s18
	s_delay_alu instid0(VALU_DEP_1) | instskip(NEXT) | instid1(TRANS32_DEP_1)
	v_rcp_iflag_f32_e32 v1, v1
	v_mul_f32_e32 v1, 0x4f7ffffe, v1
	s_delay_alu instid0(VALU_DEP_1) | instskip(NEXT) | instid1(VALU_DEP_1)
	v_cvt_u32_f32_e32 v1, v1
	v_readfirstlane_b32 s10, v1
	s_wait_alu 0xfffe
	s_mul_i32 s11, s11, s10
	s_wait_alu 0xfffe
	s_mul_hi_u32 s11, s10, s11
	s_wait_alu 0xfffe
	s_add_co_i32 s10, s10, s11
	s_wait_alu 0xfffe
	s_mul_hi_u32 s10, s16, s10
	s_wait_alu 0xfffe
	s_mul_i32 s11, s10, s18
	s_add_co_i32 s13, s10, 1
	s_wait_alu 0xfffe
	s_sub_co_i32 s11, s16, s11
	s_wait_alu 0xfffe
	s_sub_co_i32 s20, s11, s18
	s_cmp_ge_u32 s11, s18
	s_cselect_b32 s10, s13, s10
	s_cselect_b32 s11, s20, s11
	s_wait_alu 0xfffe
	s_add_co_i32 s13, s10, 1
	s_cmp_ge_u32 s11, s18
	s_mov_b32 s11, s12
	s_cselect_b32 s10, s13, s10
.LBB99_7:                               ;   in Loop: Header=BB99_3 Depth=1
	s_load_b64 s[20:21], s[14:15], 0xc8
	s_mul_u64 s[18:19], s[10:11], s[18:19]
	s_add_co_i32 s7, s7, -1
	s_wait_alu 0xfffe
	s_sub_nc_u64 s[16:17], s[16:17], s[18:19]
	s_cmp_gt_u32 s7, 2
	s_add_nc_u64 s[14:15], s[14:15], -8
	s_wait_kmcnt 0x0
	s_mul_u64 s[16:17], s[20:21], s[16:17]
	s_delay_alu instid0(SALU_CYCLE_1)
	s_add_nc_u64 s[4:5], s[16:17], s[4:5]
	s_cbranch_scc0 .LBB99_9
; %bb.8:                                ;   in Loop: Header=BB99_3 Depth=1
	s_mov_b64 s[16:17], s[10:11]
	s_branch .LBB99_3
.LBB99_9:
	s_load_b32 s7, s[0:1], 0x350
	s_mov_b64 s[14:15], 0
	s_wait_kmcnt 0x0
	s_cmp_lt_i32 s7, 2
	s_cbranch_scc1 .LBB99_17
; %bb.10:
	s_mov_b32 s12, 0
	s_add_co_i32 s14, s7, -1
	s_mov_b32 s15, s12
	s_add_co_i32 s7, s7, 1
	s_lshl_b64 s[14:15], s[14:15], 3
	s_delay_alu instid0(SALU_CYCLE_1) | instskip(NEXT) | instid1(SALU_CYCLE_1)
	s_add_nc_u64 s[14:15], s[0:1], s[14:15]
	s_add_nc_u64 s[16:17], s[14:15], 0x1c0
	s_mov_b64 s[14:15], 0
.LBB99_11:                              ; =>This Inner Loop Header: Depth=1
	s_load_b64 s[18:19], s[16:17], 0x0
	s_wait_kmcnt 0x0
	s_or_b64 s[20:21], s[2:3], s[18:19]
	s_delay_alu instid0(SALU_CYCLE_1)
	s_mov_b32 s13, s21
                                        ; implicit-def: $sgpr20_sgpr21
	s_wait_alu 0xfffe
	s_cmp_lg_u64 s[12:13], 0
	s_mov_b32 s13, -1
	s_cbranch_scc0 .LBB99_13
; %bb.12:                               ;   in Loop: Header=BB99_11 Depth=1
	s_cvt_f32_u32 s13, s18
	s_cvt_f32_u32 s20, s19
	s_sub_nc_u64 s[22:23], 0, s[18:19]
	s_mov_b32 s25, s12
	s_mov_b32 s29, s12
	s_wait_alu 0xfffe
	s_fmamk_f32 s13, s20, 0x4f800000, s13
	s_wait_alu 0xfffe
	s_delay_alu instid0(SALU_CYCLE_2) | instskip(NEXT) | instid1(TRANS32_DEP_1)
	v_s_rcp_f32 s13, s13
	s_mul_f32 s13, s13, 0x5f7ffffc
	s_wait_alu 0xfffe
	s_delay_alu instid0(SALU_CYCLE_2) | instskip(NEXT) | instid1(SALU_CYCLE_3)
	s_mul_f32 s20, s13, 0x2f800000
	s_trunc_f32 s20, s20
	s_delay_alu instid0(SALU_CYCLE_3) | instskip(SKIP_2) | instid1(SALU_CYCLE_1)
	s_fmamk_f32 s13, s20, 0xcf800000, s13
	s_cvt_u32_f32 s21, s20
	s_wait_alu 0xfffe
	s_cvt_u32_f32 s20, s13
	s_delay_alu instid0(SALU_CYCLE_3) | instskip(NEXT) | instid1(SALU_CYCLE_1)
	s_mul_u64 s[26:27], s[22:23], s[20:21]
	s_mul_hi_u32 s31, s20, s27
	s_mul_i32 s30, s20, s27
	s_mul_hi_u32 s24, s20, s26
	s_mul_i32 s28, s21, s26
	s_add_nc_u64 s[24:25], s[24:25], s[30:31]
	s_mul_hi_u32 s13, s21, s26
	s_mul_hi_u32 s33, s21, s27
	s_add_co_u32 s24, s24, s28
	s_wait_alu 0xfffe
	s_add_co_ci_u32 s28, s25, s13
	s_mul_i32 s26, s21, s27
	s_add_co_ci_u32 s27, s33, 0
	s_delay_alu instid0(SALU_CYCLE_1)
	s_add_nc_u64 s[24:25], s[28:29], s[26:27]
	s_mov_b32 s27, s12
	s_add_co_u32 s20, s20, s24
	s_cselect_b32 s13, -1, 0
	s_wait_alu 0xfffe
	s_cmp_lg_u32 s13, 0
	s_add_co_ci_u32 s21, s21, s25
	s_mov_b32 s25, s12
	s_mul_u64 s[22:23], s[22:23], s[20:21]
	s_delay_alu instid0(SALU_CYCLE_1)
	s_mul_hi_u32 s29, s20, s23
	s_mul_i32 s28, s20, s23
	s_mul_hi_u32 s24, s20, s22
	s_mul_i32 s26, s21, s22
	s_add_nc_u64 s[24:25], s[24:25], s[28:29]
	s_mul_hi_u32 s13, s21, s22
	s_mul_hi_u32 s30, s21, s23
	s_mul_i32 s22, s21, s23
	s_add_co_u32 s23, s24, s26
	s_wait_alu 0xfffe
	s_add_co_ci_u32 s26, s25, s13
	s_add_co_ci_u32 s23, s30, 0
	s_mov_b32 s25, s12
	s_add_nc_u64 s[22:23], s[26:27], s[22:23]
	s_delay_alu instid0(SALU_CYCLE_1)
	s_add_co_u32 s13, s20, s22
	s_cselect_b32 s20, -1, 0
	s_wait_alu 0xfffe
	s_mul_hi_u32 s24, s2, s13
	s_cmp_lg_u32 s20, 0
	s_mul_hi_u32 s26, s3, s13
	s_add_co_ci_u32 s22, s21, s23
	s_mul_i32 s13, s3, s13
	s_mul_hi_u32 s21, s2, s22
	s_mul_i32 s20, s2, s22
	s_mul_hi_u32 s23, s3, s22
	s_add_nc_u64 s[20:21], s[24:25], s[20:21]
	s_mul_i32 s22, s3, s22
	s_wait_alu 0xfffe
	s_add_co_u32 s13, s20, s13
	s_add_co_ci_u32 s26, s21, s26
	s_add_co_ci_u32 s23, s23, 0
	s_delay_alu instid0(SALU_CYCLE_1) | instskip(NEXT) | instid1(SALU_CYCLE_1)
	s_add_nc_u64 s[20:21], s[26:27], s[22:23]
	s_mul_u64 s[22:23], s[18:19], s[20:21]
	s_delay_alu instid0(SALU_CYCLE_1)
	s_sub_co_u32 s13, s2, s22
	s_cselect_b32 s22, -1, 0
	s_sub_co_i32 s24, s3, s23
	s_cmp_lg_u32 s22, 0
	s_sub_co_ci_u32 s24, s24, s19
	s_wait_alu 0xfffe
	s_sub_co_u32 s25, s13, s18
	s_cselect_b32 s26, -1, 0
	s_delay_alu instid0(SALU_CYCLE_1) | instskip(SKIP_1) | instid1(SALU_CYCLE_1)
	s_cmp_lg_u32 s26, 0
	s_sub_co_ci_u32 s24, s24, 0
	s_cmp_ge_u32 s24, s19
	s_cselect_b32 s26, -1, 0
	s_cmp_ge_u32 s25, s18
	s_cselect_b32 s27, -1, 0
	s_cmp_eq_u32 s24, s19
	s_add_nc_u64 s[24:25], s[20:21], 1
	s_cselect_b32 s28, s27, s26
	s_add_nc_u64 s[26:27], s[20:21], 2
	s_cmp_lg_u32 s28, 0
	s_cselect_b32 s24, s26, s24
	s_cselect_b32 s25, s27, s25
	s_cmp_lg_u32 s22, 0
	s_sub_co_ci_u32 s22, s3, s23
	s_delay_alu instid0(SALU_CYCLE_1)
	s_cmp_ge_u32 s22, s19
	s_cselect_b32 s23, -1, 0
	s_cmp_ge_u32 s13, s18
	s_cselect_b32 s13, -1, 0
	s_cmp_eq_u32 s22, s19
	s_wait_alu 0xfffe
	s_cselect_b32 s13, s13, s23
	s_wait_alu 0xfffe
	s_cmp_lg_u32 s13, 0
	s_mov_b32 s13, 0
	s_cselect_b32 s21, s25, s21
	s_cselect_b32 s20, s24, s20
.LBB99_13:                              ;   in Loop: Header=BB99_11 Depth=1
	s_wait_alu 0xfffe
	s_and_not1_b32 vcc_lo, exec_lo, s13
	s_cbranch_vccnz .LBB99_15
; %bb.14:                               ;   in Loop: Header=BB99_11 Depth=1
	v_cvt_f32_u32_e32 v1, s18
	s_sub_co_i32 s20, 0, s18
	s_delay_alu instid0(VALU_DEP_1) | instskip(NEXT) | instid1(TRANS32_DEP_1)
	v_rcp_iflag_f32_e32 v1, v1
	v_mul_f32_e32 v1, 0x4f7ffffe, v1
	s_delay_alu instid0(VALU_DEP_1) | instskip(NEXT) | instid1(VALU_DEP_1)
	v_cvt_u32_f32_e32 v1, v1
	v_readfirstlane_b32 s13, v1
	s_mul_i32 s20, s20, s13
	s_delay_alu instid0(SALU_CYCLE_1) | instskip(NEXT) | instid1(SALU_CYCLE_1)
	s_mul_hi_u32 s20, s13, s20
	s_add_co_i32 s13, s13, s20
	s_wait_alu 0xfffe
	s_mul_hi_u32 s13, s2, s13
	s_wait_alu 0xfffe
	s_mul_i32 s20, s13, s18
	s_add_co_i32 s21, s13, 1
	s_sub_co_i32 s20, s2, s20
	s_delay_alu instid0(SALU_CYCLE_1)
	s_sub_co_i32 s22, s20, s18
	s_cmp_ge_u32 s20, s18
	s_cselect_b32 s13, s21, s13
	s_cselect_b32 s20, s22, s20
	s_wait_alu 0xfffe
	s_add_co_i32 s21, s13, 1
	s_cmp_ge_u32 s20, s18
	s_cselect_b32 s20, s21, s13
	s_mov_b32 s21, s12
.LBB99_15:                              ;   in Loop: Header=BB99_11 Depth=1
	s_load_b64 s[22:23], s[16:17], 0xc8
	s_mul_u64 s[18:19], s[20:21], s[18:19]
	s_add_co_i32 s7, s7, -1
	s_wait_alu 0xfffe
	s_sub_nc_u64 s[2:3], s[2:3], s[18:19]
	s_cmp_gt_u32 s7, 2
	s_add_nc_u64 s[16:17], s[16:17], -8
	s_wait_kmcnt 0x0
	s_wait_alu 0xfffe
	s_mul_u64 s[2:3], s[22:23], s[2:3]
	s_wait_alu 0xfffe
	s_add_nc_u64 s[14:15], s[2:3], s[14:15]
	s_cbranch_scc0 .LBB99_18
; %bb.16:                               ;   in Loop: Header=BB99_11 Depth=1
	s_mov_b64 s[2:3], s[20:21]
	s_branch .LBB99_11
.LBB99_17:
	s_mov_b64 s[20:21], s[2:3]
.LBB99_18:
	s_clause 0x2
	s_load_b64 s[2:3], s[0:1], 0xd0
	s_load_b32 s7, s[0:1], 0x360
	s_load_b64 s[12:13], s[0:1], 0x0
	s_wait_kmcnt 0x0
	s_mul_u64 s[10:11], s[2:3], s[10:11]
	s_bitcmp1_b32 s7, 0
	v_cmp_gt_u32_e64 s2, s6, v0
	s_cselect_b32 s7, -1, 0
	s_wait_alu 0xfffe
	s_add_nc_u64 s[10:11], s[12:13], s[10:11]
	s_xor_b32 s7, s7, -1
	s_wait_alu 0xfffe
	s_add_nc_u64 s[12:13], s[10:11], s[4:5]
	v_cndmask_b32_e64 v2, 0, -1, s7
	v_cndmask_b32_e64 v1, 0, -1, s7
	s_delay_alu instid0(VALU_DEP_2) | instskip(SKIP_1) | instid1(VALU_DEP_1)
	v_lshlrev_b32_e32 v3, 8, v2
	v_and_b32_e32 v2, 0xff, v2
	v_or_b32_e32 v2, v2, v3
	s_delay_alu instid0(VALU_DEP_1)
	v_and_b32_e32 v2, 0xffff, v2
	s_and_saveexec_b32 s3, s2
	s_cbranch_execz .LBB99_20
; %bb.19:
	s_wait_alu 0xfffe
	v_mad_co_u64_u32 v[3:4], null, s8, v0, s[12:13]
	s_delay_alu instid0(VALU_DEP_1) | instskip(NEXT) | instid1(VALU_DEP_1)
	v_mov_b32_e32 v1, v4
	v_mad_co_u64_u32 v[4:5], null, s9, v0, v[1:2]
	global_load_u8 v1, v[3:4], off
	s_wait_loadcnt 0x0
	v_perm_b32 v2, v1, v2, 0xc0c0104
.LBB99_20:
	s_wait_alu 0xfffe
	s_or_b32 exec_lo, exec_lo, s3
	s_clause 0x1
	s_load_b64 s[16:17], s[0:1], 0x288
	s_load_b64 s[4:5], s[0:1], 0x1b8
	v_or_b32_e32 v5, 16, v0
	s_delay_alu instid0(VALU_DEP_1)
	v_cmp_gt_u32_e64 s3, s6, v5
	s_and_saveexec_b32 s6, s3
	s_cbranch_execz .LBB99_22
; %bb.21:
	v_mad_co_u64_u32 v[3:4], null, s8, v5, s[12:13]
	s_delay_alu instid0(VALU_DEP_1) | instskip(NEXT) | instid1(VALU_DEP_1)
	v_mad_co_u64_u32 v[6:7], null, s9, v5, v[4:5]
	v_mov_b32_e32 v4, v6
	global_load_u8 v3, v[3:4], off
	s_wait_loadcnt 0x0
	v_perm_b32 v2, v2, v3, 0xc0c0004
.LBB99_22:
	s_wait_alu 0xfffe
	s_or_b32 exec_lo, exec_lo, s6
	s_delay_alu instid0(VALU_DEP_1)
	v_lshrrev_b16 v2, 8, v2
	v_lshlrev_b32_e32 v17, 1, v0
	s_load_b64 s[10:11], s[0:1], 0x358
	s_wait_kmcnt 0x0
	s_mul_u64 s[0:1], s[16:17], s[20:21]
	ds_store_b8 v0, v1
	ds_store_b8 v0, v2 offset:16
	v_mov_b32_e32 v1, 0
	v_mov_b32_e32 v3, 0
	s_wait_dscnt 0x0
	; wave barrier
	global_inv scope:SCOPE_SE
	v_mov_b32_e32 v4, 0
	ds_load_u16 v21, v17
	s_lshl_b64 s[0:1], s[0:1], 3
	v_mov_b32_e32 v2, v1
	s_add_nc_u64 s[0:1], s[4:5], s[0:1]
	s_lshl_b64 s[4:5], s[14:15], 3
	s_wait_loadcnt_dscnt 0x0
	s_wait_alu 0xfffe
	s_add_nc_u64 s[14:15], s[0:1], s[4:5]
	; wave barrier
	global_inv scope:SCOPE_SE
	s_and_saveexec_b32 s0, s2
	s_cbranch_execz .LBB99_24
; %bb.23:
	v_mad_co_u64_u32 v[2:3], null, s10, v0, 0
	s_delay_alu instid0(VALU_DEP_1) | instskip(NEXT) | instid1(VALU_DEP_1)
	v_mad_co_u64_u32 v[3:4], null, s11, v0, v[3:4]
	v_lshlrev_b64_e32 v[2:3], 3, v[2:3]
	s_delay_alu instid0(VALU_DEP_1) | instskip(NEXT) | instid1(VALU_DEP_1)
	v_add_co_u32 v2, vcc_lo, s14, v2
	v_add_co_ci_u32_e64 v3, null, s15, v3, vcc_lo
	global_load_b64 v[3:4], v[2:3], off
	v_mov_b32_e32 v2, v1
.LBB99_24:
	s_or_b32 exec_lo, exec_lo, s0
	s_and_saveexec_b32 s0, s3
	s_cbranch_execz .LBB99_26
; %bb.25:
	v_mad_co_u64_u32 v[1:2], null, s10, v5, 0
	s_wait_loadcnt 0x0
	s_delay_alu instid0(VALU_DEP_1) | instskip(NEXT) | instid1(VALU_DEP_1)
	v_mad_co_u64_u32 v[5:6], null, s11, v5, v[2:3]
	v_mov_b32_e32 v2, v5
	s_delay_alu instid0(VALU_DEP_1) | instskip(NEXT) | instid1(VALU_DEP_1)
	v_lshlrev_b64_e32 v[1:2], 3, v[1:2]
	v_add_co_u32 v1, vcc_lo, s14, v1
	s_wait_alu 0xfffd
	s_delay_alu instid0(VALU_DEP_2)
	v_add_co_ci_u32_e64 v2, null, s15, v2, vcc_lo
	global_load_b64 v[1:2], v[1:2], off
.LBB99_26:
	s_or_b32 exec_lo, exec_lo, s0
	v_lshlrev_b32_e32 v18, 3, v0
	v_lshlrev_b32_e32 v19, 3, v17
	v_lshrrev_b16 v22, 8, v21
	v_cmp_gt_u32_e64 s0, 0x80, v0
	v_lshlrev_b32_e32 v20, 5, v0
	s_wait_loadcnt 0x0
	ds_store_2addr_b64 v18, v[3:4], v[1:2] offset1:16
	s_wait_dscnt 0x0
	; wave barrier
	global_inv scope:SCOPE_SE
	ds_load_2addr_b64 v[1:4], v19 offset1:1
	s_and_b32 vcc_lo, exec_lo, s7
	; wave barrier
	s_wait_loadcnt_dscnt 0x0
	global_inv scope:SCOPE_SE
	s_wait_alu 0xfffe
	s_cbranch_vccz .LBB99_50
; %bb.27:
	s_getpc_b64 s[4:5]
	s_wait_alu 0xfffe
	s_sext_i32_i16 s5, s5
	s_add_co_u32 s4, s4, _ZN7rocprim17ROCPRIM_400000_NS16block_radix_sortIhLj16ELj2ElLj1ELj1ELj0ELNS0_26block_radix_rank_algorithmE1ELNS0_18block_padding_hintE2ELNS0_4arch9wavefront6targetE0EE19radix_bits_per_passE@rel32@lo+12
	s_wait_alu 0xfffe
	s_add_co_ci_u32 s5, s5, _ZN7rocprim17ROCPRIM_400000_NS16block_radix_sortIhLj16ELj2ElLj1ELj1ELj0ELNS0_26block_radix_rank_algorithmE1ELNS0_18block_padding_hintE2ELNS0_4arch9wavefront6targetE0EE19radix_bits_per_passE@rel32@hi+24
	v_mad_i32_i24 v24, 0xffffffe2, v0, v20
	s_load_b32 s16, s[4:5], 0x0
	s_delay_alu instid0(VALU_DEP_1)
	v_mad_u32_u24 v23, v0, 14, v24
	s_and_saveexec_b32 s1, s0
	s_cbranch_execz .LBB99_36
; %bb.28:
	s_delay_alu instid0(VALU_DEP_1)
	v_mad_i32_i24 v5, v0, -12, v23
	v_mov_b32_e32 v6, 0
	v_cmp_gt_u32_e32 vcc_lo, 0x70, v0
	ds_store_b32 v5, v6
	s_and_b32 exec_lo, exec_lo, vcc_lo
	s_cbranch_execz .LBB99_36
; %bb.29:
	v_mul_i32_i24_e32 v5, -12, v0
	v_cmp_gt_u32_e32 vcc_lo, 0x60, v0
	s_delay_alu instid0(VALU_DEP_2)
	v_add_nc_u32_e32 v5, v23, v5
	ds_store_b32 v5, v6 offset:64
	s_and_b32 exec_lo, exec_lo, vcc_lo
	s_cbranch_execz .LBB99_36
; %bb.30:
	v_mov_b32_e32 v6, 0
	v_cmp_gt_u32_e32 vcc_lo, 0x50, v0
	ds_store_b32 v5, v6 offset:128
	s_and_b32 exec_lo, exec_lo, vcc_lo
	s_cbranch_execz .LBB99_36
; %bb.31:
	v_cmp_gt_u32_e32 vcc_lo, 64, v0
	ds_store_b32 v5, v6 offset:192
	s_and_b32 exec_lo, exec_lo, vcc_lo
	s_cbranch_execz .LBB99_36
; %bb.32:
	v_mov_b32_e32 v6, 0
	v_cmp_gt_u32_e32 vcc_lo, 48, v0
	ds_store_b32 v5, v6 offset:256
	s_and_b32 exec_lo, exec_lo, vcc_lo
	s_cbranch_execz .LBB99_36
; %bb.33:
	v_cmp_gt_u32_e32 vcc_lo, 32, v0
	ds_store_b32 v5, v6 offset:320
	s_and_b32 exec_lo, exec_lo, vcc_lo
	s_cbranch_execz .LBB99_36
; %bb.34:
	v_mov_b32_e32 v6, 0
	v_cmp_gt_u32_e32 vcc_lo, 16, v0
	ds_store_b32 v5, v6 offset:384
	s_and_b32 exec_lo, exec_lo, vcc_lo
; %bb.35:
	ds_store_b32 v5, v6 offset:448
.LBB99_36:
	s_or_b32 exec_lo, exec_lo, s1
	s_wait_kmcnt 0x0
	s_min_u32 s1, s16, 8
	s_delay_alu instid0(SALU_CYCLE_1) | instskip(NEXT) | instid1(SALU_CYCLE_1)
	s_lshl_b32 s1, -1, s1
	s_not_b32 s1, s1
	s_delay_alu instid0(SALU_CYCLE_1) | instskip(NEXT) | instid1(VALU_DEP_1)
	v_and_b32_e32 v5, s1, v21
	v_lshlrev_b32_e32 v6, 4, v5
	v_lshrrev_b32_e32 v5, 2, v5
	s_delay_alu instid0(VALU_DEP_2) | instskip(NEXT) | instid1(VALU_DEP_2)
	v_and_or_b32 v6, 0x70, v6, v0
	v_and_b32_e32 v5, 62, v5
	s_delay_alu instid0(VALU_DEP_1) | instskip(SKIP_4) | instid1(VALU_DEP_2)
	v_lshl_add_u32 v14, v6, 2, v5
	v_and_b32_e32 v5, 0xffff, v22
	ds_load_u16 v13, v14
	v_and_b32_e32 v5, s1, v5
	v_cmp_eq_u32_e64 s1, 15, v0
	v_lshlrev_b32_e32 v6, 4, v5
	v_lshrrev_b32_e32 v5, 2, v5
	s_delay_alu instid0(VALU_DEP_2) | instskip(NEXT) | instid1(VALU_DEP_2)
	v_and_or_b32 v6, 0x70, v6, v0
	v_and_b32_e32 v5, 62, v5
	s_delay_alu instid0(VALU_DEP_1)
	v_lshl_add_u32 v15, v6, 2, v5
	s_wait_dscnt 0x0
	v_add_nc_u16 v7, v13, 1
	ds_store_b16 v14, v7
	ds_load_u16 v16, v15
	s_wait_dscnt 0x0
	v_add_nc_u16 v5, v16, 1
	ds_store_b16 v15, v5
	; wave barrier
	s_wait_loadcnt_dscnt 0x0
	global_inv scope:SCOPE_SE
	ds_load_b128 v[9:12], v20
	ds_load_b128 v[5:8], v20 offset:16
	s_wait_dscnt 0x1
	v_add_nc_u32_e32 v25, v10, v9
	s_delay_alu instid0(VALU_DEP_1) | instskip(SKIP_1) | instid1(VALU_DEP_1)
	v_add3_u32 v25, v25, v11, v12
	s_wait_dscnt 0x0
	v_add3_u32 v26, v25, v5, v6
	v_mbcnt_lo_u32_b32 v25, -1, 0
	s_delay_alu instid0(VALU_DEP_2) | instskip(NEXT) | instid1(VALU_DEP_2)
	v_add3_u32 v8, v26, v7, v8
	v_and_b32_e32 v26, 15, v25
	s_delay_alu instid0(VALU_DEP_2) | instskip(NEXT) | instid1(VALU_DEP_2)
	v_mov_b32_dpp v27, v8 row_shr:1 row_mask:0xf bank_mask:0xf
	v_cmp_eq_u32_e32 vcc_lo, 0, v26
	v_cmp_lt_u32_e64 s4, 1, v26
	v_cmp_lt_u32_e64 s5, 3, v26
	;; [unrolled: 1-line block ×3, first 2 shown]
	s_wait_alu 0xfffd
	v_cndmask_b32_e64 v27, v27, 0, vcc_lo
	s_delay_alu instid0(VALU_DEP_1) | instskip(NEXT) | instid1(VALU_DEP_1)
	v_add_nc_u32_e32 v8, v27, v8
	v_mov_b32_dpp v27, v8 row_shr:2 row_mask:0xf bank_mask:0xf
	s_wait_alu 0xf1ff
	s_delay_alu instid0(VALU_DEP_1) | instskip(NEXT) | instid1(VALU_DEP_1)
	v_cndmask_b32_e64 v27, 0, v27, s4
	v_add_nc_u32_e32 v8, v8, v27
	s_delay_alu instid0(VALU_DEP_1) | instskip(NEXT) | instid1(VALU_DEP_1)
	v_mov_b32_dpp v27, v8 row_shr:4 row_mask:0xf bank_mask:0xf
	v_cndmask_b32_e64 v27, 0, v27, s5
	s_delay_alu instid0(VALU_DEP_1) | instskip(NEXT) | instid1(VALU_DEP_1)
	v_add_nc_u32_e32 v8, v8, v27
	v_mov_b32_dpp v27, v8 row_shr:8 row_mask:0xf bank_mask:0xf
	s_delay_alu instid0(VALU_DEP_1) | instskip(NEXT) | instid1(VALU_DEP_1)
	v_cndmask_b32_e64 v26, 0, v27, s6
	v_add_nc_u32_e32 v8, v8, v26
	s_and_saveexec_b32 s7, s1
; %bb.37:
	v_mov_b32_e32 v26, 0
	ds_store_b32 v26, v8 offset:512
; %bb.38:
	s_wait_alu 0xfffe
	s_or_b32 exec_lo, exec_lo, s7
	v_sub_co_u32 v26, s17, v25, 1
	v_and_b32_e32 v27, 16, v25
	; wave barrier
	s_wait_loadcnt_dscnt 0x0
	global_inv scope:SCOPE_SE
	v_cmp_lt_i32_e64 s7, v26, v27
	v_mov_b32_e32 v27, 0
	s_wait_alu 0xf1ff
	s_delay_alu instid0(VALU_DEP_2)
	v_cndmask_b32_e64 v25, v26, v25, s7
	ds_load_b32 v26, v27 offset:512
	v_lshlrev_b32_e32 v25, 2, v25
	ds_bpermute_b32 v8, v25, v8
	s_wait_dscnt 0x0
	v_cndmask_b32_e64 v8, v8, 0, s17
	s_delay_alu instid0(VALU_DEP_1) | instskip(NEXT) | instid1(VALU_DEP_1)
	v_lshl_add_u32 v8, v26, 16, v8
	v_add_nc_u32_e32 v9, v8, v9
	s_delay_alu instid0(VALU_DEP_1) | instskip(NEXT) | instid1(VALU_DEP_1)
	v_add_nc_u32_e32 v10, v9, v10
	v_add_nc_u32_e32 v11, v10, v11
	s_delay_alu instid0(VALU_DEP_1) | instskip(NEXT) | instid1(VALU_DEP_1)
	v_add_nc_u32_e32 v28, v11, v12
	;; [unrolled: 3-line block ×3, first 2 shown]
	v_add_nc_u32_e32 v31, v30, v7
	v_and_b32_e32 v7, 0xffff, v13
	ds_store_b128 v20, v[8:11]
	ds_store_b128 v20, v[28:31] offset:16
	; wave barrier
	s_wait_loadcnt_dscnt 0x0
	global_inv scope:SCOPE_SE
	ds_load_u16 v5, v14
	ds_load_u16 v6, v15
	v_and_b32_e32 v8, 0xffff, v16
	; wave barrier
	s_wait_loadcnt_dscnt 0x0
	global_inv scope:SCOPE_SE
	v_add_nc_u32_e32 v5, v5, v7
	v_add_nc_u32_e32 v6, v6, v8
	ds_store_b8 v5, v21
	ds_store_b8 v6, v22
	v_lshlrev_b32_e32 v5, 3, v5
	v_lshlrev_b32_e32 v6, 3, v6
	; wave barrier
	s_wait_loadcnt_dscnt 0x0
	global_inv scope:SCOPE_SE
	ds_load_u16 v26, v24
	; wave barrier
	s_wait_loadcnt_dscnt 0x0
	global_inv scope:SCOPE_SE
	ds_store_b64 v5, v[1:2]
	ds_store_b64 v6, v[3:4]
	; wave barrier
	s_wait_loadcnt_dscnt 0x0
	global_inv scope:SCOPE_SE
	ds_load_b128 v[5:8], v23
	; wave barrier
	s_wait_loadcnt_dscnt 0x0
	global_inv scope:SCOPE_SE
	s_and_saveexec_b32 s7, s0
	s_cbranch_execz .LBB99_47
; %bb.39:
	v_lshlrev_b32_e32 v9, 2, v0
	v_cmp_gt_u32_e64 s0, 0x70, v0
	ds_store_b32 v9, v27
	s_and_b32 exec_lo, exec_lo, s0
	s_cbranch_execz .LBB99_47
; %bb.40:
	v_mov_b32_e32 v10, 0
	v_cmp_gt_u32_e64 s0, 0x60, v0
	ds_store_b32 v9, v10 offset:64
	s_and_b32 exec_lo, exec_lo, s0
	s_cbranch_execz .LBB99_47
; %bb.41:
	v_cmp_gt_u32_e64 s0, 0x50, v0
	ds_store_b32 v9, v10 offset:128
	s_and_b32 exec_lo, exec_lo, s0
	s_cbranch_execz .LBB99_47
; %bb.42:
	v_mov_b32_e32 v10, 0
	v_cmp_gt_u32_e64 s0, 64, v0
	ds_store_b32 v9, v10 offset:192
	s_and_b32 exec_lo, exec_lo, s0
	s_cbranch_execz .LBB99_47
; %bb.43:
	v_cmp_gt_u32_e64 s0, 48, v0
	ds_store_b32 v9, v10 offset:256
	;; [unrolled: 11-line block ×3, first 2 shown]
	s_and_b32 exec_lo, exec_lo, s0
; %bb.46:
	v_mov_b32_e32 v10, 0
	ds_store_b32 v9, v10 offset:448
.LBB99_47:
	s_wait_alu 0xfffe
	s_or_b32 exec_lo, exec_lo, s7
	v_lshrrev_b16 v9, 4, v26
	s_min_u32 s0, s16, 4
	s_wait_alu 0xfffe
	s_lshl_b32 s0, -1, s0
	s_wait_alu 0xfffe
	s_not_b32 s0, s0
	v_and_b32_e32 v9, 15, v9
	s_delay_alu instid0(VALU_DEP_1) | instskip(SKIP_1) | instid1(VALU_DEP_1)
	v_and_b32_e32 v9, 0xffff, v9
	s_wait_alu 0xfffe
	v_and_b32_e32 v9, s0, v9
	s_delay_alu instid0(VALU_DEP_1) | instskip(SKIP_1) | instid1(VALU_DEP_2)
	v_lshlrev_b32_e32 v10, 4, v9
	v_lshrrev_b32_e32 v9, 2, v9
	v_and_or_b32 v10, 0x70, v10, v0
	s_delay_alu instid0(VALU_DEP_2) | instskip(NEXT) | instid1(VALU_DEP_1)
	v_and_b32_e32 v9, 2, v9
	v_lshl_or_b32 v27, v10, 2, v9
	v_lshrrev_b16 v9, 12, v26
	ds_load_u16 v28, v27
	v_and_b32_e32 v9, 0xffff, v9
	s_delay_alu instid0(VALU_DEP_1) | instskip(SKIP_1) | instid1(VALU_DEP_1)
	v_and_b32_e32 v9, s0, v9
	s_mov_b32 s0, 0
	v_lshlrev_b32_e32 v10, 4, v9
	v_lshrrev_b32_e32 v9, 2, v9
	s_delay_alu instid0(VALU_DEP_2) | instskip(NEXT) | instid1(VALU_DEP_2)
	v_and_or_b32 v10, 0x70, v10, v0
	v_and_b32_e32 v9, 2, v9
	s_wait_dscnt 0x0
	v_add_nc_u16 v11, v28, 1
	s_delay_alu instid0(VALU_DEP_2)
	v_lshl_or_b32 v29, v10, 2, v9
	ds_store_b16 v27, v11
	ds_load_u16 v30, v29
	s_wait_dscnt 0x0
	v_add_nc_u16 v9, v30, 1
	ds_store_b16 v29, v9
	; wave barrier
	s_wait_loadcnt_dscnt 0x0
	global_inv scope:SCOPE_SE
	ds_load_b128 v[13:16], v20
	ds_load_b128 v[9:12], v20 offset:16
	s_wait_dscnt 0x1
	v_add_nc_u32_e32 v31, v14, v13
	s_delay_alu instid0(VALU_DEP_1) | instskip(SKIP_1) | instid1(VALU_DEP_1)
	v_add3_u32 v31, v31, v15, v16
	s_wait_dscnt 0x0
	v_add3_u32 v31, v31, v9, v10
	s_delay_alu instid0(VALU_DEP_1) | instskip(NEXT) | instid1(VALU_DEP_1)
	v_add3_u32 v12, v31, v11, v12
	v_mov_b32_dpp v31, v12 row_shr:1 row_mask:0xf bank_mask:0xf
	s_delay_alu instid0(VALU_DEP_1) | instskip(NEXT) | instid1(VALU_DEP_1)
	v_cndmask_b32_e64 v31, v31, 0, vcc_lo
	v_add_nc_u32_e32 v12, v31, v12
	s_delay_alu instid0(VALU_DEP_1) | instskip(NEXT) | instid1(VALU_DEP_1)
	v_mov_b32_dpp v31, v12 row_shr:2 row_mask:0xf bank_mask:0xf
	v_cndmask_b32_e64 v31, 0, v31, s4
	s_delay_alu instid0(VALU_DEP_1) | instskip(NEXT) | instid1(VALU_DEP_1)
	v_add_nc_u32_e32 v12, v12, v31
	v_mov_b32_dpp v31, v12 row_shr:4 row_mask:0xf bank_mask:0xf
	s_delay_alu instid0(VALU_DEP_1) | instskip(NEXT) | instid1(VALU_DEP_1)
	v_cndmask_b32_e64 v31, 0, v31, s5
	v_add_nc_u32_e32 v31, v12, v31
	s_delay_alu instid0(VALU_DEP_1) | instskip(NEXT) | instid1(VALU_DEP_1)
	v_mov_b32_dpp v12, v31 row_shr:8 row_mask:0xf bank_mask:0xf
	v_cndmask_b32_e64 v32, 0, v12, s6
	v_lshrrev_b16 v12, 8, v26
	s_delay_alu instid0(VALU_DEP_2)
	v_add_nc_u32_e32 v31, v31, v32
	s_and_saveexec_b32 s4, s1
; %bb.48:
	v_mov_b32_e32 v32, 0
	ds_store_b32 v32, v31 offset:512
; %bb.49:
	s_wait_alu 0xfffe
	s_or_b32 exec_lo, exec_lo, s4
	ds_bpermute_b32 v25, v25, v31
	v_mov_b32_e32 v31, 0
	; wave barrier
	s_wait_loadcnt_dscnt 0x0
	global_inv scope:SCOPE_SE
	ds_load_b32 v31, v31 offset:512
	v_cndmask_b32_e64 v25, v25, 0, s17
	s_wait_dscnt 0x0
	s_delay_alu instid0(VALU_DEP_1) | instskip(NEXT) | instid1(VALU_DEP_1)
	v_lshl_add_u32 v31, v31, 16, v25
	v_add_nc_u32_e32 v32, v31, v13
	s_delay_alu instid0(VALU_DEP_1) | instskip(NEXT) | instid1(VALU_DEP_1)
	v_add_nc_u32_e32 v33, v32, v14
	v_add_nc_u32_e32 v34, v33, v15
	s_delay_alu instid0(VALU_DEP_1) | instskip(NEXT) | instid1(VALU_DEP_1)
	v_add_nc_u32_e32 v13, v34, v16
	;; [unrolled: 3-line block ×3, first 2 shown]
	v_add_nc_u32_e32 v16, v15, v11
	v_and_b32_e32 v11, 0xffff, v28
	ds_store_b128 v20, v[31:34]
	ds_store_b128 v20, v[13:16] offset:16
	; wave barrier
	s_wait_loadcnt_dscnt 0x0
	global_inv scope:SCOPE_SE
	ds_load_u16 v9, v27
	ds_load_u16 v10, v29
	v_and_b32_e32 v13, 0xffff, v30
	; wave barrier
	s_wait_loadcnt_dscnt 0x0
	global_inv scope:SCOPE_SE
	v_add_nc_u32_e32 v9, v9, v11
	v_add_nc_u32_e32 v10, v10, v13
	ds_store_b8 v9, v26
	ds_store_b8 v10, v12
	v_lshlrev_b32_e32 v11, 3, v9
	v_lshlrev_b32_e32 v10, 3, v10
	; wave barrier
	s_wait_loadcnt_dscnt 0x0
	global_inv scope:SCOPE_SE
	ds_load_u16 v9, v24
	; wave barrier
	s_wait_loadcnt_dscnt 0x0
	global_inv scope:SCOPE_SE
	ds_store_b64 v11, v[5:6]
	ds_store_b64 v10, v[7:8]
	; wave barrier
	s_wait_loadcnt_dscnt 0x0
	global_inv scope:SCOPE_SE
	ds_load_b128 v[5:8], v23
	s_and_b32 vcc_lo, exec_lo, s0
	s_wait_alu 0xfffe
	s_cbranch_vccnz .LBB99_51
	s_branch .LBB99_74
.LBB99_50:
                                        ; implicit-def: $vgpr7_vgpr8
                                        ; implicit-def: $vgpr9
	s_cbranch_execz .LBB99_74
.LBB99_51:
	s_getpc_b64 s[0:1]
	s_wait_alu 0xfffe
	s_sext_i32_i16 s1, s1
	s_add_co_u32 s0, s0, _ZN7rocprim17ROCPRIM_400000_NS16block_radix_sortIhLj16ELj2ElLj1ELj1ELj0ELNS0_26block_radix_rank_algorithmE1ELNS0_18block_padding_hintE2ELNS0_4arch9wavefront6targetE0EE19radix_bits_per_passE@rel32@lo+12
	s_wait_alu 0xfffe
	s_add_co_ci_u32 s1, s1, _ZN7rocprim17ROCPRIM_400000_NS16block_radix_sortIhLj16ELj2ElLj1ELj1ELj0ELNS0_26block_radix_rank_algorithmE1ELNS0_18block_padding_hintE2ELNS0_4arch9wavefront6targetE0EE19radix_bits_per_passE@rel32@hi+24
	v_mad_i32_i24 v14, 0xffffffe2, v0, v20
	s_load_b32 s16, s[0:1], 0x0
	v_cmp_gt_u32_e32 vcc_lo, 0x80, v0
	s_delay_alu instid0(VALU_DEP_2)
	v_mad_u32_u24 v13, v0, 14, v14
	s_and_saveexec_b32 s1, vcc_lo
	s_cbranch_execz .LBB99_60
; %bb.52:
	s_wait_dscnt 0x0
	s_delay_alu instid0(VALU_DEP_1)
	v_mad_i32_i24 v5, v0, -12, v13
	v_mov_b32_e32 v6, 0
	v_cmp_gt_u32_e64 s0, 0x70, v0
	ds_store_b32 v5, v6
	s_and_b32 exec_lo, exec_lo, s0
	s_cbranch_execz .LBB99_60
; %bb.53:
	v_mul_i32_i24_e32 v5, -12, v0
	v_cmp_gt_u32_e64 s0, 0x60, v0
	s_delay_alu instid0(VALU_DEP_2)
	v_add_nc_u32_e32 v5, v13, v5
	ds_store_b32 v5, v6 offset:64
	s_and_b32 exec_lo, exec_lo, s0
	s_cbranch_execz .LBB99_60
; %bb.54:
	v_mov_b32_e32 v6, 0
	v_cmp_gt_u32_e64 s0, 0x50, v0
	ds_store_b32 v5, v6 offset:128
	s_and_b32 exec_lo, exec_lo, s0
	s_cbranch_execz .LBB99_60
; %bb.55:
	v_cmp_gt_u32_e64 s0, 64, v0
	ds_store_b32 v5, v6 offset:192
	s_and_b32 exec_lo, exec_lo, s0
	s_cbranch_execz .LBB99_60
; %bb.56:
	v_mov_b32_e32 v6, 0
	v_cmp_gt_u32_e64 s0, 48, v0
	ds_store_b32 v5, v6 offset:256
	s_and_b32 exec_lo, exec_lo, s0
	s_cbranch_execz .LBB99_60
; %bb.57:
	v_cmp_gt_u32_e64 s0, 32, v0
	ds_store_b32 v5, v6 offset:320
	s_and_b32 exec_lo, exec_lo, s0
	s_cbranch_execz .LBB99_60
; %bb.58:
	v_mov_b32_e32 v6, 0
	v_cmp_gt_u32_e64 s0, 16, v0
	ds_store_b32 v5, v6 offset:384
	s_and_b32 exec_lo, exec_lo, s0
; %bb.59:
	ds_store_b32 v5, v6 offset:448
.LBB99_60:
	s_wait_alu 0xfffe
	s_or_b32 exec_lo, exec_lo, s1
	s_wait_kmcnt 0x0
	s_min_u32 s0, s16, 8
	v_xor_b32_e32 v16, -1, v21
	s_wait_alu 0xfffe
	s_lshl_b32 s0, -1, s0
	v_xor_b32_e32 v21, -1, v22
	s_wait_alu 0xfffe
	s_not_b32 s0, s0
	v_cmp_eq_u32_e64 s4, 15, v0
	s_wait_dscnt 0x0
	s_wait_alu 0xfffe
	v_and_b32_e32 v5, s0, v16
	s_delay_alu instid0(VALU_DEP_1) | instskip(SKIP_1) | instid1(VALU_DEP_2)
	v_lshlrev_b32_e32 v6, 4, v5
	v_lshrrev_b32_e32 v5, 2, v5
	v_and_or_b32 v6, 0x70, v6, v0
	s_delay_alu instid0(VALU_DEP_2) | instskip(NEXT) | instid1(VALU_DEP_1)
	v_and_b32_e32 v5, 62, v5
	v_lshl_add_u32 v24, v6, 2, v5
	v_and_b32_e32 v5, s0, v21
	ds_load_u16 v23, v24
	v_lshlrev_b32_e32 v6, 4, v5
	v_lshrrev_b32_e32 v5, 2, v5
	s_delay_alu instid0(VALU_DEP_2) | instskip(NEXT) | instid1(VALU_DEP_2)
	v_and_or_b32 v6, 0x70, v6, v0
	v_and_b32_e32 v5, 62, v5
	s_delay_alu instid0(VALU_DEP_1)
	v_lshl_add_u32 v22, v6, 2, v5
	s_wait_dscnt 0x0
	v_add_nc_u16 v7, v23, 1
	ds_store_b16 v24, v7
	ds_load_u16 v25, v22
	s_wait_dscnt 0x0
	v_add_nc_u16 v5, v25, 1
	ds_store_b16 v22, v5
	; wave barrier
	s_wait_loadcnt_dscnt 0x0
	global_inv scope:SCOPE_SE
	ds_load_b128 v[9:12], v20
	ds_load_b128 v[5:8], v20 offset:16
	s_wait_dscnt 0x1
	v_add_nc_u32_e32 v15, v10, v9
	s_delay_alu instid0(VALU_DEP_1) | instskip(SKIP_1) | instid1(VALU_DEP_1)
	v_add3_u32 v15, v15, v11, v12
	s_wait_dscnt 0x0
	v_add3_u32 v26, v15, v5, v6
	v_mbcnt_lo_u32_b32 v15, -1, 0
	s_delay_alu instid0(VALU_DEP_2) | instskip(NEXT) | instid1(VALU_DEP_2)
	v_add3_u32 v8, v26, v7, v8
	v_and_b32_e32 v26, 15, v15
	s_delay_alu instid0(VALU_DEP_2) | instskip(NEXT) | instid1(VALU_DEP_2)
	v_mov_b32_dpp v27, v8 row_shr:1 row_mask:0xf bank_mask:0xf
	v_cmp_eq_u32_e64 s0, 0, v26
	v_cmp_lt_u32_e64 s1, 1, v26
	v_cmp_lt_u32_e64 s5, 3, v26
	;; [unrolled: 1-line block ×3, first 2 shown]
	s_wait_alu 0xf1ff
	v_cndmask_b32_e64 v27, v27, 0, s0
	s_delay_alu instid0(VALU_DEP_1) | instskip(NEXT) | instid1(VALU_DEP_1)
	v_add_nc_u32_e32 v8, v27, v8
	v_mov_b32_dpp v27, v8 row_shr:2 row_mask:0xf bank_mask:0xf
	s_delay_alu instid0(VALU_DEP_1) | instskip(NEXT) | instid1(VALU_DEP_1)
	v_cndmask_b32_e64 v27, 0, v27, s1
	v_add_nc_u32_e32 v8, v8, v27
	s_delay_alu instid0(VALU_DEP_1) | instskip(NEXT) | instid1(VALU_DEP_1)
	v_mov_b32_dpp v27, v8 row_shr:4 row_mask:0xf bank_mask:0xf
	v_cndmask_b32_e64 v27, 0, v27, s5
	s_delay_alu instid0(VALU_DEP_1) | instskip(NEXT) | instid1(VALU_DEP_1)
	v_add_nc_u32_e32 v8, v8, v27
	v_mov_b32_dpp v27, v8 row_shr:8 row_mask:0xf bank_mask:0xf
	s_delay_alu instid0(VALU_DEP_1) | instskip(NEXT) | instid1(VALU_DEP_1)
	v_cndmask_b32_e64 v26, 0, v27, s6
	v_add_nc_u32_e32 v26, v8, v26
	s_and_saveexec_b32 s7, s4
; %bb.61:
	v_mov_b32_e32 v8, 0
	ds_store_b32 v8, v26 offset:512
; %bb.62:
	s_wait_alu 0xfffe
	s_or_b32 exec_lo, exec_lo, s7
	v_sub_co_u32 v8, s17, v15, 1
	v_and_b32_e32 v27, 16, v15
	; wave barrier
	s_wait_loadcnt_dscnt 0x0
	global_inv scope:SCOPE_SE
	v_cmp_lt_i32_e64 s7, v8, v27
	s_wait_alu 0xf1ff
	s_delay_alu instid0(VALU_DEP_1) | instskip(NEXT) | instid1(VALU_DEP_1)
	v_cndmask_b32_e64 v8, v8, v15, s7
	v_dual_mov_b32 v8, 0 :: v_dual_lshlrev_b32 v15, 2, v8
	ds_bpermute_b32 v26, v15, v26
	ds_load_b32 v27, v8 offset:512
	s_wait_dscnt 0x1
	v_cndmask_b32_e64 v26, v26, 0, s17
	s_wait_dscnt 0x0
	s_delay_alu instid0(VALU_DEP_1) | instskip(NEXT) | instid1(VALU_DEP_1)
	v_lshl_add_u32 v26, v27, 16, v26
	v_add_nc_u32_e32 v27, v26, v9
	s_delay_alu instid0(VALU_DEP_1) | instskip(NEXT) | instid1(VALU_DEP_1)
	v_add_nc_u32_e32 v28, v27, v10
	v_add_nc_u32_e32 v29, v28, v11
	s_delay_alu instid0(VALU_DEP_1) | instskip(NEXT) | instid1(VALU_DEP_1)
	v_add_nc_u32_e32 v9, v29, v12
	;; [unrolled: 3-line block ×3, first 2 shown]
	v_add_nc_u32_e32 v12, v11, v7
	v_and_b32_e32 v7, 0xffff, v23
	ds_store_b128 v20, v[26:29]
	ds_store_b128 v20, v[9:12] offset:16
	; wave barrier
	s_wait_loadcnt_dscnt 0x0
	global_inv scope:SCOPE_SE
	ds_load_u16 v5, v24
	ds_load_u16 v6, v22
	v_and_b32_e32 v9, 0xffff, v25
	; wave barrier
	s_wait_loadcnt_dscnt 0x0
	global_inv scope:SCOPE_SE
	v_add_nc_u32_e32 v5, v5, v7
	v_add_nc_u32_e32 v6, v6, v9
	ds_store_b8 v5, v16
	ds_store_b8 v6, v21
	v_lshlrev_b32_e32 v5, 3, v5
	v_lshlrev_b32_e32 v6, 3, v6
	; wave barrier
	s_wait_loadcnt_dscnt 0x0
	global_inv scope:SCOPE_SE
	ds_load_u16 v16, v14
	; wave barrier
	s_wait_loadcnt_dscnt 0x0
	global_inv scope:SCOPE_SE
	ds_store_b64 v5, v[1:2]
	ds_store_b64 v6, v[3:4]
	; wave barrier
	s_wait_loadcnt_dscnt 0x0
	global_inv scope:SCOPE_SE
	ds_load_b128 v[1:4], v13
	; wave barrier
	s_wait_loadcnt_dscnt 0x0
	global_inv scope:SCOPE_SE
	s_and_saveexec_b32 s7, vcc_lo
	s_cbranch_execz .LBB99_71
; %bb.63:
	v_lshlrev_b32_e32 v5, 2, v0
	v_cmp_gt_u32_e32 vcc_lo, 0x70, v0
	ds_store_b32 v5, v8
	s_and_b32 exec_lo, exec_lo, vcc_lo
	s_cbranch_execz .LBB99_71
; %bb.64:
	v_mov_b32_e32 v6, 0
	v_cmp_gt_u32_e32 vcc_lo, 0x60, v0
	ds_store_b32 v5, v6 offset:64
	s_and_b32 exec_lo, exec_lo, vcc_lo
	s_cbranch_execz .LBB99_71
; %bb.65:
	v_cmp_gt_u32_e32 vcc_lo, 0x50, v0
	ds_store_b32 v5, v6 offset:128
	s_and_b32 exec_lo, exec_lo, vcc_lo
	s_cbranch_execz .LBB99_71
; %bb.66:
	v_mov_b32_e32 v6, 0
	v_cmp_gt_u32_e32 vcc_lo, 64, v0
	ds_store_b32 v5, v6 offset:192
	s_and_b32 exec_lo, exec_lo, vcc_lo
	s_cbranch_execz .LBB99_71
; %bb.67:
	v_cmp_gt_u32_e32 vcc_lo, 48, v0
	ds_store_b32 v5, v6 offset:256
	;; [unrolled: 11-line block ×3, first 2 shown]
	s_and_b32 exec_lo, exec_lo, vcc_lo
; %bb.70:
	v_mov_b32_e32 v6, 0
	ds_store_b32 v5, v6 offset:448
.LBB99_71:
	s_wait_alu 0xfffe
	s_or_b32 exec_lo, exec_lo, s7
	v_lshrrev_b16 v5, 4, v16
	s_min_u32 s7, s16, 4
	s_wait_alu 0xfffe
	s_lshl_b32 s7, -1, s7
	s_wait_alu 0xfffe
	s_not_b32 s7, s7
	v_and_b32_e32 v5, 15, v5
	s_delay_alu instid0(VALU_DEP_1) | instskip(SKIP_1) | instid1(VALU_DEP_1)
	v_and_b32_e32 v5, 0xffff, v5
	s_wait_alu 0xfffe
	v_and_b32_e32 v5, s7, v5
	s_delay_alu instid0(VALU_DEP_1) | instskip(SKIP_1) | instid1(VALU_DEP_2)
	v_lshlrev_b32_e32 v6, 4, v5
	v_lshrrev_b32_e32 v5, 2, v5
	v_and_or_b32 v6, 0x70, v6, v0
	s_delay_alu instid0(VALU_DEP_2) | instskip(NEXT) | instid1(VALU_DEP_1)
	v_and_b32_e32 v5, 2, v5
	v_lshl_or_b32 v21, v6, 2, v5
	v_lshrrev_b16 v5, 12, v16
	ds_load_u16 v22, v21
	v_and_b32_e32 v5, 0xffff, v5
	s_delay_alu instid0(VALU_DEP_1) | instskip(NEXT) | instid1(VALU_DEP_1)
	v_and_b32_e32 v5, s7, v5
	v_lshlrev_b32_e32 v6, 4, v5
	v_lshrrev_b32_e32 v5, 2, v5
	s_delay_alu instid0(VALU_DEP_2) | instskip(NEXT) | instid1(VALU_DEP_2)
	v_and_or_b32 v6, 0x70, v6, v0
	v_and_b32_e32 v5, 2, v5
	s_wait_dscnt 0x0
	v_add_nc_u16 v7, v22, 1
	s_delay_alu instid0(VALU_DEP_2)
	v_lshl_or_b32 v23, v6, 2, v5
	ds_store_b16 v21, v7
	ds_load_u16 v24, v23
	s_wait_dscnt 0x0
	v_add_nc_u16 v5, v24, 1
	ds_store_b16 v23, v5
	; wave barrier
	s_wait_loadcnt_dscnt 0x0
	global_inv scope:SCOPE_SE
	ds_load_b128 v[9:12], v20
	ds_load_b128 v[5:8], v20 offset:16
	s_wait_dscnt 0x1
	v_add_nc_u32_e32 v25, v10, v9
	s_delay_alu instid0(VALU_DEP_1) | instskip(SKIP_1) | instid1(VALU_DEP_1)
	v_add3_u32 v25, v25, v11, v12
	s_wait_dscnt 0x0
	v_add3_u32 v25, v25, v5, v6
	s_delay_alu instid0(VALU_DEP_1) | instskip(NEXT) | instid1(VALU_DEP_1)
	v_add3_u32 v8, v25, v7, v8
	v_mov_b32_dpp v25, v8 row_shr:1 row_mask:0xf bank_mask:0xf
	s_delay_alu instid0(VALU_DEP_1) | instskip(NEXT) | instid1(VALU_DEP_1)
	v_cndmask_b32_e64 v25, v25, 0, s0
	v_add_nc_u32_e32 v8, v25, v8
	s_delay_alu instid0(VALU_DEP_1) | instskip(NEXT) | instid1(VALU_DEP_1)
	v_mov_b32_dpp v25, v8 row_shr:2 row_mask:0xf bank_mask:0xf
	v_cndmask_b32_e64 v25, 0, v25, s1
	s_delay_alu instid0(VALU_DEP_1) | instskip(NEXT) | instid1(VALU_DEP_1)
	v_add_nc_u32_e32 v8, v8, v25
	v_mov_b32_dpp v25, v8 row_shr:4 row_mask:0xf bank_mask:0xf
	s_delay_alu instid0(VALU_DEP_1) | instskip(NEXT) | instid1(VALU_DEP_1)
	v_cndmask_b32_e64 v25, 0, v25, s5
	v_add_nc_u32_e32 v25, v8, v25
	s_delay_alu instid0(VALU_DEP_1) | instskip(NEXT) | instid1(VALU_DEP_1)
	v_mov_b32_dpp v8, v25 row_shr:8 row_mask:0xf bank_mask:0xf
	v_cndmask_b32_e64 v26, 0, v8, s6
	v_lshrrev_b16 v8, 8, v16
	s_delay_alu instid0(VALU_DEP_2)
	v_add_nc_u32_e32 v25, v25, v26
	s_and_saveexec_b32 s0, s4
; %bb.72:
	v_mov_b32_e32 v26, 0
	ds_store_b32 v26, v25 offset:512
; %bb.73:
	s_wait_alu 0xfffe
	s_or_b32 exec_lo, exec_lo, s0
	ds_bpermute_b32 v15, v15, v25
	v_mov_b32_e32 v25, 0
	; wave barrier
	s_wait_loadcnt_dscnt 0x0
	global_inv scope:SCOPE_SE
	ds_load_b32 v25, v25 offset:512
	v_cndmask_b32_e64 v15, v15, 0, s17
	s_wait_dscnt 0x0
	s_delay_alu instid0(VALU_DEP_1) | instskip(NEXT) | instid1(VALU_DEP_1)
	v_lshl_add_u32 v25, v25, 16, v15
	v_add_nc_u32_e32 v26, v25, v9
	s_delay_alu instid0(VALU_DEP_1) | instskip(NEXT) | instid1(VALU_DEP_1)
	v_add_nc_u32_e32 v27, v26, v10
	v_add_nc_u32_e32 v28, v27, v11
	s_delay_alu instid0(VALU_DEP_1) | instskip(NEXT) | instid1(VALU_DEP_1)
	v_add_nc_u32_e32 v9, v28, v12
	v_add_nc_u32_e32 v10, v9, v5
	s_delay_alu instid0(VALU_DEP_1) | instskip(NEXT) | instid1(VALU_DEP_1)
	v_add_nc_u32_e32 v11, v10, v6
	v_add_nc_u32_e32 v12, v11, v7
	v_and_b32_e32 v7, 0xffff, v22
	ds_store_b128 v20, v[25:28]
	ds_store_b128 v20, v[9:12] offset:16
	; wave barrier
	s_wait_loadcnt_dscnt 0x0
	global_inv scope:SCOPE_SE
	ds_load_u16 v5, v21
	ds_load_u16 v6, v23
	v_and_b32_e32 v9, 0xffff, v24
	; wave barrier
	s_wait_loadcnt_dscnt 0x0
	global_inv scope:SCOPE_SE
	v_add_nc_u32_e32 v5, v5, v7
	v_add_nc_u32_e32 v6, v6, v9
	ds_store_b8 v5, v16
	ds_store_b8 v6, v8
	; wave barrier
	s_wait_loadcnt_dscnt 0x0
	global_inv scope:SCOPE_SE
	ds_load_u16 v9, v14
	v_lshlrev_b32_e32 v5, 3, v5
	v_lshlrev_b32_e32 v6, 3, v6
	; wave barrier
	s_wait_loadcnt_dscnt 0x0
	global_inv scope:SCOPE_SE
	ds_store_b64 v5, v[1:2]
	ds_store_b64 v6, v[3:4]
	; wave barrier
	s_wait_loadcnt_dscnt 0x0
	global_inv scope:SCOPE_SE
	ds_load_b128 v[5:8], v13
	v_xor_b32_e32 v1, -1, v9
	s_delay_alu instid0(VALU_DEP_1)
	v_and_b32_e32 v9, 0xffff, v1
.LBB99_74:
	v_mad_co_u64_u32 v[1:2], null, s8, v0, s[12:13]
	; wave barrier
	s_wait_loadcnt_dscnt 0x0
	global_inv scope:SCOPE_SE
	ds_store_b16 v17, v9
	; wave barrier
	s_wait_loadcnt_dscnt 0x0
	global_inv scope:SCOPE_SE
	ds_load_u8 v9, v0 offset:16
	v_mad_co_u64_u32 v[3:4], null, s9, v0, v[2:3]
	s_delay_alu instid0(VALU_DEP_1)
	v_mov_b32_e32 v2, v3
	s_and_saveexec_b32 s0, s2
	s_cbranch_execz .LBB99_76
; %bb.75:
	ds_load_u8 v4, v0
	s_wait_dscnt 0x0
	global_store_b8 v[1:2], v4, off
.LBB99_76:
	s_wait_alu 0xfffe
	s_or_b32 exec_lo, exec_lo, s0
	s_and_saveexec_b32 s0, s3
	s_cbranch_execz .LBB99_78
; %bb.77:
	s_lshl_b64 s[4:5], s[8:9], 4
	s_wait_alu 0xfffe
	v_add_co_u32 v1, vcc_lo, v1, s4
	s_wait_alu 0xfffd
	v_add_co_ci_u32_e64 v2, null, s5, v3, vcc_lo
	s_wait_dscnt 0x0
	global_store_b8 v[1:2], v9, off
.LBB99_78:
	s_wait_alu 0xfffe
	s_or_b32 exec_lo, exec_lo, s0
	v_mad_co_u64_u32 v[2:3], null, s10, v0, 0
	s_wait_storecnt 0x0
	; wave barrier
	s_wait_loadcnt_dscnt 0x0
	global_inv scope:SCOPE_SE
	ds_store_2addr_b64 v19, v[5:6], v[7:8] offset1:1
	; wave barrier
	s_wait_loadcnt_dscnt 0x0
	global_inv scope:SCOPE_SE
	v_mov_b32_e32 v1, v3
	s_delay_alu instid0(VALU_DEP_1) | instskip(SKIP_2) | instid1(VALU_DEP_1)
	v_mad_co_u64_u32 v[3:4], null, s11, v0, v[1:2]
	ds_load_b64 v[0:1], v18 offset:128
	v_lshlrev_b64_e32 v[2:3], 3, v[2:3]
	v_add_co_u32 v2, vcc_lo, s14, v2
	s_wait_alu 0xfffd
	s_delay_alu instid0(VALU_DEP_2)
	v_add_co_ci_u32_e64 v3, null, s15, v3, vcc_lo
	s_and_saveexec_b32 s0, s2
	s_cbranch_execz .LBB99_80
; %bb.79:
	ds_load_b64 v[4:5], v18
	s_wait_dscnt 0x0
	global_store_b64 v[2:3], v[4:5], off
.LBB99_80:
	s_wait_alu 0xfffe
	s_or_b32 exec_lo, exec_lo, s0
	s_and_saveexec_b32 s0, s3
	s_cbranch_execz .LBB99_82
; %bb.81:
	s_lshl_b64 s[0:1], s[10:11], 7
	s_wait_alu 0xfffe
	v_add_co_u32 v2, vcc_lo, v2, s0
	s_wait_alu 0xfffd
	v_add_co_ci_u32_e64 v3, null, s1, v3, vcc_lo
	s_wait_dscnt 0x0
	global_store_b64 v[2:3], v[0:1], off
.LBB99_82:
	s_endpgm
	.section	.rodata,"a",@progbits
	.p2align	6, 0x0
	.amdhsa_kernel _ZN2at6native18radixSortKVInPlaceILin1ELin1ELi16ELi2EhlmEEvNS_4cuda6detail10TensorInfoIT3_T5_EES6_S6_S6_NS4_IT4_S6_EES6_b
		.amdhsa_group_segment_fixed_size 528
		.amdhsa_private_segment_fixed_size 0
		.amdhsa_kernarg_size 1128
		.amdhsa_user_sgpr_count 2
		.amdhsa_user_sgpr_dispatch_ptr 0
		.amdhsa_user_sgpr_queue_ptr 0
		.amdhsa_user_sgpr_kernarg_segment_ptr 1
		.amdhsa_user_sgpr_dispatch_id 0
		.amdhsa_user_sgpr_private_segment_size 0
		.amdhsa_wavefront_size32 1
		.amdhsa_uses_dynamic_stack 0
		.amdhsa_enable_private_segment 0
		.amdhsa_system_sgpr_workgroup_id_x 1
		.amdhsa_system_sgpr_workgroup_id_y 1
		.amdhsa_system_sgpr_workgroup_id_z 1
		.amdhsa_system_sgpr_workgroup_info 0
		.amdhsa_system_vgpr_workitem_id 0
		.amdhsa_next_free_vgpr 35
		.amdhsa_next_free_sgpr 34
		.amdhsa_reserve_vcc 1
		.amdhsa_float_round_mode_32 0
		.amdhsa_float_round_mode_16_64 0
		.amdhsa_float_denorm_mode_32 3
		.amdhsa_float_denorm_mode_16_64 3
		.amdhsa_fp16_overflow 0
		.amdhsa_workgroup_processor_mode 1
		.amdhsa_memory_ordered 1
		.amdhsa_forward_progress 1
		.amdhsa_inst_pref_size 53
		.amdhsa_round_robin_scheduling 0
		.amdhsa_exception_fp_ieee_invalid_op 0
		.amdhsa_exception_fp_denorm_src 0
		.amdhsa_exception_fp_ieee_div_zero 0
		.amdhsa_exception_fp_ieee_overflow 0
		.amdhsa_exception_fp_ieee_underflow 0
		.amdhsa_exception_fp_ieee_inexact 0
		.amdhsa_exception_int_div_zero 0
	.end_amdhsa_kernel
	.section	.text._ZN2at6native18radixSortKVInPlaceILin1ELin1ELi16ELi2EhlmEEvNS_4cuda6detail10TensorInfoIT3_T5_EES6_S6_S6_NS4_IT4_S6_EES6_b,"axG",@progbits,_ZN2at6native18radixSortKVInPlaceILin1ELin1ELi16ELi2EhlmEEvNS_4cuda6detail10TensorInfoIT3_T5_EES6_S6_S6_NS4_IT4_S6_EES6_b,comdat
.Lfunc_end99:
	.size	_ZN2at6native18radixSortKVInPlaceILin1ELin1ELi16ELi2EhlmEEvNS_4cuda6detail10TensorInfoIT3_T5_EES6_S6_S6_NS4_IT4_S6_EES6_b, .Lfunc_end99-_ZN2at6native18radixSortKVInPlaceILin1ELin1ELi16ELi2EhlmEEvNS_4cuda6detail10TensorInfoIT3_T5_EES6_S6_S6_NS4_IT4_S6_EES6_b
                                        ; -- End function
	.set _ZN2at6native18radixSortKVInPlaceILin1ELin1ELi16ELi2EhlmEEvNS_4cuda6detail10TensorInfoIT3_T5_EES6_S6_S6_NS4_IT4_S6_EES6_b.num_vgpr, 35
	.set _ZN2at6native18radixSortKVInPlaceILin1ELin1ELi16ELi2EhlmEEvNS_4cuda6detail10TensorInfoIT3_T5_EES6_S6_S6_NS4_IT4_S6_EES6_b.num_agpr, 0
	.set _ZN2at6native18radixSortKVInPlaceILin1ELin1ELi16ELi2EhlmEEvNS_4cuda6detail10TensorInfoIT3_T5_EES6_S6_S6_NS4_IT4_S6_EES6_b.numbered_sgpr, 34
	.set _ZN2at6native18radixSortKVInPlaceILin1ELin1ELi16ELi2EhlmEEvNS_4cuda6detail10TensorInfoIT3_T5_EES6_S6_S6_NS4_IT4_S6_EES6_b.num_named_barrier, 0
	.set _ZN2at6native18radixSortKVInPlaceILin1ELin1ELi16ELi2EhlmEEvNS_4cuda6detail10TensorInfoIT3_T5_EES6_S6_S6_NS4_IT4_S6_EES6_b.private_seg_size, 0
	.set _ZN2at6native18radixSortKVInPlaceILin1ELin1ELi16ELi2EhlmEEvNS_4cuda6detail10TensorInfoIT3_T5_EES6_S6_S6_NS4_IT4_S6_EES6_b.uses_vcc, 1
	.set _ZN2at6native18radixSortKVInPlaceILin1ELin1ELi16ELi2EhlmEEvNS_4cuda6detail10TensorInfoIT3_T5_EES6_S6_S6_NS4_IT4_S6_EES6_b.uses_flat_scratch, 0
	.set _ZN2at6native18radixSortKVInPlaceILin1ELin1ELi16ELi2EhlmEEvNS_4cuda6detail10TensorInfoIT3_T5_EES6_S6_S6_NS4_IT4_S6_EES6_b.has_dyn_sized_stack, 0
	.set _ZN2at6native18radixSortKVInPlaceILin1ELin1ELi16ELi2EhlmEEvNS_4cuda6detail10TensorInfoIT3_T5_EES6_S6_S6_NS4_IT4_S6_EES6_b.has_recursion, 0
	.set _ZN2at6native18radixSortKVInPlaceILin1ELin1ELi16ELi2EhlmEEvNS_4cuda6detail10TensorInfoIT3_T5_EES6_S6_S6_NS4_IT4_S6_EES6_b.has_indirect_call, 0
	.section	.AMDGPU.csdata,"",@progbits
; Kernel info:
; codeLenInByte = 6780
; TotalNumSgprs: 36
; NumVgprs: 35
; ScratchSize: 0
; MemoryBound: 0
; FloatMode: 240
; IeeeMode: 1
; LDSByteSize: 528 bytes/workgroup (compile time only)
; SGPRBlocks: 0
; VGPRBlocks: 4
; NumSGPRsForWavesPerEU: 36
; NumVGPRsForWavesPerEU: 35
; Occupancy: 16
; WaveLimiterHint : 1
; COMPUTE_PGM_RSRC2:SCRATCH_EN: 0
; COMPUTE_PGM_RSRC2:USER_SGPR: 2
; COMPUTE_PGM_RSRC2:TRAP_HANDLER: 0
; COMPUTE_PGM_RSRC2:TGID_X_EN: 1
; COMPUTE_PGM_RSRC2:TGID_Y_EN: 1
; COMPUTE_PGM_RSRC2:TGID_Z_EN: 1
; COMPUTE_PGM_RSRC2:TIDIG_COMP_CNT: 0
	.section	.text._ZN2at6native18radixSortKVInPlaceILin2ELin1ELi512ELi8EaljEEvNS_4cuda6detail10TensorInfoIT3_T5_EES6_S6_S6_NS4_IT4_S6_EES6_b,"axG",@progbits,_ZN2at6native18radixSortKVInPlaceILin2ELin1ELi512ELi8EaljEEvNS_4cuda6detail10TensorInfoIT3_T5_EES6_S6_S6_NS4_IT4_S6_EES6_b,comdat
	.protected	_ZN2at6native18radixSortKVInPlaceILin2ELin1ELi512ELi8EaljEEvNS_4cuda6detail10TensorInfoIT3_T5_EES6_S6_S6_NS4_IT4_S6_EES6_b ; -- Begin function _ZN2at6native18radixSortKVInPlaceILin2ELin1ELi512ELi8EaljEEvNS_4cuda6detail10TensorInfoIT3_T5_EES6_S6_S6_NS4_IT4_S6_EES6_b
	.globl	_ZN2at6native18radixSortKVInPlaceILin2ELin1ELi512ELi8EaljEEvNS_4cuda6detail10TensorInfoIT3_T5_EES6_S6_S6_NS4_IT4_S6_EES6_b
	.p2align	8
	.type	_ZN2at6native18radixSortKVInPlaceILin2ELin1ELi512ELi8EaljEEvNS_4cuda6detail10TensorInfoIT3_T5_EES6_S6_S6_NS4_IT4_S6_EES6_b,@function
_ZN2at6native18radixSortKVInPlaceILin2ELin1ELi512ELi8EaljEEvNS_4cuda6detail10TensorInfoIT3_T5_EES6_S6_S6_NS4_IT4_S6_EES6_b: ; @_ZN2at6native18radixSortKVInPlaceILin2ELin1ELi512ELi8EaljEEvNS_4cuda6detail10TensorInfoIT3_T5_EES6_S6_S6_NS4_IT4_S6_EES6_b
; %bb.0:
	s_clause 0x1
	s_load_b64 s[2:3], s[0:1], 0x1c8
	s_load_b96 s[12:14], s[0:1], 0xd8
	s_lshr_b32 s4, ttmp7, 16
	s_wait_kmcnt 0x0
	s_mul_i32 s3, s3, s4
	s_and_b32 s4, ttmp7, 0xffff
	s_delay_alu instid0(SALU_CYCLE_1) | instskip(NEXT) | instid1(SALU_CYCLE_1)
	s_add_co_i32 s3, s3, s4
	s_mul_i32 s4, s3, s2
	s_delay_alu instid0(SALU_CYCLE_1) | instskip(NEXT) | instid1(SALU_CYCLE_1)
	s_add_co_i32 s4, s4, ttmp9
	s_cmp_ge_u32 s4, s12
	s_cbranch_scc1 .LBB100_102
; %bb.1:
	s_load_b32 s2, s[0:1], 0x1b8
	s_add_nc_u64 s[10:11], s[0:1], 0xe8
	s_mov_b32 s9, 0
	s_mov_b32 s12, s4
	s_wait_kmcnt 0x0
	s_cmp_lt_i32 s2, 2
	s_cbranch_scc1 .LBB100_4
; %bb.2:
	s_add_co_i32 s8, s2, -1
	s_add_co_i32 s5, s2, 1
	s_lshl_b64 s[6:7], s[8:9], 2
	s_mov_b32 s12, s4
	s_add_nc_u64 s[6:7], s[10:11], s[6:7]
	s_delay_alu instid0(SALU_CYCLE_1)
	s_add_nc_u64 s[2:3], s[6:7], 8
.LBB100_3:                              ; =>This Inner Loop Header: Depth=1
	s_clause 0x1
	s_load_b32 s6, s[2:3], 0x0
	s_load_b32 s7, s[2:3], 0x64
	s_mov_b32 s16, s12
	s_add_nc_u64 s[2:3], s[2:3], -4
	s_wait_kmcnt 0x0
	s_cvt_f32_u32 s8, s6
	s_sub_co_i32 s15, 0, s6
	s_wait_alu 0xfffe
	s_delay_alu instid0(SALU_CYCLE_1) | instskip(NEXT) | instid1(TRANS32_DEP_1)
	v_rcp_iflag_f32_e32 v1, s8
	v_readfirstlane_b32 s8, v1
	s_mul_f32 s8, s8, 0x4f7ffffe
	s_wait_alu 0xfffe
	s_delay_alu instid0(SALU_CYCLE_2) | instskip(SKIP_1) | instid1(SALU_CYCLE_2)
	s_cvt_u32_f32 s8, s8
	s_wait_alu 0xfffe
	s_mul_i32 s15, s15, s8
	s_delay_alu instid0(SALU_CYCLE_1) | instskip(NEXT) | instid1(SALU_CYCLE_1)
	s_mul_hi_u32 s15, s8, s15
	s_add_co_i32 s8, s8, s15
	s_wait_alu 0xfffe
	s_mul_hi_u32 s8, s12, s8
	s_wait_alu 0xfffe
	s_mul_i32 s12, s8, s6
	s_add_co_i32 s15, s8, 1
	s_sub_co_i32 s12, s16, s12
	s_delay_alu instid0(SALU_CYCLE_1)
	s_sub_co_i32 s17, s12, s6
	s_cmp_ge_u32 s12, s6
	s_cselect_b32 s8, s15, s8
	s_cselect_b32 s12, s17, s12
	s_wait_alu 0xfffe
	s_add_co_i32 s15, s8, 1
	s_cmp_ge_u32 s12, s6
	s_cselect_b32 s12, s15, s8
	s_add_co_i32 s5, s5, -1
	s_mul_i32 s6, s12, s6
	s_delay_alu instid0(SALU_CYCLE_1) | instskip(NEXT) | instid1(SALU_CYCLE_1)
	s_sub_co_i32 s6, s16, s6
	s_mul_i32 s6, s7, s6
	s_delay_alu instid0(SALU_CYCLE_1)
	s_add_co_i32 s9, s6, s9
	s_cmp_gt_u32 s5, 2
	s_cbranch_scc1 .LBB100_3
.LBB100_4:
	s_clause 0x2
	s_load_b64 s[16:17], s[0:1], 0x1c0
	s_load_b64 s[2:3], s[0:1], 0x0
	s_load_b32 s5, s[0:1], 0x6c
	s_add_nc_u64 s[20:21], s[0:1], 0x1c8
	s_movk_i32 s1, 0x8000
	s_movk_i32 s6, 0x80
	s_mov_b32 s0, 0xff80
	s_wait_kmcnt 0x0
	s_bitcmp1_b32 s17, 0
	s_cselect_b32 s8, -1, 0
	s_wait_alu 0xfffe
	s_and_b32 s7, s8, exec_lo
	s_cselect_b32 s1, s1, 0x7f00
	s_cselect_b32 s6, s6, 0x7f
	;; [unrolled: 1-line block ×3, first 2 shown]
	s_or_b32 s0, s6, s1
	s_mul_i32 s6, s5, s4
	s_and_b32 s1, s0, 0xffff
	s_lshl_b32 s0, s0, 16
	v_mov_b32_e32 v3, s7
	s_or_b32 s4, s1, s0
	s_mov_b32 s7, 0
	s_mov_b32 s5, s4
	v_dual_mov_b32 v1, s4 :: v_dual_and_b32 v44, 0x3ff, v0
	v_mov_b32_e32 v2, s5
	s_wait_alu 0xfffe
	s_add_nc_u64 s[18:19], s[2:3], s[6:7]
	s_delay_alu instid0(VALU_DEP_2)
	v_mul_lo_u32 v47, s14, v44
	v_cmp_gt_u32_e64 s0, s13, v44
	s_and_saveexec_b32 s1, s0
	s_cbranch_execz .LBB100_6
; %bb.5:
	global_load_u8 v3, v47, s[18:19]
	v_mov_b32_e32 v2, s4
	s_wait_loadcnt 0x0
	v_perm_b32 v1, v3, s4, 0x3020104
.LBB100_6:
	s_or_b32 exec_lo, exec_lo, s1
	v_add_nc_u32_e32 v29, 0x200, v44
	s_delay_alu instid0(VALU_DEP_1)
	v_cmp_gt_u32_e64 s1, s13, v29
	s_and_saveexec_b32 s2, s1
	s_cbranch_execz .LBB100_8
; %bb.7:
	v_mul_lo_u32 v4, s14, v29
	global_load_u8 v4, v4, s[18:19]
	s_wait_loadcnt 0x0
	v_perm_b32 v1, v1, v4, 0x7060004
.LBB100_8:
	s_or_b32 exec_lo, exec_lo, s2
	v_or_b32_e32 v28, 0x400, v44
	s_delay_alu instid0(VALU_DEP_1)
	v_cmp_gt_u32_e64 s2, s13, v28
	s_and_saveexec_b32 s3, s2
	s_cbranch_execz .LBB100_10
; %bb.9:
	v_mul_lo_u32 v4, s14, v28
	global_load_u8 v4, v4, s[18:19]
	s_wait_loadcnt 0x0
	v_perm_b32 v4, v4, v1, 0xc0c0304
	s_delay_alu instid0(VALU_DEP_1) | instskip(NEXT) | instid1(VALU_DEP_1)
	v_lshlrev_b32_e32 v4, 16, v4
	v_and_or_b32 v1, 0xffff, v1, v4
.LBB100_10:
	s_or_b32 exec_lo, exec_lo, s3
	v_add_nc_u32_e32 v26, 0x600, v44
	s_delay_alu instid0(VALU_DEP_1)
	v_cmp_gt_u32_e64 s3, s13, v26
	s_and_saveexec_b32 s4, s3
	s_cbranch_execz .LBB100_12
; %bb.11:
	v_mul_lo_u32 v4, s14, v26
	global_load_u8 v4, v4, s[18:19]
	s_wait_loadcnt 0x0
	v_perm_b32 v4, v1, v4, 0xc0c0006
	s_delay_alu instid0(VALU_DEP_1) | instskip(NEXT) | instid1(VALU_DEP_1)
	v_lshlrev_b32_e32 v4, 16, v4
	v_and_or_b32 v1, 0xffff, v1, v4
.LBB100_12:
	s_wait_alu 0xfffe
	s_or_b32 exec_lo, exec_lo, s4
	v_or_b32_e32 v22, 0x800, v44
	s_delay_alu instid0(VALU_DEP_1)
	v_cmp_gt_u32_e64 s4, s13, v22
	s_and_saveexec_b32 s5, s4
	s_cbranch_execz .LBB100_14
; %bb.13:
	v_mul_lo_u32 v4, s14, v22
	global_load_u8 v4, v4, s[18:19]
	s_wait_loadcnt 0x0
	v_perm_b32 v2, v4, v2, 0x3020104
.LBB100_14:
	s_wait_alu 0xfffe
	s_or_b32 exec_lo, exec_lo, s5
	v_add_nc_u32_e32 v19, 0xa00, v44
	s_delay_alu instid0(VALU_DEP_1)
	v_cmp_gt_u32_e64 s5, s13, v19
	s_and_saveexec_b32 s6, s5
	s_cbranch_execz .LBB100_16
; %bb.15:
	v_mul_lo_u32 v4, s14, v19
	global_load_u8 v4, v4, s[18:19]
	s_wait_loadcnt 0x0
	v_perm_b32 v2, v2, v4, 0x7060004
.LBB100_16:
	s_wait_alu 0xfffe
	s_or_b32 exec_lo, exec_lo, s6
	v_or_b32_e32 v16, 0xc00, v44
	s_delay_alu instid0(VALU_DEP_1)
	v_cmp_gt_u32_e64 s6, s13, v16
	s_and_saveexec_b32 s7, s6
	s_cbranch_execz .LBB100_18
; %bb.17:
	v_mul_lo_u32 v4, s14, v16
	global_load_u8 v4, v4, s[18:19]
	s_wait_loadcnt 0x0
	v_perm_b32 v2, v2, v4, 0x7000504
.LBB100_18:
	s_wait_alu 0xfffe
	s_or_b32 exec_lo, exec_lo, s7
	s_clause 0x1
	s_load_b32 s15, s[10:11], 0x6c
	s_load_b64 s[10:11], s[10:11], 0x0
	v_add_nc_u32_e32 v15, 0xe00, v44
	s_delay_alu instid0(VALU_DEP_1)
	v_cmp_gt_u32_e64 s7, s13, v15
	s_and_saveexec_b32 s13, s7
	s_cbranch_execz .LBB100_20
; %bb.19:
	v_mul_lo_u32 v4, s14, v15
	global_load_u8 v4, v4, s[18:19]
	s_wait_loadcnt 0x0
	v_perm_b32 v2, v2, v4, 0x60504
.LBB100_20:
	s_wait_alu 0xfffe
	s_or_b32 exec_lo, exec_lo, s13
	v_lshrrev_b32_e32 v65, 5, v44
	v_lshrrev_b32_e32 v17, 5, v29
	;; [unrolled: 1-line block ×5, first 2 shown]
	s_delay_alu instid0(VALU_DEP_4) | instskip(SKIP_4) | instid1(VALU_DEP_4)
	v_dual_mov_b32 v42, 0 :: v_dual_and_b32 v5, 60, v17
	v_and_b32_e32 v4, 28, v65
	v_and_b32_e32 v7, 0x5c, v20
	v_lshrrev_b32_e32 v21, 5, v26
	v_lshrrev_b32_e32 v27, 2, v44
	v_dual_mov_b32 v43, v42 :: v_dual_add_nc_u32 v48, v4, v44
	v_dual_mov_b32 v11, v42 :: v_dual_and_b32 v4, 60, v18
	v_mov_b32_e32 v12, v42
	v_add_nc_u32_e32 v52, v7, v44
	v_and_b32_e32 v7, 0x7c, v24
	s_delay_alu instid0(VALU_DEP_4)
	v_add_nc_u32_e32 v50, v4, v44
	v_and_b32_e32 v4, 0x7c, v21
	v_lshrrev_b32_e32 v23, 5, v19
	v_lshrrev_b32_e32 v25, 5, v15
	v_dual_mov_b32 v13, 0 :: v_dual_add_nc_u32 v54, v7, v44
	v_lshlrev_b32_e32 v60, 3, v44
	v_and_b32_e32 v7, 0xfc, v27
	v_add_nc_u32_e32 v51, v4, v44
	v_and_b32_e32 v4, 0x7c, v23
	v_and_b32_e32 v9, 0xfc, v25
	v_lshrrev_b32_e32 v6, 8, v1
	v_add_nc_u32_e32 v56, v7, v60
	v_dual_mov_b32 v10, v42 :: v_dual_add_nc_u32 v49, v5, v44
	v_lshrrev_b32_e32 v5, 24, v1
	v_lshrrev_b32_e32 v8, 8, v2
	v_dual_mov_b32 v14, 0 :: v_dual_add_nc_u32 v53, v4, v44
	v_lshrrev_b32_e32 v4, 24, v2
	v_add_nc_u32_e32 v55, v9, v44
	v_mov_b32_e32 v9, v42
	v_mov_b32_e32 v7, v42
	ds_store_b8 v48, v3
	ds_store_b8 v49, v6 offset:512
	ds_store_b8_d16_hi v50, v1 offset:1024
	ds_store_b8 v51, v5 offset:1536
	ds_store_b8 v52, v2 offset:2048
	ds_store_b8 v53, v8 offset:2560
	ds_store_b8_d16_hi v54, v2 offset:3072
	ds_store_b8 v55, v4 offset:3584
	s_wait_dscnt 0x0
	s_barrier_signal -1
	s_barrier_wait -1
	global_inv scope:SCOPE_SE
	ds_load_2addr_b32 v[45:46], v56 offset1:1
	s_wait_kmcnt 0x0
	s_mul_i32 s12, s15, s12
	v_mul_lo_u32 v41, s16, v44
	s_mov_b32 s13, 0
	s_wait_alu 0xfffe
	s_add_co_i32 s12, s12, s9
	v_dual_mov_b32 v1, v42 :: v_dual_mov_b32 v2, v42
	v_dual_mov_b32 v3, v42 :: v_dual_mov_b32 v4, v42
	v_dual_mov_b32 v5, v42 :: v_dual_mov_b32 v6, v42
	v_mov_b32_e32 v8, v42
	s_wait_alu 0xfffe
	s_lshl_b64 s[12:13], s[12:13], 3
	s_wait_loadcnt_dscnt 0x0
	s_wait_alu 0xfffe
	s_add_nc_u64 s[12:13], s[10:11], s[12:13]
	s_barrier_signal -1
	s_barrier_wait -1
	global_inv scope:SCOPE_SE
	s_and_saveexec_b32 s9, s0
	s_cbranch_execnz .LBB100_53
; %bb.21:
	s_wait_alu 0xfffe
	s_or_b32 exec_lo, exec_lo, s9
	s_and_saveexec_b32 s9, s1
	s_cbranch_execnz .LBB100_54
.LBB100_22:
	s_wait_alu 0xfffe
	s_or_b32 exec_lo, exec_lo, s9
	s_and_saveexec_b32 s9, s2
	s_cbranch_execnz .LBB100_55
.LBB100_23:
	s_wait_alu 0xfffe
	s_or_b32 exec_lo, exec_lo, s9
	s_and_saveexec_b32 s9, s3
	s_cbranch_execnz .LBB100_56
.LBB100_24:
	s_wait_alu 0xfffe
	s_or_b32 exec_lo, exec_lo, s9
	s_and_saveexec_b32 s9, s4
	s_cbranch_execnz .LBB100_57
.LBB100_25:
	s_wait_alu 0xfffe
	s_or_b32 exec_lo, exec_lo, s9
	s_and_saveexec_b32 s9, s5
	s_cbranch_execnz .LBB100_58
.LBB100_26:
	s_wait_alu 0xfffe
	s_or_b32 exec_lo, exec_lo, s9
	s_and_saveexec_b32 s9, s6
	s_cbranch_execnz .LBB100_59
.LBB100_27:
	s_wait_alu 0xfffe
	s_or_b32 exec_lo, exec_lo, s9
	s_xor_b32 s9, s8, -1
	s_and_saveexec_b32 s8, s7
	s_cbranch_execz .LBB100_29
.LBB100_28:
	v_mul_lo_u32 v7, s16, v15
	v_mov_b32_e32 v8, 0
	s_delay_alu instid0(VALU_DEP_1) | instskip(NEXT) | instid1(VALU_DEP_1)
	v_lshlrev_b64_e32 v[7:8], 3, v[7:8]
	v_add_co_u32 v7, vcc_lo, s12, v7
	s_wait_alu 0xfffd
	s_delay_alu instid0(VALU_DEP_2)
	v_add_co_ci_u32_e64 v8, null, s13, v8, vcc_lo
	global_load_b64 v[7:8], v[7:8], off
.LBB100_29:
	s_wait_alu 0xfffe
	s_or_b32 exec_lo, exec_lo, s8
	v_lshl_add_u32 v57, v65, 3, v60
	v_lshl_add_u32 v58, v17, 3, v60
	;; [unrolled: 1-line block ×5, first 2 shown]
	s_wait_loadcnt 0x0
	ds_store_b64 v57, v[13:14]
	ds_store_b64 v58, v[42:43] offset:4096
	ds_store_b64 v59, v[9:10] offset:8192
	;; [unrolled: 1-line block ×3, first 2 shown]
	v_lshlrev_b32_e32 v9, 3, v60
	v_lshl_add_u32 v42, v20, 3, v60
	v_lshl_add_u32 v43, v23, 3, v60
	;; [unrolled: 1-line block ×3, first 2 shown]
	ds_store_b64 v42, v[1:2] offset:16384
	ds_store_b64 v43, v[3:4] offset:20480
	;; [unrolled: 1-line block ×4, first 2 shown]
	v_lshl_add_u32 v64, v27, 3, v9
	s_wait_dscnt 0x0
	s_barrier_signal -1
	s_barrier_wait -1
	global_inv scope:SCOPE_SE
	ds_load_2addr_b64 v[13:16], v64 offset1:1
	ds_load_2addr_b64 v[9:12], v64 offset0:2 offset1:3
	ds_load_2addr_b64 v[5:8], v64 offset0:4 offset1:5
	;; [unrolled: 1-line block ×3, first 2 shown]
	v_mbcnt_lo_u32_b32 v67, -1, 0
	v_and_b32_e32 v68, 0x3e0, v44
	v_lshrrev_b32_e32 v74, 24, v46
	v_lshrrev_b32_e32 v75, 16, v46
	v_lshrrev_b32_e32 v76, 8, v46
	v_and_or_b32 v73, 0x1f00, v60, v67
	v_or_b32_e32 v17, v67, v68
	v_lshrrev_b32_e32 v77, 24, v45
	v_lshrrev_b32_e32 v78, 16, v45
	v_lshrrev_b32_e32 v79, 8, v45
	v_bfe_u32 v69, v0, 10, 10
	v_lshlrev_b32_e32 v72, 3, v17
	v_bfe_u32 v70, v0, 20, 10
	v_mad_u32_u24 v71, v73, 7, v73
	v_lshlrev_b32_e32 v66, 2, v60
	s_mov_b32 s8, 0
	s_and_b32 vcc_lo, exec_lo, s9
	s_mov_b32 s9, -1
	s_wait_loadcnt_dscnt 0x0
	s_barrier_signal -1
	s_barrier_wait -1
	global_inv scope:SCOPE_SE
	s_wait_alu 0xfffe
	s_cbranch_vccz .LBB100_60
; %bb.30:
	v_xor_b32_e32 v0, 0x80, v45
	v_xor_b32_e32 v17, 0x80, v79
	;; [unrolled: 1-line block ×8, first 2 shown]
	s_getpc_b64 s[10:11]
	s_sext_i32_i16 s11, s11
	s_add_co_u32 s10, s10, _ZN7rocprim17ROCPRIM_400000_NS16block_radix_sortIaLj512ELj8ElLj1ELj1ELj0ELNS0_26block_radix_rank_algorithmE1ELNS0_18block_padding_hintE2ELNS0_4arch9wavefront6targetE0EE19radix_bits_per_passE@rel32@lo+8
	s_add_co_ci_u32 s11, s11, _ZN7rocprim17ROCPRIM_400000_NS16block_radix_sortIaLj512ELj8ElLj1ELj1ELj0ELNS0_26block_radix_rank_algorithmE1ELNS0_18block_padding_hintE2ELNS0_4arch9wavefront6targetE0EE19radix_bits_per_passE@rel32@hi+16
	v_lshlrev_b16 v17, 8, v17
	v_lshlrev_b16 v19, 8, v19
	v_and_b32_e32 v20, 0xff, v20
	v_lshlrev_b16 v21, 8, v21
	v_and_b32_e32 v22, 0xff, v22
	v_lshlrev_b16 v23, 8, v23
	s_load_b32 s9, s[10:11], 0x0
	s_mov_b32 s11, s8
	v_and_b32_e32 v0, 0xff, v0
	v_and_b32_e32 v18, 0xff, v18
	s_delay_alu instid0(VALU_DEP_2) | instskip(NEXT) | instid1(VALU_DEP_2)
	v_or_b32_e32 v0, v0, v17
	v_or_b32_e32 v17, v18, v19
	;; [unrolled: 1-line block ×4, first 2 shown]
	s_delay_alu instid0(VALU_DEP_4) | instskip(NEXT) | instid1(VALU_DEP_4)
	v_and_b32_e32 v0, 0xffff, v0
	v_lshlrev_b32_e32 v17, 16, v17
	s_delay_alu instid0(VALU_DEP_4) | instskip(NEXT) | instid1(VALU_DEP_4)
	v_and_b32_e32 v18, 0xffff, v18
	v_lshlrev_b32_e32 v19, 16, v19
	s_delay_alu instid0(VALU_DEP_3) | instskip(NEXT) | instid1(VALU_DEP_2)
	v_or_b32_e32 v17, v0, v17
	v_or_b32_e32 v18, v18, v19
	s_wait_kmcnt 0x0
	s_min_u32 s9, s9, 8
	s_wait_alu 0xfffe
	s_lshl_b32 s9, -1, s9
	ds_store_b64 v72, v[17:18]
	; wave barrier
	ds_load_u8 v0, v73
	ds_load_u8 v80, v73 offset:32
	ds_load_u8 v81, v73 offset:64
	;; [unrolled: 1-line block ×7, first 2 shown]
	s_wait_alu 0xfffe
	s_not_b32 s15, s9
	v_lshlrev_b32_e32 v17, 3, v72
	s_wait_loadcnt_dscnt 0x0
	s_barrier_signal -1
	s_barrier_wait -1
	global_inv scope:SCOPE_SE
	ds_store_b128 v17, v[13:16]
	ds_store_b128 v17, v[9:12] offset:16
	ds_store_b128 v17, v[5:8] offset:32
	;; [unrolled: 1-line block ×3, first 2 shown]
	; wave barrier
	ds_load_2addr_b64 v[21:24], v71 offset1:32
	ds_load_2addr_b64 v[17:20], v71 offset0:64 offset1:96
	ds_load_2addr_b64 v[29:32], v71 offset0:192 offset1:224
	s_wait_alu 0xfffe
	v_and_b32_e32 v39, s15, v0
	s_delay_alu instid0(VALU_DEP_1) | instskip(SKIP_3) | instid1(VALU_DEP_4)
	v_and_b32_e32 v25, 1, v39
	v_lshlrev_b32_e32 v35, 30, v39
	v_lshlrev_b32_e32 v36, 29, v39
	;; [unrolled: 1-line block ×3, first 2 shown]
	v_add_co_u32 v33, s9, v25, -1
	s_wait_alu 0xf1ff
	v_cndmask_b32_e64 v34, 0, 1, s9
	ds_load_2addr_b64 v[25:28], v71 offset0:128 offset1:160
	s_wait_loadcnt_dscnt 0x0
	s_barrier_signal -1
	s_barrier_wait -1
	v_cmp_ne_u32_e32 vcc_lo, 0, v34
	v_not_b32_e32 v34, v35
	global_inv scope:SCOPE_SE
	s_load_b32 s9, s[20:21], 0xc
	v_xor_b32_e32 v33, vcc_lo, v33
	v_cmp_gt_i32_e32 vcc_lo, 0, v35
	v_ashrrev_i32_e32 v34, 31, v34
	v_not_b32_e32 v35, v36
	s_delay_alu instid0(VALU_DEP_4) | instskip(SKIP_1) | instid1(VALU_DEP_3)
	v_and_b32_e32 v33, exec_lo, v33
	s_wait_alu 0xfffd
	v_xor_b32_e32 v34, vcc_lo, v34
	v_cmp_gt_i32_e32 vcc_lo, 0, v36
	v_ashrrev_i32_e32 v35, 31, v35
	v_not_b32_e32 v36, v37
	s_delay_alu instid0(VALU_DEP_4)
	v_and_b32_e32 v33, v33, v34
	v_lshlrev_b32_e32 v34, 27, v39
	s_wait_alu 0xfffd
	v_xor_b32_e32 v35, vcc_lo, v35
	v_cmp_gt_i32_e32 vcc_lo, 0, v37
	v_ashrrev_i32_e32 v36, 31, v36
	v_not_b32_e32 v37, v34
	s_delay_alu instid0(VALU_DEP_4)
	v_and_b32_e32 v33, v33, v35
	v_lshlrev_b32_e32 v35, 26, v39
	s_wait_alu 0xfffd
	v_xor_b32_e32 v36, vcc_lo, v36
	v_cmp_gt_i32_e32 vcc_lo, 0, v34
	v_ashrrev_i32_e32 v34, 31, v37
	s_wait_kmcnt 0x0
	s_lshr_b32 s10, s9, 16
	v_not_b32_e32 v37, v35
	v_and_b32_e32 v33, v33, v36
	v_lshlrev_b32_e32 v36, 25, v39
	s_wait_alu 0xfffd
	v_xor_b32_e32 v34, vcc_lo, v34
	v_cmp_gt_i32_e32 vcc_lo, 0, v35
	v_ashrrev_i32_e32 v35, 31, v37
	v_mad_u32_u24 v38, v70, s10, v69
	v_not_b32_e32 v37, v36
	v_and_b32_e32 v33, v33, v34
	v_lshlrev_b32_e32 v34, 24, v39
	s_wait_alu 0xfffd
	v_xor_b32_e32 v35, vcc_lo, v35
	v_cmp_gt_i32_e32 vcc_lo, 0, v36
	v_ashrrev_i32_e32 v36, 31, v37
	s_and_b32 s9, s9, 0xffff
	v_not_b32_e32 v37, v34
	v_and_b32_e32 v35, v33, v35
	s_mov_b32 s10, s8
	s_wait_alu 0xfffd
	v_xor_b32_e32 v36, vcc_lo, v36
	v_cmp_gt_i32_e32 vcc_lo, 0, v34
	v_ashrrev_i32_e32 v37, 31, v37
	s_wait_alu 0xfffe
	v_mad_co_u64_u32 v[33:34], null, v38, s9, v[44:45]
	v_and_b32_e32 v34, v35, v36
	s_mov_b32 s9, s8
	s_wait_alu 0xfffd
	v_xor_b32_e32 v40, vcc_lo, v37
	v_dual_mov_b32 v38, s11 :: v_dual_mov_b32 v37, s10
	s_wait_alu 0xfffe
	v_dual_mov_b32 v36, s9 :: v_dual_mov_b32 v35, s8
	s_delay_alu instid0(VALU_DEP_3)
	v_and_b32_e32 v34, v34, v40
	v_and_b32_e32 v39, 0xff, v39
	v_lshrrev_b32_e32 v33, 3, v33
	ds_store_b128 v66, v[35:38] offset:64
	ds_store_b128 v66, v[35:38] offset:80
	v_mbcnt_lo_u32_b32 v87, v34, 0
	v_lshlrev_b32_e32 v35, 6, v39
	v_and_b32_e32 v33, 0x1ffffffc, v33
	v_cmp_ne_u32_e64 s8, 0, v34
	s_wait_loadcnt_dscnt 0x0
	v_cmp_eq_u32_e32 vcc_lo, 0, v87
	s_barrier_signal -1
	v_add_nc_u32_e32 v88, v33, v35
	s_barrier_wait -1
	global_inv scope:SCOPE_SE
	s_and_b32 s9, s8, vcc_lo
	; wave barrier
	s_wait_alu 0xfffe
	s_and_saveexec_b32 s8, s9
; %bb.31:
	v_bcnt_u32_b32 v34, v34, 0
	ds_store_b32 v88, v34 offset:64
; %bb.32:
	s_wait_alu 0xfffe
	s_or_b32 exec_lo, exec_lo, s8
	v_and_b32_e32 v34, s15, v80
	; wave barrier
	s_delay_alu instid0(VALU_DEP_1)
	v_and_b32_e32 v36, 1, v34
	v_lshlrev_b32_e32 v37, 30, v34
	v_lshlrev_b32_e32 v38, 29, v34
	;; [unrolled: 1-line block ×4, first 2 shown]
	v_add_co_u32 v36, s8, v36, -1
	s_wait_alu 0xf1ff
	v_cndmask_b32_e64 v40, 0, 1, s8
	v_not_b32_e32 v92, v37
	v_cmp_gt_i32_e64 s8, 0, v37
	v_not_b32_e32 v37, v38
	v_lshlrev_b32_e32 v90, 26, v34
	v_cmp_ne_u32_e32 vcc_lo, 0, v40
	v_ashrrev_i32_e32 v40, 31, v92
	v_lshlrev_b32_e32 v91, 25, v34
	v_ashrrev_i32_e32 v37, 31, v37
	v_and_b32_e32 v35, 0xff, v34
	s_wait_alu 0xfffd
	v_xor_b32_e32 v36, vcc_lo, v36
	v_cmp_gt_i32_e32 vcc_lo, 0, v38
	v_not_b32_e32 v38, v39
	s_wait_alu 0xf1ff
	v_xor_b32_e32 v40, s8, v40
	v_cmp_gt_i32_e64 s8, 0, v39
	v_and_b32_e32 v36, exec_lo, v36
	v_not_b32_e32 v39, v89
	v_ashrrev_i32_e32 v38, 31, v38
	s_wait_alu 0xfffd
	v_xor_b32_e32 v37, vcc_lo, v37
	v_cmp_gt_i32_e32 vcc_lo, 0, v89
	v_and_b32_e32 v36, v36, v40
	v_not_b32_e32 v40, v90
	v_ashrrev_i32_e32 v39, 31, v39
	s_wait_alu 0xf1ff
	v_xor_b32_e32 v38, s8, v38
	v_lshlrev_b32_e32 v34, 24, v34
	v_and_b32_e32 v36, v36, v37
	v_cmp_gt_i32_e64 s8, 0, v90
	v_not_b32_e32 v37, v91
	v_ashrrev_i32_e32 v40, 31, v40
	s_wait_alu 0xfffd
	v_xor_b32_e32 v39, vcc_lo, v39
	v_and_b32_e32 v36, v36, v38
	v_cmp_gt_i32_e32 vcc_lo, 0, v91
	v_not_b32_e32 v38, v34
	v_ashrrev_i32_e32 v37, 31, v37
	s_wait_alu 0xf1ff
	v_xor_b32_e32 v40, s8, v40
	v_and_b32_e32 v36, v36, v39
	v_lshlrev_b32_e32 v35, 6, v35
	v_cmp_gt_i32_e64 s8, 0, v34
	v_ashrrev_i32_e32 v34, 31, v38
	s_wait_alu 0xfffd
	v_xor_b32_e32 v37, vcc_lo, v37
	v_and_b32_e32 v36, v36, v40
	v_add_nc_u32_e32 v91, v33, v35
	s_wait_alu 0xf1ff
	v_xor_b32_e32 v34, s8, v34
	s_delay_alu instid0(VALU_DEP_3) | instskip(SKIP_2) | instid1(VALU_DEP_1)
	v_and_b32_e32 v35, v36, v37
	ds_load_b32 v89, v91 offset:64
	; wave barrier
	v_and_b32_e32 v34, v35, v34
	v_mbcnt_lo_u32_b32 v90, v34, 0
	v_cmp_ne_u32_e64 s8, 0, v34
	s_delay_alu instid0(VALU_DEP_2)
	v_cmp_eq_u32_e32 vcc_lo, 0, v90
	s_and_b32 s9, s8, vcc_lo
	s_wait_alu 0xfffe
	s_and_saveexec_b32 s8, s9
	s_cbranch_execz .LBB100_34
; %bb.33:
	s_wait_dscnt 0x0
	v_bcnt_u32_b32 v34, v34, v89
	ds_store_b32 v91, v34 offset:64
.LBB100_34:
	s_wait_alu 0xfffe
	s_or_b32 exec_lo, exec_lo, s8
	v_and_b32_e32 v34, s15, v81
	; wave barrier
	s_delay_alu instid0(VALU_DEP_1)
	v_and_b32_e32 v36, 1, v34
	v_lshlrev_b32_e32 v37, 30, v34
	v_lshlrev_b32_e32 v38, 29, v34
	;; [unrolled: 1-line block ×4, first 2 shown]
	v_add_co_u32 v36, s8, v36, -1
	s_wait_alu 0xf1ff
	v_cndmask_b32_e64 v40, 0, 1, s8
	v_not_b32_e32 v95, v37
	v_cmp_gt_i32_e64 s8, 0, v37
	v_not_b32_e32 v37, v38
	v_lshlrev_b32_e32 v93, 26, v34
	v_cmp_ne_u32_e32 vcc_lo, 0, v40
	v_ashrrev_i32_e32 v40, 31, v95
	v_lshlrev_b32_e32 v94, 25, v34
	v_ashrrev_i32_e32 v37, 31, v37
	v_and_b32_e32 v35, 0xff, v34
	s_wait_alu 0xfffd
	v_xor_b32_e32 v36, vcc_lo, v36
	v_cmp_gt_i32_e32 vcc_lo, 0, v38
	v_not_b32_e32 v38, v39
	s_wait_alu 0xf1ff
	v_xor_b32_e32 v40, s8, v40
	v_cmp_gt_i32_e64 s8, 0, v39
	v_and_b32_e32 v36, exec_lo, v36
	v_not_b32_e32 v39, v92
	v_ashrrev_i32_e32 v38, 31, v38
	s_wait_alu 0xfffd
	v_xor_b32_e32 v37, vcc_lo, v37
	v_cmp_gt_i32_e32 vcc_lo, 0, v92
	v_and_b32_e32 v36, v36, v40
	v_not_b32_e32 v40, v93
	v_ashrrev_i32_e32 v39, 31, v39
	s_wait_alu 0xf1ff
	v_xor_b32_e32 v38, s8, v38
	v_lshlrev_b32_e32 v34, 24, v34
	v_and_b32_e32 v36, v36, v37
	v_cmp_gt_i32_e64 s8, 0, v93
	v_not_b32_e32 v37, v94
	v_ashrrev_i32_e32 v40, 31, v40
	s_wait_alu 0xfffd
	v_xor_b32_e32 v39, vcc_lo, v39
	v_and_b32_e32 v36, v36, v38
	v_cmp_gt_i32_e32 vcc_lo, 0, v94
	v_not_b32_e32 v38, v34
	v_ashrrev_i32_e32 v37, 31, v37
	s_wait_alu 0xf1ff
	v_xor_b32_e32 v40, s8, v40
	v_and_b32_e32 v36, v36, v39
	v_lshlrev_b32_e32 v35, 6, v35
	v_cmp_gt_i32_e64 s8, 0, v34
	v_ashrrev_i32_e32 v34, 31, v38
	s_wait_alu 0xfffd
	v_xor_b32_e32 v37, vcc_lo, v37
	v_and_b32_e32 v36, v36, v40
	v_add_nc_u32_e32 v94, v33, v35
	s_wait_alu 0xf1ff
	v_xor_b32_e32 v34, s8, v34
	s_delay_alu instid0(VALU_DEP_3) | instskip(SKIP_2) | instid1(VALU_DEP_1)
	v_and_b32_e32 v35, v36, v37
	ds_load_b32 v92, v94 offset:64
	; wave barrier
	v_and_b32_e32 v34, v35, v34
	v_mbcnt_lo_u32_b32 v93, v34, 0
	v_cmp_ne_u32_e64 s8, 0, v34
	s_delay_alu instid0(VALU_DEP_2)
	v_cmp_eq_u32_e32 vcc_lo, 0, v93
	s_and_b32 s9, s8, vcc_lo
	s_wait_alu 0xfffe
	s_and_saveexec_b32 s8, s9
	s_cbranch_execz .LBB100_36
; %bb.35:
	s_wait_dscnt 0x0
	v_bcnt_u32_b32 v34, v34, v92
	ds_store_b32 v94, v34 offset:64
.LBB100_36:
	s_wait_alu 0xfffe
	s_or_b32 exec_lo, exec_lo, s8
	v_and_b32_e32 v34, s15, v82
	; wave barrier
	s_delay_alu instid0(VALU_DEP_1)
	v_and_b32_e32 v36, 1, v34
	v_lshlrev_b32_e32 v37, 30, v34
	v_lshlrev_b32_e32 v38, 29, v34
	;; [unrolled: 1-line block ×4, first 2 shown]
	v_add_co_u32 v36, s8, v36, -1
	s_wait_alu 0xf1ff
	v_cndmask_b32_e64 v40, 0, 1, s8
	v_not_b32_e32 v98, v37
	v_cmp_gt_i32_e64 s8, 0, v37
	v_not_b32_e32 v37, v38
	v_lshlrev_b32_e32 v96, 26, v34
	v_cmp_ne_u32_e32 vcc_lo, 0, v40
	v_ashrrev_i32_e32 v40, 31, v98
	v_lshlrev_b32_e32 v97, 25, v34
	v_ashrrev_i32_e32 v37, 31, v37
	v_and_b32_e32 v35, 0xff, v34
	s_wait_alu 0xfffd
	v_xor_b32_e32 v36, vcc_lo, v36
	v_cmp_gt_i32_e32 vcc_lo, 0, v38
	v_not_b32_e32 v38, v39
	s_wait_alu 0xf1ff
	v_xor_b32_e32 v40, s8, v40
	v_cmp_gt_i32_e64 s8, 0, v39
	v_and_b32_e32 v36, exec_lo, v36
	v_not_b32_e32 v39, v95
	v_ashrrev_i32_e32 v38, 31, v38
	s_wait_alu 0xfffd
	v_xor_b32_e32 v37, vcc_lo, v37
	v_cmp_gt_i32_e32 vcc_lo, 0, v95
	v_and_b32_e32 v36, v36, v40
	v_not_b32_e32 v40, v96
	v_ashrrev_i32_e32 v39, 31, v39
	s_wait_alu 0xf1ff
	v_xor_b32_e32 v38, s8, v38
	v_lshlrev_b32_e32 v34, 24, v34
	v_and_b32_e32 v36, v36, v37
	v_cmp_gt_i32_e64 s8, 0, v96
	v_not_b32_e32 v37, v97
	v_ashrrev_i32_e32 v40, 31, v40
	s_wait_alu 0xfffd
	v_xor_b32_e32 v39, vcc_lo, v39
	v_and_b32_e32 v36, v36, v38
	v_cmp_gt_i32_e32 vcc_lo, 0, v97
	v_not_b32_e32 v38, v34
	v_ashrrev_i32_e32 v37, 31, v37
	s_wait_alu 0xf1ff
	v_xor_b32_e32 v40, s8, v40
	v_and_b32_e32 v36, v36, v39
	v_lshlrev_b32_e32 v35, 6, v35
	v_cmp_gt_i32_e64 s8, 0, v34
	v_ashrrev_i32_e32 v34, 31, v38
	s_wait_alu 0xfffd
	v_xor_b32_e32 v37, vcc_lo, v37
	v_and_b32_e32 v36, v36, v40
	v_add_nc_u32_e32 v97, v33, v35
	s_wait_alu 0xf1ff
	v_xor_b32_e32 v34, s8, v34
	s_delay_alu instid0(VALU_DEP_3) | instskip(SKIP_2) | instid1(VALU_DEP_1)
	v_and_b32_e32 v35, v36, v37
	ds_load_b32 v95, v97 offset:64
	; wave barrier
	v_and_b32_e32 v34, v35, v34
	v_mbcnt_lo_u32_b32 v96, v34, 0
	v_cmp_ne_u32_e64 s8, 0, v34
	s_delay_alu instid0(VALU_DEP_2)
	v_cmp_eq_u32_e32 vcc_lo, 0, v96
	s_and_b32 s9, s8, vcc_lo
	s_wait_alu 0xfffe
	s_and_saveexec_b32 s8, s9
	s_cbranch_execz .LBB100_38
; %bb.37:
	s_wait_dscnt 0x0
	v_bcnt_u32_b32 v34, v34, v95
	ds_store_b32 v97, v34 offset:64
.LBB100_38:
	s_wait_alu 0xfffe
	s_or_b32 exec_lo, exec_lo, s8
	v_and_b32_e32 v34, s15, v83
	; wave barrier
	s_delay_alu instid0(VALU_DEP_1)
	v_and_b32_e32 v36, 1, v34
	v_lshlrev_b32_e32 v37, 30, v34
	v_lshlrev_b32_e32 v38, 29, v34
	;; [unrolled: 1-line block ×4, first 2 shown]
	v_add_co_u32 v36, s8, v36, -1
	s_wait_alu 0xf1ff
	v_cndmask_b32_e64 v40, 0, 1, s8
	v_not_b32_e32 v101, v37
	v_cmp_gt_i32_e64 s8, 0, v37
	v_not_b32_e32 v37, v38
	v_lshlrev_b32_e32 v99, 26, v34
	v_cmp_ne_u32_e32 vcc_lo, 0, v40
	v_ashrrev_i32_e32 v40, 31, v101
	v_lshlrev_b32_e32 v100, 25, v34
	v_ashrrev_i32_e32 v37, 31, v37
	v_and_b32_e32 v35, 0xff, v34
	s_wait_alu 0xfffd
	v_xor_b32_e32 v36, vcc_lo, v36
	v_cmp_gt_i32_e32 vcc_lo, 0, v38
	v_not_b32_e32 v38, v39
	s_wait_alu 0xf1ff
	v_xor_b32_e32 v40, s8, v40
	v_cmp_gt_i32_e64 s8, 0, v39
	v_and_b32_e32 v36, exec_lo, v36
	v_not_b32_e32 v39, v98
	v_ashrrev_i32_e32 v38, 31, v38
	s_wait_alu 0xfffd
	v_xor_b32_e32 v37, vcc_lo, v37
	v_cmp_gt_i32_e32 vcc_lo, 0, v98
	v_and_b32_e32 v36, v36, v40
	v_not_b32_e32 v40, v99
	v_ashrrev_i32_e32 v39, 31, v39
	s_wait_alu 0xf1ff
	v_xor_b32_e32 v38, s8, v38
	v_lshlrev_b32_e32 v34, 24, v34
	v_and_b32_e32 v36, v36, v37
	v_cmp_gt_i32_e64 s8, 0, v99
	v_not_b32_e32 v37, v100
	v_ashrrev_i32_e32 v40, 31, v40
	s_wait_alu 0xfffd
	v_xor_b32_e32 v39, vcc_lo, v39
	v_and_b32_e32 v36, v36, v38
	v_cmp_gt_i32_e32 vcc_lo, 0, v100
	v_not_b32_e32 v38, v34
	v_ashrrev_i32_e32 v37, 31, v37
	s_wait_alu 0xf1ff
	v_xor_b32_e32 v40, s8, v40
	v_and_b32_e32 v36, v36, v39
	v_lshlrev_b32_e32 v35, 6, v35
	v_cmp_gt_i32_e64 s8, 0, v34
	v_ashrrev_i32_e32 v34, 31, v38
	s_wait_alu 0xfffd
	v_xor_b32_e32 v37, vcc_lo, v37
	v_and_b32_e32 v36, v36, v40
	v_add_nc_u32_e32 v100, v33, v35
	s_wait_alu 0xf1ff
	v_xor_b32_e32 v34, s8, v34
	s_delay_alu instid0(VALU_DEP_3) | instskip(SKIP_2) | instid1(VALU_DEP_1)
	v_and_b32_e32 v35, v36, v37
	ds_load_b32 v98, v100 offset:64
	; wave barrier
	v_and_b32_e32 v34, v35, v34
	v_mbcnt_lo_u32_b32 v99, v34, 0
	v_cmp_ne_u32_e64 s8, 0, v34
	s_delay_alu instid0(VALU_DEP_2)
	v_cmp_eq_u32_e32 vcc_lo, 0, v99
	s_and_b32 s9, s8, vcc_lo
	s_wait_alu 0xfffe
	s_and_saveexec_b32 s8, s9
	s_cbranch_execz .LBB100_40
; %bb.39:
	s_wait_dscnt 0x0
	v_bcnt_u32_b32 v34, v34, v98
	ds_store_b32 v100, v34 offset:64
.LBB100_40:
	s_wait_alu 0xfffe
	s_or_b32 exec_lo, exec_lo, s8
	v_and_b32_e32 v34, s15, v84
	; wave barrier
	s_delay_alu instid0(VALU_DEP_1)
	v_and_b32_e32 v36, 1, v34
	v_lshlrev_b32_e32 v37, 30, v34
	v_lshlrev_b32_e32 v38, 29, v34
	v_lshlrev_b32_e32 v39, 28, v34
	v_lshlrev_b32_e32 v101, 27, v34
	v_add_co_u32 v36, s8, v36, -1
	s_wait_alu 0xf1ff
	v_cndmask_b32_e64 v40, 0, 1, s8
	v_not_b32_e32 v104, v37
	v_cmp_gt_i32_e64 s8, 0, v37
	v_not_b32_e32 v37, v38
	v_lshlrev_b32_e32 v102, 26, v34
	v_cmp_ne_u32_e32 vcc_lo, 0, v40
	v_ashrrev_i32_e32 v40, 31, v104
	v_lshlrev_b32_e32 v103, 25, v34
	v_ashrrev_i32_e32 v37, 31, v37
	v_and_b32_e32 v35, 0xff, v34
	s_wait_alu 0xfffd
	v_xor_b32_e32 v36, vcc_lo, v36
	v_cmp_gt_i32_e32 vcc_lo, 0, v38
	v_not_b32_e32 v38, v39
	s_wait_alu 0xf1ff
	v_xor_b32_e32 v40, s8, v40
	v_cmp_gt_i32_e64 s8, 0, v39
	v_and_b32_e32 v36, exec_lo, v36
	v_not_b32_e32 v39, v101
	v_ashrrev_i32_e32 v38, 31, v38
	s_wait_alu 0xfffd
	v_xor_b32_e32 v37, vcc_lo, v37
	v_cmp_gt_i32_e32 vcc_lo, 0, v101
	v_and_b32_e32 v36, v36, v40
	v_not_b32_e32 v40, v102
	v_ashrrev_i32_e32 v39, 31, v39
	s_wait_alu 0xf1ff
	v_xor_b32_e32 v38, s8, v38
	v_lshlrev_b32_e32 v34, 24, v34
	v_and_b32_e32 v36, v36, v37
	v_cmp_gt_i32_e64 s8, 0, v102
	v_not_b32_e32 v37, v103
	v_ashrrev_i32_e32 v40, 31, v40
	s_wait_alu 0xfffd
	v_xor_b32_e32 v39, vcc_lo, v39
	v_and_b32_e32 v36, v36, v38
	v_cmp_gt_i32_e32 vcc_lo, 0, v103
	v_not_b32_e32 v38, v34
	v_ashrrev_i32_e32 v37, 31, v37
	s_wait_alu 0xf1ff
	v_xor_b32_e32 v40, s8, v40
	v_and_b32_e32 v36, v36, v39
	v_lshlrev_b32_e32 v35, 6, v35
	v_cmp_gt_i32_e64 s8, 0, v34
	v_ashrrev_i32_e32 v34, 31, v38
	s_wait_alu 0xfffd
	v_xor_b32_e32 v37, vcc_lo, v37
	v_and_b32_e32 v36, v36, v40
	v_add_nc_u32_e32 v103, v33, v35
	s_wait_alu 0xf1ff
	v_xor_b32_e32 v34, s8, v34
	s_delay_alu instid0(VALU_DEP_3) | instskip(SKIP_2) | instid1(VALU_DEP_1)
	v_and_b32_e32 v35, v36, v37
	ds_load_b32 v101, v103 offset:64
	; wave barrier
	v_and_b32_e32 v34, v35, v34
	v_mbcnt_lo_u32_b32 v102, v34, 0
	v_cmp_ne_u32_e64 s8, 0, v34
	s_delay_alu instid0(VALU_DEP_2)
	v_cmp_eq_u32_e32 vcc_lo, 0, v102
	s_and_b32 s9, s8, vcc_lo
	s_wait_alu 0xfffe
	s_and_saveexec_b32 s8, s9
	s_cbranch_execz .LBB100_42
; %bb.41:
	s_wait_dscnt 0x0
	v_bcnt_u32_b32 v34, v34, v101
	ds_store_b32 v103, v34 offset:64
.LBB100_42:
	s_wait_alu 0xfffe
	s_or_b32 exec_lo, exec_lo, s8
	v_and_b32_e32 v34, s15, v85
	; wave barrier
	s_delay_alu instid0(VALU_DEP_1)
	v_and_b32_e32 v36, 1, v34
	v_lshlrev_b32_e32 v37, 30, v34
	v_lshlrev_b32_e32 v38, 29, v34
	;; [unrolled: 1-line block ×4, first 2 shown]
	v_add_co_u32 v36, s8, v36, -1
	s_wait_alu 0xf1ff
	v_cndmask_b32_e64 v40, 0, 1, s8
	v_not_b32_e32 v107, v37
	v_cmp_gt_i32_e64 s8, 0, v37
	v_not_b32_e32 v37, v38
	v_lshlrev_b32_e32 v105, 26, v34
	v_cmp_ne_u32_e32 vcc_lo, 0, v40
	v_ashrrev_i32_e32 v40, 31, v107
	v_lshlrev_b32_e32 v106, 25, v34
	v_ashrrev_i32_e32 v37, 31, v37
	v_and_b32_e32 v35, 0xff, v34
	s_wait_alu 0xfffd
	v_xor_b32_e32 v36, vcc_lo, v36
	v_cmp_gt_i32_e32 vcc_lo, 0, v38
	v_not_b32_e32 v38, v39
	s_wait_alu 0xf1ff
	v_xor_b32_e32 v40, s8, v40
	v_cmp_gt_i32_e64 s8, 0, v39
	v_and_b32_e32 v36, exec_lo, v36
	v_not_b32_e32 v39, v104
	v_ashrrev_i32_e32 v38, 31, v38
	s_wait_alu 0xfffd
	v_xor_b32_e32 v37, vcc_lo, v37
	v_cmp_gt_i32_e32 vcc_lo, 0, v104
	v_and_b32_e32 v36, v36, v40
	v_not_b32_e32 v40, v105
	v_ashrrev_i32_e32 v39, 31, v39
	s_wait_alu 0xf1ff
	v_xor_b32_e32 v38, s8, v38
	v_lshlrev_b32_e32 v34, 24, v34
	v_and_b32_e32 v36, v36, v37
	v_cmp_gt_i32_e64 s8, 0, v105
	v_not_b32_e32 v37, v106
	v_ashrrev_i32_e32 v40, 31, v40
	s_wait_alu 0xfffd
	v_xor_b32_e32 v39, vcc_lo, v39
	v_and_b32_e32 v36, v36, v38
	v_cmp_gt_i32_e32 vcc_lo, 0, v106
	v_not_b32_e32 v38, v34
	v_ashrrev_i32_e32 v37, 31, v37
	s_wait_alu 0xf1ff
	v_xor_b32_e32 v40, s8, v40
	v_and_b32_e32 v36, v36, v39
	v_lshlrev_b32_e32 v35, 6, v35
	v_cmp_gt_i32_e64 s8, 0, v34
	v_ashrrev_i32_e32 v34, 31, v38
	s_wait_alu 0xfffd
	v_xor_b32_e32 v37, vcc_lo, v37
	v_and_b32_e32 v36, v36, v40
	v_add_nc_u32_e32 v106, v33, v35
	s_wait_alu 0xf1ff
	v_xor_b32_e32 v34, s8, v34
	s_delay_alu instid0(VALU_DEP_3) | instskip(SKIP_2) | instid1(VALU_DEP_1)
	v_and_b32_e32 v35, v36, v37
	ds_load_b32 v104, v106 offset:64
	; wave barrier
	v_and_b32_e32 v34, v35, v34
	v_mbcnt_lo_u32_b32 v105, v34, 0
	v_cmp_ne_u32_e64 s8, 0, v34
	s_delay_alu instid0(VALU_DEP_2)
	v_cmp_eq_u32_e32 vcc_lo, 0, v105
	s_and_b32 s9, s8, vcc_lo
	s_wait_alu 0xfffe
	s_and_saveexec_b32 s8, s9
	s_cbranch_execz .LBB100_44
; %bb.43:
	s_wait_dscnt 0x0
	v_bcnt_u32_b32 v34, v34, v104
	ds_store_b32 v106, v34 offset:64
.LBB100_44:
	s_wait_alu 0xfffe
	s_or_b32 exec_lo, exec_lo, s8
	v_and_b32_e32 v34, s15, v86
	; wave barrier
	s_delay_alu instid0(VALU_DEP_1)
	v_and_b32_e32 v36, 1, v34
	v_lshlrev_b32_e32 v37, 30, v34
	v_lshlrev_b32_e32 v38, 29, v34
	;; [unrolled: 1-line block ×4, first 2 shown]
	v_add_co_u32 v36, s8, v36, -1
	s_wait_alu 0xf1ff
	v_cndmask_b32_e64 v40, 0, 1, s8
	v_not_b32_e32 v110, v37
	v_cmp_gt_i32_e64 s8, 0, v37
	v_not_b32_e32 v37, v38
	v_lshlrev_b32_e32 v108, 26, v34
	v_cmp_ne_u32_e32 vcc_lo, 0, v40
	v_ashrrev_i32_e32 v40, 31, v110
	v_lshlrev_b32_e32 v109, 25, v34
	v_ashrrev_i32_e32 v37, 31, v37
	v_and_b32_e32 v35, 0xff, v34
	s_wait_alu 0xfffd
	v_xor_b32_e32 v36, vcc_lo, v36
	v_cmp_gt_i32_e32 vcc_lo, 0, v38
	v_not_b32_e32 v38, v39
	s_wait_alu 0xf1ff
	v_xor_b32_e32 v40, s8, v40
	v_cmp_gt_i32_e64 s8, 0, v39
	v_and_b32_e32 v36, exec_lo, v36
	v_not_b32_e32 v39, v107
	v_ashrrev_i32_e32 v38, 31, v38
	s_wait_alu 0xfffd
	v_xor_b32_e32 v37, vcc_lo, v37
	v_cmp_gt_i32_e32 vcc_lo, 0, v107
	v_and_b32_e32 v36, v36, v40
	v_not_b32_e32 v40, v108
	v_ashrrev_i32_e32 v39, 31, v39
	s_wait_alu 0xf1ff
	v_xor_b32_e32 v38, s8, v38
	v_lshlrev_b32_e32 v34, 24, v34
	v_and_b32_e32 v36, v36, v37
	v_cmp_gt_i32_e64 s8, 0, v108
	v_not_b32_e32 v37, v109
	v_ashrrev_i32_e32 v40, 31, v40
	s_wait_alu 0xfffd
	v_xor_b32_e32 v39, vcc_lo, v39
	v_and_b32_e32 v36, v36, v38
	v_cmp_gt_i32_e32 vcc_lo, 0, v109
	v_not_b32_e32 v38, v34
	v_ashrrev_i32_e32 v37, 31, v37
	s_wait_alu 0xf1ff
	v_xor_b32_e32 v40, s8, v40
	v_and_b32_e32 v36, v36, v39
	v_lshlrev_b32_e32 v35, 6, v35
	v_cmp_gt_i32_e64 s8, 0, v34
	v_ashrrev_i32_e32 v34, 31, v38
	s_wait_alu 0xfffd
	v_xor_b32_e32 v37, vcc_lo, v37
	v_and_b32_e32 v36, v36, v40
	v_add_nc_u32_e32 v109, v33, v35
	s_wait_alu 0xf1ff
	v_xor_b32_e32 v33, s8, v34
	s_delay_alu instid0(VALU_DEP_3) | instskip(SKIP_2) | instid1(VALU_DEP_1)
	v_and_b32_e32 v34, v36, v37
	ds_load_b32 v107, v109 offset:64
	; wave barrier
	v_and_b32_e32 v33, v34, v33
	v_mbcnt_lo_u32_b32 v108, v33, 0
	v_cmp_ne_u32_e64 s8, 0, v33
	s_delay_alu instid0(VALU_DEP_2)
	v_cmp_eq_u32_e32 vcc_lo, 0, v108
	s_and_b32 s9, s8, vcc_lo
	s_wait_alu 0xfffe
	s_and_saveexec_b32 s8, s9
	s_cbranch_execz .LBB100_46
; %bb.45:
	s_wait_dscnt 0x0
	v_bcnt_u32_b32 v33, v33, v107
	ds_store_b32 v109, v33 offset:64
.LBB100_46:
	s_wait_alu 0xfffe
	s_or_b32 exec_lo, exec_lo, s8
	; wave barrier
	s_wait_loadcnt_dscnt 0x0
	s_barrier_signal -1
	s_barrier_wait -1
	global_inv scope:SCOPE_SE
	ds_load_b128 v[37:40], v66 offset:64
	ds_load_b128 v[33:36], v66 offset:80
	v_min_u32_e32 v112, 0x1e0, v68
	s_mov_b32 s15, exec_lo
	s_wait_dscnt 0x1
	v_add_nc_u32_e32 v110, v38, v37
	s_delay_alu instid0(VALU_DEP_1) | instskip(SKIP_1) | instid1(VALU_DEP_1)
	v_add3_u32 v110, v110, v39, v40
	s_wait_dscnt 0x0
	v_add3_u32 v110, v110, v33, v34
	s_delay_alu instid0(VALU_DEP_1) | instskip(SKIP_1) | instid1(VALU_DEP_2)
	v_add3_u32 v36, v110, v35, v36
	v_and_b32_e32 v110, 15, v67
	v_mov_b32_dpp v111, v36 row_shr:1 row_mask:0xf bank_mask:0xf
	s_delay_alu instid0(VALU_DEP_2)
	v_cmp_eq_u32_e32 vcc_lo, 0, v110
	v_cmp_lt_u32_e64 s8, 1, v110
	v_cmp_lt_u32_e64 s9, 3, v110
	;; [unrolled: 1-line block ×3, first 2 shown]
	s_wait_alu 0xfffd
	v_cndmask_b32_e64 v111, v111, 0, vcc_lo
	s_delay_alu instid0(VALU_DEP_1) | instskip(NEXT) | instid1(VALU_DEP_1)
	v_add_nc_u32_e32 v36, v111, v36
	v_mov_b32_dpp v111, v36 row_shr:2 row_mask:0xf bank_mask:0xf
	s_wait_alu 0xf1ff
	s_delay_alu instid0(VALU_DEP_1) | instskip(NEXT) | instid1(VALU_DEP_1)
	v_cndmask_b32_e64 v111, 0, v111, s8
	v_add_nc_u32_e32 v36, v36, v111
	s_delay_alu instid0(VALU_DEP_1) | instskip(NEXT) | instid1(VALU_DEP_1)
	v_mov_b32_dpp v111, v36 row_shr:4 row_mask:0xf bank_mask:0xf
	v_cndmask_b32_e64 v111, 0, v111, s9
	s_delay_alu instid0(VALU_DEP_1) | instskip(NEXT) | instid1(VALU_DEP_1)
	v_add_nc_u32_e32 v36, v36, v111
	v_mov_b32_dpp v111, v36 row_shr:8 row_mask:0xf bank_mask:0xf
	s_delay_alu instid0(VALU_DEP_1) | instskip(SKIP_1) | instid1(VALU_DEP_2)
	v_cndmask_b32_e64 v110, 0, v111, s10
	v_bfe_i32 v111, v67, 4, 1
	v_add_nc_u32_e32 v36, v36, v110
	ds_swizzle_b32 v110, v36 offset:swizzle(BROADCAST,32,15)
	s_wait_dscnt 0x0
	v_and_b32_e32 v110, v111, v110
	v_or_b32_e32 v111, 31, v112
	s_delay_alu instid0(VALU_DEP_2) | instskip(NEXT) | instid1(VALU_DEP_2)
	v_add_nc_u32_e32 v36, v36, v110
	v_cmpx_eq_u32_e64 v44, v111
; %bb.47:
	v_lshlrev_b32_e32 v110, 2, v65
	ds_store_b32 v110, v36
; %bb.48:
	s_wait_alu 0xfffe
	s_or_b32 exec_lo, exec_lo, s15
	s_delay_alu instid0(SALU_CYCLE_1)
	s_mov_b32 s15, exec_lo
	s_wait_loadcnt_dscnt 0x0
	s_barrier_signal -1
	s_barrier_wait -1
	global_inv scope:SCOPE_SE
	v_cmpx_gt_u32_e32 16, v44
	s_cbranch_execz .LBB100_50
; %bb.49:
	v_lshlrev_b32_e32 v110, 2, v44
	ds_load_b32 v111, v110
	s_wait_dscnt 0x0
	v_mov_b32_dpp v112, v111 row_shr:1 row_mask:0xf bank_mask:0xf
	s_delay_alu instid0(VALU_DEP_1) | instskip(NEXT) | instid1(VALU_DEP_1)
	v_cndmask_b32_e64 v112, v112, 0, vcc_lo
	v_add_nc_u32_e32 v111, v112, v111
	s_delay_alu instid0(VALU_DEP_1) | instskip(NEXT) | instid1(VALU_DEP_1)
	v_mov_b32_dpp v112, v111 row_shr:2 row_mask:0xf bank_mask:0xf
	v_cndmask_b32_e64 v112, 0, v112, s8
	s_delay_alu instid0(VALU_DEP_1) | instskip(NEXT) | instid1(VALU_DEP_1)
	v_add_nc_u32_e32 v111, v111, v112
	v_mov_b32_dpp v112, v111 row_shr:4 row_mask:0xf bank_mask:0xf
	s_delay_alu instid0(VALU_DEP_1) | instskip(NEXT) | instid1(VALU_DEP_1)
	v_cndmask_b32_e64 v112, 0, v112, s9
	v_add_nc_u32_e32 v111, v111, v112
	s_delay_alu instid0(VALU_DEP_1) | instskip(NEXT) | instid1(VALU_DEP_1)
	v_mov_b32_dpp v112, v111 row_shr:8 row_mask:0xf bank_mask:0xf
	v_cndmask_b32_e64 v112, 0, v112, s10
	s_delay_alu instid0(VALU_DEP_1)
	v_add_nc_u32_e32 v111, v111, v112
	ds_store_b32 v110, v111
.LBB100_50:
	s_wait_alu 0xfffe
	s_or_b32 exec_lo, exec_lo, s15
	v_mov_b32_e32 v110, 0
	s_mov_b32 s8, exec_lo
	s_wait_loadcnt_dscnt 0x0
	s_barrier_signal -1
	s_barrier_wait -1
	global_inv scope:SCOPE_SE
	v_cmpx_lt_u32_e32 31, v44
; %bb.51:
	v_lshl_add_u32 v110, v65, 2, -4
	ds_load_b32 v110, v110
; %bb.52:
	s_wait_alu 0xfffe
	s_or_b32 exec_lo, exec_lo, s8
	v_sub_co_u32 v111, vcc_lo, v67, 1
	s_wait_dscnt 0x0
	v_add_nc_u32_e32 v36, v110, v36
	s_delay_alu instid0(VALU_DEP_2) | instskip(SKIP_1) | instid1(VALU_DEP_1)
	v_cmp_gt_i32_e64 s8, 0, v111
	s_wait_alu 0xf1ff
	v_cndmask_b32_e64 v111, v111, v67, s8
	s_delay_alu instid0(VALU_DEP_1)
	v_lshlrev_b32_e32 v111, 2, v111
	ds_bpermute_b32 v36, v111, v36
	s_wait_dscnt 0x0
	s_wait_alu 0xfffd
	v_cndmask_b32_e32 v36, v36, v110, vcc_lo
	v_cmp_ne_u32_e32 vcc_lo, 0, v44
	s_wait_alu 0xfffd
	s_delay_alu instid0(VALU_DEP_2) | instskip(NEXT) | instid1(VALU_DEP_1)
	v_cndmask_b32_e32 v36, 0, v36, vcc_lo
	v_add_nc_u32_e32 v37, v36, v37
	s_delay_alu instid0(VALU_DEP_1) | instskip(NEXT) | instid1(VALU_DEP_1)
	v_add_nc_u32_e32 v38, v37, v38
	v_add_nc_u32_e32 v39, v38, v39
	s_delay_alu instid0(VALU_DEP_1) | instskip(NEXT) | instid1(VALU_DEP_1)
	v_add_nc_u32_e32 v110, v39, v40
	;; [unrolled: 3-line block ×3, first 2 shown]
	v_add_nc_u32_e32 v113, v112, v35
	ds_store_b128 v66, v[36:39] offset:64
	ds_store_b128 v66, v[110:113] offset:80
	s_wait_loadcnt_dscnt 0x0
	s_barrier_signal -1
	s_barrier_wait -1
	global_inv scope:SCOPE_SE
	ds_load_b32 v33, v88 offset:64
	ds_load_b32 v34, v91 offset:64
	;; [unrolled: 1-line block ×8, first 2 shown]
	s_wait_loadcnt_dscnt 0x0
	s_barrier_signal -1
	s_barrier_wait -1
	global_inv scope:SCOPE_SE
	v_mad_u32_u24 v88, v44, 56, v60
	v_add_nc_u32_e32 v33, v33, v87
	v_add3_u32 v34, v90, v89, v34
	v_add3_u32 v35, v93, v92, v35
	;; [unrolled: 1-line block ×7, first 2 shown]
	ds_store_b8 v33, v0
	ds_store_b8 v34, v80
	;; [unrolled: 1-line block ×8, first 2 shown]
	s_wait_loadcnt_dscnt 0x0
	s_barrier_signal -1
	s_barrier_wait -1
	global_inv scope:SCOPE_SE
	v_lshlrev_b32_e32 v0, 3, v33
	v_lshlrev_b32_e32 v80, 3, v34
	ds_load_b64 v[33:34], v60
	v_lshlrev_b32_e32 v35, 3, v35
	v_lshlrev_b32_e32 v36, 3, v36
	;; [unrolled: 1-line block ×6, first 2 shown]
	s_wait_loadcnt_dscnt 0x0
	s_barrier_signal -1
	s_barrier_wait -1
	global_inv scope:SCOPE_SE
	ds_store_b64 v0, v[21:22]
	ds_store_b64 v80, v[23:24]
	;; [unrolled: 1-line block ×8, first 2 shown]
	s_wait_loadcnt_dscnt 0x0
	s_barrier_signal -1
	s_barrier_wait -1
	global_inv scope:SCOPE_SE
	ds_load_b128 v[21:24], v88
	ds_load_b128 v[17:20], v88 offset:16
	v_lshrrev_b32_e32 v0, 16, v33
	v_xor_b32_e32 v25, 0x80, v33
	v_lshrrev_b32_e32 v26, 16, v34
	v_and_b32_e32 v35, 0xffffff00, v34
	v_xor_b32_e32 v27, 0x80, v34
	v_and_b32_e32 v33, 0xffffff00, v33
	v_and_b32_e32 v34, 0xff, v25
	v_xor_b32_e32 v25, 0x80, v0
	v_xor_b32_e32 v28, 0x80, v26
	v_and_b32_e32 v0, 0xffffff00, v0
	v_and_b32_e32 v36, 0xff, v27
	;; [unrolled: 1-line block ×5, first 2 shown]
	ds_load_b128 v[29:32], v88 offset:32
	ds_load_b128 v[25:28], v88 offset:48
	v_or_b32_e32 v33, v34, v33
	v_or_b32_e32 v34, v36, v35
	;; [unrolled: 1-line block ×4, first 2 shown]
	s_delay_alu instid0(VALU_DEP_4) | instskip(NEXT) | instid1(VALU_DEP_4)
	v_add_nc_u16 v33, 0x8000, v33
	v_add_nc_u16 v34, 0x8000, v34
	s_delay_alu instid0(VALU_DEP_4) | instskip(NEXT) | instid1(VALU_DEP_4)
	v_add_nc_u16 v0, 0x8000, v0
	v_add_nc_u16 v35, 0x8000, v35
	s_delay_alu instid0(VALU_DEP_4) | instskip(NEXT) | instid1(VALU_DEP_4)
	v_and_b32_e32 v33, 0xffff, v33
	v_and_b32_e32 v34, 0xffff, v34
	s_delay_alu instid0(VALU_DEP_4) | instskip(NEXT) | instid1(VALU_DEP_4)
	v_lshlrev_b32_e32 v0, 16, v0
	v_lshlrev_b32_e32 v35, 16, v35
	s_delay_alu instid0(VALU_DEP_2) | instskip(NEXT) | instid1(VALU_DEP_2)
	v_or_b32_e32 v0, v33, v0
	v_or_b32_e32 v33, v34, v35
	s_branch .LBB100_84
.LBB100_53:
	v_lshlrev_b64_e32 v[1:2], 3, v[41:42]
	v_dual_mov_b32 v43, v42 :: v_dual_mov_b32 v10, v42
	v_dual_mov_b32 v9, v42 :: v_dual_mov_b32 v12, v42
	v_mov_b32_e32 v11, v42
	s_wait_alu 0xfffe
	s_delay_alu instid0(VALU_DEP_4) | instskip(NEXT) | instid1(VALU_DEP_1)
	v_add_co_u32 v1, vcc_lo, s12, v1
	v_add_co_ci_u32_e64 v2, null, s13, v2, vcc_lo
	v_dual_mov_b32 v3, v42 :: v_dual_mov_b32 v6, v42
	v_dual_mov_b32 v5, v42 :: v_dual_mov_b32 v8, v42
	global_load_b64 v[13:14], v[1:2], off
	v_dual_mov_b32 v1, v42 :: v_dual_mov_b32 v4, v42
	v_dual_mov_b32 v2, v42 :: v_dual_mov_b32 v7, v42
	s_or_b32 exec_lo, exec_lo, s9
	s_and_saveexec_b32 s9, s1
	s_cbranch_execz .LBB100_22
.LBB100_54:
	v_mul_lo_u32 v29, s16, v29
	v_mov_b32_e32 v30, 0
	s_delay_alu instid0(VALU_DEP_1) | instskip(NEXT) | instid1(VALU_DEP_1)
	v_lshlrev_b64_e32 v[29:30], 3, v[29:30]
	v_add_co_u32 v29, vcc_lo, s12, v29
	s_wait_alu 0xfffd
	s_delay_alu instid0(VALU_DEP_2)
	v_add_co_ci_u32_e64 v30, null, s13, v30, vcc_lo
	global_load_b64 v[42:43], v[29:30], off
	s_wait_alu 0xfffe
	s_or_b32 exec_lo, exec_lo, s9
	s_and_saveexec_b32 s9, s2
	s_cbranch_execz .LBB100_23
.LBB100_55:
	v_mul_lo_u32 v9, s16, v28
	v_mov_b32_e32 v10, 0
	s_delay_alu instid0(VALU_DEP_1) | instskip(NEXT) | instid1(VALU_DEP_1)
	v_lshlrev_b64_e32 v[9:10], 3, v[9:10]
	v_add_co_u32 v9, vcc_lo, s12, v9
	s_wait_alu 0xfffd
	s_delay_alu instid0(VALU_DEP_2)
	v_add_co_ci_u32_e64 v10, null, s13, v10, vcc_lo
	global_load_b64 v[9:10], v[9:10], off
	s_wait_alu 0xfffe
	s_or_b32 exec_lo, exec_lo, s9
	s_and_saveexec_b32 s9, s3
	s_cbranch_execz .LBB100_24
.LBB100_56:
	v_mul_lo_u32 v11, s16, v26
	v_mov_b32_e32 v12, 0
	s_delay_alu instid0(VALU_DEP_1) | instskip(NEXT) | instid1(VALU_DEP_1)
	v_lshlrev_b64_e32 v[11:12], 3, v[11:12]
	v_add_co_u32 v11, vcc_lo, s12, v11
	s_wait_alu 0xfffd
	s_delay_alu instid0(VALU_DEP_2)
	v_add_co_ci_u32_e64 v12, null, s13, v12, vcc_lo
	global_load_b64 v[11:12], v[11:12], off
	s_wait_alu 0xfffe
	s_or_b32 exec_lo, exec_lo, s9
	s_and_saveexec_b32 s9, s4
	s_cbranch_execz .LBB100_25
.LBB100_57:
	v_mul_lo_u32 v1, s16, v22
	v_mov_b32_e32 v2, 0
	s_delay_alu instid0(VALU_DEP_1) | instskip(NEXT) | instid1(VALU_DEP_1)
	v_lshlrev_b64_e32 v[1:2], 3, v[1:2]
	v_add_co_u32 v1, vcc_lo, s12, v1
	s_wait_alu 0xfffd
	s_delay_alu instid0(VALU_DEP_2)
	v_add_co_ci_u32_e64 v2, null, s13, v2, vcc_lo
	global_load_b64 v[1:2], v[1:2], off
	s_wait_alu 0xfffe
	s_or_b32 exec_lo, exec_lo, s9
	s_and_saveexec_b32 s9, s5
	s_cbranch_execz .LBB100_26
.LBB100_58:
	v_mul_lo_u32 v3, s16, v19
	v_mov_b32_e32 v4, 0
	s_delay_alu instid0(VALU_DEP_1) | instskip(NEXT) | instid1(VALU_DEP_1)
	v_lshlrev_b64_e32 v[3:4], 3, v[3:4]
	v_add_co_u32 v3, vcc_lo, s12, v3
	s_wait_alu 0xfffd
	s_delay_alu instid0(VALU_DEP_2)
	v_add_co_ci_u32_e64 v4, null, s13, v4, vcc_lo
	global_load_b64 v[3:4], v[3:4], off
	s_wait_alu 0xfffe
	s_or_b32 exec_lo, exec_lo, s9
	s_and_saveexec_b32 s9, s6
	s_cbranch_execz .LBB100_27
.LBB100_59:
	v_mul_lo_u32 v5, s16, v16
	v_mov_b32_e32 v6, 0
	s_delay_alu instid0(VALU_DEP_1) | instskip(NEXT) | instid1(VALU_DEP_1)
	v_lshlrev_b64_e32 v[5:6], 3, v[5:6]
	v_add_co_u32 v5, vcc_lo, s12, v5
	s_wait_alu 0xfffd
	s_delay_alu instid0(VALU_DEP_2)
	v_add_co_ci_u32_e64 v6, null, s13, v6, vcc_lo
	global_load_b64 v[5:6], v[5:6], off
	s_wait_alu 0xfffe
	s_or_b32 exec_lo, exec_lo, s9
	s_xor_b32 s9, s8, -1
	s_and_saveexec_b32 s8, s7
	s_cbranch_execnz .LBB100_28
	s_branch .LBB100_29
.LBB100_60:
                                        ; implicit-def: $vgpr27_vgpr28
                                        ; implicit-def: $vgpr31_vgpr32
                                        ; implicit-def: $vgpr19_vgpr20
                                        ; implicit-def: $vgpr23_vgpr24
                                        ; implicit-def: $vgpr33
                                        ; implicit-def: $vgpr0
	s_and_b32 vcc_lo, exec_lo, s9
	s_wait_alu 0xfffe
	s_cbranch_vccz .LBB100_84
; %bb.61:
	v_xor_b32_e32 v0, 0x7f, v45
	s_wait_dscnt 0x2
	v_xor_b32_e32 v17, 0x7f, v79
	v_xor_b32_e32 v18, 0x7f, v78
	;; [unrolled: 1-line block ×7, first 2 shown]
	v_and_b32_e32 v0, 0xff, v0
	v_lshlrev_b16 v17, 8, v17
	v_and_b32_e32 v18, 0xff, v18
	v_lshlrev_b16 v19, 8, v19
	v_and_b32_e32 v20, 0xff, v20
	v_lshlrev_b16 v21, 8, v21
	v_and_b32_e32 v22, 0xff, v22
	v_lshlrev_b16 v23, 8, v23
	v_or_b32_e32 v0, v0, v17
	v_or_b32_e32 v17, v18, v19
	;; [unrolled: 1-line block ×3, first 2 shown]
	s_getpc_b64 s[8:9]
	s_wait_alu 0xfffe
	s_sext_i32_i16 s9, s9
	s_add_co_u32 s8, s8, _ZN7rocprim17ROCPRIM_400000_NS16block_radix_sortIaLj512ELj8ElLj1ELj1ELj0ELNS0_26block_radix_rank_algorithmE1ELNS0_18block_padding_hintE2ELNS0_4arch9wavefront6targetE0EE19radix_bits_per_passE@rel32@lo+12
	s_wait_alu 0xfffe
	s_add_co_ci_u32 s9, s9, _ZN7rocprim17ROCPRIM_400000_NS16block_radix_sortIaLj512ELj8ElLj1ELj1ELj0ELNS0_26block_radix_rank_algorithmE1ELNS0_18block_padding_hintE2ELNS0_4arch9wavefront6targetE0EE19radix_bits_per_passE@rel32@hi+24
	v_or_b32_e32 v19, v22, v23
	s_load_b32 s8, s[8:9], 0x0
	v_and_b32_e32 v0, 0xffff, v0
	v_lshlrev_b32_e32 v17, 16, v17
	v_and_b32_e32 v18, 0xffff, v18
	v_lshlrev_b32_e32 v19, 16, v19
	s_delay_alu instid0(VALU_DEP_3) | instskip(SKIP_1) | instid1(VALU_DEP_3)
	v_or_b32_e32 v17, v0, v17
	v_mad_u32_u24 v0, v72, 7, v72
	v_or_b32_e32 v18, v18, v19
	ds_store_b64 v72, v[17:18]
	; wave barrier
	ds_load_u8 v24, v73
	s_wait_dscnt 0x2
	ds_load_u8 v25, v73 offset:32
	ds_load_u8 v26, v73 offset:64
	;; [unrolled: 1-line block ×7, first 2 shown]
	s_wait_loadcnt_dscnt 0x0
	s_barrier_signal -1
	s_wait_kmcnt 0x0
	s_min_u32 s8, s8, 8
	s_barrier_wait -1
	s_wait_alu 0xfffe
	s_lshl_b32 s8, -1, s8
	global_inv scope:SCOPE_SE
	s_wait_alu 0xfffe
	s_not_b32 s9, s8
	ds_store_b128 v0, v[13:16]
	ds_store_b128 v0, v[9:12] offset:16
	ds_store_b128 v0, v[5:8] offset:32
	;; [unrolled: 1-line block ×3, first 2 shown]
	; wave barrier
	ds_load_2addr_b64 v[12:15], v71 offset1:32
	ds_load_2addr_b64 v[4:7], v71 offset0:64 offset1:96
	ds_load_2addr_b64 v[0:3], v71 offset0:128 offset1:160
	s_wait_alu 0xfffe
	v_and_b32_e32 v22, s9, v24
	s_delay_alu instid0(VALU_DEP_1) | instskip(SKIP_3) | instid1(VALU_DEP_4)
	v_and_b32_e32 v8, 1, v22
	v_lshlrev_b32_e32 v18, 30, v22
	v_lshlrev_b32_e32 v19, 29, v22
	;; [unrolled: 1-line block ×3, first 2 shown]
	v_add_co_u32 v16, s8, v8, -1
	s_wait_alu 0xf1ff
	v_cndmask_b32_e64 v17, 0, 1, s8
	ds_load_2addr_b64 v[8:11], v71 offset0:192 offset1:224
	s_wait_loadcnt_dscnt 0x0
	s_barrier_signal -1
	s_barrier_wait -1
	v_cmp_ne_u32_e32 vcc_lo, 0, v17
	v_not_b32_e32 v17, v18
	global_inv scope:SCOPE_SE
	s_load_b32 s8, s[20:21], 0xc
	s_mov_b32 s20, 0
	v_xor_b32_e32 v16, vcc_lo, v16
	v_cmp_gt_i32_e32 vcc_lo, 0, v18
	v_ashrrev_i32_e32 v17, 31, v17
	v_not_b32_e32 v18, v19
	s_mov_b32 s21, s20
	v_and_b32_e32 v16, exec_lo, v16
	s_mov_b32 s22, s20
	s_wait_alu 0xfffd
	v_xor_b32_e32 v17, vcc_lo, v17
	v_cmp_gt_i32_e32 vcc_lo, 0, v19
	v_ashrrev_i32_e32 v18, 31, v18
	v_not_b32_e32 v19, v20
	s_mov_b32 s23, s20
	v_and_b32_e32 v16, v16, v17
	v_lshlrev_b32_e32 v17, 27, v22
	s_wait_alu 0xfffd
	v_xor_b32_e32 v18, vcc_lo, v18
	v_cmp_gt_i32_e32 vcc_lo, 0, v20
	v_ashrrev_i32_e32 v19, 31, v19
	v_not_b32_e32 v20, v17
	s_delay_alu instid0(VALU_DEP_4)
	v_and_b32_e32 v16, v16, v18
	v_lshlrev_b32_e32 v18, 26, v22
	s_wait_alu 0xfffd
	v_xor_b32_e32 v19, vcc_lo, v19
	v_cmp_gt_i32_e32 vcc_lo, 0, v17
	v_ashrrev_i32_e32 v17, 31, v20
	s_wait_kmcnt 0x0
	s_lshr_b32 s10, s8, 16
	v_not_b32_e32 v20, v18
	v_and_b32_e32 v16, v16, v19
	v_lshlrev_b32_e32 v19, 25, v22
	s_wait_alu 0xfffd
	v_xor_b32_e32 v17, vcc_lo, v17
	v_cmp_gt_i32_e32 vcc_lo, 0, v18
	v_ashrrev_i32_e32 v18, 31, v20
	s_and_b32 s8, s8, 0xffff
	v_not_b32_e32 v20, v19
	v_and_b32_e32 v16, v16, v17
	v_lshlrev_b32_e32 v17, 24, v22
	s_wait_alu 0xfffd
	v_xor_b32_e32 v18, vcc_lo, v18
	v_cmp_gt_i32_e32 vcc_lo, 0, v19
	v_ashrrev_i32_e32 v19, 31, v20
	v_mad_u32_u24 v20, v70, s10, v69
	v_not_b32_e32 v21, v17
	v_and_b32_e32 v18, v16, v18
	v_and_b32_e32 v22, 0xff, v22
	s_wait_alu 0xfffd
	v_xor_b32_e32 v19, vcc_lo, v19
	v_cmp_gt_i32_e32 vcc_lo, 0, v17
	v_ashrrev_i32_e32 v21, 31, v21
	s_wait_alu 0xfffe
	v_mad_co_u64_u32 v[16:17], null, v20, s8, v[44:45]
	v_and_b32_e32 v17, v18, v19
	s_wait_alu 0xfffd
	v_xor_b32_e32 v23, vcc_lo, v21
	v_dual_mov_b32 v18, s20 :: v_dual_mov_b32 v19, s21
	v_dual_mov_b32 v20, s22 :: v_dual_mov_b32 v21, s23
	s_delay_alu instid0(VALU_DEP_3)
	v_and_b32_e32 v17, v17, v23
	v_lshrrev_b32_e32 v16, 3, v16
	ds_store_b128 v66, v[18:21] offset:64
	ds_store_b128 v66, v[18:21] offset:80
	v_mbcnt_lo_u32_b32 v32, v17, 0
	v_and_b32_e32 v16, 0x1ffffffc, v16
	v_lshlrev_b32_e32 v18, 6, v22
	v_cmp_ne_u32_e64 s8, 0, v17
	s_wait_loadcnt_dscnt 0x0
	v_cmp_eq_u32_e32 vcc_lo, 0, v32
	s_barrier_signal -1
	v_add_nc_u32_e32 v33, v16, v18
	s_barrier_wait -1
	global_inv scope:SCOPE_SE
	s_and_b32 s10, s8, vcc_lo
	; wave barrier
	s_wait_alu 0xfffe
	s_and_saveexec_b32 s8, s10
; %bb.62:
	v_bcnt_u32_b32 v17, v17, 0
	ds_store_b32 v33, v17 offset:64
; %bb.63:
	s_wait_alu 0xfffe
	s_or_b32 exec_lo, exec_lo, s8
	v_and_b32_e32 v17, s9, v25
	; wave barrier
	s_delay_alu instid0(VALU_DEP_1)
	v_and_b32_e32 v19, 1, v17
	v_lshlrev_b32_e32 v20, 30, v17
	v_lshlrev_b32_e32 v21, 29, v17
	;; [unrolled: 1-line block ×4, first 2 shown]
	v_add_co_u32 v19, s8, v19, -1
	s_wait_alu 0xf1ff
	v_cndmask_b32_e64 v23, 0, 1, s8
	v_not_b32_e32 v37, v20
	v_cmp_gt_i32_e64 s8, 0, v20
	v_not_b32_e32 v20, v21
	v_lshlrev_b32_e32 v35, 26, v17
	v_cmp_ne_u32_e32 vcc_lo, 0, v23
	v_ashrrev_i32_e32 v23, 31, v37
	v_lshlrev_b32_e32 v36, 25, v17
	v_ashrrev_i32_e32 v20, 31, v20
	v_and_b32_e32 v18, 0xff, v17
	s_wait_alu 0xfffd
	v_xor_b32_e32 v19, vcc_lo, v19
	v_cmp_gt_i32_e32 vcc_lo, 0, v21
	v_not_b32_e32 v21, v22
	s_wait_alu 0xf1ff
	v_xor_b32_e32 v23, s8, v23
	v_cmp_gt_i32_e64 s8, 0, v22
	v_and_b32_e32 v19, exec_lo, v19
	v_not_b32_e32 v22, v34
	v_ashrrev_i32_e32 v21, 31, v21
	s_wait_alu 0xfffd
	v_xor_b32_e32 v20, vcc_lo, v20
	v_cmp_gt_i32_e32 vcc_lo, 0, v34
	v_and_b32_e32 v19, v19, v23
	v_not_b32_e32 v23, v35
	v_ashrrev_i32_e32 v22, 31, v22
	s_wait_alu 0xf1ff
	v_xor_b32_e32 v21, s8, v21
	v_lshlrev_b32_e32 v17, 24, v17
	v_and_b32_e32 v19, v19, v20
	v_cmp_gt_i32_e64 s8, 0, v35
	v_not_b32_e32 v20, v36
	v_ashrrev_i32_e32 v23, 31, v23
	s_wait_alu 0xfffd
	v_xor_b32_e32 v22, vcc_lo, v22
	v_and_b32_e32 v19, v19, v21
	v_cmp_gt_i32_e32 vcc_lo, 0, v36
	v_not_b32_e32 v21, v17
	v_ashrrev_i32_e32 v20, 31, v20
	s_wait_alu 0xf1ff
	v_xor_b32_e32 v23, s8, v23
	v_and_b32_e32 v19, v19, v22
	v_lshlrev_b32_e32 v18, 6, v18
	v_cmp_gt_i32_e64 s8, 0, v17
	v_ashrrev_i32_e32 v17, 31, v21
	s_wait_alu 0xfffd
	v_xor_b32_e32 v20, vcc_lo, v20
	v_and_b32_e32 v19, v19, v23
	v_add_nc_u32_e32 v36, v16, v18
	s_wait_alu 0xf1ff
	v_xor_b32_e32 v17, s8, v17
	s_delay_alu instid0(VALU_DEP_3) | instskip(SKIP_2) | instid1(VALU_DEP_1)
	v_and_b32_e32 v18, v19, v20
	ds_load_b32 v34, v36 offset:64
	; wave barrier
	v_and_b32_e32 v17, v18, v17
	v_mbcnt_lo_u32_b32 v35, v17, 0
	v_cmp_ne_u32_e64 s8, 0, v17
	s_delay_alu instid0(VALU_DEP_2)
	v_cmp_eq_u32_e32 vcc_lo, 0, v35
	s_and_b32 s10, s8, vcc_lo
	s_wait_alu 0xfffe
	s_and_saveexec_b32 s8, s10
	s_cbranch_execz .LBB100_65
; %bb.64:
	s_wait_dscnt 0x0
	v_bcnt_u32_b32 v17, v17, v34
	ds_store_b32 v36, v17 offset:64
.LBB100_65:
	s_wait_alu 0xfffe
	s_or_b32 exec_lo, exec_lo, s8
	v_and_b32_e32 v17, s9, v26
	; wave barrier
	s_delay_alu instid0(VALU_DEP_1)
	v_and_b32_e32 v19, 1, v17
	v_lshlrev_b32_e32 v20, 30, v17
	v_lshlrev_b32_e32 v21, 29, v17
	;; [unrolled: 1-line block ×4, first 2 shown]
	v_add_co_u32 v19, s8, v19, -1
	s_wait_alu 0xf1ff
	v_cndmask_b32_e64 v23, 0, 1, s8
	v_not_b32_e32 v40, v20
	v_cmp_gt_i32_e64 s8, 0, v20
	v_not_b32_e32 v20, v21
	v_lshlrev_b32_e32 v38, 26, v17
	v_cmp_ne_u32_e32 vcc_lo, 0, v23
	v_ashrrev_i32_e32 v23, 31, v40
	v_lshlrev_b32_e32 v39, 25, v17
	v_ashrrev_i32_e32 v20, 31, v20
	v_and_b32_e32 v18, 0xff, v17
	s_wait_alu 0xfffd
	v_xor_b32_e32 v19, vcc_lo, v19
	v_cmp_gt_i32_e32 vcc_lo, 0, v21
	v_not_b32_e32 v21, v22
	s_wait_alu 0xf1ff
	v_xor_b32_e32 v23, s8, v23
	v_cmp_gt_i32_e64 s8, 0, v22
	v_and_b32_e32 v19, exec_lo, v19
	v_not_b32_e32 v22, v37
	v_ashrrev_i32_e32 v21, 31, v21
	s_wait_alu 0xfffd
	v_xor_b32_e32 v20, vcc_lo, v20
	v_cmp_gt_i32_e32 vcc_lo, 0, v37
	v_and_b32_e32 v19, v19, v23
	v_not_b32_e32 v23, v38
	v_ashrrev_i32_e32 v22, 31, v22
	s_wait_alu 0xf1ff
	v_xor_b32_e32 v21, s8, v21
	v_lshlrev_b32_e32 v17, 24, v17
	v_and_b32_e32 v19, v19, v20
	v_cmp_gt_i32_e64 s8, 0, v38
	v_not_b32_e32 v20, v39
	v_ashrrev_i32_e32 v23, 31, v23
	s_wait_alu 0xfffd
	v_xor_b32_e32 v22, vcc_lo, v22
	v_and_b32_e32 v19, v19, v21
	v_cmp_gt_i32_e32 vcc_lo, 0, v39
	v_not_b32_e32 v21, v17
	v_ashrrev_i32_e32 v20, 31, v20
	s_wait_alu 0xf1ff
	v_xor_b32_e32 v23, s8, v23
	v_and_b32_e32 v19, v19, v22
	v_lshlrev_b32_e32 v18, 6, v18
	v_cmp_gt_i32_e64 s8, 0, v17
	v_ashrrev_i32_e32 v17, 31, v21
	s_wait_alu 0xfffd
	v_xor_b32_e32 v20, vcc_lo, v20
	v_and_b32_e32 v19, v19, v23
	v_add_nc_u32_e32 v39, v16, v18
	s_wait_alu 0xf1ff
	v_xor_b32_e32 v17, s8, v17
	s_delay_alu instid0(VALU_DEP_3) | instskip(SKIP_2) | instid1(VALU_DEP_1)
	v_and_b32_e32 v18, v19, v20
	ds_load_b32 v37, v39 offset:64
	; wave barrier
	v_and_b32_e32 v17, v18, v17
	v_mbcnt_lo_u32_b32 v38, v17, 0
	v_cmp_ne_u32_e64 s8, 0, v17
	s_delay_alu instid0(VALU_DEP_2)
	v_cmp_eq_u32_e32 vcc_lo, 0, v38
	s_and_b32 s10, s8, vcc_lo
	s_wait_alu 0xfffe
	s_and_saveexec_b32 s8, s10
	s_cbranch_execz .LBB100_67
; %bb.66:
	s_wait_dscnt 0x0
	v_bcnt_u32_b32 v17, v17, v37
	ds_store_b32 v39, v17 offset:64
.LBB100_67:
	s_wait_alu 0xfffe
	s_or_b32 exec_lo, exec_lo, s8
	v_and_b32_e32 v17, s9, v27
	; wave barrier
	s_delay_alu instid0(VALU_DEP_1)
	v_and_b32_e32 v19, 1, v17
	v_lshlrev_b32_e32 v20, 30, v17
	v_lshlrev_b32_e32 v21, 29, v17
	;; [unrolled: 1-line block ×4, first 2 shown]
	v_add_co_u32 v19, s8, v19, -1
	s_wait_alu 0xf1ff
	v_cndmask_b32_e64 v23, 0, 1, s8
	v_not_b32_e32 v69, v20
	v_cmp_gt_i32_e64 s8, 0, v20
	v_not_b32_e32 v20, v21
	v_lshlrev_b32_e32 v45, 26, v17
	v_cmp_ne_u32_e32 vcc_lo, 0, v23
	v_ashrrev_i32_e32 v23, 31, v69
	v_lshlrev_b32_e32 v46, 25, v17
	v_ashrrev_i32_e32 v20, 31, v20
	v_and_b32_e32 v18, 0xff, v17
	s_wait_alu 0xfffd
	v_xor_b32_e32 v19, vcc_lo, v19
	v_cmp_gt_i32_e32 vcc_lo, 0, v21
	v_not_b32_e32 v21, v22
	s_wait_alu 0xf1ff
	v_xor_b32_e32 v23, s8, v23
	v_cmp_gt_i32_e64 s8, 0, v22
	v_and_b32_e32 v19, exec_lo, v19
	v_not_b32_e32 v22, v40
	v_ashrrev_i32_e32 v21, 31, v21
	s_wait_alu 0xfffd
	v_xor_b32_e32 v20, vcc_lo, v20
	v_cmp_gt_i32_e32 vcc_lo, 0, v40
	v_and_b32_e32 v19, v19, v23
	v_not_b32_e32 v23, v45
	v_ashrrev_i32_e32 v22, 31, v22
	s_wait_alu 0xf1ff
	v_xor_b32_e32 v21, s8, v21
	v_lshlrev_b32_e32 v17, 24, v17
	v_and_b32_e32 v19, v19, v20
	v_cmp_gt_i32_e64 s8, 0, v45
	v_not_b32_e32 v20, v46
	v_ashrrev_i32_e32 v23, 31, v23
	s_wait_alu 0xfffd
	v_xor_b32_e32 v22, vcc_lo, v22
	v_and_b32_e32 v19, v19, v21
	v_cmp_gt_i32_e32 vcc_lo, 0, v46
	v_not_b32_e32 v21, v17
	v_ashrrev_i32_e32 v20, 31, v20
	s_wait_alu 0xf1ff
	v_xor_b32_e32 v23, s8, v23
	v_and_b32_e32 v19, v19, v22
	v_lshlrev_b32_e32 v18, 6, v18
	v_cmp_gt_i32_e64 s8, 0, v17
	v_ashrrev_i32_e32 v17, 31, v21
	s_wait_alu 0xfffd
	v_xor_b32_e32 v20, vcc_lo, v20
	v_and_b32_e32 v19, v19, v23
	v_add_nc_u32_e32 v46, v16, v18
	s_wait_alu 0xf1ff
	v_xor_b32_e32 v17, s8, v17
	s_delay_alu instid0(VALU_DEP_3) | instskip(SKIP_2) | instid1(VALU_DEP_1)
	v_and_b32_e32 v18, v19, v20
	ds_load_b32 v40, v46 offset:64
	; wave barrier
	v_and_b32_e32 v17, v18, v17
	v_mbcnt_lo_u32_b32 v45, v17, 0
	v_cmp_ne_u32_e64 s8, 0, v17
	s_delay_alu instid0(VALU_DEP_2)
	v_cmp_eq_u32_e32 vcc_lo, 0, v45
	s_and_b32 s10, s8, vcc_lo
	s_wait_alu 0xfffe
	s_and_saveexec_b32 s8, s10
	s_cbranch_execz .LBB100_69
; %bb.68:
	s_wait_dscnt 0x0
	v_bcnt_u32_b32 v17, v17, v40
	ds_store_b32 v46, v17 offset:64
.LBB100_69:
	s_wait_alu 0xfffe
	s_or_b32 exec_lo, exec_lo, s8
	v_and_b32_e32 v17, s9, v28
	; wave barrier
	s_delay_alu instid0(VALU_DEP_1)
	v_and_b32_e32 v19, 1, v17
	v_lshlrev_b32_e32 v20, 30, v17
	v_lshlrev_b32_e32 v21, 29, v17
	v_lshlrev_b32_e32 v22, 28, v17
	v_lshlrev_b32_e32 v69, 27, v17
	v_add_co_u32 v19, s8, v19, -1
	s_wait_alu 0xf1ff
	v_cndmask_b32_e64 v23, 0, 1, s8
	v_not_b32_e32 v72, v20
	v_cmp_gt_i32_e64 s8, 0, v20
	v_not_b32_e32 v20, v21
	v_lshlrev_b32_e32 v70, 26, v17
	v_cmp_ne_u32_e32 vcc_lo, 0, v23
	v_ashrrev_i32_e32 v23, 31, v72
	v_lshlrev_b32_e32 v71, 25, v17
	v_ashrrev_i32_e32 v20, 31, v20
	v_and_b32_e32 v18, 0xff, v17
	s_wait_alu 0xfffd
	v_xor_b32_e32 v19, vcc_lo, v19
	v_cmp_gt_i32_e32 vcc_lo, 0, v21
	v_not_b32_e32 v21, v22
	s_wait_alu 0xf1ff
	v_xor_b32_e32 v23, s8, v23
	v_cmp_gt_i32_e64 s8, 0, v22
	v_and_b32_e32 v19, exec_lo, v19
	v_not_b32_e32 v22, v69
	v_ashrrev_i32_e32 v21, 31, v21
	s_wait_alu 0xfffd
	v_xor_b32_e32 v20, vcc_lo, v20
	v_cmp_gt_i32_e32 vcc_lo, 0, v69
	v_and_b32_e32 v19, v19, v23
	v_not_b32_e32 v23, v70
	v_ashrrev_i32_e32 v22, 31, v22
	s_wait_alu 0xf1ff
	v_xor_b32_e32 v21, s8, v21
	v_lshlrev_b32_e32 v17, 24, v17
	v_and_b32_e32 v19, v19, v20
	v_cmp_gt_i32_e64 s8, 0, v70
	v_not_b32_e32 v20, v71
	v_ashrrev_i32_e32 v23, 31, v23
	s_wait_alu 0xfffd
	v_xor_b32_e32 v22, vcc_lo, v22
	v_and_b32_e32 v19, v19, v21
	v_cmp_gt_i32_e32 vcc_lo, 0, v71
	v_not_b32_e32 v21, v17
	v_ashrrev_i32_e32 v20, 31, v20
	s_wait_alu 0xf1ff
	v_xor_b32_e32 v23, s8, v23
	v_and_b32_e32 v19, v19, v22
	v_lshlrev_b32_e32 v18, 6, v18
	v_cmp_gt_i32_e64 s8, 0, v17
	v_ashrrev_i32_e32 v17, 31, v21
	s_wait_alu 0xfffd
	v_xor_b32_e32 v20, vcc_lo, v20
	v_and_b32_e32 v19, v19, v23
	v_add_nc_u32_e32 v71, v16, v18
	s_wait_alu 0xf1ff
	v_xor_b32_e32 v17, s8, v17
	s_delay_alu instid0(VALU_DEP_3) | instskip(SKIP_2) | instid1(VALU_DEP_1)
	v_and_b32_e32 v18, v19, v20
	ds_load_b32 v69, v71 offset:64
	; wave barrier
	v_and_b32_e32 v17, v18, v17
	v_mbcnt_lo_u32_b32 v70, v17, 0
	v_cmp_ne_u32_e64 s8, 0, v17
	s_delay_alu instid0(VALU_DEP_2)
	v_cmp_eq_u32_e32 vcc_lo, 0, v70
	s_and_b32 s10, s8, vcc_lo
	s_wait_alu 0xfffe
	s_and_saveexec_b32 s8, s10
	s_cbranch_execz .LBB100_71
; %bb.70:
	s_wait_dscnt 0x0
	v_bcnt_u32_b32 v17, v17, v69
	ds_store_b32 v71, v17 offset:64
.LBB100_71:
	s_wait_alu 0xfffe
	s_or_b32 exec_lo, exec_lo, s8
	v_and_b32_e32 v17, s9, v29
	; wave barrier
	s_delay_alu instid0(VALU_DEP_1)
	v_and_b32_e32 v19, 1, v17
	v_lshlrev_b32_e32 v20, 30, v17
	v_lshlrev_b32_e32 v21, 29, v17
	;; [unrolled: 1-line block ×4, first 2 shown]
	v_add_co_u32 v19, s8, v19, -1
	s_wait_alu 0xf1ff
	v_cndmask_b32_e64 v23, 0, 1, s8
	v_not_b32_e32 v75, v20
	v_cmp_gt_i32_e64 s8, 0, v20
	v_not_b32_e32 v20, v21
	v_lshlrev_b32_e32 v73, 26, v17
	v_cmp_ne_u32_e32 vcc_lo, 0, v23
	v_ashrrev_i32_e32 v23, 31, v75
	v_lshlrev_b32_e32 v74, 25, v17
	v_ashrrev_i32_e32 v20, 31, v20
	v_and_b32_e32 v18, 0xff, v17
	s_wait_alu 0xfffd
	v_xor_b32_e32 v19, vcc_lo, v19
	v_cmp_gt_i32_e32 vcc_lo, 0, v21
	v_not_b32_e32 v21, v22
	s_wait_alu 0xf1ff
	v_xor_b32_e32 v23, s8, v23
	v_cmp_gt_i32_e64 s8, 0, v22
	v_and_b32_e32 v19, exec_lo, v19
	v_not_b32_e32 v22, v72
	v_ashrrev_i32_e32 v21, 31, v21
	s_wait_alu 0xfffd
	v_xor_b32_e32 v20, vcc_lo, v20
	v_cmp_gt_i32_e32 vcc_lo, 0, v72
	v_and_b32_e32 v19, v19, v23
	v_not_b32_e32 v23, v73
	v_ashrrev_i32_e32 v22, 31, v22
	s_wait_alu 0xf1ff
	v_xor_b32_e32 v21, s8, v21
	v_lshlrev_b32_e32 v17, 24, v17
	v_and_b32_e32 v19, v19, v20
	v_cmp_gt_i32_e64 s8, 0, v73
	v_not_b32_e32 v20, v74
	v_ashrrev_i32_e32 v23, 31, v23
	s_wait_alu 0xfffd
	v_xor_b32_e32 v22, vcc_lo, v22
	v_and_b32_e32 v19, v19, v21
	v_cmp_gt_i32_e32 vcc_lo, 0, v74
	v_not_b32_e32 v21, v17
	v_ashrrev_i32_e32 v20, 31, v20
	s_wait_alu 0xf1ff
	v_xor_b32_e32 v23, s8, v23
	v_and_b32_e32 v19, v19, v22
	v_lshlrev_b32_e32 v18, 6, v18
	v_cmp_gt_i32_e64 s8, 0, v17
	v_ashrrev_i32_e32 v17, 31, v21
	s_wait_alu 0xfffd
	v_xor_b32_e32 v20, vcc_lo, v20
	v_and_b32_e32 v19, v19, v23
	v_add_nc_u32_e32 v74, v16, v18
	s_wait_alu 0xf1ff
	v_xor_b32_e32 v17, s8, v17
	s_delay_alu instid0(VALU_DEP_3) | instskip(SKIP_2) | instid1(VALU_DEP_1)
	v_and_b32_e32 v18, v19, v20
	ds_load_b32 v72, v74 offset:64
	; wave barrier
	v_and_b32_e32 v17, v18, v17
	v_mbcnt_lo_u32_b32 v73, v17, 0
	v_cmp_ne_u32_e64 s8, 0, v17
	s_delay_alu instid0(VALU_DEP_2)
	v_cmp_eq_u32_e32 vcc_lo, 0, v73
	s_and_b32 s10, s8, vcc_lo
	s_wait_alu 0xfffe
	s_and_saveexec_b32 s8, s10
	s_cbranch_execz .LBB100_73
; %bb.72:
	s_wait_dscnt 0x0
	v_bcnt_u32_b32 v17, v17, v72
	ds_store_b32 v74, v17 offset:64
.LBB100_73:
	s_wait_alu 0xfffe
	s_or_b32 exec_lo, exec_lo, s8
	v_and_b32_e32 v17, s9, v30
	; wave barrier
	s_delay_alu instid0(VALU_DEP_1)
	v_and_b32_e32 v19, 1, v17
	v_lshlrev_b32_e32 v20, 30, v17
	v_lshlrev_b32_e32 v21, 29, v17
	;; [unrolled: 1-line block ×4, first 2 shown]
	v_add_co_u32 v19, s8, v19, -1
	s_wait_alu 0xf1ff
	v_cndmask_b32_e64 v23, 0, 1, s8
	v_not_b32_e32 v78, v20
	v_cmp_gt_i32_e64 s8, 0, v20
	v_not_b32_e32 v20, v21
	v_lshlrev_b32_e32 v76, 26, v17
	v_cmp_ne_u32_e32 vcc_lo, 0, v23
	v_ashrrev_i32_e32 v23, 31, v78
	v_lshlrev_b32_e32 v77, 25, v17
	v_ashrrev_i32_e32 v20, 31, v20
	v_and_b32_e32 v18, 0xff, v17
	s_wait_alu 0xfffd
	v_xor_b32_e32 v19, vcc_lo, v19
	v_cmp_gt_i32_e32 vcc_lo, 0, v21
	v_not_b32_e32 v21, v22
	s_wait_alu 0xf1ff
	v_xor_b32_e32 v23, s8, v23
	v_cmp_gt_i32_e64 s8, 0, v22
	v_and_b32_e32 v19, exec_lo, v19
	v_not_b32_e32 v22, v75
	v_ashrrev_i32_e32 v21, 31, v21
	s_wait_alu 0xfffd
	v_xor_b32_e32 v20, vcc_lo, v20
	v_cmp_gt_i32_e32 vcc_lo, 0, v75
	v_and_b32_e32 v19, v19, v23
	v_not_b32_e32 v23, v76
	v_ashrrev_i32_e32 v22, 31, v22
	s_wait_alu 0xf1ff
	v_xor_b32_e32 v21, s8, v21
	v_lshlrev_b32_e32 v17, 24, v17
	v_and_b32_e32 v19, v19, v20
	v_cmp_gt_i32_e64 s8, 0, v76
	v_not_b32_e32 v20, v77
	v_ashrrev_i32_e32 v23, 31, v23
	s_wait_alu 0xfffd
	v_xor_b32_e32 v22, vcc_lo, v22
	v_and_b32_e32 v19, v19, v21
	v_cmp_gt_i32_e32 vcc_lo, 0, v77
	v_not_b32_e32 v21, v17
	v_ashrrev_i32_e32 v20, 31, v20
	s_wait_alu 0xf1ff
	v_xor_b32_e32 v23, s8, v23
	v_and_b32_e32 v19, v19, v22
	v_lshlrev_b32_e32 v18, 6, v18
	v_cmp_gt_i32_e64 s8, 0, v17
	v_ashrrev_i32_e32 v17, 31, v21
	s_wait_alu 0xfffd
	v_xor_b32_e32 v20, vcc_lo, v20
	v_and_b32_e32 v19, v19, v23
	v_add_nc_u32_e32 v77, v16, v18
	s_wait_alu 0xf1ff
	v_xor_b32_e32 v17, s8, v17
	s_delay_alu instid0(VALU_DEP_3) | instskip(SKIP_2) | instid1(VALU_DEP_1)
	v_and_b32_e32 v18, v19, v20
	ds_load_b32 v75, v77 offset:64
	; wave barrier
	v_and_b32_e32 v17, v18, v17
	v_mbcnt_lo_u32_b32 v76, v17, 0
	v_cmp_ne_u32_e64 s8, 0, v17
	s_delay_alu instid0(VALU_DEP_2)
	v_cmp_eq_u32_e32 vcc_lo, 0, v76
	s_and_b32 s10, s8, vcc_lo
	s_wait_alu 0xfffe
	s_and_saveexec_b32 s8, s10
	s_cbranch_execz .LBB100_75
; %bb.74:
	s_wait_dscnt 0x0
	v_bcnt_u32_b32 v17, v17, v75
	ds_store_b32 v77, v17 offset:64
.LBB100_75:
	s_wait_alu 0xfffe
	s_or_b32 exec_lo, exec_lo, s8
	v_and_b32_e32 v17, s9, v31
	; wave barrier
	s_delay_alu instid0(VALU_DEP_1)
	v_and_b32_e32 v19, 1, v17
	v_lshlrev_b32_e32 v20, 30, v17
	v_lshlrev_b32_e32 v21, 29, v17
	;; [unrolled: 1-line block ×4, first 2 shown]
	v_add_co_u32 v19, s8, v19, -1
	s_wait_alu 0xf1ff
	v_cndmask_b32_e64 v23, 0, 1, s8
	v_not_b32_e32 v81, v20
	v_cmp_gt_i32_e64 s8, 0, v20
	v_not_b32_e32 v20, v21
	v_lshlrev_b32_e32 v79, 26, v17
	v_cmp_ne_u32_e32 vcc_lo, 0, v23
	v_ashrrev_i32_e32 v23, 31, v81
	v_lshlrev_b32_e32 v80, 25, v17
	v_ashrrev_i32_e32 v20, 31, v20
	v_and_b32_e32 v18, 0xff, v17
	s_wait_alu 0xfffd
	v_xor_b32_e32 v19, vcc_lo, v19
	v_cmp_gt_i32_e32 vcc_lo, 0, v21
	v_not_b32_e32 v21, v22
	s_wait_alu 0xf1ff
	v_xor_b32_e32 v23, s8, v23
	v_cmp_gt_i32_e64 s8, 0, v22
	v_and_b32_e32 v19, exec_lo, v19
	v_not_b32_e32 v22, v78
	v_ashrrev_i32_e32 v21, 31, v21
	s_wait_alu 0xfffd
	v_xor_b32_e32 v20, vcc_lo, v20
	v_cmp_gt_i32_e32 vcc_lo, 0, v78
	v_and_b32_e32 v19, v19, v23
	v_not_b32_e32 v23, v79
	v_ashrrev_i32_e32 v22, 31, v22
	s_wait_alu 0xf1ff
	v_xor_b32_e32 v21, s8, v21
	v_lshlrev_b32_e32 v17, 24, v17
	v_and_b32_e32 v19, v19, v20
	v_cmp_gt_i32_e64 s8, 0, v79
	v_not_b32_e32 v20, v80
	v_ashrrev_i32_e32 v23, 31, v23
	s_wait_alu 0xfffd
	v_xor_b32_e32 v22, vcc_lo, v22
	v_and_b32_e32 v19, v19, v21
	v_cmp_gt_i32_e32 vcc_lo, 0, v80
	v_not_b32_e32 v21, v17
	v_ashrrev_i32_e32 v20, 31, v20
	s_wait_alu 0xf1ff
	v_xor_b32_e32 v23, s8, v23
	v_and_b32_e32 v19, v19, v22
	v_lshlrev_b32_e32 v18, 6, v18
	v_cmp_gt_i32_e64 s8, 0, v17
	v_ashrrev_i32_e32 v17, 31, v21
	s_wait_alu 0xfffd
	v_xor_b32_e32 v20, vcc_lo, v20
	v_and_b32_e32 v19, v19, v23
	v_add_nc_u32_e32 v80, v16, v18
	s_wait_alu 0xf1ff
	v_xor_b32_e32 v16, s8, v17
	s_delay_alu instid0(VALU_DEP_3) | instskip(SKIP_2) | instid1(VALU_DEP_1)
	v_and_b32_e32 v17, v19, v20
	ds_load_b32 v78, v80 offset:64
	; wave barrier
	v_and_b32_e32 v16, v17, v16
	v_mbcnt_lo_u32_b32 v79, v16, 0
	v_cmp_ne_u32_e64 s8, 0, v16
	s_delay_alu instid0(VALU_DEP_2)
	v_cmp_eq_u32_e32 vcc_lo, 0, v79
	s_and_b32 s9, s8, vcc_lo
	s_wait_alu 0xfffe
	s_and_saveexec_b32 s8, s9
	s_cbranch_execz .LBB100_77
; %bb.76:
	s_wait_dscnt 0x0
	v_bcnt_u32_b32 v16, v16, v78
	ds_store_b32 v80, v16 offset:64
.LBB100_77:
	s_wait_alu 0xfffe
	s_or_b32 exec_lo, exec_lo, s8
	; wave barrier
	s_wait_loadcnt_dscnt 0x0
	s_barrier_signal -1
	s_barrier_wait -1
	global_inv scope:SCOPE_SE
	ds_load_b128 v[20:23], v66 offset:64
	ds_load_b128 v[16:19], v66 offset:80
	v_min_u32_e32 v68, 0x1e0, v68
	s_mov_b32 s15, exec_lo
	s_delay_alu instid0(VALU_DEP_1) | instskip(SKIP_2) | instid1(VALU_DEP_1)
	v_or_b32_e32 v68, 31, v68
	s_wait_dscnt 0x1
	v_add_nc_u32_e32 v81, v21, v20
	v_add3_u32 v81, v81, v22, v23
	s_wait_dscnt 0x0
	s_delay_alu instid0(VALU_DEP_1) | instskip(NEXT) | instid1(VALU_DEP_1)
	v_add3_u32 v81, v81, v16, v17
	v_add3_u32 v19, v81, v18, v19
	v_and_b32_e32 v81, 15, v67
	s_delay_alu instid0(VALU_DEP_2) | instskip(NEXT) | instid1(VALU_DEP_2)
	v_mov_b32_dpp v82, v19 row_shr:1 row_mask:0xf bank_mask:0xf
	v_cmp_eq_u32_e32 vcc_lo, 0, v81
	v_cmp_lt_u32_e64 s8, 1, v81
	v_cmp_lt_u32_e64 s9, 3, v81
	;; [unrolled: 1-line block ×3, first 2 shown]
	s_wait_alu 0xfffd
	v_cndmask_b32_e64 v82, v82, 0, vcc_lo
	s_delay_alu instid0(VALU_DEP_1) | instskip(NEXT) | instid1(VALU_DEP_1)
	v_add_nc_u32_e32 v19, v82, v19
	v_mov_b32_dpp v82, v19 row_shr:2 row_mask:0xf bank_mask:0xf
	s_wait_alu 0xf1ff
	s_delay_alu instid0(VALU_DEP_1) | instskip(NEXT) | instid1(VALU_DEP_1)
	v_cndmask_b32_e64 v82, 0, v82, s8
	v_add_nc_u32_e32 v19, v19, v82
	s_delay_alu instid0(VALU_DEP_1) | instskip(NEXT) | instid1(VALU_DEP_1)
	v_mov_b32_dpp v82, v19 row_shr:4 row_mask:0xf bank_mask:0xf
	v_cndmask_b32_e64 v82, 0, v82, s9
	s_delay_alu instid0(VALU_DEP_1) | instskip(NEXT) | instid1(VALU_DEP_1)
	v_add_nc_u32_e32 v19, v19, v82
	v_mov_b32_dpp v82, v19 row_shr:8 row_mask:0xf bank_mask:0xf
	s_delay_alu instid0(VALU_DEP_1) | instskip(SKIP_1) | instid1(VALU_DEP_2)
	v_cndmask_b32_e64 v81, 0, v82, s10
	v_bfe_i32 v82, v67, 4, 1
	v_add_nc_u32_e32 v19, v19, v81
	ds_swizzle_b32 v81, v19 offset:swizzle(BROADCAST,32,15)
	s_wait_dscnt 0x0
	v_and_b32_e32 v81, v82, v81
	s_delay_alu instid0(VALU_DEP_1)
	v_add_nc_u32_e32 v19, v19, v81
	v_cmpx_eq_u32_e64 v44, v68
; %bb.78:
	v_lshlrev_b32_e32 v68, 2, v65
	ds_store_b32 v68, v19
; %bb.79:
	s_wait_alu 0xfffe
	s_or_b32 exec_lo, exec_lo, s15
	s_delay_alu instid0(SALU_CYCLE_1)
	s_mov_b32 s15, exec_lo
	s_wait_loadcnt_dscnt 0x0
	s_barrier_signal -1
	s_barrier_wait -1
	global_inv scope:SCOPE_SE
	v_cmpx_gt_u32_e32 16, v44
	s_cbranch_execz .LBB100_81
; %bb.80:
	v_lshlrev_b32_e32 v68, 2, v44
	ds_load_b32 v81, v68
	s_wait_dscnt 0x0
	v_mov_b32_dpp v82, v81 row_shr:1 row_mask:0xf bank_mask:0xf
	s_delay_alu instid0(VALU_DEP_1) | instskip(NEXT) | instid1(VALU_DEP_1)
	v_cndmask_b32_e64 v82, v82, 0, vcc_lo
	v_add_nc_u32_e32 v81, v82, v81
	s_delay_alu instid0(VALU_DEP_1) | instskip(NEXT) | instid1(VALU_DEP_1)
	v_mov_b32_dpp v82, v81 row_shr:2 row_mask:0xf bank_mask:0xf
	v_cndmask_b32_e64 v82, 0, v82, s8
	s_delay_alu instid0(VALU_DEP_1) | instskip(NEXT) | instid1(VALU_DEP_1)
	v_add_nc_u32_e32 v81, v81, v82
	v_mov_b32_dpp v82, v81 row_shr:4 row_mask:0xf bank_mask:0xf
	s_delay_alu instid0(VALU_DEP_1) | instskip(NEXT) | instid1(VALU_DEP_1)
	v_cndmask_b32_e64 v82, 0, v82, s9
	v_add_nc_u32_e32 v81, v81, v82
	s_delay_alu instid0(VALU_DEP_1) | instskip(NEXT) | instid1(VALU_DEP_1)
	v_mov_b32_dpp v82, v81 row_shr:8 row_mask:0xf bank_mask:0xf
	v_cndmask_b32_e64 v82, 0, v82, s10
	s_delay_alu instid0(VALU_DEP_1)
	v_add_nc_u32_e32 v81, v81, v82
	ds_store_b32 v68, v81
.LBB100_81:
	s_wait_alu 0xfffe
	s_or_b32 exec_lo, exec_lo, s15
	v_mov_b32_e32 v68, 0
	s_mov_b32 s8, exec_lo
	s_wait_loadcnt_dscnt 0x0
	s_barrier_signal -1
	s_barrier_wait -1
	global_inv scope:SCOPE_SE
	v_cmpx_lt_u32_e32 31, v44
; %bb.82:
	v_lshl_add_u32 v65, v65, 2, -4
	ds_load_b32 v68, v65
; %bb.83:
	s_wait_alu 0xfffe
	s_or_b32 exec_lo, exec_lo, s8
	v_sub_co_u32 v65, vcc_lo, v67, 1
	s_wait_dscnt 0x0
	v_add_nc_u32_e32 v19, v68, v19
	s_delay_alu instid0(VALU_DEP_2) | instskip(SKIP_1) | instid1(VALU_DEP_1)
	v_cmp_gt_i32_e64 s8, 0, v65
	s_wait_alu 0xf1ff
	v_cndmask_b32_e64 v65, v65, v67, s8
	s_delay_alu instid0(VALU_DEP_1)
	v_lshlrev_b32_e32 v65, 2, v65
	ds_bpermute_b32 v19, v65, v19
	s_wait_dscnt 0x0
	s_wait_alu 0xfffd
	v_cndmask_b32_e32 v19, v19, v68, vcc_lo
	v_cmp_ne_u32_e32 vcc_lo, 0, v44
	s_wait_alu 0xfffd
	s_delay_alu instid0(VALU_DEP_2) | instskip(NEXT) | instid1(VALU_DEP_1)
	v_cndmask_b32_e32 v19, 0, v19, vcc_lo
	v_add_nc_u32_e32 v20, v19, v20
	s_delay_alu instid0(VALU_DEP_1) | instskip(NEXT) | instid1(VALU_DEP_1)
	v_add_nc_u32_e32 v21, v20, v21
	v_add_nc_u32_e32 v22, v21, v22
	s_delay_alu instid0(VALU_DEP_1) | instskip(NEXT) | instid1(VALU_DEP_1)
	v_add_nc_u32_e32 v81, v22, v23
	;; [unrolled: 3-line block ×3, first 2 shown]
	v_add_nc_u32_e32 v84, v83, v18
	ds_store_b128 v66, v[19:22] offset:64
	ds_store_b128 v66, v[81:84] offset:80
	s_wait_loadcnt_dscnt 0x0
	s_barrier_signal -1
	s_barrier_wait -1
	global_inv scope:SCOPE_SE
	ds_load_b32 v16, v33 offset:64
	ds_load_b32 v17, v36 offset:64
	;; [unrolled: 1-line block ×8, first 2 shown]
	s_wait_loadcnt_dscnt 0x0
	s_barrier_signal -1
	s_barrier_wait -1
	global_inv scope:SCOPE_SE
	v_mad_u32_u24 v36, v44, 56, v60
	v_add_nc_u32_e32 v16, v16, v32
	v_add3_u32 v17, v35, v34, v17
	v_add3_u32 v18, v38, v37, v18
	;; [unrolled: 1-line block ×7, first 2 shown]
	ds_store_b8 v16, v24
	ds_store_b8 v17, v25
	;; [unrolled: 1-line block ×8, first 2 shown]
	s_wait_loadcnt_dscnt 0x0
	s_barrier_signal -1
	s_barrier_wait -1
	global_inv scope:SCOPE_SE
	ds_load_b64 v[33:34], v60
	v_lshlrev_b32_e32 v16, 3, v16
	v_lshlrev_b32_e32 v17, 3, v17
	;; [unrolled: 1-line block ×8, first 2 shown]
	s_wait_loadcnt_dscnt 0x0
	s_barrier_signal -1
	s_barrier_wait -1
	global_inv scope:SCOPE_SE
	ds_store_b64 v16, v[12:13]
	ds_store_b64 v17, v[14:15]
	;; [unrolled: 1-line block ×8, first 2 shown]
	s_wait_loadcnt_dscnt 0x0
	s_barrier_signal -1
	s_barrier_wait -1
	global_inv scope:SCOPE_SE
	ds_load_b128 v[21:24], v36
	ds_load_b128 v[17:20], v36 offset:16
	ds_load_b128 v[29:32], v36 offset:32
	;; [unrolled: 1-line block ×3, first 2 shown]
	v_lshrrev_b32_e32 v0, 16, v33
	v_lshrrev_b32_e32 v3, 16, v34
	v_and_b32_e32 v1, 0xffffff00, v33
	v_xor_b32_e32 v2, 0x7f, v33
	v_and_b32_e32 v4, 0xffffff00, v34
	v_xor_b32_e32 v5, 0x7f, v34
	;; [unrolled: 2-line block ×4, first 2 shown]
	v_xor_b32_e32 v1, 0x7f00, v1
	v_and_b32_e32 v2, 0xff, v2
	v_xor_b32_e32 v4, 0x7f00, v4
	v_and_b32_e32 v5, 0xff, v5
	;; [unrolled: 2-line block ×4, first 2 shown]
	v_or_b32_e32 v1, v2, v1
	v_or_b32_e32 v2, v5, v4
	v_or_b32_e32 v0, v0, v6
	s_delay_alu instid0(VALU_DEP_4) | instskip(NEXT) | instid1(VALU_DEP_4)
	v_or_b32_e32 v3, v3, v7
	v_and_b32_e32 v1, 0xffff, v1
	s_delay_alu instid0(VALU_DEP_4) | instskip(NEXT) | instid1(VALU_DEP_4)
	v_and_b32_e32 v2, 0xffff, v2
	v_lshlrev_b32_e32 v0, 16, v0
	s_delay_alu instid0(VALU_DEP_4) | instskip(NEXT) | instid1(VALU_DEP_2)
	v_lshlrev_b32_e32 v3, 16, v3
	v_or_b32_e32 v0, v1, v0
	s_delay_alu instid0(VALU_DEP_2)
	v_or_b32_e32 v33, v2, v3
.LBB100_84:
	s_wait_loadcnt_dscnt 0x0
	s_barrier_signal -1
	s_barrier_wait -1
	global_inv scope:SCOPE_SE
	ds_store_2addr_b32 v56, v0, v33 offset1:1
	s_wait_loadcnt_dscnt 0x0
	s_barrier_signal -1
	s_barrier_wait -1
	global_inv scope:SCOPE_SE
	ds_load_u8 v8, v49 offset:512
	ds_load_u8 v7, v50 offset:1024
	;; [unrolled: 1-line block ×7, first 2 shown]
	v_add_co_u32 v0, s8, s18, v47
	s_wait_alu 0xf1ff
	v_add_co_ci_u32_e64 v1, null, s19, 0, s8
	s_and_saveexec_b32 s8, s0
	s_cbranch_execnz .LBB100_103
; %bb.85:
	s_wait_alu 0xfffe
	s_or_b32 exec_lo, exec_lo, s8
	s_and_saveexec_b32 s8, s1
	s_cbranch_execnz .LBB100_104
.LBB100_86:
	s_wait_alu 0xfffe
	s_or_b32 exec_lo, exec_lo, s8
	s_and_saveexec_b32 s8, s2
	s_cbranch_execnz .LBB100_105
.LBB100_87:
	s_wait_alu 0xfffe
	s_or_b32 exec_lo, exec_lo, s8
	s_and_saveexec_b32 s8, s3
	s_cbranch_execnz .LBB100_106
.LBB100_88:
	s_wait_alu 0xfffe
	s_or_b32 exec_lo, exec_lo, s8
	s_and_saveexec_b32 s8, s4
	s_cbranch_execnz .LBB100_107
.LBB100_89:
	s_wait_alu 0xfffe
	s_or_b32 exec_lo, exec_lo, s8
	s_and_saveexec_b32 s8, s5
	s_cbranch_execnz .LBB100_108
.LBB100_90:
	s_wait_alu 0xfffe
	s_or_b32 exec_lo, exec_lo, s8
	s_and_saveexec_b32 s8, s6
	s_cbranch_execnz .LBB100_109
.LBB100_91:
	s_wait_alu 0xfffe
	s_or_b32 exec_lo, exec_lo, s8
	s_and_saveexec_b32 s8, s7
	s_cbranch_execz .LBB100_93
.LBB100_92:
	s_mul_i32 s9, s14, 0xe00
	s_wait_alu 0xfffe
	v_add_co_u32 v0, vcc_lo, v0, s9
	s_wait_alu 0xfffd
	v_add_co_ci_u32_e64 v1, null, 0, v1, vcc_lo
	s_wait_dscnt 0x0
	global_store_b8 v[0:1], v2, off
.LBB100_93:
	s_wait_alu 0xfffe
	s_or_b32 exec_lo, exec_lo, s8
	s_wait_storecnt 0x0
	s_wait_loadcnt_dscnt 0x0
	s_barrier_signal -1
	s_barrier_wait -1
	global_inv scope:SCOPE_SE
	ds_store_2addr_b64 v64, v[21:22], v[23:24] offset1:1
	ds_store_2addr_b64 v64, v[17:18], v[19:20] offset0:2 offset1:3
	ds_store_2addr_b64 v64, v[29:30], v[31:32] offset0:4 offset1:5
	;; [unrolled: 1-line block ×3, first 2 shown]
	s_wait_loadcnt_dscnt 0x0
	s_barrier_signal -1
	s_barrier_wait -1
	global_inv scope:SCOPE_SE
	ds_load_b64 v[14:15], v58 offset:4096
	ds_load_b64 v[12:13], v59 offset:8192
	;; [unrolled: 1-line block ×7, first 2 shown]
	v_mov_b32_e32 v42, 0
	s_delay_alu instid0(VALU_DEP_1) | instskip(NEXT) | instid1(VALU_DEP_1)
	v_lshlrev_b64_e32 v[2:3], 3, v[41:42]
	v_add_co_u32 v2, vcc_lo, s12, v2
	s_wait_alu 0xfffd
	s_delay_alu instid0(VALU_DEP_2)
	v_add_co_ci_u32_e64 v3, null, s13, v3, vcc_lo
	s_and_saveexec_b32 s8, s0
	s_cbranch_execnz .LBB100_110
; %bb.94:
	s_wait_alu 0xfffe
	s_or_b32 exec_lo, exec_lo, s8
	s_and_saveexec_b32 s0, s1
	s_cbranch_execnz .LBB100_111
.LBB100_95:
	s_or_b32 exec_lo, exec_lo, s0
	s_and_saveexec_b32 s0, s2
	s_cbranch_execnz .LBB100_112
.LBB100_96:
	s_or_b32 exec_lo, exec_lo, s0
	s_and_saveexec_b32 s0, s3
	s_cbranch_execnz .LBB100_113
.LBB100_97:
	s_or_b32 exec_lo, exec_lo, s0
	s_and_saveexec_b32 s0, s4
	s_cbranch_execnz .LBB100_114
.LBB100_98:
	s_or_b32 exec_lo, exec_lo, s0
	s_and_saveexec_b32 s0, s5
	s_cbranch_execnz .LBB100_115
.LBB100_99:
	s_or_b32 exec_lo, exec_lo, s0
	s_and_saveexec_b32 s0, s6
	s_cbranch_execnz .LBB100_116
.LBB100_100:
	s_or_b32 exec_lo, exec_lo, s0
	s_and_saveexec_b32 s0, s7
	s_cbranch_execz .LBB100_102
.LBB100_101:
	s_mul_i32 s0, s16, 0xe00
	s_mov_b32 s1, 0
	s_delay_alu instid0(SALU_CYCLE_1) | instskip(NEXT) | instid1(SALU_CYCLE_1)
	s_lshl_b64 s[0:1], s[0:1], 3
	v_add_co_u32 v2, vcc_lo, v2, s0
	s_wait_alu 0xfffd
	v_add_co_ci_u32_e64 v3, null, s1, v3, vcc_lo
	s_wait_dscnt 0x0
	global_store_b64 v[2:3], v[0:1], off
.LBB100_102:
	s_nop 0
	s_sendmsg sendmsg(MSG_DEALLOC_VGPRS)
	s_endpgm
.LBB100_103:
	ds_load_u8 v9, v48
	s_wait_dscnt 0x0
	global_store_b8 v[0:1], v9, off
	s_wait_alu 0xfffe
	s_or_b32 exec_lo, exec_lo, s8
	s_and_saveexec_b32 s8, s1
	s_cbranch_execz .LBB100_86
.LBB100_104:
	s_lshl_b32 s9, s14, 9
	s_wait_alu 0xfffe
	v_add_co_u32 v9, vcc_lo, v0, s9
	s_wait_alu 0xfffd
	v_add_co_ci_u32_e64 v10, null, 0, v1, vcc_lo
	s_wait_dscnt 0x6
	global_store_b8 v[9:10], v8, off
	s_or_b32 exec_lo, exec_lo, s8
	s_and_saveexec_b32 s8, s2
	s_cbranch_execz .LBB100_87
.LBB100_105:
	s_lshl_b32 s9, s14, 10
	s_wait_dscnt 0x6
	s_wait_alu 0xfffe
	v_add_co_u32 v8, vcc_lo, v0, s9
	s_wait_alu 0xfffd
	v_add_co_ci_u32_e64 v9, null, 0, v1, vcc_lo
	s_wait_dscnt 0x5
	global_store_b8 v[8:9], v7, off
	s_or_b32 exec_lo, exec_lo, s8
	s_and_saveexec_b32 s8, s3
	s_cbranch_execz .LBB100_88
.LBB100_106:
	s_mul_i32 s9, s14, 0x600
	s_wait_dscnt 0x5
	s_wait_alu 0xfffe
	v_add_co_u32 v7, vcc_lo, v0, s9
	s_wait_alu 0xfffd
	v_add_co_ci_u32_e64 v8, null, 0, v1, vcc_lo
	s_wait_dscnt 0x4
	global_store_b8 v[7:8], v6, off
	s_or_b32 exec_lo, exec_lo, s8
	s_and_saveexec_b32 s8, s4
	s_cbranch_execz .LBB100_89
.LBB100_107:
	s_lshl_b32 s9, s14, 11
	s_wait_dscnt 0x4
	s_wait_alu 0xfffe
	v_add_co_u32 v6, vcc_lo, v0, s9
	s_wait_alu 0xfffd
	v_add_co_ci_u32_e64 v7, null, 0, v1, vcc_lo
	s_wait_dscnt 0x3
	global_store_b8 v[6:7], v5, off
	s_or_b32 exec_lo, exec_lo, s8
	s_and_saveexec_b32 s8, s5
	s_cbranch_execz .LBB100_90
.LBB100_108:
	s_mul_i32 s9, s14, 0xa00
	s_wait_dscnt 0x3
	s_wait_alu 0xfffe
	v_add_co_u32 v5, vcc_lo, v0, s9
	s_wait_alu 0xfffd
	v_add_co_ci_u32_e64 v6, null, 0, v1, vcc_lo
	s_wait_dscnt 0x2
	global_store_b8 v[5:6], v4, off
	s_or_b32 exec_lo, exec_lo, s8
	s_and_saveexec_b32 s8, s6
	s_cbranch_execz .LBB100_91
.LBB100_109:
	s_mul_i32 s9, s14, 0xc00
	s_wait_dscnt 0x2
	s_wait_alu 0xfffe
	v_add_co_u32 v4, vcc_lo, v0, s9
	s_wait_alu 0xfffd
	v_add_co_ci_u32_e64 v5, null, 0, v1, vcc_lo
	s_wait_dscnt 0x1
	global_store_b8 v[4:5], v3, off
	s_or_b32 exec_lo, exec_lo, s8
	s_and_saveexec_b32 s8, s7
	s_cbranch_execnz .LBB100_92
	s_branch .LBB100_93
.LBB100_110:
	ds_load_b64 v[16:17], v57
	s_wait_dscnt 0x0
	global_store_b64 v[2:3], v[16:17], off
	s_wait_alu 0xfffe
	s_or_b32 exec_lo, exec_lo, s8
	s_and_saveexec_b32 s0, s1
	s_cbranch_execz .LBB100_95
.LBB100_111:
	s_lshl_b32 s8, s16, 9
	s_mov_b32 s9, 0
	s_wait_alu 0xfffe
	s_lshl_b64 s[8:9], s[8:9], 3
	s_wait_alu 0xfffe
	v_add_co_u32 v16, vcc_lo, v2, s8
	s_wait_alu 0xfffd
	v_add_co_ci_u32_e64 v17, null, s9, v3, vcc_lo
	s_wait_dscnt 0x6
	global_store_b64 v[16:17], v[14:15], off
	s_or_b32 exec_lo, exec_lo, s0
	s_and_saveexec_b32 s0, s2
	s_cbranch_execz .LBB100_96
.LBB100_112:
	s_lshl_b32 s8, s16, 10
	s_mov_b32 s9, 0
	s_wait_alu 0xfffe
	s_lshl_b64 s[8:9], s[8:9], 3
	s_wait_dscnt 0x6
	s_wait_alu 0xfffe
	v_add_co_u32 v14, vcc_lo, v2, s8
	s_wait_alu 0xfffd
	v_add_co_ci_u32_e64 v15, null, s9, v3, vcc_lo
	s_wait_dscnt 0x5
	global_store_b64 v[14:15], v[12:13], off
	s_or_b32 exec_lo, exec_lo, s0
	s_and_saveexec_b32 s0, s3
	s_cbranch_execz .LBB100_97
.LBB100_113:
	s_mul_i32 s2, s16, 0x600
	s_mov_b32 s3, 0
	s_delay_alu instid0(SALU_CYCLE_1)
	s_lshl_b64 s[2:3], s[2:3], 3
	s_wait_dscnt 0x5
	v_add_co_u32 v12, vcc_lo, v2, s2
	s_wait_alu 0xfffd
	v_add_co_ci_u32_e64 v13, null, s3, v3, vcc_lo
	s_wait_dscnt 0x4
	global_store_b64 v[12:13], v[10:11], off
	s_or_b32 exec_lo, exec_lo, s0
	s_and_saveexec_b32 s0, s4
	s_cbranch_execz .LBB100_98
.LBB100_114:
	s_lshl_b32 s2, s16, 11
	s_mov_b32 s3, 0
	s_wait_alu 0xfffe
	s_lshl_b64 s[2:3], s[2:3], 3
	s_wait_dscnt 0x4
	s_wait_alu 0xfffe
	v_add_co_u32 v10, vcc_lo, v2, s2
	s_wait_alu 0xfffd
	v_add_co_ci_u32_e64 v11, null, s3, v3, vcc_lo
	s_wait_dscnt 0x3
	global_store_b64 v[10:11], v[8:9], off
	s_or_b32 exec_lo, exec_lo, s0
	s_and_saveexec_b32 s0, s5
	s_cbranch_execz .LBB100_99
.LBB100_115:
	s_mul_i32 s2, s16, 0xa00
	s_mov_b32 s3, 0
	s_wait_alu 0xfffe
	s_lshl_b64 s[2:3], s[2:3], 3
	s_wait_dscnt 0x3
	s_wait_alu 0xfffe
	v_add_co_u32 v8, vcc_lo, v2, s2
	s_wait_alu 0xfffd
	v_add_co_ci_u32_e64 v9, null, s3, v3, vcc_lo
	s_wait_dscnt 0x2
	global_store_b64 v[8:9], v[6:7], off
	s_or_b32 exec_lo, exec_lo, s0
	s_and_saveexec_b32 s0, s6
	s_cbranch_execz .LBB100_100
.LBB100_116:
	s_mul_i32 s2, s16, 0xc00
	s_mov_b32 s3, 0
	s_wait_alu 0xfffe
	s_lshl_b64 s[2:3], s[2:3], 3
	s_wait_dscnt 0x2
	s_wait_alu 0xfffe
	v_add_co_u32 v6, vcc_lo, v2, s2
	s_wait_alu 0xfffd
	v_add_co_ci_u32_e64 v7, null, s3, v3, vcc_lo
	s_wait_dscnt 0x1
	global_store_b64 v[6:7], v[4:5], off
	s_or_b32 exec_lo, exec_lo, s0
	s_and_saveexec_b32 s0, s7
	s_cbranch_execnz .LBB100_101
	s_branch .LBB100_102
	.section	.rodata,"a",@progbits
	.p2align	6, 0x0
	.amdhsa_kernel _ZN2at6native18radixSortKVInPlaceILin2ELin1ELi512ELi8EaljEEvNS_4cuda6detail10TensorInfoIT3_T5_EES6_S6_S6_NS4_IT4_S6_EES6_b
		.amdhsa_group_segment_fixed_size 33792
		.amdhsa_private_segment_fixed_size 0
		.amdhsa_kernarg_size 712
		.amdhsa_user_sgpr_count 2
		.amdhsa_user_sgpr_dispatch_ptr 0
		.amdhsa_user_sgpr_queue_ptr 0
		.amdhsa_user_sgpr_kernarg_segment_ptr 1
		.amdhsa_user_sgpr_dispatch_id 0
		.amdhsa_user_sgpr_private_segment_size 0
		.amdhsa_wavefront_size32 1
		.amdhsa_uses_dynamic_stack 0
		.amdhsa_enable_private_segment 0
		.amdhsa_system_sgpr_workgroup_id_x 1
		.amdhsa_system_sgpr_workgroup_id_y 1
		.amdhsa_system_sgpr_workgroup_id_z 1
		.amdhsa_system_sgpr_workgroup_info 0
		.amdhsa_system_vgpr_workitem_id 2
		.amdhsa_next_free_vgpr 114
		.amdhsa_next_free_sgpr 24
		.amdhsa_reserve_vcc 1
		.amdhsa_float_round_mode_32 0
		.amdhsa_float_round_mode_16_64 0
		.amdhsa_float_denorm_mode_32 3
		.amdhsa_float_denorm_mode_16_64 3
		.amdhsa_fp16_overflow 0
		.amdhsa_workgroup_processor_mode 1
		.amdhsa_memory_ordered 1
		.amdhsa_forward_progress 1
		.amdhsa_inst_pref_size 106
		.amdhsa_round_robin_scheduling 0
		.amdhsa_exception_fp_ieee_invalid_op 0
		.amdhsa_exception_fp_denorm_src 0
		.amdhsa_exception_fp_ieee_div_zero 0
		.amdhsa_exception_fp_ieee_overflow 0
		.amdhsa_exception_fp_ieee_underflow 0
		.amdhsa_exception_fp_ieee_inexact 0
		.amdhsa_exception_int_div_zero 0
	.end_amdhsa_kernel
	.section	.text._ZN2at6native18radixSortKVInPlaceILin2ELin1ELi512ELi8EaljEEvNS_4cuda6detail10TensorInfoIT3_T5_EES6_S6_S6_NS4_IT4_S6_EES6_b,"axG",@progbits,_ZN2at6native18radixSortKVInPlaceILin2ELin1ELi512ELi8EaljEEvNS_4cuda6detail10TensorInfoIT3_T5_EES6_S6_S6_NS4_IT4_S6_EES6_b,comdat
.Lfunc_end100:
	.size	_ZN2at6native18radixSortKVInPlaceILin2ELin1ELi512ELi8EaljEEvNS_4cuda6detail10TensorInfoIT3_T5_EES6_S6_S6_NS4_IT4_S6_EES6_b, .Lfunc_end100-_ZN2at6native18radixSortKVInPlaceILin2ELin1ELi512ELi8EaljEEvNS_4cuda6detail10TensorInfoIT3_T5_EES6_S6_S6_NS4_IT4_S6_EES6_b
                                        ; -- End function
	.set _ZN2at6native18radixSortKVInPlaceILin2ELin1ELi512ELi8EaljEEvNS_4cuda6detail10TensorInfoIT3_T5_EES6_S6_S6_NS4_IT4_S6_EES6_b.num_vgpr, 114
	.set _ZN2at6native18radixSortKVInPlaceILin2ELin1ELi512ELi8EaljEEvNS_4cuda6detail10TensorInfoIT3_T5_EES6_S6_S6_NS4_IT4_S6_EES6_b.num_agpr, 0
	.set _ZN2at6native18radixSortKVInPlaceILin2ELin1ELi512ELi8EaljEEvNS_4cuda6detail10TensorInfoIT3_T5_EES6_S6_S6_NS4_IT4_S6_EES6_b.numbered_sgpr, 24
	.set _ZN2at6native18radixSortKVInPlaceILin2ELin1ELi512ELi8EaljEEvNS_4cuda6detail10TensorInfoIT3_T5_EES6_S6_S6_NS4_IT4_S6_EES6_b.num_named_barrier, 0
	.set _ZN2at6native18radixSortKVInPlaceILin2ELin1ELi512ELi8EaljEEvNS_4cuda6detail10TensorInfoIT3_T5_EES6_S6_S6_NS4_IT4_S6_EES6_b.private_seg_size, 0
	.set _ZN2at6native18radixSortKVInPlaceILin2ELin1ELi512ELi8EaljEEvNS_4cuda6detail10TensorInfoIT3_T5_EES6_S6_S6_NS4_IT4_S6_EES6_b.uses_vcc, 1
	.set _ZN2at6native18radixSortKVInPlaceILin2ELin1ELi512ELi8EaljEEvNS_4cuda6detail10TensorInfoIT3_T5_EES6_S6_S6_NS4_IT4_S6_EES6_b.uses_flat_scratch, 0
	.set _ZN2at6native18radixSortKVInPlaceILin2ELin1ELi512ELi8EaljEEvNS_4cuda6detail10TensorInfoIT3_T5_EES6_S6_S6_NS4_IT4_S6_EES6_b.has_dyn_sized_stack, 0
	.set _ZN2at6native18radixSortKVInPlaceILin2ELin1ELi512ELi8EaljEEvNS_4cuda6detail10TensorInfoIT3_T5_EES6_S6_S6_NS4_IT4_S6_EES6_b.has_recursion, 0
	.set _ZN2at6native18radixSortKVInPlaceILin2ELin1ELi512ELi8EaljEEvNS_4cuda6detail10TensorInfoIT3_T5_EES6_S6_S6_NS4_IT4_S6_EES6_b.has_indirect_call, 0
	.section	.AMDGPU.csdata,"",@progbits
; Kernel info:
; codeLenInByte = 13568
; TotalNumSgprs: 26
; NumVgprs: 114
; ScratchSize: 0
; MemoryBound: 0
; FloatMode: 240
; IeeeMode: 1
; LDSByteSize: 33792 bytes/workgroup (compile time only)
; SGPRBlocks: 0
; VGPRBlocks: 14
; NumSGPRsForWavesPerEU: 26
; NumVGPRsForWavesPerEU: 114
; Occupancy: 12
; WaveLimiterHint : 1
; COMPUTE_PGM_RSRC2:SCRATCH_EN: 0
; COMPUTE_PGM_RSRC2:USER_SGPR: 2
; COMPUTE_PGM_RSRC2:TRAP_HANDLER: 0
; COMPUTE_PGM_RSRC2:TGID_X_EN: 1
; COMPUTE_PGM_RSRC2:TGID_Y_EN: 1
; COMPUTE_PGM_RSRC2:TGID_Z_EN: 1
; COMPUTE_PGM_RSRC2:TIDIG_COMP_CNT: 2
	.section	.text._ZN2at6native18radixSortKVInPlaceILin2ELin1ELi256ELi8EaljEEvNS_4cuda6detail10TensorInfoIT3_T5_EES6_S6_S6_NS4_IT4_S6_EES6_b,"axG",@progbits,_ZN2at6native18radixSortKVInPlaceILin2ELin1ELi256ELi8EaljEEvNS_4cuda6detail10TensorInfoIT3_T5_EES6_S6_S6_NS4_IT4_S6_EES6_b,comdat
	.protected	_ZN2at6native18radixSortKVInPlaceILin2ELin1ELi256ELi8EaljEEvNS_4cuda6detail10TensorInfoIT3_T5_EES6_S6_S6_NS4_IT4_S6_EES6_b ; -- Begin function _ZN2at6native18radixSortKVInPlaceILin2ELin1ELi256ELi8EaljEEvNS_4cuda6detail10TensorInfoIT3_T5_EES6_S6_S6_NS4_IT4_S6_EES6_b
	.globl	_ZN2at6native18radixSortKVInPlaceILin2ELin1ELi256ELi8EaljEEvNS_4cuda6detail10TensorInfoIT3_T5_EES6_S6_S6_NS4_IT4_S6_EES6_b
	.p2align	8
	.type	_ZN2at6native18radixSortKVInPlaceILin2ELin1ELi256ELi8EaljEEvNS_4cuda6detail10TensorInfoIT3_T5_EES6_S6_S6_NS4_IT4_S6_EES6_b,@function
_ZN2at6native18radixSortKVInPlaceILin2ELin1ELi256ELi8EaljEEvNS_4cuda6detail10TensorInfoIT3_T5_EES6_S6_S6_NS4_IT4_S6_EES6_b: ; @_ZN2at6native18radixSortKVInPlaceILin2ELin1ELi256ELi8EaljEEvNS_4cuda6detail10TensorInfoIT3_T5_EES6_S6_S6_NS4_IT4_S6_EES6_b
; %bb.0:
	s_clause 0x1
	s_load_b64 s[2:3], s[0:1], 0x1c8
	s_load_b96 s[12:14], s[0:1], 0xd8
	s_lshr_b32 s4, ttmp7, 16
	s_wait_kmcnt 0x0
	s_mul_i32 s3, s3, s4
	s_and_b32 s4, ttmp7, 0xffff
	s_delay_alu instid0(SALU_CYCLE_1) | instskip(NEXT) | instid1(SALU_CYCLE_1)
	s_add_co_i32 s3, s3, s4
	s_mul_i32 s4, s3, s2
	s_delay_alu instid0(SALU_CYCLE_1) | instskip(NEXT) | instid1(SALU_CYCLE_1)
	s_add_co_i32 s4, s4, ttmp9
	s_cmp_ge_u32 s4, s12
	s_cbranch_scc1 .LBB101_102
; %bb.1:
	s_load_b32 s2, s[0:1], 0x1b8
	s_add_nc_u64 s[10:11], s[0:1], 0xe8
	s_mov_b32 s9, 0
	s_mov_b32 s12, s4
	s_wait_kmcnt 0x0
	s_cmp_lt_i32 s2, 2
	s_cbranch_scc1 .LBB101_4
; %bb.2:
	s_add_co_i32 s8, s2, -1
	s_add_co_i32 s5, s2, 1
	s_lshl_b64 s[6:7], s[8:9], 2
	s_mov_b32 s12, s4
	s_add_nc_u64 s[6:7], s[10:11], s[6:7]
	s_delay_alu instid0(SALU_CYCLE_1)
	s_add_nc_u64 s[2:3], s[6:7], 8
.LBB101_3:                              ; =>This Inner Loop Header: Depth=1
	s_clause 0x1
	s_load_b32 s6, s[2:3], 0x0
	s_load_b32 s7, s[2:3], 0x64
	s_mov_b32 s16, s12
	s_add_nc_u64 s[2:3], s[2:3], -4
	s_wait_kmcnt 0x0
	s_cvt_f32_u32 s8, s6
	s_sub_co_i32 s15, 0, s6
	s_wait_alu 0xfffe
	s_delay_alu instid0(SALU_CYCLE_1) | instskip(NEXT) | instid1(TRANS32_DEP_1)
	v_rcp_iflag_f32_e32 v1, s8
	v_readfirstlane_b32 s8, v1
	s_mul_f32 s8, s8, 0x4f7ffffe
	s_wait_alu 0xfffe
	s_delay_alu instid0(SALU_CYCLE_2) | instskip(SKIP_1) | instid1(SALU_CYCLE_2)
	s_cvt_u32_f32 s8, s8
	s_wait_alu 0xfffe
	s_mul_i32 s15, s15, s8
	s_delay_alu instid0(SALU_CYCLE_1) | instskip(NEXT) | instid1(SALU_CYCLE_1)
	s_mul_hi_u32 s15, s8, s15
	s_add_co_i32 s8, s8, s15
	s_wait_alu 0xfffe
	s_mul_hi_u32 s8, s12, s8
	s_wait_alu 0xfffe
	s_mul_i32 s12, s8, s6
	s_add_co_i32 s15, s8, 1
	s_sub_co_i32 s12, s16, s12
	s_delay_alu instid0(SALU_CYCLE_1)
	s_sub_co_i32 s17, s12, s6
	s_cmp_ge_u32 s12, s6
	s_cselect_b32 s8, s15, s8
	s_cselect_b32 s12, s17, s12
	s_wait_alu 0xfffe
	s_add_co_i32 s15, s8, 1
	s_cmp_ge_u32 s12, s6
	s_cselect_b32 s12, s15, s8
	s_add_co_i32 s5, s5, -1
	s_mul_i32 s6, s12, s6
	s_delay_alu instid0(SALU_CYCLE_1) | instskip(NEXT) | instid1(SALU_CYCLE_1)
	s_sub_co_i32 s6, s16, s6
	s_mul_i32 s6, s7, s6
	s_delay_alu instid0(SALU_CYCLE_1)
	s_add_co_i32 s9, s6, s9
	s_cmp_gt_u32 s5, 2
	s_cbranch_scc1 .LBB101_3
.LBB101_4:
	s_clause 0x2
	s_load_b64 s[16:17], s[0:1], 0x1c0
	s_load_b64 s[2:3], s[0:1], 0x0
	s_load_b32 s5, s[0:1], 0x6c
	s_add_nc_u64 s[20:21], s[0:1], 0x1c8
	s_movk_i32 s1, 0x8000
	s_movk_i32 s6, 0x80
	s_mov_b32 s0, 0xff80
	s_wait_kmcnt 0x0
	s_bitcmp1_b32 s17, 0
	s_cselect_b32 s8, -1, 0
	s_wait_alu 0xfffe
	s_and_b32 s7, s8, exec_lo
	s_cselect_b32 s1, s1, 0x7f00
	s_cselect_b32 s6, s6, 0x7f
	;; [unrolled: 1-line block ×3, first 2 shown]
	s_or_b32 s0, s6, s1
	s_mul_i32 s6, s5, s4
	s_and_b32 s1, s0, 0xffff
	s_lshl_b32 s0, s0, 16
	v_mov_b32_e32 v3, s7
	s_or_b32 s4, s1, s0
	s_mov_b32 s7, 0
	s_mov_b32 s5, s4
	v_dual_mov_b32 v1, s4 :: v_dual_and_b32 v44, 0x3ff, v0
	v_mov_b32_e32 v2, s5
	s_wait_alu 0xfffe
	s_add_nc_u64 s[18:19], s[2:3], s[6:7]
	s_delay_alu instid0(VALU_DEP_2)
	v_mul_lo_u32 v47, s14, v44
	v_cmp_gt_u32_e64 s0, s13, v44
	s_and_saveexec_b32 s1, s0
	s_cbranch_execz .LBB101_6
; %bb.5:
	global_load_u8 v3, v47, s[18:19]
	v_mov_b32_e32 v2, s4
	s_wait_loadcnt 0x0
	v_perm_b32 v1, v3, s4, 0x3020104
.LBB101_6:
	s_or_b32 exec_lo, exec_lo, s1
	v_add_nc_u32_e32 v29, 0x100, v44
	s_delay_alu instid0(VALU_DEP_1)
	v_cmp_gt_u32_e64 s1, s13, v29
	s_and_saveexec_b32 s2, s1
	s_cbranch_execz .LBB101_8
; %bb.7:
	v_mul_lo_u32 v4, s14, v29
	global_load_u8 v4, v4, s[18:19]
	s_wait_loadcnt 0x0
	v_perm_b32 v1, v1, v4, 0x7060004
.LBB101_8:
	s_or_b32 exec_lo, exec_lo, s2
	v_add_nc_u32_e32 v28, 0x200, v44
	s_delay_alu instid0(VALU_DEP_1)
	v_cmp_gt_u32_e64 s2, s13, v28
	s_and_saveexec_b32 s3, s2
	s_cbranch_execz .LBB101_10
; %bb.9:
	v_mul_lo_u32 v4, s14, v28
	global_load_u8 v4, v4, s[18:19]
	s_wait_loadcnt 0x0
	v_perm_b32 v4, v4, v1, 0xc0c0304
	s_delay_alu instid0(VALU_DEP_1) | instskip(NEXT) | instid1(VALU_DEP_1)
	v_lshlrev_b32_e32 v4, 16, v4
	v_and_or_b32 v1, 0xffff, v1, v4
.LBB101_10:
	s_or_b32 exec_lo, exec_lo, s3
	v_add_nc_u32_e32 v26, 0x300, v44
	s_delay_alu instid0(VALU_DEP_1)
	v_cmp_gt_u32_e64 s3, s13, v26
	s_and_saveexec_b32 s4, s3
	s_cbranch_execz .LBB101_12
; %bb.11:
	v_mul_lo_u32 v4, s14, v26
	global_load_u8 v4, v4, s[18:19]
	s_wait_loadcnt 0x0
	v_perm_b32 v4, v1, v4, 0xc0c0006
	s_delay_alu instid0(VALU_DEP_1) | instskip(NEXT) | instid1(VALU_DEP_1)
	v_lshlrev_b32_e32 v4, 16, v4
	v_and_or_b32 v1, 0xffff, v1, v4
.LBB101_12:
	s_wait_alu 0xfffe
	s_or_b32 exec_lo, exec_lo, s4
	v_or_b32_e32 v22, 0x400, v44
	s_delay_alu instid0(VALU_DEP_1)
	v_cmp_gt_u32_e64 s4, s13, v22
	s_and_saveexec_b32 s5, s4
	s_cbranch_execz .LBB101_14
; %bb.13:
	v_mul_lo_u32 v4, s14, v22
	global_load_u8 v4, v4, s[18:19]
	s_wait_loadcnt 0x0
	v_perm_b32 v2, v4, v2, 0x3020104
.LBB101_14:
	s_wait_alu 0xfffe
	s_or_b32 exec_lo, exec_lo, s5
	v_add_nc_u32_e32 v19, 0x500, v44
	s_delay_alu instid0(VALU_DEP_1)
	v_cmp_gt_u32_e64 s5, s13, v19
	s_and_saveexec_b32 s6, s5
	s_cbranch_execz .LBB101_16
; %bb.15:
	v_mul_lo_u32 v4, s14, v19
	global_load_u8 v4, v4, s[18:19]
	s_wait_loadcnt 0x0
	v_perm_b32 v2, v2, v4, 0x7060004
.LBB101_16:
	s_wait_alu 0xfffe
	s_or_b32 exec_lo, exec_lo, s6
	v_add_nc_u32_e32 v16, 0x600, v44
	s_delay_alu instid0(VALU_DEP_1)
	v_cmp_gt_u32_e64 s6, s13, v16
	s_and_saveexec_b32 s7, s6
	s_cbranch_execz .LBB101_18
; %bb.17:
	v_mul_lo_u32 v4, s14, v16
	global_load_u8 v4, v4, s[18:19]
	s_wait_loadcnt 0x0
	v_perm_b32 v2, v2, v4, 0x7000504
.LBB101_18:
	s_wait_alu 0xfffe
	s_or_b32 exec_lo, exec_lo, s7
	s_clause 0x1
	s_load_b32 s15, s[10:11], 0x6c
	s_load_b64 s[10:11], s[10:11], 0x0
	v_add_nc_u32_e32 v15, 0x700, v44
	s_delay_alu instid0(VALU_DEP_1)
	v_cmp_gt_u32_e64 s7, s13, v15
	s_and_saveexec_b32 s13, s7
	s_cbranch_execz .LBB101_20
; %bb.19:
	v_mul_lo_u32 v4, s14, v15
	global_load_u8 v4, v4, s[18:19]
	s_wait_loadcnt 0x0
	v_perm_b32 v2, v2, v4, 0x60504
.LBB101_20:
	s_wait_alu 0xfffe
	s_or_b32 exec_lo, exec_lo, s13
	v_lshrrev_b32_e32 v65, 5, v44
	v_lshrrev_b32_e32 v17, 5, v29
	;; [unrolled: 1-line block ×5, first 2 shown]
	s_delay_alu instid0(VALU_DEP_4) | instskip(SKIP_4) | instid1(VALU_DEP_4)
	v_dual_mov_b32 v42, 0 :: v_dual_and_b32 v5, 60, v17
	v_and_b32_e32 v4, 28, v65
	v_and_b32_e32 v7, 60, v20
	v_lshrrev_b32_e32 v21, 5, v26
	v_lshrrev_b32_e32 v27, 2, v44
	v_dual_mov_b32 v43, v42 :: v_dual_add_nc_u32 v48, v4, v44
	v_dual_mov_b32 v11, v42 :: v_dual_and_b32 v4, 60, v18
	v_mov_b32_e32 v12, v42
	v_add_nc_u32_e32 v52, v7, v44
	v_and_b32_e32 v7, 0x7c, v24
	s_delay_alu instid0(VALU_DEP_4)
	v_add_nc_u32_e32 v50, v4, v44
	v_and_b32_e32 v4, 60, v21
	v_lshrrev_b32_e32 v23, 5, v19
	v_lshrrev_b32_e32 v25, 5, v15
	v_dual_mov_b32 v13, 0 :: v_dual_add_nc_u32 v54, v7, v44
	v_lshlrev_b32_e32 v60, 3, v44
	v_and_b32_e32 v7, 0xfc, v27
	v_add_nc_u32_e32 v51, v4, v44
	v_and_b32_e32 v4, 0x7c, v23
	v_and_b32_e32 v9, 0x7c, v25
	v_lshrrev_b32_e32 v6, 8, v1
	v_add_nc_u32_e32 v56, v7, v60
	v_dual_mov_b32 v10, v42 :: v_dual_add_nc_u32 v49, v5, v44
	v_lshrrev_b32_e32 v5, 24, v1
	v_lshrrev_b32_e32 v8, 8, v2
	v_dual_mov_b32 v14, 0 :: v_dual_add_nc_u32 v53, v4, v44
	v_lshrrev_b32_e32 v4, 24, v2
	v_add_nc_u32_e32 v55, v9, v44
	v_mov_b32_e32 v9, v42
	v_mov_b32_e32 v7, v42
	ds_store_b8 v48, v3
	ds_store_b8 v49, v6 offset:256
	ds_store_b8_d16_hi v50, v1 offset:512
	ds_store_b8 v51, v5 offset:768
	ds_store_b8 v52, v2 offset:1024
	ds_store_b8 v53, v8 offset:1280
	ds_store_b8_d16_hi v54, v2 offset:1536
	ds_store_b8 v55, v4 offset:1792
	s_wait_dscnt 0x0
	s_barrier_signal -1
	s_barrier_wait -1
	global_inv scope:SCOPE_SE
	ds_load_2addr_b32 v[45:46], v56 offset1:1
	s_wait_kmcnt 0x0
	s_mul_i32 s12, s15, s12
	v_mul_lo_u32 v41, s16, v44
	s_mov_b32 s13, 0
	s_wait_alu 0xfffe
	s_add_co_i32 s12, s12, s9
	v_dual_mov_b32 v1, v42 :: v_dual_mov_b32 v2, v42
	v_dual_mov_b32 v3, v42 :: v_dual_mov_b32 v4, v42
	;; [unrolled: 1-line block ×3, first 2 shown]
	v_mov_b32_e32 v8, v42
	s_wait_alu 0xfffe
	s_lshl_b64 s[12:13], s[12:13], 3
	s_wait_loadcnt_dscnt 0x0
	s_wait_alu 0xfffe
	s_add_nc_u64 s[12:13], s[10:11], s[12:13]
	s_barrier_signal -1
	s_barrier_wait -1
	global_inv scope:SCOPE_SE
	s_and_saveexec_b32 s9, s0
	s_cbranch_execnz .LBB101_53
; %bb.21:
	s_wait_alu 0xfffe
	s_or_b32 exec_lo, exec_lo, s9
	s_and_saveexec_b32 s9, s1
	s_cbranch_execnz .LBB101_54
.LBB101_22:
	s_wait_alu 0xfffe
	s_or_b32 exec_lo, exec_lo, s9
	s_and_saveexec_b32 s9, s2
	s_cbranch_execnz .LBB101_55
.LBB101_23:
	s_wait_alu 0xfffe
	s_or_b32 exec_lo, exec_lo, s9
	s_and_saveexec_b32 s9, s3
	s_cbranch_execnz .LBB101_56
.LBB101_24:
	s_wait_alu 0xfffe
	s_or_b32 exec_lo, exec_lo, s9
	s_and_saveexec_b32 s9, s4
	s_cbranch_execnz .LBB101_57
.LBB101_25:
	s_wait_alu 0xfffe
	s_or_b32 exec_lo, exec_lo, s9
	s_and_saveexec_b32 s9, s5
	s_cbranch_execnz .LBB101_58
.LBB101_26:
	s_wait_alu 0xfffe
	s_or_b32 exec_lo, exec_lo, s9
	s_and_saveexec_b32 s9, s6
	s_cbranch_execnz .LBB101_59
.LBB101_27:
	s_wait_alu 0xfffe
	s_or_b32 exec_lo, exec_lo, s9
	s_xor_b32 s9, s8, -1
	s_and_saveexec_b32 s8, s7
	s_cbranch_execz .LBB101_29
.LBB101_28:
	v_mul_lo_u32 v7, s16, v15
	v_mov_b32_e32 v8, 0
	s_delay_alu instid0(VALU_DEP_1) | instskip(NEXT) | instid1(VALU_DEP_1)
	v_lshlrev_b64_e32 v[7:8], 3, v[7:8]
	v_add_co_u32 v7, vcc_lo, s12, v7
	s_wait_alu 0xfffd
	s_delay_alu instid0(VALU_DEP_2)
	v_add_co_ci_u32_e64 v8, null, s13, v8, vcc_lo
	global_load_b64 v[7:8], v[7:8], off
.LBB101_29:
	s_wait_alu 0xfffe
	s_or_b32 exec_lo, exec_lo, s8
	v_lshl_add_u32 v57, v65, 3, v60
	v_lshl_add_u32 v58, v17, 3, v60
	;; [unrolled: 1-line block ×5, first 2 shown]
	s_wait_loadcnt 0x0
	ds_store_b64 v57, v[13:14]
	ds_store_b64 v58, v[42:43] offset:2048
	ds_store_b64 v59, v[9:10] offset:4096
	;; [unrolled: 1-line block ×3, first 2 shown]
	v_lshlrev_b32_e32 v9, 3, v60
	v_lshl_add_u32 v42, v20, 3, v60
	v_lshl_add_u32 v43, v23, 3, v60
	v_lshl_add_u32 v63, v25, 3, v60
	ds_store_b64 v42, v[1:2] offset:8192
	ds_store_b64 v43, v[3:4] offset:10240
	;; [unrolled: 1-line block ×4, first 2 shown]
	v_lshl_add_u32 v64, v27, 3, v9
	s_wait_dscnt 0x0
	s_barrier_signal -1
	s_barrier_wait -1
	global_inv scope:SCOPE_SE
	ds_load_2addr_b64 v[13:16], v64 offset1:1
	ds_load_2addr_b64 v[9:12], v64 offset0:2 offset1:3
	ds_load_2addr_b64 v[5:8], v64 offset0:4 offset1:5
	ds_load_2addr_b64 v[1:4], v64 offset0:6 offset1:7
	v_mbcnt_lo_u32_b32 v67, -1, 0
	v_and_b32_e32 v68, 0x3e0, v44
	v_lshrrev_b32_e32 v74, 24, v46
	v_lshrrev_b32_e32 v75, 16, v46
	;; [unrolled: 1-line block ×3, first 2 shown]
	v_and_or_b32 v73, 0x1f00, v60, v67
	v_or_b32_e32 v17, v67, v68
	v_lshrrev_b32_e32 v77, 24, v45
	v_lshrrev_b32_e32 v78, 16, v45
	;; [unrolled: 1-line block ×3, first 2 shown]
	v_bfe_u32 v69, v0, 10, 10
	v_lshlrev_b32_e32 v72, 3, v17
	v_bfe_u32 v70, v0, 20, 10
	v_mad_u32_u24 v71, v73, 7, v73
	v_lshlrev_b32_e32 v66, 2, v60
	s_mov_b32 s8, 0
	s_and_b32 vcc_lo, exec_lo, s9
	s_mov_b32 s9, -1
	s_wait_loadcnt_dscnt 0x0
	s_barrier_signal -1
	s_barrier_wait -1
	global_inv scope:SCOPE_SE
	s_wait_alu 0xfffe
	s_cbranch_vccz .LBB101_60
; %bb.30:
	v_xor_b32_e32 v0, 0x80, v45
	v_xor_b32_e32 v17, 0x80, v79
	;; [unrolled: 1-line block ×8, first 2 shown]
	s_getpc_b64 s[10:11]
	s_sext_i32_i16 s11, s11
	s_add_co_u32 s10, s10, _ZN7rocprim17ROCPRIM_400000_NS16block_radix_sortIaLj256ELj8ElLj1ELj1ELj0ELNS0_26block_radix_rank_algorithmE1ELNS0_18block_padding_hintE2ELNS0_4arch9wavefront6targetE0EE19radix_bits_per_passE@rel32@lo+8
	s_add_co_ci_u32 s11, s11, _ZN7rocprim17ROCPRIM_400000_NS16block_radix_sortIaLj256ELj8ElLj1ELj1ELj0ELNS0_26block_radix_rank_algorithmE1ELNS0_18block_padding_hintE2ELNS0_4arch9wavefront6targetE0EE19radix_bits_per_passE@rel32@hi+16
	v_lshlrev_b16 v17, 8, v17
	v_lshlrev_b16 v19, 8, v19
	v_and_b32_e32 v20, 0xff, v20
	v_lshlrev_b16 v21, 8, v21
	v_and_b32_e32 v22, 0xff, v22
	v_lshlrev_b16 v23, 8, v23
	s_load_b32 s9, s[10:11], 0x0
	s_mov_b32 s11, s8
	v_and_b32_e32 v0, 0xff, v0
	v_and_b32_e32 v18, 0xff, v18
	s_delay_alu instid0(VALU_DEP_2) | instskip(NEXT) | instid1(VALU_DEP_2)
	v_or_b32_e32 v0, v0, v17
	v_or_b32_e32 v17, v18, v19
	;; [unrolled: 1-line block ×4, first 2 shown]
	s_delay_alu instid0(VALU_DEP_4) | instskip(NEXT) | instid1(VALU_DEP_4)
	v_and_b32_e32 v0, 0xffff, v0
	v_lshlrev_b32_e32 v17, 16, v17
	s_delay_alu instid0(VALU_DEP_4) | instskip(NEXT) | instid1(VALU_DEP_4)
	v_and_b32_e32 v18, 0xffff, v18
	v_lshlrev_b32_e32 v19, 16, v19
	s_delay_alu instid0(VALU_DEP_3) | instskip(NEXT) | instid1(VALU_DEP_2)
	v_or_b32_e32 v17, v0, v17
	v_or_b32_e32 v18, v18, v19
	s_wait_kmcnt 0x0
	s_min_u32 s9, s9, 8
	s_wait_alu 0xfffe
	s_lshl_b32 s9, -1, s9
	ds_store_b64 v72, v[17:18]
	; wave barrier
	ds_load_u8 v0, v73
	ds_load_u8 v80, v73 offset:32
	ds_load_u8 v81, v73 offset:64
	;; [unrolled: 1-line block ×7, first 2 shown]
	s_wait_alu 0xfffe
	s_not_b32 s15, s9
	v_lshlrev_b32_e32 v17, 3, v72
	s_wait_loadcnt_dscnt 0x0
	s_barrier_signal -1
	s_barrier_wait -1
	global_inv scope:SCOPE_SE
	ds_store_b128 v17, v[13:16]
	ds_store_b128 v17, v[9:12] offset:16
	ds_store_b128 v17, v[5:8] offset:32
	;; [unrolled: 1-line block ×3, first 2 shown]
	; wave barrier
	ds_load_2addr_b64 v[21:24], v71 offset1:32
	ds_load_2addr_b64 v[17:20], v71 offset0:64 offset1:96
	ds_load_2addr_b64 v[29:32], v71 offset0:192 offset1:224
	s_wait_alu 0xfffe
	v_and_b32_e32 v39, s15, v0
	s_delay_alu instid0(VALU_DEP_1) | instskip(SKIP_3) | instid1(VALU_DEP_4)
	v_and_b32_e32 v25, 1, v39
	v_lshlrev_b32_e32 v35, 30, v39
	v_lshlrev_b32_e32 v36, 29, v39
	;; [unrolled: 1-line block ×3, first 2 shown]
	v_add_co_u32 v33, s9, v25, -1
	s_wait_alu 0xf1ff
	v_cndmask_b32_e64 v34, 0, 1, s9
	ds_load_2addr_b64 v[25:28], v71 offset0:128 offset1:160
	s_wait_loadcnt_dscnt 0x0
	s_barrier_signal -1
	s_barrier_wait -1
	v_cmp_ne_u32_e32 vcc_lo, 0, v34
	v_not_b32_e32 v34, v35
	global_inv scope:SCOPE_SE
	s_load_b32 s9, s[20:21], 0xc
	v_xor_b32_e32 v33, vcc_lo, v33
	v_cmp_gt_i32_e32 vcc_lo, 0, v35
	v_ashrrev_i32_e32 v34, 31, v34
	v_not_b32_e32 v35, v36
	s_delay_alu instid0(VALU_DEP_4) | instskip(SKIP_1) | instid1(VALU_DEP_3)
	v_and_b32_e32 v33, exec_lo, v33
	s_wait_alu 0xfffd
	v_xor_b32_e32 v34, vcc_lo, v34
	v_cmp_gt_i32_e32 vcc_lo, 0, v36
	v_ashrrev_i32_e32 v35, 31, v35
	v_not_b32_e32 v36, v37
	s_delay_alu instid0(VALU_DEP_4)
	v_and_b32_e32 v33, v33, v34
	v_lshlrev_b32_e32 v34, 27, v39
	s_wait_alu 0xfffd
	v_xor_b32_e32 v35, vcc_lo, v35
	v_cmp_gt_i32_e32 vcc_lo, 0, v37
	v_ashrrev_i32_e32 v36, 31, v36
	v_not_b32_e32 v37, v34
	s_delay_alu instid0(VALU_DEP_4)
	v_and_b32_e32 v33, v33, v35
	v_lshlrev_b32_e32 v35, 26, v39
	s_wait_alu 0xfffd
	v_xor_b32_e32 v36, vcc_lo, v36
	v_cmp_gt_i32_e32 vcc_lo, 0, v34
	v_ashrrev_i32_e32 v34, 31, v37
	s_wait_kmcnt 0x0
	s_lshr_b32 s10, s9, 16
	v_not_b32_e32 v37, v35
	v_and_b32_e32 v33, v33, v36
	v_lshlrev_b32_e32 v36, 25, v39
	s_wait_alu 0xfffd
	v_xor_b32_e32 v34, vcc_lo, v34
	v_cmp_gt_i32_e32 vcc_lo, 0, v35
	v_ashrrev_i32_e32 v35, 31, v37
	v_mad_u32_u24 v38, v70, s10, v69
	v_not_b32_e32 v37, v36
	v_and_b32_e32 v33, v33, v34
	v_lshlrev_b32_e32 v34, 24, v39
	s_wait_alu 0xfffd
	v_xor_b32_e32 v35, vcc_lo, v35
	v_cmp_gt_i32_e32 vcc_lo, 0, v36
	v_ashrrev_i32_e32 v36, 31, v37
	s_and_b32 s9, s9, 0xffff
	v_not_b32_e32 v37, v34
	v_and_b32_e32 v35, v33, v35
	s_mov_b32 s10, s8
	s_wait_alu 0xfffd
	v_xor_b32_e32 v36, vcc_lo, v36
	v_cmp_gt_i32_e32 vcc_lo, 0, v34
	v_ashrrev_i32_e32 v37, 31, v37
	s_wait_alu 0xfffe
	v_mad_co_u64_u32 v[33:34], null, v38, s9, v[44:45]
	v_and_b32_e32 v34, v35, v36
	s_mov_b32 s9, s8
	s_wait_alu 0xfffd
	v_xor_b32_e32 v40, vcc_lo, v37
	v_dual_mov_b32 v38, s11 :: v_dual_mov_b32 v37, s10
	s_wait_alu 0xfffe
	v_dual_mov_b32 v36, s9 :: v_dual_mov_b32 v35, s8
	s_delay_alu instid0(VALU_DEP_3)
	v_and_b32_e32 v34, v34, v40
	v_and_b32_e32 v39, 0xff, v39
	v_lshrrev_b32_e32 v33, 3, v33
	ds_store_b128 v66, v[35:38] offset:32
	ds_store_b128 v66, v[35:38] offset:48
	v_mbcnt_lo_u32_b32 v87, v34, 0
	v_lshlrev_b32_e32 v35, 5, v39
	v_and_b32_e32 v33, 0x1ffffffc, v33
	v_cmp_ne_u32_e64 s8, 0, v34
	s_wait_loadcnt_dscnt 0x0
	v_cmp_eq_u32_e32 vcc_lo, 0, v87
	s_barrier_signal -1
	v_add_nc_u32_e32 v88, v33, v35
	s_barrier_wait -1
	global_inv scope:SCOPE_SE
	s_and_b32 s9, s8, vcc_lo
	; wave barrier
	s_wait_alu 0xfffe
	s_and_saveexec_b32 s8, s9
; %bb.31:
	v_bcnt_u32_b32 v34, v34, 0
	ds_store_b32 v88, v34 offset:32
; %bb.32:
	s_wait_alu 0xfffe
	s_or_b32 exec_lo, exec_lo, s8
	v_and_b32_e32 v34, s15, v80
	; wave barrier
	s_delay_alu instid0(VALU_DEP_1)
	v_and_b32_e32 v36, 1, v34
	v_lshlrev_b32_e32 v37, 30, v34
	v_lshlrev_b32_e32 v38, 29, v34
	;; [unrolled: 1-line block ×4, first 2 shown]
	v_add_co_u32 v36, s8, v36, -1
	s_wait_alu 0xf1ff
	v_cndmask_b32_e64 v40, 0, 1, s8
	v_not_b32_e32 v92, v37
	v_cmp_gt_i32_e64 s8, 0, v37
	v_not_b32_e32 v37, v38
	v_lshlrev_b32_e32 v90, 26, v34
	v_cmp_ne_u32_e32 vcc_lo, 0, v40
	v_ashrrev_i32_e32 v40, 31, v92
	v_lshlrev_b32_e32 v91, 25, v34
	v_ashrrev_i32_e32 v37, 31, v37
	v_and_b32_e32 v35, 0xff, v34
	s_wait_alu 0xfffd
	v_xor_b32_e32 v36, vcc_lo, v36
	v_cmp_gt_i32_e32 vcc_lo, 0, v38
	v_not_b32_e32 v38, v39
	s_wait_alu 0xf1ff
	v_xor_b32_e32 v40, s8, v40
	v_cmp_gt_i32_e64 s8, 0, v39
	v_and_b32_e32 v36, exec_lo, v36
	v_not_b32_e32 v39, v89
	v_ashrrev_i32_e32 v38, 31, v38
	s_wait_alu 0xfffd
	v_xor_b32_e32 v37, vcc_lo, v37
	v_cmp_gt_i32_e32 vcc_lo, 0, v89
	v_and_b32_e32 v36, v36, v40
	v_not_b32_e32 v40, v90
	v_ashrrev_i32_e32 v39, 31, v39
	s_wait_alu 0xf1ff
	v_xor_b32_e32 v38, s8, v38
	v_lshlrev_b32_e32 v34, 24, v34
	v_and_b32_e32 v36, v36, v37
	v_cmp_gt_i32_e64 s8, 0, v90
	v_not_b32_e32 v37, v91
	v_ashrrev_i32_e32 v40, 31, v40
	s_wait_alu 0xfffd
	v_xor_b32_e32 v39, vcc_lo, v39
	v_and_b32_e32 v36, v36, v38
	v_cmp_gt_i32_e32 vcc_lo, 0, v91
	v_not_b32_e32 v38, v34
	v_ashrrev_i32_e32 v37, 31, v37
	s_wait_alu 0xf1ff
	v_xor_b32_e32 v40, s8, v40
	v_and_b32_e32 v36, v36, v39
	v_lshlrev_b32_e32 v35, 5, v35
	v_cmp_gt_i32_e64 s8, 0, v34
	v_ashrrev_i32_e32 v34, 31, v38
	s_wait_alu 0xfffd
	v_xor_b32_e32 v37, vcc_lo, v37
	v_and_b32_e32 v36, v36, v40
	v_add_nc_u32_e32 v91, v33, v35
	s_wait_alu 0xf1ff
	v_xor_b32_e32 v34, s8, v34
	s_delay_alu instid0(VALU_DEP_3) | instskip(SKIP_2) | instid1(VALU_DEP_1)
	v_and_b32_e32 v35, v36, v37
	ds_load_b32 v89, v91 offset:32
	; wave barrier
	v_and_b32_e32 v34, v35, v34
	v_mbcnt_lo_u32_b32 v90, v34, 0
	v_cmp_ne_u32_e64 s8, 0, v34
	s_delay_alu instid0(VALU_DEP_2)
	v_cmp_eq_u32_e32 vcc_lo, 0, v90
	s_and_b32 s9, s8, vcc_lo
	s_wait_alu 0xfffe
	s_and_saveexec_b32 s8, s9
	s_cbranch_execz .LBB101_34
; %bb.33:
	s_wait_dscnt 0x0
	v_bcnt_u32_b32 v34, v34, v89
	ds_store_b32 v91, v34 offset:32
.LBB101_34:
	s_wait_alu 0xfffe
	s_or_b32 exec_lo, exec_lo, s8
	v_and_b32_e32 v34, s15, v81
	; wave barrier
	s_delay_alu instid0(VALU_DEP_1)
	v_and_b32_e32 v36, 1, v34
	v_lshlrev_b32_e32 v37, 30, v34
	v_lshlrev_b32_e32 v38, 29, v34
	;; [unrolled: 1-line block ×4, first 2 shown]
	v_add_co_u32 v36, s8, v36, -1
	s_wait_alu 0xf1ff
	v_cndmask_b32_e64 v40, 0, 1, s8
	v_not_b32_e32 v95, v37
	v_cmp_gt_i32_e64 s8, 0, v37
	v_not_b32_e32 v37, v38
	v_lshlrev_b32_e32 v93, 26, v34
	v_cmp_ne_u32_e32 vcc_lo, 0, v40
	v_ashrrev_i32_e32 v40, 31, v95
	v_lshlrev_b32_e32 v94, 25, v34
	v_ashrrev_i32_e32 v37, 31, v37
	v_and_b32_e32 v35, 0xff, v34
	s_wait_alu 0xfffd
	v_xor_b32_e32 v36, vcc_lo, v36
	v_cmp_gt_i32_e32 vcc_lo, 0, v38
	v_not_b32_e32 v38, v39
	s_wait_alu 0xf1ff
	v_xor_b32_e32 v40, s8, v40
	v_cmp_gt_i32_e64 s8, 0, v39
	v_and_b32_e32 v36, exec_lo, v36
	v_not_b32_e32 v39, v92
	v_ashrrev_i32_e32 v38, 31, v38
	s_wait_alu 0xfffd
	v_xor_b32_e32 v37, vcc_lo, v37
	v_cmp_gt_i32_e32 vcc_lo, 0, v92
	v_and_b32_e32 v36, v36, v40
	v_not_b32_e32 v40, v93
	v_ashrrev_i32_e32 v39, 31, v39
	s_wait_alu 0xf1ff
	v_xor_b32_e32 v38, s8, v38
	v_lshlrev_b32_e32 v34, 24, v34
	v_and_b32_e32 v36, v36, v37
	v_cmp_gt_i32_e64 s8, 0, v93
	v_not_b32_e32 v37, v94
	v_ashrrev_i32_e32 v40, 31, v40
	s_wait_alu 0xfffd
	v_xor_b32_e32 v39, vcc_lo, v39
	v_and_b32_e32 v36, v36, v38
	v_cmp_gt_i32_e32 vcc_lo, 0, v94
	v_not_b32_e32 v38, v34
	v_ashrrev_i32_e32 v37, 31, v37
	s_wait_alu 0xf1ff
	v_xor_b32_e32 v40, s8, v40
	v_and_b32_e32 v36, v36, v39
	v_lshlrev_b32_e32 v35, 5, v35
	v_cmp_gt_i32_e64 s8, 0, v34
	v_ashrrev_i32_e32 v34, 31, v38
	s_wait_alu 0xfffd
	v_xor_b32_e32 v37, vcc_lo, v37
	v_and_b32_e32 v36, v36, v40
	v_add_nc_u32_e32 v94, v33, v35
	s_wait_alu 0xf1ff
	v_xor_b32_e32 v34, s8, v34
	s_delay_alu instid0(VALU_DEP_3) | instskip(SKIP_2) | instid1(VALU_DEP_1)
	v_and_b32_e32 v35, v36, v37
	ds_load_b32 v92, v94 offset:32
	; wave barrier
	v_and_b32_e32 v34, v35, v34
	v_mbcnt_lo_u32_b32 v93, v34, 0
	v_cmp_ne_u32_e64 s8, 0, v34
	s_delay_alu instid0(VALU_DEP_2)
	v_cmp_eq_u32_e32 vcc_lo, 0, v93
	s_and_b32 s9, s8, vcc_lo
	s_wait_alu 0xfffe
	s_and_saveexec_b32 s8, s9
	s_cbranch_execz .LBB101_36
; %bb.35:
	s_wait_dscnt 0x0
	v_bcnt_u32_b32 v34, v34, v92
	ds_store_b32 v94, v34 offset:32
.LBB101_36:
	s_wait_alu 0xfffe
	s_or_b32 exec_lo, exec_lo, s8
	v_and_b32_e32 v34, s15, v82
	; wave barrier
	s_delay_alu instid0(VALU_DEP_1)
	v_and_b32_e32 v36, 1, v34
	v_lshlrev_b32_e32 v37, 30, v34
	v_lshlrev_b32_e32 v38, 29, v34
	;; [unrolled: 1-line block ×4, first 2 shown]
	v_add_co_u32 v36, s8, v36, -1
	s_wait_alu 0xf1ff
	v_cndmask_b32_e64 v40, 0, 1, s8
	v_not_b32_e32 v98, v37
	v_cmp_gt_i32_e64 s8, 0, v37
	v_not_b32_e32 v37, v38
	v_lshlrev_b32_e32 v96, 26, v34
	v_cmp_ne_u32_e32 vcc_lo, 0, v40
	v_ashrrev_i32_e32 v40, 31, v98
	v_lshlrev_b32_e32 v97, 25, v34
	v_ashrrev_i32_e32 v37, 31, v37
	v_and_b32_e32 v35, 0xff, v34
	s_wait_alu 0xfffd
	v_xor_b32_e32 v36, vcc_lo, v36
	v_cmp_gt_i32_e32 vcc_lo, 0, v38
	v_not_b32_e32 v38, v39
	s_wait_alu 0xf1ff
	v_xor_b32_e32 v40, s8, v40
	v_cmp_gt_i32_e64 s8, 0, v39
	v_and_b32_e32 v36, exec_lo, v36
	v_not_b32_e32 v39, v95
	v_ashrrev_i32_e32 v38, 31, v38
	s_wait_alu 0xfffd
	v_xor_b32_e32 v37, vcc_lo, v37
	v_cmp_gt_i32_e32 vcc_lo, 0, v95
	v_and_b32_e32 v36, v36, v40
	v_not_b32_e32 v40, v96
	v_ashrrev_i32_e32 v39, 31, v39
	s_wait_alu 0xf1ff
	v_xor_b32_e32 v38, s8, v38
	v_lshlrev_b32_e32 v34, 24, v34
	v_and_b32_e32 v36, v36, v37
	v_cmp_gt_i32_e64 s8, 0, v96
	v_not_b32_e32 v37, v97
	v_ashrrev_i32_e32 v40, 31, v40
	s_wait_alu 0xfffd
	v_xor_b32_e32 v39, vcc_lo, v39
	v_and_b32_e32 v36, v36, v38
	v_cmp_gt_i32_e32 vcc_lo, 0, v97
	v_not_b32_e32 v38, v34
	v_ashrrev_i32_e32 v37, 31, v37
	s_wait_alu 0xf1ff
	v_xor_b32_e32 v40, s8, v40
	v_and_b32_e32 v36, v36, v39
	v_lshlrev_b32_e32 v35, 5, v35
	v_cmp_gt_i32_e64 s8, 0, v34
	v_ashrrev_i32_e32 v34, 31, v38
	s_wait_alu 0xfffd
	v_xor_b32_e32 v37, vcc_lo, v37
	v_and_b32_e32 v36, v36, v40
	v_add_nc_u32_e32 v97, v33, v35
	s_wait_alu 0xf1ff
	v_xor_b32_e32 v34, s8, v34
	s_delay_alu instid0(VALU_DEP_3) | instskip(SKIP_2) | instid1(VALU_DEP_1)
	v_and_b32_e32 v35, v36, v37
	ds_load_b32 v95, v97 offset:32
	; wave barrier
	v_and_b32_e32 v34, v35, v34
	v_mbcnt_lo_u32_b32 v96, v34, 0
	v_cmp_ne_u32_e64 s8, 0, v34
	s_delay_alu instid0(VALU_DEP_2)
	v_cmp_eq_u32_e32 vcc_lo, 0, v96
	s_and_b32 s9, s8, vcc_lo
	s_wait_alu 0xfffe
	s_and_saveexec_b32 s8, s9
	s_cbranch_execz .LBB101_38
; %bb.37:
	s_wait_dscnt 0x0
	v_bcnt_u32_b32 v34, v34, v95
	ds_store_b32 v97, v34 offset:32
.LBB101_38:
	s_wait_alu 0xfffe
	s_or_b32 exec_lo, exec_lo, s8
	v_and_b32_e32 v34, s15, v83
	; wave barrier
	s_delay_alu instid0(VALU_DEP_1)
	v_and_b32_e32 v36, 1, v34
	v_lshlrev_b32_e32 v37, 30, v34
	v_lshlrev_b32_e32 v38, 29, v34
	;; [unrolled: 1-line block ×4, first 2 shown]
	v_add_co_u32 v36, s8, v36, -1
	s_wait_alu 0xf1ff
	v_cndmask_b32_e64 v40, 0, 1, s8
	v_not_b32_e32 v101, v37
	v_cmp_gt_i32_e64 s8, 0, v37
	v_not_b32_e32 v37, v38
	v_lshlrev_b32_e32 v99, 26, v34
	v_cmp_ne_u32_e32 vcc_lo, 0, v40
	v_ashrrev_i32_e32 v40, 31, v101
	v_lshlrev_b32_e32 v100, 25, v34
	v_ashrrev_i32_e32 v37, 31, v37
	v_and_b32_e32 v35, 0xff, v34
	s_wait_alu 0xfffd
	v_xor_b32_e32 v36, vcc_lo, v36
	v_cmp_gt_i32_e32 vcc_lo, 0, v38
	v_not_b32_e32 v38, v39
	s_wait_alu 0xf1ff
	v_xor_b32_e32 v40, s8, v40
	v_cmp_gt_i32_e64 s8, 0, v39
	v_and_b32_e32 v36, exec_lo, v36
	v_not_b32_e32 v39, v98
	v_ashrrev_i32_e32 v38, 31, v38
	s_wait_alu 0xfffd
	v_xor_b32_e32 v37, vcc_lo, v37
	v_cmp_gt_i32_e32 vcc_lo, 0, v98
	v_and_b32_e32 v36, v36, v40
	v_not_b32_e32 v40, v99
	v_ashrrev_i32_e32 v39, 31, v39
	s_wait_alu 0xf1ff
	v_xor_b32_e32 v38, s8, v38
	v_lshlrev_b32_e32 v34, 24, v34
	v_and_b32_e32 v36, v36, v37
	v_cmp_gt_i32_e64 s8, 0, v99
	v_not_b32_e32 v37, v100
	v_ashrrev_i32_e32 v40, 31, v40
	s_wait_alu 0xfffd
	v_xor_b32_e32 v39, vcc_lo, v39
	v_and_b32_e32 v36, v36, v38
	v_cmp_gt_i32_e32 vcc_lo, 0, v100
	v_not_b32_e32 v38, v34
	v_ashrrev_i32_e32 v37, 31, v37
	s_wait_alu 0xf1ff
	v_xor_b32_e32 v40, s8, v40
	v_and_b32_e32 v36, v36, v39
	v_lshlrev_b32_e32 v35, 5, v35
	v_cmp_gt_i32_e64 s8, 0, v34
	v_ashrrev_i32_e32 v34, 31, v38
	s_wait_alu 0xfffd
	v_xor_b32_e32 v37, vcc_lo, v37
	v_and_b32_e32 v36, v36, v40
	v_add_nc_u32_e32 v100, v33, v35
	s_wait_alu 0xf1ff
	v_xor_b32_e32 v34, s8, v34
	s_delay_alu instid0(VALU_DEP_3) | instskip(SKIP_2) | instid1(VALU_DEP_1)
	v_and_b32_e32 v35, v36, v37
	ds_load_b32 v98, v100 offset:32
	; wave barrier
	v_and_b32_e32 v34, v35, v34
	v_mbcnt_lo_u32_b32 v99, v34, 0
	v_cmp_ne_u32_e64 s8, 0, v34
	s_delay_alu instid0(VALU_DEP_2)
	v_cmp_eq_u32_e32 vcc_lo, 0, v99
	s_and_b32 s9, s8, vcc_lo
	s_wait_alu 0xfffe
	s_and_saveexec_b32 s8, s9
	s_cbranch_execz .LBB101_40
; %bb.39:
	s_wait_dscnt 0x0
	v_bcnt_u32_b32 v34, v34, v98
	ds_store_b32 v100, v34 offset:32
.LBB101_40:
	s_wait_alu 0xfffe
	s_or_b32 exec_lo, exec_lo, s8
	v_and_b32_e32 v34, s15, v84
	; wave barrier
	s_delay_alu instid0(VALU_DEP_1)
	v_and_b32_e32 v36, 1, v34
	v_lshlrev_b32_e32 v37, 30, v34
	v_lshlrev_b32_e32 v38, 29, v34
	;; [unrolled: 1-line block ×4, first 2 shown]
	v_add_co_u32 v36, s8, v36, -1
	s_wait_alu 0xf1ff
	v_cndmask_b32_e64 v40, 0, 1, s8
	v_not_b32_e32 v104, v37
	v_cmp_gt_i32_e64 s8, 0, v37
	v_not_b32_e32 v37, v38
	v_lshlrev_b32_e32 v102, 26, v34
	v_cmp_ne_u32_e32 vcc_lo, 0, v40
	v_ashrrev_i32_e32 v40, 31, v104
	v_lshlrev_b32_e32 v103, 25, v34
	v_ashrrev_i32_e32 v37, 31, v37
	v_and_b32_e32 v35, 0xff, v34
	s_wait_alu 0xfffd
	v_xor_b32_e32 v36, vcc_lo, v36
	v_cmp_gt_i32_e32 vcc_lo, 0, v38
	v_not_b32_e32 v38, v39
	s_wait_alu 0xf1ff
	v_xor_b32_e32 v40, s8, v40
	v_cmp_gt_i32_e64 s8, 0, v39
	v_and_b32_e32 v36, exec_lo, v36
	v_not_b32_e32 v39, v101
	v_ashrrev_i32_e32 v38, 31, v38
	s_wait_alu 0xfffd
	v_xor_b32_e32 v37, vcc_lo, v37
	v_cmp_gt_i32_e32 vcc_lo, 0, v101
	v_and_b32_e32 v36, v36, v40
	v_not_b32_e32 v40, v102
	v_ashrrev_i32_e32 v39, 31, v39
	s_wait_alu 0xf1ff
	v_xor_b32_e32 v38, s8, v38
	v_lshlrev_b32_e32 v34, 24, v34
	v_and_b32_e32 v36, v36, v37
	v_cmp_gt_i32_e64 s8, 0, v102
	v_not_b32_e32 v37, v103
	v_ashrrev_i32_e32 v40, 31, v40
	s_wait_alu 0xfffd
	v_xor_b32_e32 v39, vcc_lo, v39
	v_and_b32_e32 v36, v36, v38
	v_cmp_gt_i32_e32 vcc_lo, 0, v103
	v_not_b32_e32 v38, v34
	v_ashrrev_i32_e32 v37, 31, v37
	s_wait_alu 0xf1ff
	v_xor_b32_e32 v40, s8, v40
	v_and_b32_e32 v36, v36, v39
	v_lshlrev_b32_e32 v35, 5, v35
	v_cmp_gt_i32_e64 s8, 0, v34
	v_ashrrev_i32_e32 v34, 31, v38
	s_wait_alu 0xfffd
	v_xor_b32_e32 v37, vcc_lo, v37
	v_and_b32_e32 v36, v36, v40
	v_add_nc_u32_e32 v103, v33, v35
	s_wait_alu 0xf1ff
	v_xor_b32_e32 v34, s8, v34
	s_delay_alu instid0(VALU_DEP_3) | instskip(SKIP_2) | instid1(VALU_DEP_1)
	v_and_b32_e32 v35, v36, v37
	ds_load_b32 v101, v103 offset:32
	; wave barrier
	v_and_b32_e32 v34, v35, v34
	v_mbcnt_lo_u32_b32 v102, v34, 0
	v_cmp_ne_u32_e64 s8, 0, v34
	s_delay_alu instid0(VALU_DEP_2)
	v_cmp_eq_u32_e32 vcc_lo, 0, v102
	s_and_b32 s9, s8, vcc_lo
	s_wait_alu 0xfffe
	s_and_saveexec_b32 s8, s9
	s_cbranch_execz .LBB101_42
; %bb.41:
	s_wait_dscnt 0x0
	v_bcnt_u32_b32 v34, v34, v101
	ds_store_b32 v103, v34 offset:32
.LBB101_42:
	s_wait_alu 0xfffe
	s_or_b32 exec_lo, exec_lo, s8
	v_and_b32_e32 v34, s15, v85
	; wave barrier
	s_delay_alu instid0(VALU_DEP_1)
	v_and_b32_e32 v36, 1, v34
	v_lshlrev_b32_e32 v37, 30, v34
	v_lshlrev_b32_e32 v38, 29, v34
	;; [unrolled: 1-line block ×4, first 2 shown]
	v_add_co_u32 v36, s8, v36, -1
	s_wait_alu 0xf1ff
	v_cndmask_b32_e64 v40, 0, 1, s8
	v_not_b32_e32 v107, v37
	v_cmp_gt_i32_e64 s8, 0, v37
	v_not_b32_e32 v37, v38
	v_lshlrev_b32_e32 v105, 26, v34
	v_cmp_ne_u32_e32 vcc_lo, 0, v40
	v_ashrrev_i32_e32 v40, 31, v107
	v_lshlrev_b32_e32 v106, 25, v34
	v_ashrrev_i32_e32 v37, 31, v37
	v_and_b32_e32 v35, 0xff, v34
	s_wait_alu 0xfffd
	v_xor_b32_e32 v36, vcc_lo, v36
	v_cmp_gt_i32_e32 vcc_lo, 0, v38
	v_not_b32_e32 v38, v39
	s_wait_alu 0xf1ff
	v_xor_b32_e32 v40, s8, v40
	v_cmp_gt_i32_e64 s8, 0, v39
	v_and_b32_e32 v36, exec_lo, v36
	v_not_b32_e32 v39, v104
	v_ashrrev_i32_e32 v38, 31, v38
	s_wait_alu 0xfffd
	v_xor_b32_e32 v37, vcc_lo, v37
	v_cmp_gt_i32_e32 vcc_lo, 0, v104
	v_and_b32_e32 v36, v36, v40
	v_not_b32_e32 v40, v105
	v_ashrrev_i32_e32 v39, 31, v39
	s_wait_alu 0xf1ff
	v_xor_b32_e32 v38, s8, v38
	v_lshlrev_b32_e32 v34, 24, v34
	v_and_b32_e32 v36, v36, v37
	v_cmp_gt_i32_e64 s8, 0, v105
	v_not_b32_e32 v37, v106
	v_ashrrev_i32_e32 v40, 31, v40
	s_wait_alu 0xfffd
	v_xor_b32_e32 v39, vcc_lo, v39
	v_and_b32_e32 v36, v36, v38
	v_cmp_gt_i32_e32 vcc_lo, 0, v106
	v_not_b32_e32 v38, v34
	v_ashrrev_i32_e32 v37, 31, v37
	s_wait_alu 0xf1ff
	v_xor_b32_e32 v40, s8, v40
	v_and_b32_e32 v36, v36, v39
	v_lshlrev_b32_e32 v35, 5, v35
	v_cmp_gt_i32_e64 s8, 0, v34
	v_ashrrev_i32_e32 v34, 31, v38
	s_wait_alu 0xfffd
	v_xor_b32_e32 v37, vcc_lo, v37
	v_and_b32_e32 v36, v36, v40
	v_add_nc_u32_e32 v106, v33, v35
	s_wait_alu 0xf1ff
	v_xor_b32_e32 v34, s8, v34
	s_delay_alu instid0(VALU_DEP_3) | instskip(SKIP_2) | instid1(VALU_DEP_1)
	v_and_b32_e32 v35, v36, v37
	ds_load_b32 v104, v106 offset:32
	; wave barrier
	v_and_b32_e32 v34, v35, v34
	v_mbcnt_lo_u32_b32 v105, v34, 0
	v_cmp_ne_u32_e64 s8, 0, v34
	s_delay_alu instid0(VALU_DEP_2)
	v_cmp_eq_u32_e32 vcc_lo, 0, v105
	s_and_b32 s9, s8, vcc_lo
	s_wait_alu 0xfffe
	s_and_saveexec_b32 s8, s9
	s_cbranch_execz .LBB101_44
; %bb.43:
	s_wait_dscnt 0x0
	v_bcnt_u32_b32 v34, v34, v104
	ds_store_b32 v106, v34 offset:32
.LBB101_44:
	s_wait_alu 0xfffe
	s_or_b32 exec_lo, exec_lo, s8
	v_and_b32_e32 v34, s15, v86
	; wave barrier
	s_delay_alu instid0(VALU_DEP_1)
	v_and_b32_e32 v36, 1, v34
	v_lshlrev_b32_e32 v37, 30, v34
	v_lshlrev_b32_e32 v38, 29, v34
	;; [unrolled: 1-line block ×4, first 2 shown]
	v_add_co_u32 v36, s8, v36, -1
	s_wait_alu 0xf1ff
	v_cndmask_b32_e64 v40, 0, 1, s8
	v_not_b32_e32 v110, v37
	v_cmp_gt_i32_e64 s8, 0, v37
	v_not_b32_e32 v37, v38
	v_lshlrev_b32_e32 v108, 26, v34
	v_cmp_ne_u32_e32 vcc_lo, 0, v40
	v_ashrrev_i32_e32 v40, 31, v110
	v_lshlrev_b32_e32 v109, 25, v34
	v_ashrrev_i32_e32 v37, 31, v37
	v_and_b32_e32 v35, 0xff, v34
	s_wait_alu 0xfffd
	v_xor_b32_e32 v36, vcc_lo, v36
	v_cmp_gt_i32_e32 vcc_lo, 0, v38
	v_not_b32_e32 v38, v39
	s_wait_alu 0xf1ff
	v_xor_b32_e32 v40, s8, v40
	v_cmp_gt_i32_e64 s8, 0, v39
	v_and_b32_e32 v36, exec_lo, v36
	v_not_b32_e32 v39, v107
	v_ashrrev_i32_e32 v38, 31, v38
	s_wait_alu 0xfffd
	v_xor_b32_e32 v37, vcc_lo, v37
	v_cmp_gt_i32_e32 vcc_lo, 0, v107
	v_and_b32_e32 v36, v36, v40
	v_not_b32_e32 v40, v108
	v_ashrrev_i32_e32 v39, 31, v39
	s_wait_alu 0xf1ff
	v_xor_b32_e32 v38, s8, v38
	v_lshlrev_b32_e32 v34, 24, v34
	v_and_b32_e32 v36, v36, v37
	v_cmp_gt_i32_e64 s8, 0, v108
	v_not_b32_e32 v37, v109
	v_ashrrev_i32_e32 v40, 31, v40
	s_wait_alu 0xfffd
	v_xor_b32_e32 v39, vcc_lo, v39
	v_and_b32_e32 v36, v36, v38
	v_cmp_gt_i32_e32 vcc_lo, 0, v109
	v_not_b32_e32 v38, v34
	v_ashrrev_i32_e32 v37, 31, v37
	s_wait_alu 0xf1ff
	v_xor_b32_e32 v40, s8, v40
	v_and_b32_e32 v36, v36, v39
	v_lshlrev_b32_e32 v35, 5, v35
	v_cmp_gt_i32_e64 s8, 0, v34
	v_ashrrev_i32_e32 v34, 31, v38
	s_wait_alu 0xfffd
	v_xor_b32_e32 v37, vcc_lo, v37
	v_and_b32_e32 v36, v36, v40
	v_add_nc_u32_e32 v109, v33, v35
	s_wait_alu 0xf1ff
	v_xor_b32_e32 v33, s8, v34
	s_delay_alu instid0(VALU_DEP_3) | instskip(SKIP_2) | instid1(VALU_DEP_1)
	v_and_b32_e32 v34, v36, v37
	ds_load_b32 v107, v109 offset:32
	; wave barrier
	v_and_b32_e32 v33, v34, v33
	v_mbcnt_lo_u32_b32 v108, v33, 0
	v_cmp_ne_u32_e64 s8, 0, v33
	s_delay_alu instid0(VALU_DEP_2)
	v_cmp_eq_u32_e32 vcc_lo, 0, v108
	s_and_b32 s9, s8, vcc_lo
	s_wait_alu 0xfffe
	s_and_saveexec_b32 s8, s9
	s_cbranch_execz .LBB101_46
; %bb.45:
	s_wait_dscnt 0x0
	v_bcnt_u32_b32 v33, v33, v107
	ds_store_b32 v109, v33 offset:32
.LBB101_46:
	s_wait_alu 0xfffe
	s_or_b32 exec_lo, exec_lo, s8
	; wave barrier
	s_wait_loadcnt_dscnt 0x0
	s_barrier_signal -1
	s_barrier_wait -1
	global_inv scope:SCOPE_SE
	ds_load_b128 v[37:40], v66 offset:32
	ds_load_b128 v[33:36], v66 offset:48
	v_min_u32_e32 v112, 0xe0, v68
	s_mov_b32 s8, exec_lo
	s_wait_dscnt 0x1
	v_add_nc_u32_e32 v110, v38, v37
	s_delay_alu instid0(VALU_DEP_1) | instskip(SKIP_1) | instid1(VALU_DEP_1)
	v_add3_u32 v110, v110, v39, v40
	s_wait_dscnt 0x0
	v_add3_u32 v110, v110, v33, v34
	s_delay_alu instid0(VALU_DEP_1) | instskip(SKIP_1) | instid1(VALU_DEP_2)
	v_add3_u32 v36, v110, v35, v36
	v_and_b32_e32 v110, 15, v67
	v_mov_b32_dpp v111, v36 row_shr:1 row_mask:0xf bank_mask:0xf
	s_delay_alu instid0(VALU_DEP_2) | instskip(SKIP_1) | instid1(VALU_DEP_2)
	v_cmp_ne_u32_e32 vcc_lo, 0, v110
	s_wait_alu 0xfffd
	v_cndmask_b32_e32 v111, 0, v111, vcc_lo
	v_cmp_lt_u32_e32 vcc_lo, 1, v110
	s_delay_alu instid0(VALU_DEP_2) | instskip(NEXT) | instid1(VALU_DEP_1)
	v_add_nc_u32_e32 v36, v111, v36
	v_mov_b32_dpp v111, v36 row_shr:2 row_mask:0xf bank_mask:0xf
	s_wait_alu 0xfffd
	s_delay_alu instid0(VALU_DEP_1) | instskip(SKIP_1) | instid1(VALU_DEP_2)
	v_cndmask_b32_e32 v111, 0, v111, vcc_lo
	v_cmp_lt_u32_e32 vcc_lo, 3, v110
	v_add_nc_u32_e32 v36, v36, v111
	s_delay_alu instid0(VALU_DEP_1) | instskip(SKIP_1) | instid1(VALU_DEP_1)
	v_mov_b32_dpp v111, v36 row_shr:4 row_mask:0xf bank_mask:0xf
	s_wait_alu 0xfffd
	v_cndmask_b32_e32 v111, 0, v111, vcc_lo
	v_cmp_lt_u32_e32 vcc_lo, 7, v110
	s_delay_alu instid0(VALU_DEP_2) | instskip(NEXT) | instid1(VALU_DEP_1)
	v_add_nc_u32_e32 v36, v36, v111
	v_mov_b32_dpp v111, v36 row_shr:8 row_mask:0xf bank_mask:0xf
	s_wait_alu 0xfffd
	s_delay_alu instid0(VALU_DEP_1) | instskip(SKIP_1) | instid1(VALU_DEP_2)
	v_cndmask_b32_e32 v110, 0, v111, vcc_lo
	v_bfe_i32 v111, v67, 4, 1
	v_add_nc_u32_e32 v36, v36, v110
	ds_swizzle_b32 v110, v36 offset:swizzle(BROADCAST,32,15)
	s_wait_dscnt 0x0
	v_and_b32_e32 v110, v111, v110
	v_or_b32_e32 v111, 31, v112
	s_delay_alu instid0(VALU_DEP_2) | instskip(NEXT) | instid1(VALU_DEP_2)
	v_add_nc_u32_e32 v36, v36, v110
	v_cmpx_eq_u32_e64 v44, v111
; %bb.47:
	v_lshlrev_b32_e32 v110, 2, v65
	ds_store_b32 v110, v36
; %bb.48:
	s_wait_alu 0xfffe
	s_or_b32 exec_lo, exec_lo, s8
	s_delay_alu instid0(SALU_CYCLE_1)
	s_mov_b32 s8, exec_lo
	s_wait_loadcnt_dscnt 0x0
	s_barrier_signal -1
	s_barrier_wait -1
	global_inv scope:SCOPE_SE
	v_cmpx_gt_u32_e32 8, v44
	s_cbranch_execz .LBB101_50
; %bb.49:
	v_and_b32_e32 v112, 7, v67
	s_delay_alu instid0(VALU_DEP_1)
	v_cmp_ne_u32_e32 vcc_lo, 0, v112
	v_lshlrev_b32_e32 v110, 2, v44
	ds_load_b32 v111, v110
	s_wait_dscnt 0x0
	v_mov_b32_dpp v113, v111 row_shr:1 row_mask:0xf bank_mask:0xf
	s_wait_alu 0xfffd
	s_delay_alu instid0(VALU_DEP_1) | instskip(SKIP_1) | instid1(VALU_DEP_2)
	v_cndmask_b32_e32 v113, 0, v113, vcc_lo
	v_cmp_lt_u32_e32 vcc_lo, 1, v112
	v_add_nc_u32_e32 v111, v113, v111
	s_delay_alu instid0(VALU_DEP_1) | instskip(SKIP_1) | instid1(VALU_DEP_1)
	v_mov_b32_dpp v113, v111 row_shr:2 row_mask:0xf bank_mask:0xf
	s_wait_alu 0xfffd
	v_cndmask_b32_e32 v113, 0, v113, vcc_lo
	v_cmp_lt_u32_e32 vcc_lo, 3, v112
	s_delay_alu instid0(VALU_DEP_2) | instskip(NEXT) | instid1(VALU_DEP_1)
	v_add_nc_u32_e32 v111, v111, v113
	v_mov_b32_dpp v113, v111 row_shr:4 row_mask:0xf bank_mask:0xf
	s_wait_alu 0xfffd
	s_delay_alu instid0(VALU_DEP_1) | instskip(NEXT) | instid1(VALU_DEP_1)
	v_cndmask_b32_e32 v112, 0, v113, vcc_lo
	v_add_nc_u32_e32 v111, v111, v112
	ds_store_b32 v110, v111
.LBB101_50:
	s_wait_alu 0xfffe
	s_or_b32 exec_lo, exec_lo, s8
	v_mov_b32_e32 v110, 0
	s_mov_b32 s8, exec_lo
	s_wait_loadcnt_dscnt 0x0
	s_barrier_signal -1
	s_barrier_wait -1
	global_inv scope:SCOPE_SE
	v_cmpx_lt_u32_e32 31, v44
; %bb.51:
	v_lshl_add_u32 v110, v65, 2, -4
	ds_load_b32 v110, v110
; %bb.52:
	s_wait_alu 0xfffe
	s_or_b32 exec_lo, exec_lo, s8
	v_sub_co_u32 v111, vcc_lo, v67, 1
	s_wait_dscnt 0x0
	v_add_nc_u32_e32 v36, v110, v36
	s_delay_alu instid0(VALU_DEP_2) | instskip(SKIP_1) | instid1(VALU_DEP_1)
	v_cmp_gt_i32_e64 s8, 0, v111
	s_wait_alu 0xf1ff
	v_cndmask_b32_e64 v111, v111, v67, s8
	s_delay_alu instid0(VALU_DEP_1)
	v_lshlrev_b32_e32 v111, 2, v111
	ds_bpermute_b32 v36, v111, v36
	s_wait_dscnt 0x0
	s_wait_alu 0xfffd
	v_cndmask_b32_e32 v36, v36, v110, vcc_lo
	v_cmp_ne_u32_e32 vcc_lo, 0, v44
	s_wait_alu 0xfffd
	s_delay_alu instid0(VALU_DEP_2) | instskip(NEXT) | instid1(VALU_DEP_1)
	v_cndmask_b32_e32 v36, 0, v36, vcc_lo
	v_add_nc_u32_e32 v37, v36, v37
	s_delay_alu instid0(VALU_DEP_1) | instskip(NEXT) | instid1(VALU_DEP_1)
	v_add_nc_u32_e32 v38, v37, v38
	v_add_nc_u32_e32 v39, v38, v39
	s_delay_alu instid0(VALU_DEP_1) | instskip(NEXT) | instid1(VALU_DEP_1)
	v_add_nc_u32_e32 v110, v39, v40
	;; [unrolled: 3-line block ×3, first 2 shown]
	v_add_nc_u32_e32 v113, v112, v35
	ds_store_b128 v66, v[36:39] offset:32
	ds_store_b128 v66, v[110:113] offset:48
	s_wait_loadcnt_dscnt 0x0
	s_barrier_signal -1
	s_barrier_wait -1
	global_inv scope:SCOPE_SE
	ds_load_b32 v33, v88 offset:32
	ds_load_b32 v34, v91 offset:32
	;; [unrolled: 1-line block ×8, first 2 shown]
	s_wait_loadcnt_dscnt 0x0
	s_barrier_signal -1
	s_barrier_wait -1
	global_inv scope:SCOPE_SE
	v_mad_u32_u24 v88, v44, 56, v60
	v_add_nc_u32_e32 v33, v33, v87
	v_add3_u32 v34, v90, v89, v34
	v_add3_u32 v35, v93, v92, v35
	;; [unrolled: 1-line block ×7, first 2 shown]
	ds_store_b8 v33, v0
	ds_store_b8 v34, v80
	;; [unrolled: 1-line block ×8, first 2 shown]
	s_wait_loadcnt_dscnt 0x0
	s_barrier_signal -1
	s_barrier_wait -1
	global_inv scope:SCOPE_SE
	v_lshlrev_b32_e32 v0, 3, v33
	v_lshlrev_b32_e32 v80, 3, v34
	ds_load_b64 v[33:34], v60
	v_lshlrev_b32_e32 v35, 3, v35
	v_lshlrev_b32_e32 v36, 3, v36
	;; [unrolled: 1-line block ×6, first 2 shown]
	s_wait_loadcnt_dscnt 0x0
	s_barrier_signal -1
	s_barrier_wait -1
	global_inv scope:SCOPE_SE
	ds_store_b64 v0, v[21:22]
	ds_store_b64 v80, v[23:24]
	ds_store_b64 v35, v[17:18]
	ds_store_b64 v36, v[19:20]
	ds_store_b64 v37, v[25:26]
	ds_store_b64 v38, v[27:28]
	ds_store_b64 v39, v[29:30]
	ds_store_b64 v40, v[31:32]
	s_wait_loadcnt_dscnt 0x0
	s_barrier_signal -1
	s_barrier_wait -1
	global_inv scope:SCOPE_SE
	ds_load_b128 v[21:24], v88
	ds_load_b128 v[17:20], v88 offset:16
	v_lshrrev_b32_e32 v0, 16, v33
	v_xor_b32_e32 v25, 0x80, v33
	v_lshrrev_b32_e32 v26, 16, v34
	v_and_b32_e32 v35, 0xffffff00, v34
	v_xor_b32_e32 v27, 0x80, v34
	v_and_b32_e32 v33, 0xffffff00, v33
	v_and_b32_e32 v34, 0xff, v25
	v_xor_b32_e32 v25, 0x80, v0
	v_xor_b32_e32 v28, 0x80, v26
	v_and_b32_e32 v0, 0xffffff00, v0
	v_and_b32_e32 v36, 0xff, v27
	v_and_b32_e32 v37, 0xffffff00, v26
	v_and_b32_e32 v38, 0xff, v25
	v_and_b32_e32 v39, 0xff, v28
	ds_load_b128 v[29:32], v88 offset:32
	ds_load_b128 v[25:28], v88 offset:48
	v_or_b32_e32 v33, v34, v33
	v_or_b32_e32 v34, v36, v35
	v_or_b32_e32 v0, v38, v0
	v_or_b32_e32 v35, v39, v37
	s_delay_alu instid0(VALU_DEP_4) | instskip(NEXT) | instid1(VALU_DEP_4)
	v_add_nc_u16 v33, 0x8000, v33
	v_add_nc_u16 v34, 0x8000, v34
	s_delay_alu instid0(VALU_DEP_4) | instskip(NEXT) | instid1(VALU_DEP_4)
	v_add_nc_u16 v0, 0x8000, v0
	v_add_nc_u16 v35, 0x8000, v35
	s_delay_alu instid0(VALU_DEP_4) | instskip(NEXT) | instid1(VALU_DEP_4)
	v_and_b32_e32 v33, 0xffff, v33
	v_and_b32_e32 v34, 0xffff, v34
	s_delay_alu instid0(VALU_DEP_4) | instskip(NEXT) | instid1(VALU_DEP_4)
	v_lshlrev_b32_e32 v0, 16, v0
	v_lshlrev_b32_e32 v35, 16, v35
	s_delay_alu instid0(VALU_DEP_2) | instskip(NEXT) | instid1(VALU_DEP_2)
	v_or_b32_e32 v0, v33, v0
	v_or_b32_e32 v33, v34, v35
	s_branch .LBB101_84
.LBB101_53:
	v_lshlrev_b64_e32 v[1:2], 3, v[41:42]
	v_dual_mov_b32 v43, v42 :: v_dual_mov_b32 v10, v42
	v_dual_mov_b32 v9, v42 :: v_dual_mov_b32 v12, v42
	v_mov_b32_e32 v11, v42
	s_wait_alu 0xfffe
	s_delay_alu instid0(VALU_DEP_4) | instskip(NEXT) | instid1(VALU_DEP_1)
	v_add_co_u32 v1, vcc_lo, s12, v1
	v_add_co_ci_u32_e64 v2, null, s13, v2, vcc_lo
	v_dual_mov_b32 v3, v42 :: v_dual_mov_b32 v6, v42
	v_dual_mov_b32 v5, v42 :: v_dual_mov_b32 v8, v42
	global_load_b64 v[13:14], v[1:2], off
	v_dual_mov_b32 v1, v42 :: v_dual_mov_b32 v4, v42
	v_dual_mov_b32 v2, v42 :: v_dual_mov_b32 v7, v42
	s_or_b32 exec_lo, exec_lo, s9
	s_and_saveexec_b32 s9, s1
	s_cbranch_execz .LBB101_22
.LBB101_54:
	v_mul_lo_u32 v29, s16, v29
	v_mov_b32_e32 v30, 0
	s_delay_alu instid0(VALU_DEP_1) | instskip(NEXT) | instid1(VALU_DEP_1)
	v_lshlrev_b64_e32 v[29:30], 3, v[29:30]
	v_add_co_u32 v29, vcc_lo, s12, v29
	s_wait_alu 0xfffd
	s_delay_alu instid0(VALU_DEP_2)
	v_add_co_ci_u32_e64 v30, null, s13, v30, vcc_lo
	global_load_b64 v[42:43], v[29:30], off
	s_wait_alu 0xfffe
	s_or_b32 exec_lo, exec_lo, s9
	s_and_saveexec_b32 s9, s2
	s_cbranch_execz .LBB101_23
.LBB101_55:
	v_mul_lo_u32 v9, s16, v28
	v_mov_b32_e32 v10, 0
	s_delay_alu instid0(VALU_DEP_1) | instskip(NEXT) | instid1(VALU_DEP_1)
	v_lshlrev_b64_e32 v[9:10], 3, v[9:10]
	v_add_co_u32 v9, vcc_lo, s12, v9
	s_wait_alu 0xfffd
	s_delay_alu instid0(VALU_DEP_2)
	v_add_co_ci_u32_e64 v10, null, s13, v10, vcc_lo
	global_load_b64 v[9:10], v[9:10], off
	s_wait_alu 0xfffe
	s_or_b32 exec_lo, exec_lo, s9
	s_and_saveexec_b32 s9, s3
	s_cbranch_execz .LBB101_24
.LBB101_56:
	v_mul_lo_u32 v11, s16, v26
	v_mov_b32_e32 v12, 0
	s_delay_alu instid0(VALU_DEP_1) | instskip(NEXT) | instid1(VALU_DEP_1)
	v_lshlrev_b64_e32 v[11:12], 3, v[11:12]
	v_add_co_u32 v11, vcc_lo, s12, v11
	s_wait_alu 0xfffd
	s_delay_alu instid0(VALU_DEP_2)
	v_add_co_ci_u32_e64 v12, null, s13, v12, vcc_lo
	global_load_b64 v[11:12], v[11:12], off
	s_wait_alu 0xfffe
	s_or_b32 exec_lo, exec_lo, s9
	s_and_saveexec_b32 s9, s4
	s_cbranch_execz .LBB101_25
.LBB101_57:
	v_mul_lo_u32 v1, s16, v22
	v_mov_b32_e32 v2, 0
	s_delay_alu instid0(VALU_DEP_1) | instskip(NEXT) | instid1(VALU_DEP_1)
	v_lshlrev_b64_e32 v[1:2], 3, v[1:2]
	v_add_co_u32 v1, vcc_lo, s12, v1
	s_wait_alu 0xfffd
	s_delay_alu instid0(VALU_DEP_2)
	v_add_co_ci_u32_e64 v2, null, s13, v2, vcc_lo
	global_load_b64 v[1:2], v[1:2], off
	s_wait_alu 0xfffe
	s_or_b32 exec_lo, exec_lo, s9
	s_and_saveexec_b32 s9, s5
	s_cbranch_execz .LBB101_26
.LBB101_58:
	v_mul_lo_u32 v3, s16, v19
	v_mov_b32_e32 v4, 0
	s_delay_alu instid0(VALU_DEP_1) | instskip(NEXT) | instid1(VALU_DEP_1)
	v_lshlrev_b64_e32 v[3:4], 3, v[3:4]
	v_add_co_u32 v3, vcc_lo, s12, v3
	s_wait_alu 0xfffd
	s_delay_alu instid0(VALU_DEP_2)
	v_add_co_ci_u32_e64 v4, null, s13, v4, vcc_lo
	global_load_b64 v[3:4], v[3:4], off
	s_wait_alu 0xfffe
	s_or_b32 exec_lo, exec_lo, s9
	s_and_saveexec_b32 s9, s6
	s_cbranch_execz .LBB101_27
.LBB101_59:
	v_mul_lo_u32 v5, s16, v16
	v_mov_b32_e32 v6, 0
	s_delay_alu instid0(VALU_DEP_1) | instskip(NEXT) | instid1(VALU_DEP_1)
	v_lshlrev_b64_e32 v[5:6], 3, v[5:6]
	v_add_co_u32 v5, vcc_lo, s12, v5
	s_wait_alu 0xfffd
	s_delay_alu instid0(VALU_DEP_2)
	v_add_co_ci_u32_e64 v6, null, s13, v6, vcc_lo
	global_load_b64 v[5:6], v[5:6], off
	s_wait_alu 0xfffe
	s_or_b32 exec_lo, exec_lo, s9
	s_xor_b32 s9, s8, -1
	s_and_saveexec_b32 s8, s7
	s_cbranch_execnz .LBB101_28
	s_branch .LBB101_29
.LBB101_60:
                                        ; implicit-def: $vgpr27_vgpr28
                                        ; implicit-def: $vgpr31_vgpr32
                                        ; implicit-def: $vgpr19_vgpr20
                                        ; implicit-def: $vgpr23_vgpr24
                                        ; implicit-def: $vgpr33
                                        ; implicit-def: $vgpr0
	s_and_b32 vcc_lo, exec_lo, s9
	s_wait_alu 0xfffe
	s_cbranch_vccz .LBB101_84
; %bb.61:
	v_xor_b32_e32 v0, 0x7f, v45
	s_wait_dscnt 0x2
	v_xor_b32_e32 v17, 0x7f, v79
	v_xor_b32_e32 v18, 0x7f, v78
	;; [unrolled: 1-line block ×7, first 2 shown]
	v_and_b32_e32 v0, 0xff, v0
	v_lshlrev_b16 v17, 8, v17
	v_and_b32_e32 v18, 0xff, v18
	v_lshlrev_b16 v19, 8, v19
	;; [unrolled: 2-line block ×4, first 2 shown]
	v_or_b32_e32 v0, v0, v17
	v_or_b32_e32 v17, v18, v19
	;; [unrolled: 1-line block ×3, first 2 shown]
	s_getpc_b64 s[8:9]
	s_wait_alu 0xfffe
	s_sext_i32_i16 s9, s9
	s_add_co_u32 s8, s8, _ZN7rocprim17ROCPRIM_400000_NS16block_radix_sortIaLj256ELj8ElLj1ELj1ELj0ELNS0_26block_radix_rank_algorithmE1ELNS0_18block_padding_hintE2ELNS0_4arch9wavefront6targetE0EE19radix_bits_per_passE@rel32@lo+12
	s_wait_alu 0xfffe
	s_add_co_ci_u32 s9, s9, _ZN7rocprim17ROCPRIM_400000_NS16block_radix_sortIaLj256ELj8ElLj1ELj1ELj0ELNS0_26block_radix_rank_algorithmE1ELNS0_18block_padding_hintE2ELNS0_4arch9wavefront6targetE0EE19radix_bits_per_passE@rel32@hi+24
	v_or_b32_e32 v19, v22, v23
	s_load_b32 s8, s[8:9], 0x0
	v_and_b32_e32 v0, 0xffff, v0
	v_lshlrev_b32_e32 v17, 16, v17
	v_and_b32_e32 v18, 0xffff, v18
	v_lshlrev_b32_e32 v19, 16, v19
	s_delay_alu instid0(VALU_DEP_3) | instskip(SKIP_1) | instid1(VALU_DEP_3)
	v_or_b32_e32 v17, v0, v17
	v_mad_u32_u24 v0, v72, 7, v72
	v_or_b32_e32 v18, v18, v19
	ds_store_b64 v72, v[17:18]
	; wave barrier
	ds_load_u8 v24, v73
	s_wait_dscnt 0x2
	ds_load_u8 v25, v73 offset:32
	ds_load_u8 v26, v73 offset:64
	;; [unrolled: 1-line block ×7, first 2 shown]
	s_wait_loadcnt_dscnt 0x0
	s_barrier_signal -1
	s_wait_kmcnt 0x0
	s_min_u32 s8, s8, 8
	s_barrier_wait -1
	s_wait_alu 0xfffe
	s_lshl_b32 s8, -1, s8
	global_inv scope:SCOPE_SE
	s_wait_alu 0xfffe
	s_not_b32 s9, s8
	ds_store_b128 v0, v[13:16]
	ds_store_b128 v0, v[9:12] offset:16
	ds_store_b128 v0, v[5:8] offset:32
	;; [unrolled: 1-line block ×3, first 2 shown]
	; wave barrier
	ds_load_2addr_b64 v[12:15], v71 offset1:32
	ds_load_2addr_b64 v[4:7], v71 offset0:64 offset1:96
	ds_load_2addr_b64 v[0:3], v71 offset0:128 offset1:160
	s_wait_alu 0xfffe
	v_and_b32_e32 v22, s9, v24
	s_delay_alu instid0(VALU_DEP_1) | instskip(SKIP_3) | instid1(VALU_DEP_4)
	v_and_b32_e32 v8, 1, v22
	v_lshlrev_b32_e32 v18, 30, v22
	v_lshlrev_b32_e32 v19, 29, v22
	v_lshlrev_b32_e32 v20, 28, v22
	v_add_co_u32 v16, s8, v8, -1
	s_wait_alu 0xf1ff
	v_cndmask_b32_e64 v17, 0, 1, s8
	ds_load_2addr_b64 v[8:11], v71 offset0:192 offset1:224
	s_wait_loadcnt_dscnt 0x0
	s_barrier_signal -1
	s_barrier_wait -1
	v_cmp_ne_u32_e32 vcc_lo, 0, v17
	v_not_b32_e32 v17, v18
	global_inv scope:SCOPE_SE
	s_load_b32 s8, s[20:21], 0xc
	s_mov_b32 s20, 0
	v_xor_b32_e32 v16, vcc_lo, v16
	v_cmp_gt_i32_e32 vcc_lo, 0, v18
	v_ashrrev_i32_e32 v17, 31, v17
	v_not_b32_e32 v18, v19
	s_mov_b32 s21, s20
	v_and_b32_e32 v16, exec_lo, v16
	s_mov_b32 s22, s20
	s_wait_alu 0xfffd
	v_xor_b32_e32 v17, vcc_lo, v17
	v_cmp_gt_i32_e32 vcc_lo, 0, v19
	v_ashrrev_i32_e32 v18, 31, v18
	v_not_b32_e32 v19, v20
	s_mov_b32 s23, s20
	v_and_b32_e32 v16, v16, v17
	v_lshlrev_b32_e32 v17, 27, v22
	s_wait_alu 0xfffd
	v_xor_b32_e32 v18, vcc_lo, v18
	v_cmp_gt_i32_e32 vcc_lo, 0, v20
	v_ashrrev_i32_e32 v19, 31, v19
	v_not_b32_e32 v20, v17
	s_delay_alu instid0(VALU_DEP_4)
	v_and_b32_e32 v16, v16, v18
	v_lshlrev_b32_e32 v18, 26, v22
	s_wait_alu 0xfffd
	v_xor_b32_e32 v19, vcc_lo, v19
	v_cmp_gt_i32_e32 vcc_lo, 0, v17
	v_ashrrev_i32_e32 v17, 31, v20
	s_wait_kmcnt 0x0
	s_lshr_b32 s10, s8, 16
	v_not_b32_e32 v20, v18
	v_and_b32_e32 v16, v16, v19
	v_lshlrev_b32_e32 v19, 25, v22
	s_wait_alu 0xfffd
	v_xor_b32_e32 v17, vcc_lo, v17
	v_cmp_gt_i32_e32 vcc_lo, 0, v18
	v_ashrrev_i32_e32 v18, 31, v20
	s_and_b32 s8, s8, 0xffff
	v_not_b32_e32 v20, v19
	v_and_b32_e32 v16, v16, v17
	v_lshlrev_b32_e32 v17, 24, v22
	s_wait_alu 0xfffd
	v_xor_b32_e32 v18, vcc_lo, v18
	v_cmp_gt_i32_e32 vcc_lo, 0, v19
	v_ashrrev_i32_e32 v19, 31, v20
	v_mad_u32_u24 v20, v70, s10, v69
	v_not_b32_e32 v21, v17
	v_and_b32_e32 v18, v16, v18
	v_and_b32_e32 v22, 0xff, v22
	s_wait_alu 0xfffd
	v_xor_b32_e32 v19, vcc_lo, v19
	v_cmp_gt_i32_e32 vcc_lo, 0, v17
	v_ashrrev_i32_e32 v21, 31, v21
	s_wait_alu 0xfffe
	v_mad_co_u64_u32 v[16:17], null, v20, s8, v[44:45]
	v_and_b32_e32 v17, v18, v19
	s_wait_alu 0xfffd
	v_xor_b32_e32 v23, vcc_lo, v21
	v_dual_mov_b32 v18, s20 :: v_dual_mov_b32 v19, s21
	v_dual_mov_b32 v20, s22 :: v_dual_mov_b32 v21, s23
	s_delay_alu instid0(VALU_DEP_3)
	v_and_b32_e32 v17, v17, v23
	v_lshrrev_b32_e32 v16, 3, v16
	ds_store_b128 v66, v[18:21] offset:32
	ds_store_b128 v66, v[18:21] offset:48
	v_mbcnt_lo_u32_b32 v32, v17, 0
	v_and_b32_e32 v16, 0x1ffffffc, v16
	v_lshlrev_b32_e32 v18, 5, v22
	v_cmp_ne_u32_e64 s8, 0, v17
	s_wait_loadcnt_dscnt 0x0
	v_cmp_eq_u32_e32 vcc_lo, 0, v32
	s_barrier_signal -1
	v_add_nc_u32_e32 v33, v16, v18
	s_barrier_wait -1
	global_inv scope:SCOPE_SE
	s_and_b32 s10, s8, vcc_lo
	; wave barrier
	s_wait_alu 0xfffe
	s_and_saveexec_b32 s8, s10
; %bb.62:
	v_bcnt_u32_b32 v17, v17, 0
	ds_store_b32 v33, v17 offset:32
; %bb.63:
	s_wait_alu 0xfffe
	s_or_b32 exec_lo, exec_lo, s8
	v_and_b32_e32 v17, s9, v25
	; wave barrier
	s_delay_alu instid0(VALU_DEP_1)
	v_and_b32_e32 v19, 1, v17
	v_lshlrev_b32_e32 v20, 30, v17
	v_lshlrev_b32_e32 v21, 29, v17
	;; [unrolled: 1-line block ×4, first 2 shown]
	v_add_co_u32 v19, s8, v19, -1
	s_wait_alu 0xf1ff
	v_cndmask_b32_e64 v23, 0, 1, s8
	v_not_b32_e32 v37, v20
	v_cmp_gt_i32_e64 s8, 0, v20
	v_not_b32_e32 v20, v21
	v_lshlrev_b32_e32 v35, 26, v17
	v_cmp_ne_u32_e32 vcc_lo, 0, v23
	v_ashrrev_i32_e32 v23, 31, v37
	v_lshlrev_b32_e32 v36, 25, v17
	v_ashrrev_i32_e32 v20, 31, v20
	v_and_b32_e32 v18, 0xff, v17
	s_wait_alu 0xfffd
	v_xor_b32_e32 v19, vcc_lo, v19
	v_cmp_gt_i32_e32 vcc_lo, 0, v21
	v_not_b32_e32 v21, v22
	s_wait_alu 0xf1ff
	v_xor_b32_e32 v23, s8, v23
	v_cmp_gt_i32_e64 s8, 0, v22
	v_and_b32_e32 v19, exec_lo, v19
	v_not_b32_e32 v22, v34
	v_ashrrev_i32_e32 v21, 31, v21
	s_wait_alu 0xfffd
	v_xor_b32_e32 v20, vcc_lo, v20
	v_cmp_gt_i32_e32 vcc_lo, 0, v34
	v_and_b32_e32 v19, v19, v23
	v_not_b32_e32 v23, v35
	v_ashrrev_i32_e32 v22, 31, v22
	s_wait_alu 0xf1ff
	v_xor_b32_e32 v21, s8, v21
	v_lshlrev_b32_e32 v17, 24, v17
	v_and_b32_e32 v19, v19, v20
	v_cmp_gt_i32_e64 s8, 0, v35
	v_not_b32_e32 v20, v36
	v_ashrrev_i32_e32 v23, 31, v23
	s_wait_alu 0xfffd
	v_xor_b32_e32 v22, vcc_lo, v22
	v_and_b32_e32 v19, v19, v21
	v_cmp_gt_i32_e32 vcc_lo, 0, v36
	v_not_b32_e32 v21, v17
	v_ashrrev_i32_e32 v20, 31, v20
	s_wait_alu 0xf1ff
	v_xor_b32_e32 v23, s8, v23
	v_and_b32_e32 v19, v19, v22
	v_lshlrev_b32_e32 v18, 5, v18
	v_cmp_gt_i32_e64 s8, 0, v17
	v_ashrrev_i32_e32 v17, 31, v21
	s_wait_alu 0xfffd
	v_xor_b32_e32 v20, vcc_lo, v20
	v_and_b32_e32 v19, v19, v23
	v_add_nc_u32_e32 v36, v16, v18
	s_wait_alu 0xf1ff
	v_xor_b32_e32 v17, s8, v17
	s_delay_alu instid0(VALU_DEP_3) | instskip(SKIP_2) | instid1(VALU_DEP_1)
	v_and_b32_e32 v18, v19, v20
	ds_load_b32 v34, v36 offset:32
	; wave barrier
	v_and_b32_e32 v17, v18, v17
	v_mbcnt_lo_u32_b32 v35, v17, 0
	v_cmp_ne_u32_e64 s8, 0, v17
	s_delay_alu instid0(VALU_DEP_2)
	v_cmp_eq_u32_e32 vcc_lo, 0, v35
	s_and_b32 s10, s8, vcc_lo
	s_wait_alu 0xfffe
	s_and_saveexec_b32 s8, s10
	s_cbranch_execz .LBB101_65
; %bb.64:
	s_wait_dscnt 0x0
	v_bcnt_u32_b32 v17, v17, v34
	ds_store_b32 v36, v17 offset:32
.LBB101_65:
	s_wait_alu 0xfffe
	s_or_b32 exec_lo, exec_lo, s8
	v_and_b32_e32 v17, s9, v26
	; wave barrier
	s_delay_alu instid0(VALU_DEP_1)
	v_and_b32_e32 v19, 1, v17
	v_lshlrev_b32_e32 v20, 30, v17
	v_lshlrev_b32_e32 v21, 29, v17
	;; [unrolled: 1-line block ×4, first 2 shown]
	v_add_co_u32 v19, s8, v19, -1
	s_wait_alu 0xf1ff
	v_cndmask_b32_e64 v23, 0, 1, s8
	v_not_b32_e32 v40, v20
	v_cmp_gt_i32_e64 s8, 0, v20
	v_not_b32_e32 v20, v21
	v_lshlrev_b32_e32 v38, 26, v17
	v_cmp_ne_u32_e32 vcc_lo, 0, v23
	v_ashrrev_i32_e32 v23, 31, v40
	v_lshlrev_b32_e32 v39, 25, v17
	v_ashrrev_i32_e32 v20, 31, v20
	v_and_b32_e32 v18, 0xff, v17
	s_wait_alu 0xfffd
	v_xor_b32_e32 v19, vcc_lo, v19
	v_cmp_gt_i32_e32 vcc_lo, 0, v21
	v_not_b32_e32 v21, v22
	s_wait_alu 0xf1ff
	v_xor_b32_e32 v23, s8, v23
	v_cmp_gt_i32_e64 s8, 0, v22
	v_and_b32_e32 v19, exec_lo, v19
	v_not_b32_e32 v22, v37
	v_ashrrev_i32_e32 v21, 31, v21
	s_wait_alu 0xfffd
	v_xor_b32_e32 v20, vcc_lo, v20
	v_cmp_gt_i32_e32 vcc_lo, 0, v37
	v_and_b32_e32 v19, v19, v23
	v_not_b32_e32 v23, v38
	v_ashrrev_i32_e32 v22, 31, v22
	s_wait_alu 0xf1ff
	v_xor_b32_e32 v21, s8, v21
	v_lshlrev_b32_e32 v17, 24, v17
	v_and_b32_e32 v19, v19, v20
	v_cmp_gt_i32_e64 s8, 0, v38
	v_not_b32_e32 v20, v39
	v_ashrrev_i32_e32 v23, 31, v23
	s_wait_alu 0xfffd
	v_xor_b32_e32 v22, vcc_lo, v22
	v_and_b32_e32 v19, v19, v21
	v_cmp_gt_i32_e32 vcc_lo, 0, v39
	v_not_b32_e32 v21, v17
	v_ashrrev_i32_e32 v20, 31, v20
	s_wait_alu 0xf1ff
	v_xor_b32_e32 v23, s8, v23
	v_and_b32_e32 v19, v19, v22
	v_lshlrev_b32_e32 v18, 5, v18
	v_cmp_gt_i32_e64 s8, 0, v17
	v_ashrrev_i32_e32 v17, 31, v21
	s_wait_alu 0xfffd
	v_xor_b32_e32 v20, vcc_lo, v20
	v_and_b32_e32 v19, v19, v23
	v_add_nc_u32_e32 v39, v16, v18
	s_wait_alu 0xf1ff
	v_xor_b32_e32 v17, s8, v17
	s_delay_alu instid0(VALU_DEP_3) | instskip(SKIP_2) | instid1(VALU_DEP_1)
	v_and_b32_e32 v18, v19, v20
	ds_load_b32 v37, v39 offset:32
	; wave barrier
	v_and_b32_e32 v17, v18, v17
	v_mbcnt_lo_u32_b32 v38, v17, 0
	v_cmp_ne_u32_e64 s8, 0, v17
	s_delay_alu instid0(VALU_DEP_2)
	v_cmp_eq_u32_e32 vcc_lo, 0, v38
	s_and_b32 s10, s8, vcc_lo
	s_wait_alu 0xfffe
	s_and_saveexec_b32 s8, s10
	s_cbranch_execz .LBB101_67
; %bb.66:
	s_wait_dscnt 0x0
	v_bcnt_u32_b32 v17, v17, v37
	ds_store_b32 v39, v17 offset:32
.LBB101_67:
	s_wait_alu 0xfffe
	s_or_b32 exec_lo, exec_lo, s8
	v_and_b32_e32 v17, s9, v27
	; wave barrier
	s_delay_alu instid0(VALU_DEP_1)
	v_and_b32_e32 v19, 1, v17
	v_lshlrev_b32_e32 v20, 30, v17
	v_lshlrev_b32_e32 v21, 29, v17
	;; [unrolled: 1-line block ×4, first 2 shown]
	v_add_co_u32 v19, s8, v19, -1
	s_wait_alu 0xf1ff
	v_cndmask_b32_e64 v23, 0, 1, s8
	v_not_b32_e32 v69, v20
	v_cmp_gt_i32_e64 s8, 0, v20
	v_not_b32_e32 v20, v21
	v_lshlrev_b32_e32 v45, 26, v17
	v_cmp_ne_u32_e32 vcc_lo, 0, v23
	v_ashrrev_i32_e32 v23, 31, v69
	v_lshlrev_b32_e32 v46, 25, v17
	v_ashrrev_i32_e32 v20, 31, v20
	v_and_b32_e32 v18, 0xff, v17
	s_wait_alu 0xfffd
	v_xor_b32_e32 v19, vcc_lo, v19
	v_cmp_gt_i32_e32 vcc_lo, 0, v21
	v_not_b32_e32 v21, v22
	s_wait_alu 0xf1ff
	v_xor_b32_e32 v23, s8, v23
	v_cmp_gt_i32_e64 s8, 0, v22
	v_and_b32_e32 v19, exec_lo, v19
	v_not_b32_e32 v22, v40
	v_ashrrev_i32_e32 v21, 31, v21
	s_wait_alu 0xfffd
	v_xor_b32_e32 v20, vcc_lo, v20
	v_cmp_gt_i32_e32 vcc_lo, 0, v40
	v_and_b32_e32 v19, v19, v23
	v_not_b32_e32 v23, v45
	v_ashrrev_i32_e32 v22, 31, v22
	s_wait_alu 0xf1ff
	v_xor_b32_e32 v21, s8, v21
	v_lshlrev_b32_e32 v17, 24, v17
	v_and_b32_e32 v19, v19, v20
	v_cmp_gt_i32_e64 s8, 0, v45
	v_not_b32_e32 v20, v46
	v_ashrrev_i32_e32 v23, 31, v23
	s_wait_alu 0xfffd
	v_xor_b32_e32 v22, vcc_lo, v22
	v_and_b32_e32 v19, v19, v21
	v_cmp_gt_i32_e32 vcc_lo, 0, v46
	v_not_b32_e32 v21, v17
	v_ashrrev_i32_e32 v20, 31, v20
	s_wait_alu 0xf1ff
	v_xor_b32_e32 v23, s8, v23
	v_and_b32_e32 v19, v19, v22
	v_lshlrev_b32_e32 v18, 5, v18
	v_cmp_gt_i32_e64 s8, 0, v17
	v_ashrrev_i32_e32 v17, 31, v21
	s_wait_alu 0xfffd
	v_xor_b32_e32 v20, vcc_lo, v20
	v_and_b32_e32 v19, v19, v23
	v_add_nc_u32_e32 v46, v16, v18
	s_wait_alu 0xf1ff
	v_xor_b32_e32 v17, s8, v17
	s_delay_alu instid0(VALU_DEP_3) | instskip(SKIP_2) | instid1(VALU_DEP_1)
	v_and_b32_e32 v18, v19, v20
	ds_load_b32 v40, v46 offset:32
	; wave barrier
	v_and_b32_e32 v17, v18, v17
	v_mbcnt_lo_u32_b32 v45, v17, 0
	v_cmp_ne_u32_e64 s8, 0, v17
	s_delay_alu instid0(VALU_DEP_2)
	v_cmp_eq_u32_e32 vcc_lo, 0, v45
	s_and_b32 s10, s8, vcc_lo
	s_wait_alu 0xfffe
	s_and_saveexec_b32 s8, s10
	s_cbranch_execz .LBB101_69
; %bb.68:
	s_wait_dscnt 0x0
	v_bcnt_u32_b32 v17, v17, v40
	ds_store_b32 v46, v17 offset:32
.LBB101_69:
	s_wait_alu 0xfffe
	s_or_b32 exec_lo, exec_lo, s8
	v_and_b32_e32 v17, s9, v28
	; wave barrier
	s_delay_alu instid0(VALU_DEP_1)
	v_and_b32_e32 v19, 1, v17
	v_lshlrev_b32_e32 v20, 30, v17
	v_lshlrev_b32_e32 v21, 29, v17
	;; [unrolled: 1-line block ×4, first 2 shown]
	v_add_co_u32 v19, s8, v19, -1
	s_wait_alu 0xf1ff
	v_cndmask_b32_e64 v23, 0, 1, s8
	v_not_b32_e32 v72, v20
	v_cmp_gt_i32_e64 s8, 0, v20
	v_not_b32_e32 v20, v21
	v_lshlrev_b32_e32 v70, 26, v17
	v_cmp_ne_u32_e32 vcc_lo, 0, v23
	v_ashrrev_i32_e32 v23, 31, v72
	v_lshlrev_b32_e32 v71, 25, v17
	v_ashrrev_i32_e32 v20, 31, v20
	v_and_b32_e32 v18, 0xff, v17
	s_wait_alu 0xfffd
	v_xor_b32_e32 v19, vcc_lo, v19
	v_cmp_gt_i32_e32 vcc_lo, 0, v21
	v_not_b32_e32 v21, v22
	s_wait_alu 0xf1ff
	v_xor_b32_e32 v23, s8, v23
	v_cmp_gt_i32_e64 s8, 0, v22
	v_and_b32_e32 v19, exec_lo, v19
	v_not_b32_e32 v22, v69
	v_ashrrev_i32_e32 v21, 31, v21
	s_wait_alu 0xfffd
	v_xor_b32_e32 v20, vcc_lo, v20
	v_cmp_gt_i32_e32 vcc_lo, 0, v69
	v_and_b32_e32 v19, v19, v23
	v_not_b32_e32 v23, v70
	v_ashrrev_i32_e32 v22, 31, v22
	s_wait_alu 0xf1ff
	v_xor_b32_e32 v21, s8, v21
	v_lshlrev_b32_e32 v17, 24, v17
	v_and_b32_e32 v19, v19, v20
	v_cmp_gt_i32_e64 s8, 0, v70
	v_not_b32_e32 v20, v71
	v_ashrrev_i32_e32 v23, 31, v23
	s_wait_alu 0xfffd
	v_xor_b32_e32 v22, vcc_lo, v22
	v_and_b32_e32 v19, v19, v21
	v_cmp_gt_i32_e32 vcc_lo, 0, v71
	v_not_b32_e32 v21, v17
	v_ashrrev_i32_e32 v20, 31, v20
	s_wait_alu 0xf1ff
	v_xor_b32_e32 v23, s8, v23
	v_and_b32_e32 v19, v19, v22
	v_lshlrev_b32_e32 v18, 5, v18
	v_cmp_gt_i32_e64 s8, 0, v17
	v_ashrrev_i32_e32 v17, 31, v21
	s_wait_alu 0xfffd
	v_xor_b32_e32 v20, vcc_lo, v20
	v_and_b32_e32 v19, v19, v23
	v_add_nc_u32_e32 v71, v16, v18
	s_wait_alu 0xf1ff
	v_xor_b32_e32 v17, s8, v17
	s_delay_alu instid0(VALU_DEP_3) | instskip(SKIP_2) | instid1(VALU_DEP_1)
	v_and_b32_e32 v18, v19, v20
	ds_load_b32 v69, v71 offset:32
	; wave barrier
	v_and_b32_e32 v17, v18, v17
	v_mbcnt_lo_u32_b32 v70, v17, 0
	v_cmp_ne_u32_e64 s8, 0, v17
	s_delay_alu instid0(VALU_DEP_2)
	v_cmp_eq_u32_e32 vcc_lo, 0, v70
	s_and_b32 s10, s8, vcc_lo
	s_wait_alu 0xfffe
	s_and_saveexec_b32 s8, s10
	s_cbranch_execz .LBB101_71
; %bb.70:
	s_wait_dscnt 0x0
	v_bcnt_u32_b32 v17, v17, v69
	ds_store_b32 v71, v17 offset:32
.LBB101_71:
	s_wait_alu 0xfffe
	s_or_b32 exec_lo, exec_lo, s8
	v_and_b32_e32 v17, s9, v29
	; wave barrier
	s_delay_alu instid0(VALU_DEP_1)
	v_and_b32_e32 v19, 1, v17
	v_lshlrev_b32_e32 v20, 30, v17
	v_lshlrev_b32_e32 v21, 29, v17
	;; [unrolled: 1-line block ×4, first 2 shown]
	v_add_co_u32 v19, s8, v19, -1
	s_wait_alu 0xf1ff
	v_cndmask_b32_e64 v23, 0, 1, s8
	v_not_b32_e32 v75, v20
	v_cmp_gt_i32_e64 s8, 0, v20
	v_not_b32_e32 v20, v21
	v_lshlrev_b32_e32 v73, 26, v17
	v_cmp_ne_u32_e32 vcc_lo, 0, v23
	v_ashrrev_i32_e32 v23, 31, v75
	v_lshlrev_b32_e32 v74, 25, v17
	v_ashrrev_i32_e32 v20, 31, v20
	v_and_b32_e32 v18, 0xff, v17
	s_wait_alu 0xfffd
	v_xor_b32_e32 v19, vcc_lo, v19
	v_cmp_gt_i32_e32 vcc_lo, 0, v21
	v_not_b32_e32 v21, v22
	s_wait_alu 0xf1ff
	v_xor_b32_e32 v23, s8, v23
	v_cmp_gt_i32_e64 s8, 0, v22
	v_and_b32_e32 v19, exec_lo, v19
	v_not_b32_e32 v22, v72
	v_ashrrev_i32_e32 v21, 31, v21
	s_wait_alu 0xfffd
	v_xor_b32_e32 v20, vcc_lo, v20
	v_cmp_gt_i32_e32 vcc_lo, 0, v72
	v_and_b32_e32 v19, v19, v23
	v_not_b32_e32 v23, v73
	v_ashrrev_i32_e32 v22, 31, v22
	s_wait_alu 0xf1ff
	v_xor_b32_e32 v21, s8, v21
	v_lshlrev_b32_e32 v17, 24, v17
	v_and_b32_e32 v19, v19, v20
	v_cmp_gt_i32_e64 s8, 0, v73
	v_not_b32_e32 v20, v74
	v_ashrrev_i32_e32 v23, 31, v23
	s_wait_alu 0xfffd
	v_xor_b32_e32 v22, vcc_lo, v22
	v_and_b32_e32 v19, v19, v21
	v_cmp_gt_i32_e32 vcc_lo, 0, v74
	v_not_b32_e32 v21, v17
	v_ashrrev_i32_e32 v20, 31, v20
	s_wait_alu 0xf1ff
	v_xor_b32_e32 v23, s8, v23
	v_and_b32_e32 v19, v19, v22
	v_lshlrev_b32_e32 v18, 5, v18
	v_cmp_gt_i32_e64 s8, 0, v17
	v_ashrrev_i32_e32 v17, 31, v21
	s_wait_alu 0xfffd
	v_xor_b32_e32 v20, vcc_lo, v20
	v_and_b32_e32 v19, v19, v23
	v_add_nc_u32_e32 v74, v16, v18
	s_wait_alu 0xf1ff
	v_xor_b32_e32 v17, s8, v17
	s_delay_alu instid0(VALU_DEP_3) | instskip(SKIP_2) | instid1(VALU_DEP_1)
	v_and_b32_e32 v18, v19, v20
	ds_load_b32 v72, v74 offset:32
	; wave barrier
	v_and_b32_e32 v17, v18, v17
	v_mbcnt_lo_u32_b32 v73, v17, 0
	v_cmp_ne_u32_e64 s8, 0, v17
	s_delay_alu instid0(VALU_DEP_2)
	v_cmp_eq_u32_e32 vcc_lo, 0, v73
	s_and_b32 s10, s8, vcc_lo
	s_wait_alu 0xfffe
	s_and_saveexec_b32 s8, s10
	s_cbranch_execz .LBB101_73
; %bb.72:
	s_wait_dscnt 0x0
	v_bcnt_u32_b32 v17, v17, v72
	ds_store_b32 v74, v17 offset:32
.LBB101_73:
	s_wait_alu 0xfffe
	s_or_b32 exec_lo, exec_lo, s8
	v_and_b32_e32 v17, s9, v30
	; wave barrier
	s_delay_alu instid0(VALU_DEP_1)
	v_and_b32_e32 v19, 1, v17
	v_lshlrev_b32_e32 v20, 30, v17
	v_lshlrev_b32_e32 v21, 29, v17
	;; [unrolled: 1-line block ×4, first 2 shown]
	v_add_co_u32 v19, s8, v19, -1
	s_wait_alu 0xf1ff
	v_cndmask_b32_e64 v23, 0, 1, s8
	v_not_b32_e32 v78, v20
	v_cmp_gt_i32_e64 s8, 0, v20
	v_not_b32_e32 v20, v21
	v_lshlrev_b32_e32 v76, 26, v17
	v_cmp_ne_u32_e32 vcc_lo, 0, v23
	v_ashrrev_i32_e32 v23, 31, v78
	v_lshlrev_b32_e32 v77, 25, v17
	v_ashrrev_i32_e32 v20, 31, v20
	v_and_b32_e32 v18, 0xff, v17
	s_wait_alu 0xfffd
	v_xor_b32_e32 v19, vcc_lo, v19
	v_cmp_gt_i32_e32 vcc_lo, 0, v21
	v_not_b32_e32 v21, v22
	s_wait_alu 0xf1ff
	v_xor_b32_e32 v23, s8, v23
	v_cmp_gt_i32_e64 s8, 0, v22
	v_and_b32_e32 v19, exec_lo, v19
	v_not_b32_e32 v22, v75
	v_ashrrev_i32_e32 v21, 31, v21
	s_wait_alu 0xfffd
	v_xor_b32_e32 v20, vcc_lo, v20
	v_cmp_gt_i32_e32 vcc_lo, 0, v75
	v_and_b32_e32 v19, v19, v23
	v_not_b32_e32 v23, v76
	v_ashrrev_i32_e32 v22, 31, v22
	s_wait_alu 0xf1ff
	v_xor_b32_e32 v21, s8, v21
	v_lshlrev_b32_e32 v17, 24, v17
	v_and_b32_e32 v19, v19, v20
	v_cmp_gt_i32_e64 s8, 0, v76
	v_not_b32_e32 v20, v77
	v_ashrrev_i32_e32 v23, 31, v23
	s_wait_alu 0xfffd
	v_xor_b32_e32 v22, vcc_lo, v22
	v_and_b32_e32 v19, v19, v21
	v_cmp_gt_i32_e32 vcc_lo, 0, v77
	v_not_b32_e32 v21, v17
	v_ashrrev_i32_e32 v20, 31, v20
	s_wait_alu 0xf1ff
	v_xor_b32_e32 v23, s8, v23
	v_and_b32_e32 v19, v19, v22
	v_lshlrev_b32_e32 v18, 5, v18
	v_cmp_gt_i32_e64 s8, 0, v17
	v_ashrrev_i32_e32 v17, 31, v21
	s_wait_alu 0xfffd
	v_xor_b32_e32 v20, vcc_lo, v20
	v_and_b32_e32 v19, v19, v23
	v_add_nc_u32_e32 v77, v16, v18
	s_wait_alu 0xf1ff
	v_xor_b32_e32 v17, s8, v17
	s_delay_alu instid0(VALU_DEP_3) | instskip(SKIP_2) | instid1(VALU_DEP_1)
	v_and_b32_e32 v18, v19, v20
	ds_load_b32 v75, v77 offset:32
	; wave barrier
	v_and_b32_e32 v17, v18, v17
	v_mbcnt_lo_u32_b32 v76, v17, 0
	v_cmp_ne_u32_e64 s8, 0, v17
	s_delay_alu instid0(VALU_DEP_2)
	v_cmp_eq_u32_e32 vcc_lo, 0, v76
	s_and_b32 s10, s8, vcc_lo
	s_wait_alu 0xfffe
	s_and_saveexec_b32 s8, s10
	s_cbranch_execz .LBB101_75
; %bb.74:
	s_wait_dscnt 0x0
	v_bcnt_u32_b32 v17, v17, v75
	ds_store_b32 v77, v17 offset:32
.LBB101_75:
	s_wait_alu 0xfffe
	s_or_b32 exec_lo, exec_lo, s8
	v_and_b32_e32 v17, s9, v31
	; wave barrier
	s_delay_alu instid0(VALU_DEP_1)
	v_and_b32_e32 v19, 1, v17
	v_lshlrev_b32_e32 v20, 30, v17
	v_lshlrev_b32_e32 v21, 29, v17
	;; [unrolled: 1-line block ×4, first 2 shown]
	v_add_co_u32 v19, s8, v19, -1
	s_wait_alu 0xf1ff
	v_cndmask_b32_e64 v23, 0, 1, s8
	v_not_b32_e32 v81, v20
	v_cmp_gt_i32_e64 s8, 0, v20
	v_not_b32_e32 v20, v21
	v_lshlrev_b32_e32 v79, 26, v17
	v_cmp_ne_u32_e32 vcc_lo, 0, v23
	v_ashrrev_i32_e32 v23, 31, v81
	v_lshlrev_b32_e32 v80, 25, v17
	v_ashrrev_i32_e32 v20, 31, v20
	v_and_b32_e32 v18, 0xff, v17
	s_wait_alu 0xfffd
	v_xor_b32_e32 v19, vcc_lo, v19
	v_cmp_gt_i32_e32 vcc_lo, 0, v21
	v_not_b32_e32 v21, v22
	s_wait_alu 0xf1ff
	v_xor_b32_e32 v23, s8, v23
	v_cmp_gt_i32_e64 s8, 0, v22
	v_and_b32_e32 v19, exec_lo, v19
	v_not_b32_e32 v22, v78
	v_ashrrev_i32_e32 v21, 31, v21
	s_wait_alu 0xfffd
	v_xor_b32_e32 v20, vcc_lo, v20
	v_cmp_gt_i32_e32 vcc_lo, 0, v78
	v_and_b32_e32 v19, v19, v23
	v_not_b32_e32 v23, v79
	v_ashrrev_i32_e32 v22, 31, v22
	s_wait_alu 0xf1ff
	v_xor_b32_e32 v21, s8, v21
	v_lshlrev_b32_e32 v17, 24, v17
	v_and_b32_e32 v19, v19, v20
	v_cmp_gt_i32_e64 s8, 0, v79
	v_not_b32_e32 v20, v80
	v_ashrrev_i32_e32 v23, 31, v23
	s_wait_alu 0xfffd
	v_xor_b32_e32 v22, vcc_lo, v22
	v_and_b32_e32 v19, v19, v21
	v_cmp_gt_i32_e32 vcc_lo, 0, v80
	v_not_b32_e32 v21, v17
	v_ashrrev_i32_e32 v20, 31, v20
	s_wait_alu 0xf1ff
	v_xor_b32_e32 v23, s8, v23
	v_and_b32_e32 v19, v19, v22
	v_lshlrev_b32_e32 v18, 5, v18
	v_cmp_gt_i32_e64 s8, 0, v17
	v_ashrrev_i32_e32 v17, 31, v21
	s_wait_alu 0xfffd
	v_xor_b32_e32 v20, vcc_lo, v20
	v_and_b32_e32 v19, v19, v23
	v_add_nc_u32_e32 v80, v16, v18
	s_wait_alu 0xf1ff
	v_xor_b32_e32 v16, s8, v17
	s_delay_alu instid0(VALU_DEP_3) | instskip(SKIP_2) | instid1(VALU_DEP_1)
	v_and_b32_e32 v17, v19, v20
	ds_load_b32 v78, v80 offset:32
	; wave barrier
	v_and_b32_e32 v16, v17, v16
	v_mbcnt_lo_u32_b32 v79, v16, 0
	v_cmp_ne_u32_e64 s8, 0, v16
	s_delay_alu instid0(VALU_DEP_2)
	v_cmp_eq_u32_e32 vcc_lo, 0, v79
	s_and_b32 s9, s8, vcc_lo
	s_wait_alu 0xfffe
	s_and_saveexec_b32 s8, s9
	s_cbranch_execz .LBB101_77
; %bb.76:
	s_wait_dscnt 0x0
	v_bcnt_u32_b32 v16, v16, v78
	ds_store_b32 v80, v16 offset:32
.LBB101_77:
	s_wait_alu 0xfffe
	s_or_b32 exec_lo, exec_lo, s8
	; wave barrier
	s_wait_loadcnt_dscnt 0x0
	s_barrier_signal -1
	s_barrier_wait -1
	global_inv scope:SCOPE_SE
	ds_load_b128 v[20:23], v66 offset:32
	ds_load_b128 v[16:19], v66 offset:48
	v_min_u32_e32 v68, 0xe0, v68
	s_mov_b32 s8, exec_lo
	s_delay_alu instid0(VALU_DEP_1) | instskip(SKIP_2) | instid1(VALU_DEP_1)
	v_or_b32_e32 v68, 31, v68
	s_wait_dscnt 0x1
	v_add_nc_u32_e32 v81, v21, v20
	v_add3_u32 v81, v81, v22, v23
	s_wait_dscnt 0x0
	s_delay_alu instid0(VALU_DEP_1) | instskip(NEXT) | instid1(VALU_DEP_1)
	v_add3_u32 v81, v81, v16, v17
	v_add3_u32 v19, v81, v18, v19
	v_and_b32_e32 v81, 15, v67
	s_delay_alu instid0(VALU_DEP_2) | instskip(NEXT) | instid1(VALU_DEP_2)
	v_mov_b32_dpp v82, v19 row_shr:1 row_mask:0xf bank_mask:0xf
	v_cmp_ne_u32_e32 vcc_lo, 0, v81
	s_wait_alu 0xfffd
	s_delay_alu instid0(VALU_DEP_2) | instskip(SKIP_1) | instid1(VALU_DEP_2)
	v_cndmask_b32_e32 v82, 0, v82, vcc_lo
	v_cmp_lt_u32_e32 vcc_lo, 1, v81
	v_add_nc_u32_e32 v19, v82, v19
	s_delay_alu instid0(VALU_DEP_1) | instskip(SKIP_1) | instid1(VALU_DEP_1)
	v_mov_b32_dpp v82, v19 row_shr:2 row_mask:0xf bank_mask:0xf
	s_wait_alu 0xfffd
	v_cndmask_b32_e32 v82, 0, v82, vcc_lo
	v_cmp_lt_u32_e32 vcc_lo, 3, v81
	s_delay_alu instid0(VALU_DEP_2) | instskip(NEXT) | instid1(VALU_DEP_1)
	v_add_nc_u32_e32 v19, v19, v82
	v_mov_b32_dpp v82, v19 row_shr:4 row_mask:0xf bank_mask:0xf
	s_wait_alu 0xfffd
	s_delay_alu instid0(VALU_DEP_1) | instskip(SKIP_1) | instid1(VALU_DEP_2)
	v_cndmask_b32_e32 v82, 0, v82, vcc_lo
	v_cmp_lt_u32_e32 vcc_lo, 7, v81
	v_add_nc_u32_e32 v19, v19, v82
	s_delay_alu instid0(VALU_DEP_1) | instskip(SKIP_1) | instid1(VALU_DEP_1)
	v_mov_b32_dpp v82, v19 row_shr:8 row_mask:0xf bank_mask:0xf
	s_wait_alu 0xfffd
	v_cndmask_b32_e32 v81, 0, v82, vcc_lo
	v_bfe_i32 v82, v67, 4, 1
	s_delay_alu instid0(VALU_DEP_2) | instskip(SKIP_3) | instid1(VALU_DEP_1)
	v_add_nc_u32_e32 v19, v19, v81
	ds_swizzle_b32 v81, v19 offset:swizzle(BROADCAST,32,15)
	s_wait_dscnt 0x0
	v_and_b32_e32 v81, v82, v81
	v_add_nc_u32_e32 v19, v19, v81
	v_cmpx_eq_u32_e64 v44, v68
; %bb.78:
	v_lshlrev_b32_e32 v68, 2, v65
	ds_store_b32 v68, v19
; %bb.79:
	s_wait_alu 0xfffe
	s_or_b32 exec_lo, exec_lo, s8
	s_delay_alu instid0(SALU_CYCLE_1)
	s_mov_b32 s8, exec_lo
	s_wait_loadcnt_dscnt 0x0
	s_barrier_signal -1
	s_barrier_wait -1
	global_inv scope:SCOPE_SE
	v_cmpx_gt_u32_e32 8, v44
	s_cbranch_execz .LBB101_81
; %bb.80:
	v_and_b32_e32 v82, 7, v67
	s_delay_alu instid0(VALU_DEP_1)
	v_cmp_ne_u32_e32 vcc_lo, 0, v82
	v_lshlrev_b32_e32 v68, 2, v44
	ds_load_b32 v81, v68
	s_wait_dscnt 0x0
	v_mov_b32_dpp v83, v81 row_shr:1 row_mask:0xf bank_mask:0xf
	s_wait_alu 0xfffd
	s_delay_alu instid0(VALU_DEP_1) | instskip(SKIP_1) | instid1(VALU_DEP_2)
	v_cndmask_b32_e32 v83, 0, v83, vcc_lo
	v_cmp_lt_u32_e32 vcc_lo, 1, v82
	v_add_nc_u32_e32 v81, v83, v81
	s_delay_alu instid0(VALU_DEP_1) | instskip(SKIP_1) | instid1(VALU_DEP_1)
	v_mov_b32_dpp v83, v81 row_shr:2 row_mask:0xf bank_mask:0xf
	s_wait_alu 0xfffd
	v_cndmask_b32_e32 v83, 0, v83, vcc_lo
	v_cmp_lt_u32_e32 vcc_lo, 3, v82
	s_delay_alu instid0(VALU_DEP_2) | instskip(NEXT) | instid1(VALU_DEP_1)
	v_add_nc_u32_e32 v81, v81, v83
	v_mov_b32_dpp v83, v81 row_shr:4 row_mask:0xf bank_mask:0xf
	s_wait_alu 0xfffd
	s_delay_alu instid0(VALU_DEP_1) | instskip(NEXT) | instid1(VALU_DEP_1)
	v_cndmask_b32_e32 v82, 0, v83, vcc_lo
	v_add_nc_u32_e32 v81, v81, v82
	ds_store_b32 v68, v81
.LBB101_81:
	s_wait_alu 0xfffe
	s_or_b32 exec_lo, exec_lo, s8
	v_mov_b32_e32 v68, 0
	s_mov_b32 s8, exec_lo
	s_wait_loadcnt_dscnt 0x0
	s_barrier_signal -1
	s_barrier_wait -1
	global_inv scope:SCOPE_SE
	v_cmpx_lt_u32_e32 31, v44
; %bb.82:
	v_lshl_add_u32 v65, v65, 2, -4
	ds_load_b32 v68, v65
; %bb.83:
	s_wait_alu 0xfffe
	s_or_b32 exec_lo, exec_lo, s8
	v_sub_co_u32 v65, vcc_lo, v67, 1
	s_wait_dscnt 0x0
	v_add_nc_u32_e32 v19, v68, v19
	s_delay_alu instid0(VALU_DEP_2) | instskip(SKIP_1) | instid1(VALU_DEP_1)
	v_cmp_gt_i32_e64 s8, 0, v65
	s_wait_alu 0xf1ff
	v_cndmask_b32_e64 v65, v65, v67, s8
	s_delay_alu instid0(VALU_DEP_1)
	v_lshlrev_b32_e32 v65, 2, v65
	ds_bpermute_b32 v19, v65, v19
	s_wait_dscnt 0x0
	s_wait_alu 0xfffd
	v_cndmask_b32_e32 v19, v19, v68, vcc_lo
	v_cmp_ne_u32_e32 vcc_lo, 0, v44
	s_wait_alu 0xfffd
	s_delay_alu instid0(VALU_DEP_2) | instskip(NEXT) | instid1(VALU_DEP_1)
	v_cndmask_b32_e32 v19, 0, v19, vcc_lo
	v_add_nc_u32_e32 v20, v19, v20
	s_delay_alu instid0(VALU_DEP_1) | instskip(NEXT) | instid1(VALU_DEP_1)
	v_add_nc_u32_e32 v21, v20, v21
	v_add_nc_u32_e32 v22, v21, v22
	s_delay_alu instid0(VALU_DEP_1) | instskip(NEXT) | instid1(VALU_DEP_1)
	v_add_nc_u32_e32 v81, v22, v23
	;; [unrolled: 3-line block ×3, first 2 shown]
	v_add_nc_u32_e32 v84, v83, v18
	ds_store_b128 v66, v[19:22] offset:32
	ds_store_b128 v66, v[81:84] offset:48
	s_wait_loadcnt_dscnt 0x0
	s_barrier_signal -1
	s_barrier_wait -1
	global_inv scope:SCOPE_SE
	ds_load_b32 v16, v33 offset:32
	ds_load_b32 v17, v36 offset:32
	;; [unrolled: 1-line block ×8, first 2 shown]
	s_wait_loadcnt_dscnt 0x0
	s_barrier_signal -1
	s_barrier_wait -1
	global_inv scope:SCOPE_SE
	v_mad_u32_u24 v36, v44, 56, v60
	v_add_nc_u32_e32 v16, v16, v32
	v_add3_u32 v17, v35, v34, v17
	v_add3_u32 v18, v38, v37, v18
	;; [unrolled: 1-line block ×7, first 2 shown]
	ds_store_b8 v16, v24
	ds_store_b8 v17, v25
	;; [unrolled: 1-line block ×8, first 2 shown]
	s_wait_loadcnt_dscnt 0x0
	s_barrier_signal -1
	s_barrier_wait -1
	global_inv scope:SCOPE_SE
	ds_load_b64 v[33:34], v60
	v_lshlrev_b32_e32 v16, 3, v16
	v_lshlrev_b32_e32 v17, 3, v17
	;; [unrolled: 1-line block ×8, first 2 shown]
	s_wait_loadcnt_dscnt 0x0
	s_barrier_signal -1
	s_barrier_wait -1
	global_inv scope:SCOPE_SE
	ds_store_b64 v16, v[12:13]
	ds_store_b64 v17, v[14:15]
	;; [unrolled: 1-line block ×8, first 2 shown]
	s_wait_loadcnt_dscnt 0x0
	s_barrier_signal -1
	s_barrier_wait -1
	global_inv scope:SCOPE_SE
	ds_load_b128 v[21:24], v36
	ds_load_b128 v[17:20], v36 offset:16
	ds_load_b128 v[29:32], v36 offset:32
	;; [unrolled: 1-line block ×3, first 2 shown]
	v_lshrrev_b32_e32 v0, 16, v33
	v_lshrrev_b32_e32 v3, 16, v34
	v_and_b32_e32 v1, 0xffffff00, v33
	v_xor_b32_e32 v2, 0x7f, v33
	v_and_b32_e32 v4, 0xffffff00, v34
	v_xor_b32_e32 v5, 0x7f, v34
	;; [unrolled: 2-line block ×4, first 2 shown]
	v_xor_b32_e32 v1, 0x7f00, v1
	v_and_b32_e32 v2, 0xff, v2
	v_xor_b32_e32 v4, 0x7f00, v4
	v_and_b32_e32 v5, 0xff, v5
	;; [unrolled: 2-line block ×4, first 2 shown]
	v_or_b32_e32 v1, v2, v1
	v_or_b32_e32 v2, v5, v4
	v_or_b32_e32 v0, v0, v6
	s_delay_alu instid0(VALU_DEP_4) | instskip(NEXT) | instid1(VALU_DEP_4)
	v_or_b32_e32 v3, v3, v7
	v_and_b32_e32 v1, 0xffff, v1
	s_delay_alu instid0(VALU_DEP_4) | instskip(NEXT) | instid1(VALU_DEP_4)
	v_and_b32_e32 v2, 0xffff, v2
	v_lshlrev_b32_e32 v0, 16, v0
	s_delay_alu instid0(VALU_DEP_4) | instskip(NEXT) | instid1(VALU_DEP_2)
	v_lshlrev_b32_e32 v3, 16, v3
	v_or_b32_e32 v0, v1, v0
	s_delay_alu instid0(VALU_DEP_2)
	v_or_b32_e32 v33, v2, v3
.LBB101_84:
	s_wait_loadcnt_dscnt 0x0
	s_barrier_signal -1
	s_barrier_wait -1
	global_inv scope:SCOPE_SE
	ds_store_2addr_b32 v56, v0, v33 offset1:1
	s_wait_loadcnt_dscnt 0x0
	s_barrier_signal -1
	s_barrier_wait -1
	global_inv scope:SCOPE_SE
	ds_load_u8 v8, v49 offset:256
	ds_load_u8 v7, v50 offset:512
	;; [unrolled: 1-line block ×7, first 2 shown]
	v_add_co_u32 v0, s8, s18, v47
	s_wait_alu 0xf1ff
	v_add_co_ci_u32_e64 v1, null, s19, 0, s8
	s_and_saveexec_b32 s8, s0
	s_cbranch_execnz .LBB101_103
; %bb.85:
	s_wait_alu 0xfffe
	s_or_b32 exec_lo, exec_lo, s8
	s_and_saveexec_b32 s8, s1
	s_cbranch_execnz .LBB101_104
.LBB101_86:
	s_wait_alu 0xfffe
	s_or_b32 exec_lo, exec_lo, s8
	s_and_saveexec_b32 s8, s2
	s_cbranch_execnz .LBB101_105
.LBB101_87:
	s_wait_alu 0xfffe
	s_or_b32 exec_lo, exec_lo, s8
	s_and_saveexec_b32 s8, s3
	s_cbranch_execnz .LBB101_106
.LBB101_88:
	s_wait_alu 0xfffe
	s_or_b32 exec_lo, exec_lo, s8
	s_and_saveexec_b32 s8, s4
	s_cbranch_execnz .LBB101_107
.LBB101_89:
	s_wait_alu 0xfffe
	s_or_b32 exec_lo, exec_lo, s8
	s_and_saveexec_b32 s8, s5
	s_cbranch_execnz .LBB101_108
.LBB101_90:
	s_wait_alu 0xfffe
	s_or_b32 exec_lo, exec_lo, s8
	s_and_saveexec_b32 s8, s6
	s_cbranch_execnz .LBB101_109
.LBB101_91:
	s_wait_alu 0xfffe
	s_or_b32 exec_lo, exec_lo, s8
	s_and_saveexec_b32 s8, s7
	s_cbranch_execz .LBB101_93
.LBB101_92:
	s_mul_i32 s9, s14, 0x700
	s_wait_alu 0xfffe
	v_add_co_u32 v0, vcc_lo, v0, s9
	s_wait_alu 0xfffd
	v_add_co_ci_u32_e64 v1, null, 0, v1, vcc_lo
	s_wait_dscnt 0x0
	global_store_b8 v[0:1], v2, off
.LBB101_93:
	s_wait_alu 0xfffe
	s_or_b32 exec_lo, exec_lo, s8
	s_wait_storecnt 0x0
	s_wait_loadcnt_dscnt 0x0
	s_barrier_signal -1
	s_barrier_wait -1
	global_inv scope:SCOPE_SE
	ds_store_2addr_b64 v64, v[21:22], v[23:24] offset1:1
	ds_store_2addr_b64 v64, v[17:18], v[19:20] offset0:2 offset1:3
	ds_store_2addr_b64 v64, v[29:30], v[31:32] offset0:4 offset1:5
	;; [unrolled: 1-line block ×3, first 2 shown]
	s_wait_loadcnt_dscnt 0x0
	s_barrier_signal -1
	s_barrier_wait -1
	global_inv scope:SCOPE_SE
	ds_load_b64 v[14:15], v58 offset:2048
	ds_load_b64 v[12:13], v59 offset:4096
	;; [unrolled: 1-line block ×7, first 2 shown]
	v_mov_b32_e32 v42, 0
	s_delay_alu instid0(VALU_DEP_1) | instskip(NEXT) | instid1(VALU_DEP_1)
	v_lshlrev_b64_e32 v[2:3], 3, v[41:42]
	v_add_co_u32 v2, vcc_lo, s12, v2
	s_wait_alu 0xfffd
	s_delay_alu instid0(VALU_DEP_2)
	v_add_co_ci_u32_e64 v3, null, s13, v3, vcc_lo
	s_and_saveexec_b32 s8, s0
	s_cbranch_execnz .LBB101_110
; %bb.94:
	s_wait_alu 0xfffe
	s_or_b32 exec_lo, exec_lo, s8
	s_and_saveexec_b32 s0, s1
	s_cbranch_execnz .LBB101_111
.LBB101_95:
	s_or_b32 exec_lo, exec_lo, s0
	s_and_saveexec_b32 s0, s2
	s_cbranch_execnz .LBB101_112
.LBB101_96:
	s_or_b32 exec_lo, exec_lo, s0
	s_and_saveexec_b32 s0, s3
	s_cbranch_execnz .LBB101_113
.LBB101_97:
	s_or_b32 exec_lo, exec_lo, s0
	s_and_saveexec_b32 s0, s4
	s_cbranch_execnz .LBB101_114
.LBB101_98:
	s_or_b32 exec_lo, exec_lo, s0
	s_and_saveexec_b32 s0, s5
	s_cbranch_execnz .LBB101_115
.LBB101_99:
	s_or_b32 exec_lo, exec_lo, s0
	s_and_saveexec_b32 s0, s6
	s_cbranch_execnz .LBB101_116
.LBB101_100:
	s_or_b32 exec_lo, exec_lo, s0
	s_and_saveexec_b32 s0, s7
	s_cbranch_execz .LBB101_102
.LBB101_101:
	s_mul_i32 s0, s16, 0x700
	s_mov_b32 s1, 0
	s_delay_alu instid0(SALU_CYCLE_1) | instskip(NEXT) | instid1(SALU_CYCLE_1)
	s_lshl_b64 s[0:1], s[0:1], 3
	v_add_co_u32 v2, vcc_lo, v2, s0
	s_wait_alu 0xfffd
	v_add_co_ci_u32_e64 v3, null, s1, v3, vcc_lo
	s_wait_dscnt 0x0
	global_store_b64 v[2:3], v[0:1], off
.LBB101_102:
	s_nop 0
	s_sendmsg sendmsg(MSG_DEALLOC_VGPRS)
	s_endpgm
.LBB101_103:
	ds_load_u8 v9, v48
	s_wait_dscnt 0x0
	global_store_b8 v[0:1], v9, off
	s_wait_alu 0xfffe
	s_or_b32 exec_lo, exec_lo, s8
	s_and_saveexec_b32 s8, s1
	s_cbranch_execz .LBB101_86
.LBB101_104:
	s_lshl_b32 s9, s14, 8
	s_wait_alu 0xfffe
	v_add_co_u32 v9, vcc_lo, v0, s9
	s_wait_alu 0xfffd
	v_add_co_ci_u32_e64 v10, null, 0, v1, vcc_lo
	s_wait_dscnt 0x6
	global_store_b8 v[9:10], v8, off
	s_or_b32 exec_lo, exec_lo, s8
	s_and_saveexec_b32 s8, s2
	s_cbranch_execz .LBB101_87
.LBB101_105:
	s_lshl_b32 s9, s14, 9
	s_wait_dscnt 0x6
	s_wait_alu 0xfffe
	v_add_co_u32 v8, vcc_lo, v0, s9
	s_wait_alu 0xfffd
	v_add_co_ci_u32_e64 v9, null, 0, v1, vcc_lo
	s_wait_dscnt 0x5
	global_store_b8 v[8:9], v7, off
	s_or_b32 exec_lo, exec_lo, s8
	s_and_saveexec_b32 s8, s3
	s_cbranch_execz .LBB101_88
.LBB101_106:
	s_mul_i32 s9, s14, 0x300
	s_wait_dscnt 0x5
	s_wait_alu 0xfffe
	v_add_co_u32 v7, vcc_lo, v0, s9
	s_wait_alu 0xfffd
	v_add_co_ci_u32_e64 v8, null, 0, v1, vcc_lo
	s_wait_dscnt 0x4
	global_store_b8 v[7:8], v6, off
	s_or_b32 exec_lo, exec_lo, s8
	s_and_saveexec_b32 s8, s4
	s_cbranch_execz .LBB101_89
.LBB101_107:
	s_lshl_b32 s9, s14, 10
	s_wait_dscnt 0x4
	s_wait_alu 0xfffe
	v_add_co_u32 v6, vcc_lo, v0, s9
	s_wait_alu 0xfffd
	v_add_co_ci_u32_e64 v7, null, 0, v1, vcc_lo
	s_wait_dscnt 0x3
	global_store_b8 v[6:7], v5, off
	s_or_b32 exec_lo, exec_lo, s8
	s_and_saveexec_b32 s8, s5
	s_cbranch_execz .LBB101_90
.LBB101_108:
	s_mul_i32 s9, s14, 0x500
	s_wait_dscnt 0x3
	s_wait_alu 0xfffe
	v_add_co_u32 v5, vcc_lo, v0, s9
	s_wait_alu 0xfffd
	v_add_co_ci_u32_e64 v6, null, 0, v1, vcc_lo
	s_wait_dscnt 0x2
	global_store_b8 v[5:6], v4, off
	s_or_b32 exec_lo, exec_lo, s8
	s_and_saveexec_b32 s8, s6
	s_cbranch_execz .LBB101_91
.LBB101_109:
	s_mul_i32 s9, s14, 0x600
	s_wait_dscnt 0x2
	s_wait_alu 0xfffe
	v_add_co_u32 v4, vcc_lo, v0, s9
	s_wait_alu 0xfffd
	v_add_co_ci_u32_e64 v5, null, 0, v1, vcc_lo
	s_wait_dscnt 0x1
	global_store_b8 v[4:5], v3, off
	s_or_b32 exec_lo, exec_lo, s8
	s_and_saveexec_b32 s8, s7
	s_cbranch_execnz .LBB101_92
	s_branch .LBB101_93
.LBB101_110:
	ds_load_b64 v[16:17], v57
	s_wait_dscnt 0x0
	global_store_b64 v[2:3], v[16:17], off
	s_wait_alu 0xfffe
	s_or_b32 exec_lo, exec_lo, s8
	s_and_saveexec_b32 s0, s1
	s_cbranch_execz .LBB101_95
.LBB101_111:
	s_lshl_b32 s8, s16, 8
	s_mov_b32 s9, 0
	s_wait_alu 0xfffe
	s_lshl_b64 s[8:9], s[8:9], 3
	s_wait_alu 0xfffe
	v_add_co_u32 v16, vcc_lo, v2, s8
	s_wait_alu 0xfffd
	v_add_co_ci_u32_e64 v17, null, s9, v3, vcc_lo
	s_wait_dscnt 0x6
	global_store_b64 v[16:17], v[14:15], off
	s_or_b32 exec_lo, exec_lo, s0
	s_and_saveexec_b32 s0, s2
	s_cbranch_execz .LBB101_96
.LBB101_112:
	s_lshl_b32 s8, s16, 9
	s_mov_b32 s9, 0
	s_wait_alu 0xfffe
	s_lshl_b64 s[8:9], s[8:9], 3
	s_wait_dscnt 0x6
	s_wait_alu 0xfffe
	v_add_co_u32 v14, vcc_lo, v2, s8
	s_wait_alu 0xfffd
	v_add_co_ci_u32_e64 v15, null, s9, v3, vcc_lo
	s_wait_dscnt 0x5
	global_store_b64 v[14:15], v[12:13], off
	s_or_b32 exec_lo, exec_lo, s0
	s_and_saveexec_b32 s0, s3
	s_cbranch_execz .LBB101_97
.LBB101_113:
	s_mul_i32 s2, s16, 0x300
	s_mov_b32 s3, 0
	s_delay_alu instid0(SALU_CYCLE_1)
	s_lshl_b64 s[2:3], s[2:3], 3
	s_wait_dscnt 0x5
	v_add_co_u32 v12, vcc_lo, v2, s2
	s_wait_alu 0xfffd
	v_add_co_ci_u32_e64 v13, null, s3, v3, vcc_lo
	s_wait_dscnt 0x4
	global_store_b64 v[12:13], v[10:11], off
	s_or_b32 exec_lo, exec_lo, s0
	s_and_saveexec_b32 s0, s4
	s_cbranch_execz .LBB101_98
.LBB101_114:
	s_lshl_b32 s2, s16, 10
	s_mov_b32 s3, 0
	s_wait_alu 0xfffe
	s_lshl_b64 s[2:3], s[2:3], 3
	s_wait_dscnt 0x4
	s_wait_alu 0xfffe
	v_add_co_u32 v10, vcc_lo, v2, s2
	s_wait_alu 0xfffd
	v_add_co_ci_u32_e64 v11, null, s3, v3, vcc_lo
	s_wait_dscnt 0x3
	global_store_b64 v[10:11], v[8:9], off
	s_or_b32 exec_lo, exec_lo, s0
	s_and_saveexec_b32 s0, s5
	s_cbranch_execz .LBB101_99
.LBB101_115:
	s_mul_i32 s2, s16, 0x500
	s_mov_b32 s3, 0
	s_wait_alu 0xfffe
	s_lshl_b64 s[2:3], s[2:3], 3
	s_wait_dscnt 0x3
	s_wait_alu 0xfffe
	v_add_co_u32 v8, vcc_lo, v2, s2
	s_wait_alu 0xfffd
	v_add_co_ci_u32_e64 v9, null, s3, v3, vcc_lo
	s_wait_dscnt 0x2
	global_store_b64 v[8:9], v[6:7], off
	s_or_b32 exec_lo, exec_lo, s0
	s_and_saveexec_b32 s0, s6
	s_cbranch_execz .LBB101_100
.LBB101_116:
	s_mul_i32 s2, s16, 0x600
	s_mov_b32 s3, 0
	s_wait_alu 0xfffe
	s_lshl_b64 s[2:3], s[2:3], 3
	s_wait_dscnt 0x2
	s_wait_alu 0xfffe
	v_add_co_u32 v6, vcc_lo, v2, s2
	s_wait_alu 0xfffd
	v_add_co_ci_u32_e64 v7, null, s3, v3, vcc_lo
	s_wait_dscnt 0x1
	global_store_b64 v[6:7], v[4:5], off
	s_or_b32 exec_lo, exec_lo, s0
	s_and_saveexec_b32 s0, s7
	s_cbranch_execnz .LBB101_101
	s_branch .LBB101_102
	.section	.rodata,"a",@progbits
	.p2align	6, 0x0
	.amdhsa_kernel _ZN2at6native18radixSortKVInPlaceILin2ELin1ELi256ELi8EaljEEvNS_4cuda6detail10TensorInfoIT3_T5_EES6_S6_S6_NS4_IT4_S6_EES6_b
		.amdhsa_group_segment_fixed_size 16896
		.amdhsa_private_segment_fixed_size 0
		.amdhsa_kernarg_size 712
		.amdhsa_user_sgpr_count 2
		.amdhsa_user_sgpr_dispatch_ptr 0
		.amdhsa_user_sgpr_queue_ptr 0
		.amdhsa_user_sgpr_kernarg_segment_ptr 1
		.amdhsa_user_sgpr_dispatch_id 0
		.amdhsa_user_sgpr_private_segment_size 0
		.amdhsa_wavefront_size32 1
		.amdhsa_uses_dynamic_stack 0
		.amdhsa_enable_private_segment 0
		.amdhsa_system_sgpr_workgroup_id_x 1
		.amdhsa_system_sgpr_workgroup_id_y 1
		.amdhsa_system_sgpr_workgroup_id_z 1
		.amdhsa_system_sgpr_workgroup_info 0
		.amdhsa_system_vgpr_workitem_id 2
		.amdhsa_next_free_vgpr 114
		.amdhsa_next_free_sgpr 24
		.amdhsa_reserve_vcc 1
		.amdhsa_float_round_mode_32 0
		.amdhsa_float_round_mode_16_64 0
		.amdhsa_float_denorm_mode_32 3
		.amdhsa_float_denorm_mode_16_64 3
		.amdhsa_fp16_overflow 0
		.amdhsa_workgroup_processor_mode 1
		.amdhsa_memory_ordered 1
		.amdhsa_forward_progress 1
		.amdhsa_inst_pref_size 106
		.amdhsa_round_robin_scheduling 0
		.amdhsa_exception_fp_ieee_invalid_op 0
		.amdhsa_exception_fp_denorm_src 0
		.amdhsa_exception_fp_ieee_div_zero 0
		.amdhsa_exception_fp_ieee_overflow 0
		.amdhsa_exception_fp_ieee_underflow 0
		.amdhsa_exception_fp_ieee_inexact 0
		.amdhsa_exception_int_div_zero 0
	.end_amdhsa_kernel
	.section	.text._ZN2at6native18radixSortKVInPlaceILin2ELin1ELi256ELi8EaljEEvNS_4cuda6detail10TensorInfoIT3_T5_EES6_S6_S6_NS4_IT4_S6_EES6_b,"axG",@progbits,_ZN2at6native18radixSortKVInPlaceILin2ELin1ELi256ELi8EaljEEvNS_4cuda6detail10TensorInfoIT3_T5_EES6_S6_S6_NS4_IT4_S6_EES6_b,comdat
.Lfunc_end101:
	.size	_ZN2at6native18radixSortKVInPlaceILin2ELin1ELi256ELi8EaljEEvNS_4cuda6detail10TensorInfoIT3_T5_EES6_S6_S6_NS4_IT4_S6_EES6_b, .Lfunc_end101-_ZN2at6native18radixSortKVInPlaceILin2ELin1ELi256ELi8EaljEEvNS_4cuda6detail10TensorInfoIT3_T5_EES6_S6_S6_NS4_IT4_S6_EES6_b
                                        ; -- End function
	.set _ZN2at6native18radixSortKVInPlaceILin2ELin1ELi256ELi8EaljEEvNS_4cuda6detail10TensorInfoIT3_T5_EES6_S6_S6_NS4_IT4_S6_EES6_b.num_vgpr, 114
	.set _ZN2at6native18radixSortKVInPlaceILin2ELin1ELi256ELi8EaljEEvNS_4cuda6detail10TensorInfoIT3_T5_EES6_S6_S6_NS4_IT4_S6_EES6_b.num_agpr, 0
	.set _ZN2at6native18radixSortKVInPlaceILin2ELin1ELi256ELi8EaljEEvNS_4cuda6detail10TensorInfoIT3_T5_EES6_S6_S6_NS4_IT4_S6_EES6_b.numbered_sgpr, 24
	.set _ZN2at6native18radixSortKVInPlaceILin2ELin1ELi256ELi8EaljEEvNS_4cuda6detail10TensorInfoIT3_T5_EES6_S6_S6_NS4_IT4_S6_EES6_b.num_named_barrier, 0
	.set _ZN2at6native18radixSortKVInPlaceILin2ELin1ELi256ELi8EaljEEvNS_4cuda6detail10TensorInfoIT3_T5_EES6_S6_S6_NS4_IT4_S6_EES6_b.private_seg_size, 0
	.set _ZN2at6native18radixSortKVInPlaceILin2ELin1ELi256ELi8EaljEEvNS_4cuda6detail10TensorInfoIT3_T5_EES6_S6_S6_NS4_IT4_S6_EES6_b.uses_vcc, 1
	.set _ZN2at6native18radixSortKVInPlaceILin2ELin1ELi256ELi8EaljEEvNS_4cuda6detail10TensorInfoIT3_T5_EES6_S6_S6_NS4_IT4_S6_EES6_b.uses_flat_scratch, 0
	.set _ZN2at6native18radixSortKVInPlaceILin2ELin1ELi256ELi8EaljEEvNS_4cuda6detail10TensorInfoIT3_T5_EES6_S6_S6_NS4_IT4_S6_EES6_b.has_dyn_sized_stack, 0
	.set _ZN2at6native18radixSortKVInPlaceILin2ELin1ELi256ELi8EaljEEvNS_4cuda6detail10TensorInfoIT3_T5_EES6_S6_S6_NS4_IT4_S6_EES6_b.has_recursion, 0
	.set _ZN2at6native18radixSortKVInPlaceILin2ELin1ELi256ELi8EaljEEvNS_4cuda6detail10TensorInfoIT3_T5_EES6_S6_S6_NS4_IT4_S6_EES6_b.has_indirect_call, 0
	.section	.AMDGPU.csdata,"",@progbits
; Kernel info:
; codeLenInByte = 13504
; TotalNumSgprs: 26
; NumVgprs: 114
; ScratchSize: 0
; MemoryBound: 0
; FloatMode: 240
; IeeeMode: 1
; LDSByteSize: 16896 bytes/workgroup (compile time only)
; SGPRBlocks: 0
; VGPRBlocks: 14
; NumSGPRsForWavesPerEU: 26
; NumVGPRsForWavesPerEU: 114
; Occupancy: 12
; WaveLimiterHint : 1
; COMPUTE_PGM_RSRC2:SCRATCH_EN: 0
; COMPUTE_PGM_RSRC2:USER_SGPR: 2
; COMPUTE_PGM_RSRC2:TRAP_HANDLER: 0
; COMPUTE_PGM_RSRC2:TGID_X_EN: 1
; COMPUTE_PGM_RSRC2:TGID_Y_EN: 1
; COMPUTE_PGM_RSRC2:TGID_Z_EN: 1
; COMPUTE_PGM_RSRC2:TIDIG_COMP_CNT: 2
	.section	.text._ZN2at6native18radixSortKVInPlaceILin2ELin1ELi128ELi8EaljEEvNS_4cuda6detail10TensorInfoIT3_T5_EES6_S6_S6_NS4_IT4_S6_EES6_b,"axG",@progbits,_ZN2at6native18radixSortKVInPlaceILin2ELin1ELi128ELi8EaljEEvNS_4cuda6detail10TensorInfoIT3_T5_EES6_S6_S6_NS4_IT4_S6_EES6_b,comdat
	.protected	_ZN2at6native18radixSortKVInPlaceILin2ELin1ELi128ELi8EaljEEvNS_4cuda6detail10TensorInfoIT3_T5_EES6_S6_S6_NS4_IT4_S6_EES6_b ; -- Begin function _ZN2at6native18radixSortKVInPlaceILin2ELin1ELi128ELi8EaljEEvNS_4cuda6detail10TensorInfoIT3_T5_EES6_S6_S6_NS4_IT4_S6_EES6_b
	.globl	_ZN2at6native18radixSortKVInPlaceILin2ELin1ELi128ELi8EaljEEvNS_4cuda6detail10TensorInfoIT3_T5_EES6_S6_S6_NS4_IT4_S6_EES6_b
	.p2align	8
	.type	_ZN2at6native18radixSortKVInPlaceILin2ELin1ELi128ELi8EaljEEvNS_4cuda6detail10TensorInfoIT3_T5_EES6_S6_S6_NS4_IT4_S6_EES6_b,@function
_ZN2at6native18radixSortKVInPlaceILin2ELin1ELi128ELi8EaljEEvNS_4cuda6detail10TensorInfoIT3_T5_EES6_S6_S6_NS4_IT4_S6_EES6_b: ; @_ZN2at6native18radixSortKVInPlaceILin2ELin1ELi128ELi8EaljEEvNS_4cuda6detail10TensorInfoIT3_T5_EES6_S6_S6_NS4_IT4_S6_EES6_b
; %bb.0:
	s_clause 0x1
	s_load_b64 s[2:3], s[0:1], 0x1c8
	s_load_b96 s[12:14], s[0:1], 0xd8
	s_lshr_b32 s4, ttmp7, 16
	s_wait_kmcnt 0x0
	s_mul_i32 s3, s3, s4
	s_and_b32 s4, ttmp7, 0xffff
	s_delay_alu instid0(SALU_CYCLE_1) | instskip(NEXT) | instid1(SALU_CYCLE_1)
	s_add_co_i32 s3, s3, s4
	s_mul_i32 s4, s3, s2
	s_delay_alu instid0(SALU_CYCLE_1) | instskip(NEXT) | instid1(SALU_CYCLE_1)
	s_add_co_i32 s4, s4, ttmp9
	s_cmp_ge_u32 s4, s12
	s_cbranch_scc1 .LBB102_102
; %bb.1:
	s_load_b32 s2, s[0:1], 0x1b8
	s_add_nc_u64 s[10:11], s[0:1], 0xe8
	s_mov_b32 s9, 0
	s_mov_b32 s12, s4
	s_wait_kmcnt 0x0
	s_cmp_lt_i32 s2, 2
	s_cbranch_scc1 .LBB102_4
; %bb.2:
	s_add_co_i32 s8, s2, -1
	s_add_co_i32 s5, s2, 1
	s_lshl_b64 s[6:7], s[8:9], 2
	s_mov_b32 s12, s4
	s_add_nc_u64 s[6:7], s[10:11], s[6:7]
	s_delay_alu instid0(SALU_CYCLE_1)
	s_add_nc_u64 s[2:3], s[6:7], 8
.LBB102_3:                              ; =>This Inner Loop Header: Depth=1
	s_clause 0x1
	s_load_b32 s6, s[2:3], 0x0
	s_load_b32 s7, s[2:3], 0x64
	s_mov_b32 s16, s12
	s_add_nc_u64 s[2:3], s[2:3], -4
	s_wait_kmcnt 0x0
	s_cvt_f32_u32 s8, s6
	s_sub_co_i32 s15, 0, s6
	s_wait_alu 0xfffe
	s_delay_alu instid0(SALU_CYCLE_1) | instskip(NEXT) | instid1(TRANS32_DEP_1)
	v_rcp_iflag_f32_e32 v1, s8
	v_readfirstlane_b32 s8, v1
	s_mul_f32 s8, s8, 0x4f7ffffe
	s_wait_alu 0xfffe
	s_delay_alu instid0(SALU_CYCLE_2) | instskip(SKIP_1) | instid1(SALU_CYCLE_2)
	s_cvt_u32_f32 s8, s8
	s_wait_alu 0xfffe
	s_mul_i32 s15, s15, s8
	s_delay_alu instid0(SALU_CYCLE_1) | instskip(NEXT) | instid1(SALU_CYCLE_1)
	s_mul_hi_u32 s15, s8, s15
	s_add_co_i32 s8, s8, s15
	s_wait_alu 0xfffe
	s_mul_hi_u32 s8, s12, s8
	s_wait_alu 0xfffe
	s_mul_i32 s12, s8, s6
	s_add_co_i32 s15, s8, 1
	s_sub_co_i32 s12, s16, s12
	s_delay_alu instid0(SALU_CYCLE_1)
	s_sub_co_i32 s17, s12, s6
	s_cmp_ge_u32 s12, s6
	s_cselect_b32 s8, s15, s8
	s_cselect_b32 s12, s17, s12
	s_wait_alu 0xfffe
	s_add_co_i32 s15, s8, 1
	s_cmp_ge_u32 s12, s6
	s_cselect_b32 s12, s15, s8
	s_add_co_i32 s5, s5, -1
	s_mul_i32 s6, s12, s6
	s_delay_alu instid0(SALU_CYCLE_1) | instskip(NEXT) | instid1(SALU_CYCLE_1)
	s_sub_co_i32 s6, s16, s6
	s_mul_i32 s6, s7, s6
	s_delay_alu instid0(SALU_CYCLE_1)
	s_add_co_i32 s9, s6, s9
	s_cmp_gt_u32 s5, 2
	s_cbranch_scc1 .LBB102_3
.LBB102_4:
	s_clause 0x2
	s_load_b64 s[16:17], s[0:1], 0x1c0
	s_load_b64 s[2:3], s[0:1], 0x0
	s_load_b32 s5, s[0:1], 0x6c
	s_add_nc_u64 s[20:21], s[0:1], 0x1c8
	s_movk_i32 s1, 0x8000
	s_movk_i32 s6, 0x80
	s_mov_b32 s0, 0xff80
	s_wait_kmcnt 0x0
	s_bitcmp1_b32 s17, 0
	s_cselect_b32 s8, -1, 0
	s_wait_alu 0xfffe
	s_and_b32 s7, s8, exec_lo
	s_cselect_b32 s1, s1, 0x7f00
	s_cselect_b32 s6, s6, 0x7f
	;; [unrolled: 1-line block ×3, first 2 shown]
	s_or_b32 s0, s6, s1
	s_mul_i32 s6, s5, s4
	s_and_b32 s1, s0, 0xffff
	s_lshl_b32 s0, s0, 16
	v_mov_b32_e32 v3, s7
	s_or_b32 s4, s1, s0
	s_mov_b32 s7, 0
	s_mov_b32 s5, s4
	v_dual_mov_b32 v1, s4 :: v_dual_and_b32 v44, 0x3ff, v0
	v_mov_b32_e32 v2, s5
	s_wait_alu 0xfffe
	s_add_nc_u64 s[18:19], s[2:3], s[6:7]
	s_delay_alu instid0(VALU_DEP_2)
	v_mul_lo_u32 v47, s14, v44
	v_cmp_gt_u32_e64 s0, s13, v44
	s_and_saveexec_b32 s1, s0
	s_cbranch_execz .LBB102_6
; %bb.5:
	global_load_u8 v3, v47, s[18:19]
	v_mov_b32_e32 v2, s4
	s_wait_loadcnt 0x0
	v_perm_b32 v1, v3, s4, 0x3020104
.LBB102_6:
	s_or_b32 exec_lo, exec_lo, s1
	v_add_nc_u32_e32 v29, 0x80, v44
	s_delay_alu instid0(VALU_DEP_1)
	v_cmp_gt_u32_e64 s1, s13, v29
	s_and_saveexec_b32 s2, s1
	s_cbranch_execz .LBB102_8
; %bb.7:
	v_mul_lo_u32 v4, s14, v29
	global_load_u8 v4, v4, s[18:19]
	s_wait_loadcnt 0x0
	v_perm_b32 v1, v1, v4, 0x7060004
.LBB102_8:
	s_or_b32 exec_lo, exec_lo, s2
	v_add_nc_u32_e32 v28, 0x100, v44
	s_delay_alu instid0(VALU_DEP_1)
	v_cmp_gt_u32_e64 s2, s13, v28
	s_and_saveexec_b32 s3, s2
	s_cbranch_execz .LBB102_10
; %bb.9:
	v_mul_lo_u32 v4, s14, v28
	global_load_u8 v4, v4, s[18:19]
	s_wait_loadcnt 0x0
	v_perm_b32 v4, v4, v1, 0xc0c0304
	s_delay_alu instid0(VALU_DEP_1) | instskip(NEXT) | instid1(VALU_DEP_1)
	v_lshlrev_b32_e32 v4, 16, v4
	v_and_or_b32 v1, 0xffff, v1, v4
.LBB102_10:
	s_or_b32 exec_lo, exec_lo, s3
	v_add_nc_u32_e32 v26, 0x180, v44
	s_delay_alu instid0(VALU_DEP_1)
	v_cmp_gt_u32_e64 s3, s13, v26
	s_and_saveexec_b32 s4, s3
	s_cbranch_execz .LBB102_12
; %bb.11:
	v_mul_lo_u32 v4, s14, v26
	global_load_u8 v4, v4, s[18:19]
	s_wait_loadcnt 0x0
	v_perm_b32 v4, v1, v4, 0xc0c0006
	s_delay_alu instid0(VALU_DEP_1) | instskip(NEXT) | instid1(VALU_DEP_1)
	v_lshlrev_b32_e32 v4, 16, v4
	v_and_or_b32 v1, 0xffff, v1, v4
.LBB102_12:
	s_wait_alu 0xfffe
	s_or_b32 exec_lo, exec_lo, s4
	v_add_nc_u32_e32 v22, 0x200, v44
	s_delay_alu instid0(VALU_DEP_1)
	v_cmp_gt_u32_e64 s4, s13, v22
	s_and_saveexec_b32 s5, s4
	s_cbranch_execz .LBB102_14
; %bb.13:
	v_mul_lo_u32 v4, s14, v22
	global_load_u8 v4, v4, s[18:19]
	s_wait_loadcnt 0x0
	v_perm_b32 v2, v4, v2, 0x3020104
.LBB102_14:
	s_wait_alu 0xfffe
	s_or_b32 exec_lo, exec_lo, s5
	v_add_nc_u32_e32 v19, 0x280, v44
	s_delay_alu instid0(VALU_DEP_1)
	v_cmp_gt_u32_e64 s5, s13, v19
	s_and_saveexec_b32 s6, s5
	s_cbranch_execz .LBB102_16
; %bb.15:
	v_mul_lo_u32 v4, s14, v19
	global_load_u8 v4, v4, s[18:19]
	s_wait_loadcnt 0x0
	v_perm_b32 v2, v2, v4, 0x7060004
.LBB102_16:
	;; [unrolled: 13-line block ×3, first 2 shown]
	s_wait_alu 0xfffe
	s_or_b32 exec_lo, exec_lo, s7
	s_clause 0x1
	s_load_b32 s15, s[10:11], 0x6c
	s_load_b64 s[10:11], s[10:11], 0x0
	v_add_nc_u32_e32 v15, 0x380, v44
	s_delay_alu instid0(VALU_DEP_1)
	v_cmp_gt_u32_e64 s7, s13, v15
	s_and_saveexec_b32 s13, s7
	s_cbranch_execz .LBB102_20
; %bb.19:
	v_mul_lo_u32 v4, s14, v15
	global_load_u8 v4, v4, s[18:19]
	s_wait_loadcnt 0x0
	v_perm_b32 v2, v2, v4, 0x60504
.LBB102_20:
	s_wait_alu 0xfffe
	s_or_b32 exec_lo, exec_lo, s13
	v_lshrrev_b32_e32 v65, 5, v44
	v_lshrrev_b32_e32 v17, 5, v29
	;; [unrolled: 1-line block ×5, first 2 shown]
	s_delay_alu instid0(VALU_DEP_4) | instskip(SKIP_4) | instid1(VALU_DEP_4)
	v_dual_mov_b32 v42, 0 :: v_dual_and_b32 v5, 60, v17
	v_and_b32_e32 v4, 28, v65
	v_and_b32_e32 v7, 60, v20
	v_lshrrev_b32_e32 v21, 5, v26
	v_lshrrev_b32_e32 v27, 2, v44
	v_dual_mov_b32 v43, v42 :: v_dual_add_nc_u32 v48, v4, v44
	v_dual_mov_b32 v11, v42 :: v_dual_and_b32 v4, 60, v18
	v_mov_b32_e32 v12, v42
	v_add_nc_u32_e32 v52, v7, v44
	v_and_b32_e32 v7, 60, v24
	s_delay_alu instid0(VALU_DEP_4)
	v_add_nc_u32_e32 v50, v4, v44
	v_and_b32_e32 v4, 60, v21
	v_lshrrev_b32_e32 v23, 5, v19
	v_lshrrev_b32_e32 v25, 5, v15
	v_dual_mov_b32 v13, 0 :: v_dual_add_nc_u32 v54, v7, v44
	v_lshlrev_b32_e32 v60, 3, v44
	v_and_b32_e32 v7, 0xfc, v27
	v_add_nc_u32_e32 v51, v4, v44
	v_and_b32_e32 v4, 60, v23
	v_and_b32_e32 v9, 60, v25
	v_lshrrev_b32_e32 v6, 8, v1
	v_add_nc_u32_e32 v56, v7, v60
	v_dual_mov_b32 v10, v42 :: v_dual_add_nc_u32 v49, v5, v44
	v_lshrrev_b32_e32 v5, 24, v1
	v_lshrrev_b32_e32 v8, 8, v2
	v_dual_mov_b32 v14, 0 :: v_dual_add_nc_u32 v53, v4, v44
	v_lshrrev_b32_e32 v4, 24, v2
	v_add_nc_u32_e32 v55, v9, v44
	v_mov_b32_e32 v9, v42
	v_mov_b32_e32 v7, v42
	ds_store_b8 v48, v3
	ds_store_b8 v49, v6 offset:128
	ds_store_b8_d16_hi v50, v1 offset:256
	ds_store_b8 v51, v5 offset:384
	ds_store_b8 v52, v2 offset:512
	;; [unrolled: 1-line block ×3, first 2 shown]
	ds_store_b8_d16_hi v54, v2 offset:768
	ds_store_b8 v55, v4 offset:896
	s_wait_dscnt 0x0
	s_barrier_signal -1
	s_barrier_wait -1
	global_inv scope:SCOPE_SE
	ds_load_2addr_b32 v[45:46], v56 offset1:1
	s_wait_kmcnt 0x0
	s_mul_i32 s12, s15, s12
	v_mul_lo_u32 v41, s16, v44
	s_mov_b32 s13, 0
	s_wait_alu 0xfffe
	s_add_co_i32 s12, s12, s9
	v_dual_mov_b32 v1, v42 :: v_dual_mov_b32 v2, v42
	v_dual_mov_b32 v3, v42 :: v_dual_mov_b32 v4, v42
	;; [unrolled: 1-line block ×3, first 2 shown]
	v_mov_b32_e32 v8, v42
	s_wait_alu 0xfffe
	s_lshl_b64 s[12:13], s[12:13], 3
	s_wait_loadcnt_dscnt 0x0
	s_wait_alu 0xfffe
	s_add_nc_u64 s[12:13], s[10:11], s[12:13]
	s_barrier_signal -1
	s_barrier_wait -1
	global_inv scope:SCOPE_SE
	s_and_saveexec_b32 s9, s0
	s_cbranch_execnz .LBB102_53
; %bb.21:
	s_wait_alu 0xfffe
	s_or_b32 exec_lo, exec_lo, s9
	s_and_saveexec_b32 s9, s1
	s_cbranch_execnz .LBB102_54
.LBB102_22:
	s_wait_alu 0xfffe
	s_or_b32 exec_lo, exec_lo, s9
	s_and_saveexec_b32 s9, s2
	s_cbranch_execnz .LBB102_55
.LBB102_23:
	s_wait_alu 0xfffe
	s_or_b32 exec_lo, exec_lo, s9
	s_and_saveexec_b32 s9, s3
	s_cbranch_execnz .LBB102_56
.LBB102_24:
	s_wait_alu 0xfffe
	s_or_b32 exec_lo, exec_lo, s9
	s_and_saveexec_b32 s9, s4
	s_cbranch_execnz .LBB102_57
.LBB102_25:
	s_wait_alu 0xfffe
	s_or_b32 exec_lo, exec_lo, s9
	s_and_saveexec_b32 s9, s5
	s_cbranch_execnz .LBB102_58
.LBB102_26:
	s_wait_alu 0xfffe
	s_or_b32 exec_lo, exec_lo, s9
	s_and_saveexec_b32 s9, s6
	s_cbranch_execnz .LBB102_59
.LBB102_27:
	s_wait_alu 0xfffe
	s_or_b32 exec_lo, exec_lo, s9
	s_xor_b32 s9, s8, -1
	s_and_saveexec_b32 s8, s7
	s_cbranch_execz .LBB102_29
.LBB102_28:
	v_mul_lo_u32 v7, s16, v15
	v_mov_b32_e32 v8, 0
	s_delay_alu instid0(VALU_DEP_1) | instskip(NEXT) | instid1(VALU_DEP_1)
	v_lshlrev_b64_e32 v[7:8], 3, v[7:8]
	v_add_co_u32 v7, vcc_lo, s12, v7
	s_wait_alu 0xfffd
	s_delay_alu instid0(VALU_DEP_2)
	v_add_co_ci_u32_e64 v8, null, s13, v8, vcc_lo
	global_load_b64 v[7:8], v[7:8], off
.LBB102_29:
	s_wait_alu 0xfffe
	s_or_b32 exec_lo, exec_lo, s8
	v_lshl_add_u32 v57, v65, 3, v60
	v_lshl_add_u32 v58, v17, 3, v60
	;; [unrolled: 1-line block ×5, first 2 shown]
	s_wait_loadcnt 0x0
	ds_store_b64 v57, v[13:14]
	ds_store_b64 v58, v[42:43] offset:1024
	ds_store_b64 v59, v[9:10] offset:2048
	;; [unrolled: 1-line block ×3, first 2 shown]
	v_lshlrev_b32_e32 v9, 3, v60
	v_lshl_add_u32 v42, v20, 3, v60
	v_lshl_add_u32 v43, v23, 3, v60
	;; [unrolled: 1-line block ×3, first 2 shown]
	ds_store_b64 v42, v[1:2] offset:4096
	ds_store_b64 v43, v[3:4] offset:5120
	;; [unrolled: 1-line block ×4, first 2 shown]
	v_lshl_add_u32 v64, v27, 3, v9
	s_wait_dscnt 0x0
	s_barrier_signal -1
	s_barrier_wait -1
	global_inv scope:SCOPE_SE
	ds_load_2addr_b64 v[13:16], v64 offset1:1
	ds_load_2addr_b64 v[9:12], v64 offset0:2 offset1:3
	ds_load_2addr_b64 v[5:8], v64 offset0:4 offset1:5
	;; [unrolled: 1-line block ×3, first 2 shown]
	v_mbcnt_lo_u32_b32 v67, -1, 0
	v_and_b32_e32 v68, 0x3e0, v44
	v_lshrrev_b32_e32 v74, 24, v46
	v_lshrrev_b32_e32 v75, 16, v46
	;; [unrolled: 1-line block ×3, first 2 shown]
	v_and_or_b32 v73, 0x1f00, v60, v67
	v_or_b32_e32 v17, v67, v68
	v_lshrrev_b32_e32 v77, 24, v45
	v_lshrrev_b32_e32 v78, 16, v45
	;; [unrolled: 1-line block ×3, first 2 shown]
	v_bfe_u32 v69, v0, 10, 10
	v_lshlrev_b32_e32 v72, 3, v17
	v_bfe_u32 v70, v0, 20, 10
	v_mad_u32_u24 v71, v73, 7, v73
	v_lshlrev_b32_e32 v66, 2, v60
	s_mov_b32 s8, 0
	s_and_b32 vcc_lo, exec_lo, s9
	s_mov_b32 s9, -1
	s_wait_loadcnt_dscnt 0x0
	s_barrier_signal -1
	s_barrier_wait -1
	global_inv scope:SCOPE_SE
	s_wait_alu 0xfffe
	s_cbranch_vccz .LBB102_60
; %bb.30:
	v_xor_b32_e32 v0, 0x80, v45
	v_xor_b32_e32 v17, 0x80, v79
	;; [unrolled: 1-line block ×8, first 2 shown]
	s_getpc_b64 s[10:11]
	s_sext_i32_i16 s11, s11
	s_add_co_u32 s10, s10, _ZN7rocprim17ROCPRIM_400000_NS16block_radix_sortIaLj128ELj8ElLj1ELj1ELj0ELNS0_26block_radix_rank_algorithmE1ELNS0_18block_padding_hintE2ELNS0_4arch9wavefront6targetE0EE19radix_bits_per_passE@rel32@lo+8
	s_add_co_ci_u32 s11, s11, _ZN7rocprim17ROCPRIM_400000_NS16block_radix_sortIaLj128ELj8ElLj1ELj1ELj0ELNS0_26block_radix_rank_algorithmE1ELNS0_18block_padding_hintE2ELNS0_4arch9wavefront6targetE0EE19radix_bits_per_passE@rel32@hi+16
	v_lshlrev_b16 v17, 8, v17
	v_lshlrev_b16 v19, 8, v19
	v_and_b32_e32 v20, 0xff, v20
	v_lshlrev_b16 v21, 8, v21
	v_and_b32_e32 v22, 0xff, v22
	v_lshlrev_b16 v23, 8, v23
	s_load_b32 s9, s[10:11], 0x0
	s_mov_b32 s11, s8
	v_and_b32_e32 v0, 0xff, v0
	v_and_b32_e32 v18, 0xff, v18
	s_delay_alu instid0(VALU_DEP_2) | instskip(NEXT) | instid1(VALU_DEP_2)
	v_or_b32_e32 v0, v0, v17
	v_or_b32_e32 v17, v18, v19
	;; [unrolled: 1-line block ×4, first 2 shown]
	s_delay_alu instid0(VALU_DEP_4) | instskip(NEXT) | instid1(VALU_DEP_4)
	v_and_b32_e32 v0, 0xffff, v0
	v_lshlrev_b32_e32 v17, 16, v17
	s_delay_alu instid0(VALU_DEP_4) | instskip(NEXT) | instid1(VALU_DEP_4)
	v_and_b32_e32 v18, 0xffff, v18
	v_lshlrev_b32_e32 v19, 16, v19
	s_delay_alu instid0(VALU_DEP_3) | instskip(NEXT) | instid1(VALU_DEP_2)
	v_or_b32_e32 v17, v0, v17
	v_or_b32_e32 v18, v18, v19
	s_wait_kmcnt 0x0
	s_min_u32 s9, s9, 8
	s_wait_alu 0xfffe
	s_lshl_b32 s9, -1, s9
	ds_store_b64 v72, v[17:18]
	; wave barrier
	ds_load_u8 v0, v73
	ds_load_u8 v80, v73 offset:32
	ds_load_u8 v81, v73 offset:64
	;; [unrolled: 1-line block ×7, first 2 shown]
	s_wait_alu 0xfffe
	s_not_b32 s15, s9
	v_lshlrev_b32_e32 v17, 3, v72
	s_wait_loadcnt_dscnt 0x0
	s_barrier_signal -1
	s_barrier_wait -1
	global_inv scope:SCOPE_SE
	ds_store_b128 v17, v[13:16]
	ds_store_b128 v17, v[9:12] offset:16
	ds_store_b128 v17, v[5:8] offset:32
	;; [unrolled: 1-line block ×3, first 2 shown]
	; wave barrier
	ds_load_2addr_b64 v[21:24], v71 offset1:32
	ds_load_2addr_b64 v[17:20], v71 offset0:64 offset1:96
	ds_load_2addr_b64 v[29:32], v71 offset0:192 offset1:224
	s_wait_alu 0xfffe
	v_and_b32_e32 v39, s15, v0
	s_delay_alu instid0(VALU_DEP_1) | instskip(SKIP_3) | instid1(VALU_DEP_4)
	v_and_b32_e32 v25, 1, v39
	v_lshlrev_b32_e32 v35, 30, v39
	v_lshlrev_b32_e32 v36, 29, v39
	;; [unrolled: 1-line block ×3, first 2 shown]
	v_add_co_u32 v33, s9, v25, -1
	s_wait_alu 0xf1ff
	v_cndmask_b32_e64 v34, 0, 1, s9
	ds_load_2addr_b64 v[25:28], v71 offset0:128 offset1:160
	s_wait_loadcnt_dscnt 0x0
	s_barrier_signal -1
	s_barrier_wait -1
	v_cmp_ne_u32_e32 vcc_lo, 0, v34
	v_not_b32_e32 v34, v35
	global_inv scope:SCOPE_SE
	s_load_b32 s9, s[20:21], 0xc
	v_xor_b32_e32 v33, vcc_lo, v33
	v_cmp_gt_i32_e32 vcc_lo, 0, v35
	v_ashrrev_i32_e32 v34, 31, v34
	v_not_b32_e32 v35, v36
	s_delay_alu instid0(VALU_DEP_4) | instskip(SKIP_1) | instid1(VALU_DEP_3)
	v_and_b32_e32 v33, exec_lo, v33
	s_wait_alu 0xfffd
	v_xor_b32_e32 v34, vcc_lo, v34
	v_cmp_gt_i32_e32 vcc_lo, 0, v36
	v_ashrrev_i32_e32 v35, 31, v35
	v_not_b32_e32 v36, v37
	s_delay_alu instid0(VALU_DEP_4)
	v_and_b32_e32 v33, v33, v34
	v_lshlrev_b32_e32 v34, 27, v39
	s_wait_alu 0xfffd
	v_xor_b32_e32 v35, vcc_lo, v35
	v_cmp_gt_i32_e32 vcc_lo, 0, v37
	v_ashrrev_i32_e32 v36, 31, v36
	v_not_b32_e32 v37, v34
	s_delay_alu instid0(VALU_DEP_4)
	v_and_b32_e32 v33, v33, v35
	v_lshlrev_b32_e32 v35, 26, v39
	s_wait_alu 0xfffd
	v_xor_b32_e32 v36, vcc_lo, v36
	v_cmp_gt_i32_e32 vcc_lo, 0, v34
	v_ashrrev_i32_e32 v34, 31, v37
	s_wait_kmcnt 0x0
	s_lshr_b32 s10, s9, 16
	v_not_b32_e32 v37, v35
	v_and_b32_e32 v33, v33, v36
	v_lshlrev_b32_e32 v36, 25, v39
	s_wait_alu 0xfffd
	v_xor_b32_e32 v34, vcc_lo, v34
	v_cmp_gt_i32_e32 vcc_lo, 0, v35
	v_ashrrev_i32_e32 v35, 31, v37
	v_mad_u32_u24 v38, v70, s10, v69
	v_not_b32_e32 v37, v36
	v_and_b32_e32 v33, v33, v34
	v_lshlrev_b32_e32 v34, 24, v39
	s_wait_alu 0xfffd
	v_xor_b32_e32 v35, vcc_lo, v35
	v_cmp_gt_i32_e32 vcc_lo, 0, v36
	v_ashrrev_i32_e32 v36, 31, v37
	s_and_b32 s9, s9, 0xffff
	v_not_b32_e32 v37, v34
	v_and_b32_e32 v35, v33, v35
	s_mov_b32 s10, s8
	s_wait_alu 0xfffd
	v_xor_b32_e32 v36, vcc_lo, v36
	v_cmp_gt_i32_e32 vcc_lo, 0, v34
	v_ashrrev_i32_e32 v37, 31, v37
	s_wait_alu 0xfffe
	v_mad_co_u64_u32 v[33:34], null, v38, s9, v[44:45]
	v_and_b32_e32 v34, v35, v36
	s_mov_b32 s9, s8
	s_wait_alu 0xfffd
	v_xor_b32_e32 v40, vcc_lo, v37
	v_dual_mov_b32 v38, s11 :: v_dual_mov_b32 v37, s10
	s_wait_alu 0xfffe
	v_dual_mov_b32 v36, s9 :: v_dual_mov_b32 v35, s8
	s_delay_alu instid0(VALU_DEP_3)
	v_and_b32_e32 v34, v34, v40
	v_and_b32_e32 v39, 0xff, v39
	v_lshrrev_b32_e32 v33, 3, v33
	ds_store_b128 v66, v[35:38] offset:16
	ds_store_b128 v66, v[35:38] offset:32
	v_mbcnt_lo_u32_b32 v87, v34, 0
	v_lshlrev_b32_e32 v35, 4, v39
	v_and_b32_e32 v33, 0x1ffffffc, v33
	v_cmp_ne_u32_e64 s8, 0, v34
	s_wait_loadcnt_dscnt 0x0
	v_cmp_eq_u32_e32 vcc_lo, 0, v87
	s_barrier_signal -1
	v_add_nc_u32_e32 v88, v33, v35
	s_barrier_wait -1
	global_inv scope:SCOPE_SE
	s_and_b32 s9, s8, vcc_lo
	; wave barrier
	s_wait_alu 0xfffe
	s_and_saveexec_b32 s8, s9
; %bb.31:
	v_bcnt_u32_b32 v34, v34, 0
	ds_store_b32 v88, v34 offset:16
; %bb.32:
	s_wait_alu 0xfffe
	s_or_b32 exec_lo, exec_lo, s8
	v_and_b32_e32 v34, s15, v80
	; wave barrier
	s_delay_alu instid0(VALU_DEP_1)
	v_and_b32_e32 v36, 1, v34
	v_lshlrev_b32_e32 v37, 30, v34
	v_lshlrev_b32_e32 v38, 29, v34
	;; [unrolled: 1-line block ×4, first 2 shown]
	v_add_co_u32 v36, s8, v36, -1
	s_wait_alu 0xf1ff
	v_cndmask_b32_e64 v40, 0, 1, s8
	v_not_b32_e32 v92, v37
	v_cmp_gt_i32_e64 s8, 0, v37
	v_not_b32_e32 v37, v38
	v_lshlrev_b32_e32 v90, 26, v34
	v_cmp_ne_u32_e32 vcc_lo, 0, v40
	v_ashrrev_i32_e32 v40, 31, v92
	v_lshlrev_b32_e32 v91, 25, v34
	v_ashrrev_i32_e32 v37, 31, v37
	v_and_b32_e32 v35, 0xff, v34
	s_wait_alu 0xfffd
	v_xor_b32_e32 v36, vcc_lo, v36
	v_cmp_gt_i32_e32 vcc_lo, 0, v38
	v_not_b32_e32 v38, v39
	s_wait_alu 0xf1ff
	v_xor_b32_e32 v40, s8, v40
	v_cmp_gt_i32_e64 s8, 0, v39
	v_and_b32_e32 v36, exec_lo, v36
	v_not_b32_e32 v39, v89
	v_ashrrev_i32_e32 v38, 31, v38
	s_wait_alu 0xfffd
	v_xor_b32_e32 v37, vcc_lo, v37
	v_cmp_gt_i32_e32 vcc_lo, 0, v89
	v_and_b32_e32 v36, v36, v40
	v_not_b32_e32 v40, v90
	v_ashrrev_i32_e32 v39, 31, v39
	s_wait_alu 0xf1ff
	v_xor_b32_e32 v38, s8, v38
	v_lshlrev_b32_e32 v34, 24, v34
	v_and_b32_e32 v36, v36, v37
	v_cmp_gt_i32_e64 s8, 0, v90
	v_not_b32_e32 v37, v91
	v_ashrrev_i32_e32 v40, 31, v40
	s_wait_alu 0xfffd
	v_xor_b32_e32 v39, vcc_lo, v39
	v_and_b32_e32 v36, v36, v38
	v_cmp_gt_i32_e32 vcc_lo, 0, v91
	v_not_b32_e32 v38, v34
	v_ashrrev_i32_e32 v37, 31, v37
	s_wait_alu 0xf1ff
	v_xor_b32_e32 v40, s8, v40
	v_and_b32_e32 v36, v36, v39
	v_lshlrev_b32_e32 v35, 4, v35
	v_cmp_gt_i32_e64 s8, 0, v34
	v_ashrrev_i32_e32 v34, 31, v38
	s_wait_alu 0xfffd
	v_xor_b32_e32 v37, vcc_lo, v37
	v_and_b32_e32 v36, v36, v40
	v_add_nc_u32_e32 v91, v33, v35
	s_wait_alu 0xf1ff
	v_xor_b32_e32 v34, s8, v34
	s_delay_alu instid0(VALU_DEP_3) | instskip(SKIP_2) | instid1(VALU_DEP_1)
	v_and_b32_e32 v35, v36, v37
	ds_load_b32 v89, v91 offset:16
	; wave barrier
	v_and_b32_e32 v34, v35, v34
	v_mbcnt_lo_u32_b32 v90, v34, 0
	v_cmp_ne_u32_e64 s8, 0, v34
	s_delay_alu instid0(VALU_DEP_2)
	v_cmp_eq_u32_e32 vcc_lo, 0, v90
	s_and_b32 s9, s8, vcc_lo
	s_wait_alu 0xfffe
	s_and_saveexec_b32 s8, s9
	s_cbranch_execz .LBB102_34
; %bb.33:
	s_wait_dscnt 0x0
	v_bcnt_u32_b32 v34, v34, v89
	ds_store_b32 v91, v34 offset:16
.LBB102_34:
	s_wait_alu 0xfffe
	s_or_b32 exec_lo, exec_lo, s8
	v_and_b32_e32 v34, s15, v81
	; wave barrier
	s_delay_alu instid0(VALU_DEP_1)
	v_and_b32_e32 v36, 1, v34
	v_lshlrev_b32_e32 v37, 30, v34
	v_lshlrev_b32_e32 v38, 29, v34
	v_lshlrev_b32_e32 v39, 28, v34
	v_lshlrev_b32_e32 v92, 27, v34
	v_add_co_u32 v36, s8, v36, -1
	s_wait_alu 0xf1ff
	v_cndmask_b32_e64 v40, 0, 1, s8
	v_not_b32_e32 v95, v37
	v_cmp_gt_i32_e64 s8, 0, v37
	v_not_b32_e32 v37, v38
	v_lshlrev_b32_e32 v93, 26, v34
	v_cmp_ne_u32_e32 vcc_lo, 0, v40
	v_ashrrev_i32_e32 v40, 31, v95
	v_lshlrev_b32_e32 v94, 25, v34
	v_ashrrev_i32_e32 v37, 31, v37
	v_and_b32_e32 v35, 0xff, v34
	s_wait_alu 0xfffd
	v_xor_b32_e32 v36, vcc_lo, v36
	v_cmp_gt_i32_e32 vcc_lo, 0, v38
	v_not_b32_e32 v38, v39
	s_wait_alu 0xf1ff
	v_xor_b32_e32 v40, s8, v40
	v_cmp_gt_i32_e64 s8, 0, v39
	v_and_b32_e32 v36, exec_lo, v36
	v_not_b32_e32 v39, v92
	v_ashrrev_i32_e32 v38, 31, v38
	s_wait_alu 0xfffd
	v_xor_b32_e32 v37, vcc_lo, v37
	v_cmp_gt_i32_e32 vcc_lo, 0, v92
	v_and_b32_e32 v36, v36, v40
	v_not_b32_e32 v40, v93
	v_ashrrev_i32_e32 v39, 31, v39
	s_wait_alu 0xf1ff
	v_xor_b32_e32 v38, s8, v38
	v_lshlrev_b32_e32 v34, 24, v34
	v_and_b32_e32 v36, v36, v37
	v_cmp_gt_i32_e64 s8, 0, v93
	v_not_b32_e32 v37, v94
	v_ashrrev_i32_e32 v40, 31, v40
	s_wait_alu 0xfffd
	v_xor_b32_e32 v39, vcc_lo, v39
	v_and_b32_e32 v36, v36, v38
	v_cmp_gt_i32_e32 vcc_lo, 0, v94
	v_not_b32_e32 v38, v34
	v_ashrrev_i32_e32 v37, 31, v37
	s_wait_alu 0xf1ff
	v_xor_b32_e32 v40, s8, v40
	v_and_b32_e32 v36, v36, v39
	v_lshlrev_b32_e32 v35, 4, v35
	v_cmp_gt_i32_e64 s8, 0, v34
	v_ashrrev_i32_e32 v34, 31, v38
	s_wait_alu 0xfffd
	v_xor_b32_e32 v37, vcc_lo, v37
	v_and_b32_e32 v36, v36, v40
	v_add_nc_u32_e32 v94, v33, v35
	s_wait_alu 0xf1ff
	v_xor_b32_e32 v34, s8, v34
	s_delay_alu instid0(VALU_DEP_3) | instskip(SKIP_2) | instid1(VALU_DEP_1)
	v_and_b32_e32 v35, v36, v37
	ds_load_b32 v92, v94 offset:16
	; wave barrier
	v_and_b32_e32 v34, v35, v34
	v_mbcnt_lo_u32_b32 v93, v34, 0
	v_cmp_ne_u32_e64 s8, 0, v34
	s_delay_alu instid0(VALU_DEP_2)
	v_cmp_eq_u32_e32 vcc_lo, 0, v93
	s_and_b32 s9, s8, vcc_lo
	s_wait_alu 0xfffe
	s_and_saveexec_b32 s8, s9
	s_cbranch_execz .LBB102_36
; %bb.35:
	s_wait_dscnt 0x0
	v_bcnt_u32_b32 v34, v34, v92
	ds_store_b32 v94, v34 offset:16
.LBB102_36:
	s_wait_alu 0xfffe
	s_or_b32 exec_lo, exec_lo, s8
	v_and_b32_e32 v34, s15, v82
	; wave barrier
	s_delay_alu instid0(VALU_DEP_1)
	v_and_b32_e32 v36, 1, v34
	v_lshlrev_b32_e32 v37, 30, v34
	v_lshlrev_b32_e32 v38, 29, v34
	v_lshlrev_b32_e32 v39, 28, v34
	v_lshlrev_b32_e32 v95, 27, v34
	v_add_co_u32 v36, s8, v36, -1
	s_wait_alu 0xf1ff
	v_cndmask_b32_e64 v40, 0, 1, s8
	v_not_b32_e32 v98, v37
	v_cmp_gt_i32_e64 s8, 0, v37
	v_not_b32_e32 v37, v38
	v_lshlrev_b32_e32 v96, 26, v34
	v_cmp_ne_u32_e32 vcc_lo, 0, v40
	v_ashrrev_i32_e32 v40, 31, v98
	v_lshlrev_b32_e32 v97, 25, v34
	v_ashrrev_i32_e32 v37, 31, v37
	v_and_b32_e32 v35, 0xff, v34
	s_wait_alu 0xfffd
	v_xor_b32_e32 v36, vcc_lo, v36
	v_cmp_gt_i32_e32 vcc_lo, 0, v38
	v_not_b32_e32 v38, v39
	s_wait_alu 0xf1ff
	v_xor_b32_e32 v40, s8, v40
	v_cmp_gt_i32_e64 s8, 0, v39
	v_and_b32_e32 v36, exec_lo, v36
	v_not_b32_e32 v39, v95
	v_ashrrev_i32_e32 v38, 31, v38
	s_wait_alu 0xfffd
	v_xor_b32_e32 v37, vcc_lo, v37
	v_cmp_gt_i32_e32 vcc_lo, 0, v95
	v_and_b32_e32 v36, v36, v40
	v_not_b32_e32 v40, v96
	v_ashrrev_i32_e32 v39, 31, v39
	s_wait_alu 0xf1ff
	v_xor_b32_e32 v38, s8, v38
	v_lshlrev_b32_e32 v34, 24, v34
	v_and_b32_e32 v36, v36, v37
	v_cmp_gt_i32_e64 s8, 0, v96
	v_not_b32_e32 v37, v97
	v_ashrrev_i32_e32 v40, 31, v40
	s_wait_alu 0xfffd
	v_xor_b32_e32 v39, vcc_lo, v39
	v_and_b32_e32 v36, v36, v38
	v_cmp_gt_i32_e32 vcc_lo, 0, v97
	v_not_b32_e32 v38, v34
	v_ashrrev_i32_e32 v37, 31, v37
	s_wait_alu 0xf1ff
	v_xor_b32_e32 v40, s8, v40
	v_and_b32_e32 v36, v36, v39
	v_lshlrev_b32_e32 v35, 4, v35
	v_cmp_gt_i32_e64 s8, 0, v34
	v_ashrrev_i32_e32 v34, 31, v38
	s_wait_alu 0xfffd
	v_xor_b32_e32 v37, vcc_lo, v37
	v_and_b32_e32 v36, v36, v40
	v_add_nc_u32_e32 v97, v33, v35
	s_wait_alu 0xf1ff
	v_xor_b32_e32 v34, s8, v34
	s_delay_alu instid0(VALU_DEP_3) | instskip(SKIP_2) | instid1(VALU_DEP_1)
	v_and_b32_e32 v35, v36, v37
	ds_load_b32 v95, v97 offset:16
	; wave barrier
	v_and_b32_e32 v34, v35, v34
	v_mbcnt_lo_u32_b32 v96, v34, 0
	v_cmp_ne_u32_e64 s8, 0, v34
	s_delay_alu instid0(VALU_DEP_2)
	v_cmp_eq_u32_e32 vcc_lo, 0, v96
	s_and_b32 s9, s8, vcc_lo
	s_wait_alu 0xfffe
	s_and_saveexec_b32 s8, s9
	s_cbranch_execz .LBB102_38
; %bb.37:
	s_wait_dscnt 0x0
	v_bcnt_u32_b32 v34, v34, v95
	ds_store_b32 v97, v34 offset:16
.LBB102_38:
	s_wait_alu 0xfffe
	s_or_b32 exec_lo, exec_lo, s8
	v_and_b32_e32 v34, s15, v83
	; wave barrier
	s_delay_alu instid0(VALU_DEP_1)
	v_and_b32_e32 v36, 1, v34
	v_lshlrev_b32_e32 v37, 30, v34
	v_lshlrev_b32_e32 v38, 29, v34
	;; [unrolled: 1-line block ×4, first 2 shown]
	v_add_co_u32 v36, s8, v36, -1
	s_wait_alu 0xf1ff
	v_cndmask_b32_e64 v40, 0, 1, s8
	v_not_b32_e32 v101, v37
	v_cmp_gt_i32_e64 s8, 0, v37
	v_not_b32_e32 v37, v38
	v_lshlrev_b32_e32 v99, 26, v34
	v_cmp_ne_u32_e32 vcc_lo, 0, v40
	v_ashrrev_i32_e32 v40, 31, v101
	v_lshlrev_b32_e32 v100, 25, v34
	v_ashrrev_i32_e32 v37, 31, v37
	v_and_b32_e32 v35, 0xff, v34
	s_wait_alu 0xfffd
	v_xor_b32_e32 v36, vcc_lo, v36
	v_cmp_gt_i32_e32 vcc_lo, 0, v38
	v_not_b32_e32 v38, v39
	s_wait_alu 0xf1ff
	v_xor_b32_e32 v40, s8, v40
	v_cmp_gt_i32_e64 s8, 0, v39
	v_and_b32_e32 v36, exec_lo, v36
	v_not_b32_e32 v39, v98
	v_ashrrev_i32_e32 v38, 31, v38
	s_wait_alu 0xfffd
	v_xor_b32_e32 v37, vcc_lo, v37
	v_cmp_gt_i32_e32 vcc_lo, 0, v98
	v_and_b32_e32 v36, v36, v40
	v_not_b32_e32 v40, v99
	v_ashrrev_i32_e32 v39, 31, v39
	s_wait_alu 0xf1ff
	v_xor_b32_e32 v38, s8, v38
	v_lshlrev_b32_e32 v34, 24, v34
	v_and_b32_e32 v36, v36, v37
	v_cmp_gt_i32_e64 s8, 0, v99
	v_not_b32_e32 v37, v100
	v_ashrrev_i32_e32 v40, 31, v40
	s_wait_alu 0xfffd
	v_xor_b32_e32 v39, vcc_lo, v39
	v_and_b32_e32 v36, v36, v38
	v_cmp_gt_i32_e32 vcc_lo, 0, v100
	v_not_b32_e32 v38, v34
	v_ashrrev_i32_e32 v37, 31, v37
	s_wait_alu 0xf1ff
	v_xor_b32_e32 v40, s8, v40
	v_and_b32_e32 v36, v36, v39
	v_lshlrev_b32_e32 v35, 4, v35
	v_cmp_gt_i32_e64 s8, 0, v34
	v_ashrrev_i32_e32 v34, 31, v38
	s_wait_alu 0xfffd
	v_xor_b32_e32 v37, vcc_lo, v37
	v_and_b32_e32 v36, v36, v40
	v_add_nc_u32_e32 v100, v33, v35
	s_wait_alu 0xf1ff
	v_xor_b32_e32 v34, s8, v34
	s_delay_alu instid0(VALU_DEP_3) | instskip(SKIP_2) | instid1(VALU_DEP_1)
	v_and_b32_e32 v35, v36, v37
	ds_load_b32 v98, v100 offset:16
	; wave barrier
	v_and_b32_e32 v34, v35, v34
	v_mbcnt_lo_u32_b32 v99, v34, 0
	v_cmp_ne_u32_e64 s8, 0, v34
	s_delay_alu instid0(VALU_DEP_2)
	v_cmp_eq_u32_e32 vcc_lo, 0, v99
	s_and_b32 s9, s8, vcc_lo
	s_wait_alu 0xfffe
	s_and_saveexec_b32 s8, s9
	s_cbranch_execz .LBB102_40
; %bb.39:
	s_wait_dscnt 0x0
	v_bcnt_u32_b32 v34, v34, v98
	ds_store_b32 v100, v34 offset:16
.LBB102_40:
	s_wait_alu 0xfffe
	s_or_b32 exec_lo, exec_lo, s8
	v_and_b32_e32 v34, s15, v84
	; wave barrier
	s_delay_alu instid0(VALU_DEP_1)
	v_and_b32_e32 v36, 1, v34
	v_lshlrev_b32_e32 v37, 30, v34
	v_lshlrev_b32_e32 v38, 29, v34
	;; [unrolled: 1-line block ×4, first 2 shown]
	v_add_co_u32 v36, s8, v36, -1
	s_wait_alu 0xf1ff
	v_cndmask_b32_e64 v40, 0, 1, s8
	v_not_b32_e32 v104, v37
	v_cmp_gt_i32_e64 s8, 0, v37
	v_not_b32_e32 v37, v38
	v_lshlrev_b32_e32 v102, 26, v34
	v_cmp_ne_u32_e32 vcc_lo, 0, v40
	v_ashrrev_i32_e32 v40, 31, v104
	v_lshlrev_b32_e32 v103, 25, v34
	v_ashrrev_i32_e32 v37, 31, v37
	v_and_b32_e32 v35, 0xff, v34
	s_wait_alu 0xfffd
	v_xor_b32_e32 v36, vcc_lo, v36
	v_cmp_gt_i32_e32 vcc_lo, 0, v38
	v_not_b32_e32 v38, v39
	s_wait_alu 0xf1ff
	v_xor_b32_e32 v40, s8, v40
	v_cmp_gt_i32_e64 s8, 0, v39
	v_and_b32_e32 v36, exec_lo, v36
	v_not_b32_e32 v39, v101
	v_ashrrev_i32_e32 v38, 31, v38
	s_wait_alu 0xfffd
	v_xor_b32_e32 v37, vcc_lo, v37
	v_cmp_gt_i32_e32 vcc_lo, 0, v101
	v_and_b32_e32 v36, v36, v40
	v_not_b32_e32 v40, v102
	v_ashrrev_i32_e32 v39, 31, v39
	s_wait_alu 0xf1ff
	v_xor_b32_e32 v38, s8, v38
	v_lshlrev_b32_e32 v34, 24, v34
	v_and_b32_e32 v36, v36, v37
	v_cmp_gt_i32_e64 s8, 0, v102
	v_not_b32_e32 v37, v103
	v_ashrrev_i32_e32 v40, 31, v40
	s_wait_alu 0xfffd
	v_xor_b32_e32 v39, vcc_lo, v39
	v_and_b32_e32 v36, v36, v38
	v_cmp_gt_i32_e32 vcc_lo, 0, v103
	v_not_b32_e32 v38, v34
	v_ashrrev_i32_e32 v37, 31, v37
	s_wait_alu 0xf1ff
	v_xor_b32_e32 v40, s8, v40
	v_and_b32_e32 v36, v36, v39
	v_lshlrev_b32_e32 v35, 4, v35
	v_cmp_gt_i32_e64 s8, 0, v34
	v_ashrrev_i32_e32 v34, 31, v38
	s_wait_alu 0xfffd
	v_xor_b32_e32 v37, vcc_lo, v37
	v_and_b32_e32 v36, v36, v40
	v_add_nc_u32_e32 v103, v33, v35
	s_wait_alu 0xf1ff
	v_xor_b32_e32 v34, s8, v34
	s_delay_alu instid0(VALU_DEP_3) | instskip(SKIP_2) | instid1(VALU_DEP_1)
	v_and_b32_e32 v35, v36, v37
	ds_load_b32 v101, v103 offset:16
	; wave barrier
	v_and_b32_e32 v34, v35, v34
	v_mbcnt_lo_u32_b32 v102, v34, 0
	v_cmp_ne_u32_e64 s8, 0, v34
	s_delay_alu instid0(VALU_DEP_2)
	v_cmp_eq_u32_e32 vcc_lo, 0, v102
	s_and_b32 s9, s8, vcc_lo
	s_wait_alu 0xfffe
	s_and_saveexec_b32 s8, s9
	s_cbranch_execz .LBB102_42
; %bb.41:
	s_wait_dscnt 0x0
	v_bcnt_u32_b32 v34, v34, v101
	ds_store_b32 v103, v34 offset:16
.LBB102_42:
	s_wait_alu 0xfffe
	s_or_b32 exec_lo, exec_lo, s8
	v_and_b32_e32 v34, s15, v85
	; wave barrier
	s_delay_alu instid0(VALU_DEP_1)
	v_and_b32_e32 v36, 1, v34
	v_lshlrev_b32_e32 v37, 30, v34
	v_lshlrev_b32_e32 v38, 29, v34
	;; [unrolled: 1-line block ×4, first 2 shown]
	v_add_co_u32 v36, s8, v36, -1
	s_wait_alu 0xf1ff
	v_cndmask_b32_e64 v40, 0, 1, s8
	v_not_b32_e32 v107, v37
	v_cmp_gt_i32_e64 s8, 0, v37
	v_not_b32_e32 v37, v38
	v_lshlrev_b32_e32 v105, 26, v34
	v_cmp_ne_u32_e32 vcc_lo, 0, v40
	v_ashrrev_i32_e32 v40, 31, v107
	v_lshlrev_b32_e32 v106, 25, v34
	v_ashrrev_i32_e32 v37, 31, v37
	v_and_b32_e32 v35, 0xff, v34
	s_wait_alu 0xfffd
	v_xor_b32_e32 v36, vcc_lo, v36
	v_cmp_gt_i32_e32 vcc_lo, 0, v38
	v_not_b32_e32 v38, v39
	s_wait_alu 0xf1ff
	v_xor_b32_e32 v40, s8, v40
	v_cmp_gt_i32_e64 s8, 0, v39
	v_and_b32_e32 v36, exec_lo, v36
	v_not_b32_e32 v39, v104
	v_ashrrev_i32_e32 v38, 31, v38
	s_wait_alu 0xfffd
	v_xor_b32_e32 v37, vcc_lo, v37
	v_cmp_gt_i32_e32 vcc_lo, 0, v104
	v_and_b32_e32 v36, v36, v40
	v_not_b32_e32 v40, v105
	v_ashrrev_i32_e32 v39, 31, v39
	s_wait_alu 0xf1ff
	v_xor_b32_e32 v38, s8, v38
	v_lshlrev_b32_e32 v34, 24, v34
	v_and_b32_e32 v36, v36, v37
	v_cmp_gt_i32_e64 s8, 0, v105
	v_not_b32_e32 v37, v106
	v_ashrrev_i32_e32 v40, 31, v40
	s_wait_alu 0xfffd
	v_xor_b32_e32 v39, vcc_lo, v39
	v_and_b32_e32 v36, v36, v38
	v_cmp_gt_i32_e32 vcc_lo, 0, v106
	v_not_b32_e32 v38, v34
	v_ashrrev_i32_e32 v37, 31, v37
	s_wait_alu 0xf1ff
	v_xor_b32_e32 v40, s8, v40
	v_and_b32_e32 v36, v36, v39
	v_lshlrev_b32_e32 v35, 4, v35
	v_cmp_gt_i32_e64 s8, 0, v34
	v_ashrrev_i32_e32 v34, 31, v38
	s_wait_alu 0xfffd
	v_xor_b32_e32 v37, vcc_lo, v37
	v_and_b32_e32 v36, v36, v40
	v_add_nc_u32_e32 v106, v33, v35
	s_wait_alu 0xf1ff
	v_xor_b32_e32 v34, s8, v34
	s_delay_alu instid0(VALU_DEP_3) | instskip(SKIP_2) | instid1(VALU_DEP_1)
	v_and_b32_e32 v35, v36, v37
	ds_load_b32 v104, v106 offset:16
	; wave barrier
	v_and_b32_e32 v34, v35, v34
	v_mbcnt_lo_u32_b32 v105, v34, 0
	v_cmp_ne_u32_e64 s8, 0, v34
	s_delay_alu instid0(VALU_DEP_2)
	v_cmp_eq_u32_e32 vcc_lo, 0, v105
	s_and_b32 s9, s8, vcc_lo
	s_wait_alu 0xfffe
	s_and_saveexec_b32 s8, s9
	s_cbranch_execz .LBB102_44
; %bb.43:
	s_wait_dscnt 0x0
	v_bcnt_u32_b32 v34, v34, v104
	ds_store_b32 v106, v34 offset:16
.LBB102_44:
	s_wait_alu 0xfffe
	s_or_b32 exec_lo, exec_lo, s8
	v_and_b32_e32 v34, s15, v86
	; wave barrier
	s_delay_alu instid0(VALU_DEP_1)
	v_and_b32_e32 v36, 1, v34
	v_lshlrev_b32_e32 v37, 30, v34
	v_lshlrev_b32_e32 v38, 29, v34
	;; [unrolled: 1-line block ×4, first 2 shown]
	v_add_co_u32 v36, s8, v36, -1
	s_wait_alu 0xf1ff
	v_cndmask_b32_e64 v40, 0, 1, s8
	v_not_b32_e32 v110, v37
	v_cmp_gt_i32_e64 s8, 0, v37
	v_not_b32_e32 v37, v38
	v_lshlrev_b32_e32 v108, 26, v34
	v_cmp_ne_u32_e32 vcc_lo, 0, v40
	v_ashrrev_i32_e32 v40, 31, v110
	v_lshlrev_b32_e32 v109, 25, v34
	v_ashrrev_i32_e32 v37, 31, v37
	v_and_b32_e32 v35, 0xff, v34
	s_wait_alu 0xfffd
	v_xor_b32_e32 v36, vcc_lo, v36
	v_cmp_gt_i32_e32 vcc_lo, 0, v38
	v_not_b32_e32 v38, v39
	s_wait_alu 0xf1ff
	v_xor_b32_e32 v40, s8, v40
	v_cmp_gt_i32_e64 s8, 0, v39
	v_and_b32_e32 v36, exec_lo, v36
	v_not_b32_e32 v39, v107
	v_ashrrev_i32_e32 v38, 31, v38
	s_wait_alu 0xfffd
	v_xor_b32_e32 v37, vcc_lo, v37
	v_cmp_gt_i32_e32 vcc_lo, 0, v107
	v_and_b32_e32 v36, v36, v40
	v_not_b32_e32 v40, v108
	v_ashrrev_i32_e32 v39, 31, v39
	s_wait_alu 0xf1ff
	v_xor_b32_e32 v38, s8, v38
	v_lshlrev_b32_e32 v34, 24, v34
	v_and_b32_e32 v36, v36, v37
	v_cmp_gt_i32_e64 s8, 0, v108
	v_not_b32_e32 v37, v109
	v_ashrrev_i32_e32 v40, 31, v40
	s_wait_alu 0xfffd
	v_xor_b32_e32 v39, vcc_lo, v39
	v_and_b32_e32 v36, v36, v38
	v_cmp_gt_i32_e32 vcc_lo, 0, v109
	v_not_b32_e32 v38, v34
	v_ashrrev_i32_e32 v37, 31, v37
	s_wait_alu 0xf1ff
	v_xor_b32_e32 v40, s8, v40
	v_and_b32_e32 v36, v36, v39
	v_lshlrev_b32_e32 v35, 4, v35
	v_cmp_gt_i32_e64 s8, 0, v34
	v_ashrrev_i32_e32 v34, 31, v38
	s_wait_alu 0xfffd
	v_xor_b32_e32 v37, vcc_lo, v37
	v_and_b32_e32 v36, v36, v40
	v_add_nc_u32_e32 v109, v33, v35
	s_wait_alu 0xf1ff
	v_xor_b32_e32 v33, s8, v34
	s_delay_alu instid0(VALU_DEP_3) | instskip(SKIP_2) | instid1(VALU_DEP_1)
	v_and_b32_e32 v34, v36, v37
	ds_load_b32 v107, v109 offset:16
	; wave barrier
	v_and_b32_e32 v33, v34, v33
	v_mbcnt_lo_u32_b32 v108, v33, 0
	v_cmp_ne_u32_e64 s8, 0, v33
	s_delay_alu instid0(VALU_DEP_2)
	v_cmp_eq_u32_e32 vcc_lo, 0, v108
	s_and_b32 s9, s8, vcc_lo
	s_wait_alu 0xfffe
	s_and_saveexec_b32 s8, s9
	s_cbranch_execz .LBB102_46
; %bb.45:
	s_wait_dscnt 0x0
	v_bcnt_u32_b32 v33, v33, v107
	ds_store_b32 v109, v33 offset:16
.LBB102_46:
	s_wait_alu 0xfffe
	s_or_b32 exec_lo, exec_lo, s8
	; wave barrier
	s_wait_loadcnt_dscnt 0x0
	s_barrier_signal -1
	s_barrier_wait -1
	global_inv scope:SCOPE_SE
	ds_load_b128 v[37:40], v66 offset:16
	ds_load_b128 v[33:36], v66 offset:32
	v_min_u32_e32 v112, 0x60, v68
	s_mov_b32 s8, exec_lo
	s_wait_dscnt 0x1
	v_add_nc_u32_e32 v110, v38, v37
	s_delay_alu instid0(VALU_DEP_1) | instskip(SKIP_1) | instid1(VALU_DEP_1)
	v_add3_u32 v110, v110, v39, v40
	s_wait_dscnt 0x0
	v_add3_u32 v110, v110, v33, v34
	s_delay_alu instid0(VALU_DEP_1) | instskip(SKIP_1) | instid1(VALU_DEP_2)
	v_add3_u32 v36, v110, v35, v36
	v_and_b32_e32 v110, 15, v67
	v_mov_b32_dpp v111, v36 row_shr:1 row_mask:0xf bank_mask:0xf
	s_delay_alu instid0(VALU_DEP_2) | instskip(SKIP_1) | instid1(VALU_DEP_2)
	v_cmp_ne_u32_e32 vcc_lo, 0, v110
	s_wait_alu 0xfffd
	v_cndmask_b32_e32 v111, 0, v111, vcc_lo
	v_cmp_lt_u32_e32 vcc_lo, 1, v110
	s_delay_alu instid0(VALU_DEP_2) | instskip(NEXT) | instid1(VALU_DEP_1)
	v_add_nc_u32_e32 v36, v111, v36
	v_mov_b32_dpp v111, v36 row_shr:2 row_mask:0xf bank_mask:0xf
	s_wait_alu 0xfffd
	s_delay_alu instid0(VALU_DEP_1) | instskip(SKIP_1) | instid1(VALU_DEP_2)
	v_cndmask_b32_e32 v111, 0, v111, vcc_lo
	v_cmp_lt_u32_e32 vcc_lo, 3, v110
	v_add_nc_u32_e32 v36, v36, v111
	s_delay_alu instid0(VALU_DEP_1) | instskip(SKIP_1) | instid1(VALU_DEP_1)
	v_mov_b32_dpp v111, v36 row_shr:4 row_mask:0xf bank_mask:0xf
	s_wait_alu 0xfffd
	v_cndmask_b32_e32 v111, 0, v111, vcc_lo
	v_cmp_lt_u32_e32 vcc_lo, 7, v110
	s_delay_alu instid0(VALU_DEP_2) | instskip(NEXT) | instid1(VALU_DEP_1)
	v_add_nc_u32_e32 v36, v36, v111
	v_mov_b32_dpp v111, v36 row_shr:8 row_mask:0xf bank_mask:0xf
	s_wait_alu 0xfffd
	s_delay_alu instid0(VALU_DEP_1) | instskip(SKIP_1) | instid1(VALU_DEP_2)
	v_cndmask_b32_e32 v110, 0, v111, vcc_lo
	v_bfe_i32 v111, v67, 4, 1
	v_add_nc_u32_e32 v36, v36, v110
	ds_swizzle_b32 v110, v36 offset:swizzle(BROADCAST,32,15)
	s_wait_dscnt 0x0
	v_and_b32_e32 v110, v111, v110
	v_or_b32_e32 v111, 31, v112
	s_delay_alu instid0(VALU_DEP_2) | instskip(NEXT) | instid1(VALU_DEP_2)
	v_add_nc_u32_e32 v36, v36, v110
	v_cmpx_eq_u32_e64 v44, v111
; %bb.47:
	v_lshlrev_b32_e32 v110, 2, v65
	ds_store_b32 v110, v36
; %bb.48:
	s_wait_alu 0xfffe
	s_or_b32 exec_lo, exec_lo, s8
	s_delay_alu instid0(SALU_CYCLE_1)
	s_mov_b32 s8, exec_lo
	s_wait_loadcnt_dscnt 0x0
	s_barrier_signal -1
	s_barrier_wait -1
	global_inv scope:SCOPE_SE
	v_cmpx_gt_u32_e32 4, v44
	s_cbranch_execz .LBB102_50
; %bb.49:
	v_and_b32_e32 v112, 3, v67
	s_delay_alu instid0(VALU_DEP_1)
	v_cmp_ne_u32_e32 vcc_lo, 0, v112
	v_lshlrev_b32_e32 v110, 2, v44
	ds_load_b32 v111, v110
	s_wait_dscnt 0x0
	v_mov_b32_dpp v113, v111 row_shr:1 row_mask:0xf bank_mask:0xf
	s_wait_alu 0xfffd
	s_delay_alu instid0(VALU_DEP_1) | instskip(SKIP_1) | instid1(VALU_DEP_2)
	v_cndmask_b32_e32 v113, 0, v113, vcc_lo
	v_cmp_lt_u32_e32 vcc_lo, 1, v112
	v_add_nc_u32_e32 v111, v113, v111
	s_delay_alu instid0(VALU_DEP_1) | instskip(SKIP_1) | instid1(VALU_DEP_1)
	v_mov_b32_dpp v113, v111 row_shr:2 row_mask:0xf bank_mask:0xf
	s_wait_alu 0xfffd
	v_cndmask_b32_e32 v112, 0, v113, vcc_lo
	s_delay_alu instid0(VALU_DEP_1)
	v_add_nc_u32_e32 v111, v111, v112
	ds_store_b32 v110, v111
.LBB102_50:
	s_wait_alu 0xfffe
	s_or_b32 exec_lo, exec_lo, s8
	v_mov_b32_e32 v110, 0
	s_mov_b32 s8, exec_lo
	s_wait_loadcnt_dscnt 0x0
	s_barrier_signal -1
	s_barrier_wait -1
	global_inv scope:SCOPE_SE
	v_cmpx_lt_u32_e32 31, v44
; %bb.51:
	v_lshl_add_u32 v110, v65, 2, -4
	ds_load_b32 v110, v110
; %bb.52:
	s_wait_alu 0xfffe
	s_or_b32 exec_lo, exec_lo, s8
	v_sub_co_u32 v111, vcc_lo, v67, 1
	s_wait_dscnt 0x0
	v_add_nc_u32_e32 v36, v110, v36
	s_delay_alu instid0(VALU_DEP_2) | instskip(SKIP_1) | instid1(VALU_DEP_1)
	v_cmp_gt_i32_e64 s8, 0, v111
	s_wait_alu 0xf1ff
	v_cndmask_b32_e64 v111, v111, v67, s8
	s_delay_alu instid0(VALU_DEP_1)
	v_lshlrev_b32_e32 v111, 2, v111
	ds_bpermute_b32 v36, v111, v36
	s_wait_dscnt 0x0
	s_wait_alu 0xfffd
	v_cndmask_b32_e32 v36, v36, v110, vcc_lo
	v_cmp_ne_u32_e32 vcc_lo, 0, v44
	s_wait_alu 0xfffd
	s_delay_alu instid0(VALU_DEP_2) | instskip(NEXT) | instid1(VALU_DEP_1)
	v_cndmask_b32_e32 v36, 0, v36, vcc_lo
	v_add_nc_u32_e32 v37, v36, v37
	s_delay_alu instid0(VALU_DEP_1) | instskip(NEXT) | instid1(VALU_DEP_1)
	v_add_nc_u32_e32 v38, v37, v38
	v_add_nc_u32_e32 v39, v38, v39
	s_delay_alu instid0(VALU_DEP_1) | instskip(NEXT) | instid1(VALU_DEP_1)
	v_add_nc_u32_e32 v110, v39, v40
	;; [unrolled: 3-line block ×3, first 2 shown]
	v_add_nc_u32_e32 v113, v112, v35
	ds_store_b128 v66, v[36:39] offset:16
	ds_store_b128 v66, v[110:113] offset:32
	s_wait_loadcnt_dscnt 0x0
	s_barrier_signal -1
	s_barrier_wait -1
	global_inv scope:SCOPE_SE
	ds_load_b32 v33, v88 offset:16
	ds_load_b32 v34, v91 offset:16
	;; [unrolled: 1-line block ×8, first 2 shown]
	s_wait_loadcnt_dscnt 0x0
	s_barrier_signal -1
	s_barrier_wait -1
	global_inv scope:SCOPE_SE
	v_mad_u32_u24 v88, v44, 56, v60
	v_add_nc_u32_e32 v33, v33, v87
	v_add3_u32 v34, v90, v89, v34
	v_add3_u32 v35, v93, v92, v35
	;; [unrolled: 1-line block ×7, first 2 shown]
	ds_store_b8 v33, v0
	ds_store_b8 v34, v80
	;; [unrolled: 1-line block ×8, first 2 shown]
	s_wait_loadcnt_dscnt 0x0
	s_barrier_signal -1
	s_barrier_wait -1
	global_inv scope:SCOPE_SE
	v_lshlrev_b32_e32 v0, 3, v33
	v_lshlrev_b32_e32 v80, 3, v34
	ds_load_b64 v[33:34], v60
	v_lshlrev_b32_e32 v35, 3, v35
	v_lshlrev_b32_e32 v36, 3, v36
	;; [unrolled: 1-line block ×6, first 2 shown]
	s_wait_loadcnt_dscnt 0x0
	s_barrier_signal -1
	s_barrier_wait -1
	global_inv scope:SCOPE_SE
	ds_store_b64 v0, v[21:22]
	ds_store_b64 v80, v[23:24]
	;; [unrolled: 1-line block ×8, first 2 shown]
	s_wait_loadcnt_dscnt 0x0
	s_barrier_signal -1
	s_barrier_wait -1
	global_inv scope:SCOPE_SE
	ds_load_b128 v[21:24], v88
	ds_load_b128 v[17:20], v88 offset:16
	v_lshrrev_b32_e32 v0, 16, v33
	v_xor_b32_e32 v25, 0x80, v33
	v_lshrrev_b32_e32 v26, 16, v34
	v_and_b32_e32 v35, 0xffffff00, v34
	v_xor_b32_e32 v27, 0x80, v34
	v_and_b32_e32 v33, 0xffffff00, v33
	v_and_b32_e32 v34, 0xff, v25
	v_xor_b32_e32 v25, 0x80, v0
	v_xor_b32_e32 v28, 0x80, v26
	v_and_b32_e32 v0, 0xffffff00, v0
	v_and_b32_e32 v36, 0xff, v27
	;; [unrolled: 1-line block ×5, first 2 shown]
	ds_load_b128 v[29:32], v88 offset:32
	ds_load_b128 v[25:28], v88 offset:48
	v_or_b32_e32 v33, v34, v33
	v_or_b32_e32 v34, v36, v35
	;; [unrolled: 1-line block ×4, first 2 shown]
	s_delay_alu instid0(VALU_DEP_4) | instskip(NEXT) | instid1(VALU_DEP_4)
	v_add_nc_u16 v33, 0x8000, v33
	v_add_nc_u16 v34, 0x8000, v34
	s_delay_alu instid0(VALU_DEP_4) | instskip(NEXT) | instid1(VALU_DEP_4)
	v_add_nc_u16 v0, 0x8000, v0
	v_add_nc_u16 v35, 0x8000, v35
	s_delay_alu instid0(VALU_DEP_4) | instskip(NEXT) | instid1(VALU_DEP_4)
	v_and_b32_e32 v33, 0xffff, v33
	v_and_b32_e32 v34, 0xffff, v34
	s_delay_alu instid0(VALU_DEP_4) | instskip(NEXT) | instid1(VALU_DEP_4)
	v_lshlrev_b32_e32 v0, 16, v0
	v_lshlrev_b32_e32 v35, 16, v35
	s_delay_alu instid0(VALU_DEP_2) | instskip(NEXT) | instid1(VALU_DEP_2)
	v_or_b32_e32 v0, v33, v0
	v_or_b32_e32 v33, v34, v35
	s_branch .LBB102_84
.LBB102_53:
	v_lshlrev_b64_e32 v[1:2], 3, v[41:42]
	v_dual_mov_b32 v43, v42 :: v_dual_mov_b32 v10, v42
	v_dual_mov_b32 v9, v42 :: v_dual_mov_b32 v12, v42
	v_mov_b32_e32 v11, v42
	s_wait_alu 0xfffe
	s_delay_alu instid0(VALU_DEP_4) | instskip(NEXT) | instid1(VALU_DEP_1)
	v_add_co_u32 v1, vcc_lo, s12, v1
	v_add_co_ci_u32_e64 v2, null, s13, v2, vcc_lo
	v_dual_mov_b32 v3, v42 :: v_dual_mov_b32 v6, v42
	v_dual_mov_b32 v5, v42 :: v_dual_mov_b32 v8, v42
	global_load_b64 v[13:14], v[1:2], off
	v_dual_mov_b32 v1, v42 :: v_dual_mov_b32 v4, v42
	v_dual_mov_b32 v2, v42 :: v_dual_mov_b32 v7, v42
	s_or_b32 exec_lo, exec_lo, s9
	s_and_saveexec_b32 s9, s1
	s_cbranch_execz .LBB102_22
.LBB102_54:
	v_mul_lo_u32 v29, s16, v29
	v_mov_b32_e32 v30, 0
	s_delay_alu instid0(VALU_DEP_1) | instskip(NEXT) | instid1(VALU_DEP_1)
	v_lshlrev_b64_e32 v[29:30], 3, v[29:30]
	v_add_co_u32 v29, vcc_lo, s12, v29
	s_wait_alu 0xfffd
	s_delay_alu instid0(VALU_DEP_2)
	v_add_co_ci_u32_e64 v30, null, s13, v30, vcc_lo
	global_load_b64 v[42:43], v[29:30], off
	s_wait_alu 0xfffe
	s_or_b32 exec_lo, exec_lo, s9
	s_and_saveexec_b32 s9, s2
	s_cbranch_execz .LBB102_23
.LBB102_55:
	v_mul_lo_u32 v9, s16, v28
	v_mov_b32_e32 v10, 0
	s_delay_alu instid0(VALU_DEP_1) | instskip(NEXT) | instid1(VALU_DEP_1)
	v_lshlrev_b64_e32 v[9:10], 3, v[9:10]
	v_add_co_u32 v9, vcc_lo, s12, v9
	s_wait_alu 0xfffd
	s_delay_alu instid0(VALU_DEP_2)
	v_add_co_ci_u32_e64 v10, null, s13, v10, vcc_lo
	global_load_b64 v[9:10], v[9:10], off
	s_wait_alu 0xfffe
	s_or_b32 exec_lo, exec_lo, s9
	s_and_saveexec_b32 s9, s3
	s_cbranch_execz .LBB102_24
.LBB102_56:
	v_mul_lo_u32 v11, s16, v26
	v_mov_b32_e32 v12, 0
	s_delay_alu instid0(VALU_DEP_1) | instskip(NEXT) | instid1(VALU_DEP_1)
	v_lshlrev_b64_e32 v[11:12], 3, v[11:12]
	v_add_co_u32 v11, vcc_lo, s12, v11
	s_wait_alu 0xfffd
	s_delay_alu instid0(VALU_DEP_2)
	v_add_co_ci_u32_e64 v12, null, s13, v12, vcc_lo
	global_load_b64 v[11:12], v[11:12], off
	s_wait_alu 0xfffe
	s_or_b32 exec_lo, exec_lo, s9
	s_and_saveexec_b32 s9, s4
	s_cbranch_execz .LBB102_25
.LBB102_57:
	v_mul_lo_u32 v1, s16, v22
	v_mov_b32_e32 v2, 0
	s_delay_alu instid0(VALU_DEP_1) | instskip(NEXT) | instid1(VALU_DEP_1)
	v_lshlrev_b64_e32 v[1:2], 3, v[1:2]
	v_add_co_u32 v1, vcc_lo, s12, v1
	s_wait_alu 0xfffd
	s_delay_alu instid0(VALU_DEP_2)
	v_add_co_ci_u32_e64 v2, null, s13, v2, vcc_lo
	global_load_b64 v[1:2], v[1:2], off
	s_wait_alu 0xfffe
	s_or_b32 exec_lo, exec_lo, s9
	s_and_saveexec_b32 s9, s5
	s_cbranch_execz .LBB102_26
.LBB102_58:
	v_mul_lo_u32 v3, s16, v19
	v_mov_b32_e32 v4, 0
	s_delay_alu instid0(VALU_DEP_1) | instskip(NEXT) | instid1(VALU_DEP_1)
	v_lshlrev_b64_e32 v[3:4], 3, v[3:4]
	v_add_co_u32 v3, vcc_lo, s12, v3
	s_wait_alu 0xfffd
	s_delay_alu instid0(VALU_DEP_2)
	v_add_co_ci_u32_e64 v4, null, s13, v4, vcc_lo
	global_load_b64 v[3:4], v[3:4], off
	s_wait_alu 0xfffe
	s_or_b32 exec_lo, exec_lo, s9
	s_and_saveexec_b32 s9, s6
	s_cbranch_execz .LBB102_27
.LBB102_59:
	v_mul_lo_u32 v5, s16, v16
	v_mov_b32_e32 v6, 0
	s_delay_alu instid0(VALU_DEP_1) | instskip(NEXT) | instid1(VALU_DEP_1)
	v_lshlrev_b64_e32 v[5:6], 3, v[5:6]
	v_add_co_u32 v5, vcc_lo, s12, v5
	s_wait_alu 0xfffd
	s_delay_alu instid0(VALU_DEP_2)
	v_add_co_ci_u32_e64 v6, null, s13, v6, vcc_lo
	global_load_b64 v[5:6], v[5:6], off
	s_wait_alu 0xfffe
	s_or_b32 exec_lo, exec_lo, s9
	s_xor_b32 s9, s8, -1
	s_and_saveexec_b32 s8, s7
	s_cbranch_execnz .LBB102_28
	s_branch .LBB102_29
.LBB102_60:
                                        ; implicit-def: $vgpr27_vgpr28
                                        ; implicit-def: $vgpr31_vgpr32
                                        ; implicit-def: $vgpr19_vgpr20
                                        ; implicit-def: $vgpr23_vgpr24
                                        ; implicit-def: $vgpr33
                                        ; implicit-def: $vgpr0
	s_and_b32 vcc_lo, exec_lo, s9
	s_wait_alu 0xfffe
	s_cbranch_vccz .LBB102_84
; %bb.61:
	v_xor_b32_e32 v0, 0x7f, v45
	s_wait_dscnt 0x2
	v_xor_b32_e32 v17, 0x7f, v79
	v_xor_b32_e32 v18, 0x7f, v78
	v_xor_b32_e32 v19, 0x7f, v77
	v_xor_b32_e32 v20, 0x7f, v46
	v_xor_b32_e32 v21, 0x7f, v76
	v_xor_b32_e32 v22, 0x7f, v75
	v_xor_b32_e32 v23, 0x7f, v74
	v_and_b32_e32 v0, 0xff, v0
	v_lshlrev_b16 v17, 8, v17
	v_and_b32_e32 v18, 0xff, v18
	v_lshlrev_b16 v19, 8, v19
	;; [unrolled: 2-line block ×4, first 2 shown]
	v_or_b32_e32 v0, v0, v17
	v_or_b32_e32 v17, v18, v19
	;; [unrolled: 1-line block ×3, first 2 shown]
	s_getpc_b64 s[8:9]
	s_wait_alu 0xfffe
	s_sext_i32_i16 s9, s9
	s_add_co_u32 s8, s8, _ZN7rocprim17ROCPRIM_400000_NS16block_radix_sortIaLj128ELj8ElLj1ELj1ELj0ELNS0_26block_radix_rank_algorithmE1ELNS0_18block_padding_hintE2ELNS0_4arch9wavefront6targetE0EE19radix_bits_per_passE@rel32@lo+12
	s_wait_alu 0xfffe
	s_add_co_ci_u32 s9, s9, _ZN7rocprim17ROCPRIM_400000_NS16block_radix_sortIaLj128ELj8ElLj1ELj1ELj0ELNS0_26block_radix_rank_algorithmE1ELNS0_18block_padding_hintE2ELNS0_4arch9wavefront6targetE0EE19radix_bits_per_passE@rel32@hi+24
	v_or_b32_e32 v19, v22, v23
	s_load_b32 s8, s[8:9], 0x0
	v_and_b32_e32 v0, 0xffff, v0
	v_lshlrev_b32_e32 v17, 16, v17
	v_and_b32_e32 v18, 0xffff, v18
	v_lshlrev_b32_e32 v19, 16, v19
	s_delay_alu instid0(VALU_DEP_3) | instskip(SKIP_1) | instid1(VALU_DEP_3)
	v_or_b32_e32 v17, v0, v17
	v_mad_u32_u24 v0, v72, 7, v72
	v_or_b32_e32 v18, v18, v19
	ds_store_b64 v72, v[17:18]
	; wave barrier
	ds_load_u8 v24, v73
	s_wait_dscnt 0x2
	ds_load_u8 v25, v73 offset:32
	ds_load_u8 v26, v73 offset:64
	;; [unrolled: 1-line block ×7, first 2 shown]
	s_wait_loadcnt_dscnt 0x0
	s_barrier_signal -1
	s_wait_kmcnt 0x0
	s_min_u32 s8, s8, 8
	s_barrier_wait -1
	s_wait_alu 0xfffe
	s_lshl_b32 s8, -1, s8
	global_inv scope:SCOPE_SE
	s_wait_alu 0xfffe
	s_not_b32 s9, s8
	ds_store_b128 v0, v[13:16]
	ds_store_b128 v0, v[9:12] offset:16
	ds_store_b128 v0, v[5:8] offset:32
	;; [unrolled: 1-line block ×3, first 2 shown]
	; wave barrier
	ds_load_2addr_b64 v[12:15], v71 offset1:32
	ds_load_2addr_b64 v[4:7], v71 offset0:64 offset1:96
	ds_load_2addr_b64 v[0:3], v71 offset0:128 offset1:160
	s_wait_alu 0xfffe
	v_and_b32_e32 v22, s9, v24
	s_delay_alu instid0(VALU_DEP_1) | instskip(SKIP_3) | instid1(VALU_DEP_4)
	v_and_b32_e32 v8, 1, v22
	v_lshlrev_b32_e32 v18, 30, v22
	v_lshlrev_b32_e32 v19, 29, v22
	;; [unrolled: 1-line block ×3, first 2 shown]
	v_add_co_u32 v16, s8, v8, -1
	s_wait_alu 0xf1ff
	v_cndmask_b32_e64 v17, 0, 1, s8
	ds_load_2addr_b64 v[8:11], v71 offset0:192 offset1:224
	s_wait_loadcnt_dscnt 0x0
	s_barrier_signal -1
	s_barrier_wait -1
	v_cmp_ne_u32_e32 vcc_lo, 0, v17
	v_not_b32_e32 v17, v18
	global_inv scope:SCOPE_SE
	s_load_b32 s8, s[20:21], 0xc
	s_mov_b32 s20, 0
	v_xor_b32_e32 v16, vcc_lo, v16
	v_cmp_gt_i32_e32 vcc_lo, 0, v18
	v_ashrrev_i32_e32 v17, 31, v17
	v_not_b32_e32 v18, v19
	s_mov_b32 s21, s20
	v_and_b32_e32 v16, exec_lo, v16
	s_mov_b32 s22, s20
	s_wait_alu 0xfffd
	v_xor_b32_e32 v17, vcc_lo, v17
	v_cmp_gt_i32_e32 vcc_lo, 0, v19
	v_ashrrev_i32_e32 v18, 31, v18
	v_not_b32_e32 v19, v20
	s_mov_b32 s23, s20
	v_and_b32_e32 v16, v16, v17
	v_lshlrev_b32_e32 v17, 27, v22
	s_wait_alu 0xfffd
	v_xor_b32_e32 v18, vcc_lo, v18
	v_cmp_gt_i32_e32 vcc_lo, 0, v20
	v_ashrrev_i32_e32 v19, 31, v19
	v_not_b32_e32 v20, v17
	s_delay_alu instid0(VALU_DEP_4)
	v_and_b32_e32 v16, v16, v18
	v_lshlrev_b32_e32 v18, 26, v22
	s_wait_alu 0xfffd
	v_xor_b32_e32 v19, vcc_lo, v19
	v_cmp_gt_i32_e32 vcc_lo, 0, v17
	v_ashrrev_i32_e32 v17, 31, v20
	s_wait_kmcnt 0x0
	s_lshr_b32 s10, s8, 16
	v_not_b32_e32 v20, v18
	v_and_b32_e32 v16, v16, v19
	v_lshlrev_b32_e32 v19, 25, v22
	s_wait_alu 0xfffd
	v_xor_b32_e32 v17, vcc_lo, v17
	v_cmp_gt_i32_e32 vcc_lo, 0, v18
	v_ashrrev_i32_e32 v18, 31, v20
	s_and_b32 s8, s8, 0xffff
	v_not_b32_e32 v20, v19
	v_and_b32_e32 v16, v16, v17
	v_lshlrev_b32_e32 v17, 24, v22
	s_wait_alu 0xfffd
	v_xor_b32_e32 v18, vcc_lo, v18
	v_cmp_gt_i32_e32 vcc_lo, 0, v19
	v_ashrrev_i32_e32 v19, 31, v20
	v_mad_u32_u24 v20, v70, s10, v69
	v_not_b32_e32 v21, v17
	v_and_b32_e32 v18, v16, v18
	v_and_b32_e32 v22, 0xff, v22
	s_wait_alu 0xfffd
	v_xor_b32_e32 v19, vcc_lo, v19
	v_cmp_gt_i32_e32 vcc_lo, 0, v17
	v_ashrrev_i32_e32 v21, 31, v21
	s_wait_alu 0xfffe
	v_mad_co_u64_u32 v[16:17], null, v20, s8, v[44:45]
	v_and_b32_e32 v17, v18, v19
	s_wait_alu 0xfffd
	v_xor_b32_e32 v23, vcc_lo, v21
	v_dual_mov_b32 v18, s20 :: v_dual_mov_b32 v19, s21
	v_dual_mov_b32 v20, s22 :: v_dual_mov_b32 v21, s23
	s_delay_alu instid0(VALU_DEP_3)
	v_and_b32_e32 v17, v17, v23
	v_lshrrev_b32_e32 v16, 3, v16
	ds_store_b128 v66, v[18:21] offset:16
	ds_store_b128 v66, v[18:21] offset:32
	v_mbcnt_lo_u32_b32 v32, v17, 0
	v_and_b32_e32 v16, 0x1ffffffc, v16
	v_lshlrev_b32_e32 v18, 4, v22
	v_cmp_ne_u32_e64 s8, 0, v17
	s_wait_loadcnt_dscnt 0x0
	v_cmp_eq_u32_e32 vcc_lo, 0, v32
	s_barrier_signal -1
	v_add_nc_u32_e32 v33, v16, v18
	s_barrier_wait -1
	global_inv scope:SCOPE_SE
	s_and_b32 s10, s8, vcc_lo
	; wave barrier
	s_wait_alu 0xfffe
	s_and_saveexec_b32 s8, s10
; %bb.62:
	v_bcnt_u32_b32 v17, v17, 0
	ds_store_b32 v33, v17 offset:16
; %bb.63:
	s_wait_alu 0xfffe
	s_or_b32 exec_lo, exec_lo, s8
	v_and_b32_e32 v17, s9, v25
	; wave barrier
	s_delay_alu instid0(VALU_DEP_1)
	v_and_b32_e32 v19, 1, v17
	v_lshlrev_b32_e32 v20, 30, v17
	v_lshlrev_b32_e32 v21, 29, v17
	;; [unrolled: 1-line block ×4, first 2 shown]
	v_add_co_u32 v19, s8, v19, -1
	s_wait_alu 0xf1ff
	v_cndmask_b32_e64 v23, 0, 1, s8
	v_not_b32_e32 v37, v20
	v_cmp_gt_i32_e64 s8, 0, v20
	v_not_b32_e32 v20, v21
	v_lshlrev_b32_e32 v35, 26, v17
	v_cmp_ne_u32_e32 vcc_lo, 0, v23
	v_ashrrev_i32_e32 v23, 31, v37
	v_lshlrev_b32_e32 v36, 25, v17
	v_ashrrev_i32_e32 v20, 31, v20
	v_and_b32_e32 v18, 0xff, v17
	s_wait_alu 0xfffd
	v_xor_b32_e32 v19, vcc_lo, v19
	v_cmp_gt_i32_e32 vcc_lo, 0, v21
	v_not_b32_e32 v21, v22
	s_wait_alu 0xf1ff
	v_xor_b32_e32 v23, s8, v23
	v_cmp_gt_i32_e64 s8, 0, v22
	v_and_b32_e32 v19, exec_lo, v19
	v_not_b32_e32 v22, v34
	v_ashrrev_i32_e32 v21, 31, v21
	s_wait_alu 0xfffd
	v_xor_b32_e32 v20, vcc_lo, v20
	v_cmp_gt_i32_e32 vcc_lo, 0, v34
	v_and_b32_e32 v19, v19, v23
	v_not_b32_e32 v23, v35
	v_ashrrev_i32_e32 v22, 31, v22
	s_wait_alu 0xf1ff
	v_xor_b32_e32 v21, s8, v21
	v_lshlrev_b32_e32 v17, 24, v17
	v_and_b32_e32 v19, v19, v20
	v_cmp_gt_i32_e64 s8, 0, v35
	v_not_b32_e32 v20, v36
	v_ashrrev_i32_e32 v23, 31, v23
	s_wait_alu 0xfffd
	v_xor_b32_e32 v22, vcc_lo, v22
	v_and_b32_e32 v19, v19, v21
	v_cmp_gt_i32_e32 vcc_lo, 0, v36
	v_not_b32_e32 v21, v17
	v_ashrrev_i32_e32 v20, 31, v20
	s_wait_alu 0xf1ff
	v_xor_b32_e32 v23, s8, v23
	v_and_b32_e32 v19, v19, v22
	v_lshlrev_b32_e32 v18, 4, v18
	v_cmp_gt_i32_e64 s8, 0, v17
	v_ashrrev_i32_e32 v17, 31, v21
	s_wait_alu 0xfffd
	v_xor_b32_e32 v20, vcc_lo, v20
	v_and_b32_e32 v19, v19, v23
	v_add_nc_u32_e32 v36, v16, v18
	s_wait_alu 0xf1ff
	v_xor_b32_e32 v17, s8, v17
	s_delay_alu instid0(VALU_DEP_3) | instskip(SKIP_2) | instid1(VALU_DEP_1)
	v_and_b32_e32 v18, v19, v20
	ds_load_b32 v34, v36 offset:16
	; wave barrier
	v_and_b32_e32 v17, v18, v17
	v_mbcnt_lo_u32_b32 v35, v17, 0
	v_cmp_ne_u32_e64 s8, 0, v17
	s_delay_alu instid0(VALU_DEP_2)
	v_cmp_eq_u32_e32 vcc_lo, 0, v35
	s_and_b32 s10, s8, vcc_lo
	s_wait_alu 0xfffe
	s_and_saveexec_b32 s8, s10
	s_cbranch_execz .LBB102_65
; %bb.64:
	s_wait_dscnt 0x0
	v_bcnt_u32_b32 v17, v17, v34
	ds_store_b32 v36, v17 offset:16
.LBB102_65:
	s_wait_alu 0xfffe
	s_or_b32 exec_lo, exec_lo, s8
	v_and_b32_e32 v17, s9, v26
	; wave barrier
	s_delay_alu instid0(VALU_DEP_1)
	v_and_b32_e32 v19, 1, v17
	v_lshlrev_b32_e32 v20, 30, v17
	v_lshlrev_b32_e32 v21, 29, v17
	;; [unrolled: 1-line block ×4, first 2 shown]
	v_add_co_u32 v19, s8, v19, -1
	s_wait_alu 0xf1ff
	v_cndmask_b32_e64 v23, 0, 1, s8
	v_not_b32_e32 v40, v20
	v_cmp_gt_i32_e64 s8, 0, v20
	v_not_b32_e32 v20, v21
	v_lshlrev_b32_e32 v38, 26, v17
	v_cmp_ne_u32_e32 vcc_lo, 0, v23
	v_ashrrev_i32_e32 v23, 31, v40
	v_lshlrev_b32_e32 v39, 25, v17
	v_ashrrev_i32_e32 v20, 31, v20
	v_and_b32_e32 v18, 0xff, v17
	s_wait_alu 0xfffd
	v_xor_b32_e32 v19, vcc_lo, v19
	v_cmp_gt_i32_e32 vcc_lo, 0, v21
	v_not_b32_e32 v21, v22
	s_wait_alu 0xf1ff
	v_xor_b32_e32 v23, s8, v23
	v_cmp_gt_i32_e64 s8, 0, v22
	v_and_b32_e32 v19, exec_lo, v19
	v_not_b32_e32 v22, v37
	v_ashrrev_i32_e32 v21, 31, v21
	s_wait_alu 0xfffd
	v_xor_b32_e32 v20, vcc_lo, v20
	v_cmp_gt_i32_e32 vcc_lo, 0, v37
	v_and_b32_e32 v19, v19, v23
	v_not_b32_e32 v23, v38
	v_ashrrev_i32_e32 v22, 31, v22
	s_wait_alu 0xf1ff
	v_xor_b32_e32 v21, s8, v21
	v_lshlrev_b32_e32 v17, 24, v17
	v_and_b32_e32 v19, v19, v20
	v_cmp_gt_i32_e64 s8, 0, v38
	v_not_b32_e32 v20, v39
	v_ashrrev_i32_e32 v23, 31, v23
	s_wait_alu 0xfffd
	v_xor_b32_e32 v22, vcc_lo, v22
	v_and_b32_e32 v19, v19, v21
	v_cmp_gt_i32_e32 vcc_lo, 0, v39
	v_not_b32_e32 v21, v17
	v_ashrrev_i32_e32 v20, 31, v20
	s_wait_alu 0xf1ff
	v_xor_b32_e32 v23, s8, v23
	v_and_b32_e32 v19, v19, v22
	v_lshlrev_b32_e32 v18, 4, v18
	v_cmp_gt_i32_e64 s8, 0, v17
	v_ashrrev_i32_e32 v17, 31, v21
	s_wait_alu 0xfffd
	v_xor_b32_e32 v20, vcc_lo, v20
	v_and_b32_e32 v19, v19, v23
	v_add_nc_u32_e32 v39, v16, v18
	s_wait_alu 0xf1ff
	v_xor_b32_e32 v17, s8, v17
	s_delay_alu instid0(VALU_DEP_3) | instskip(SKIP_2) | instid1(VALU_DEP_1)
	v_and_b32_e32 v18, v19, v20
	ds_load_b32 v37, v39 offset:16
	; wave barrier
	v_and_b32_e32 v17, v18, v17
	v_mbcnt_lo_u32_b32 v38, v17, 0
	v_cmp_ne_u32_e64 s8, 0, v17
	s_delay_alu instid0(VALU_DEP_2)
	v_cmp_eq_u32_e32 vcc_lo, 0, v38
	s_and_b32 s10, s8, vcc_lo
	s_wait_alu 0xfffe
	s_and_saveexec_b32 s8, s10
	s_cbranch_execz .LBB102_67
; %bb.66:
	s_wait_dscnt 0x0
	v_bcnt_u32_b32 v17, v17, v37
	ds_store_b32 v39, v17 offset:16
.LBB102_67:
	s_wait_alu 0xfffe
	s_or_b32 exec_lo, exec_lo, s8
	v_and_b32_e32 v17, s9, v27
	; wave barrier
	s_delay_alu instid0(VALU_DEP_1)
	v_and_b32_e32 v19, 1, v17
	v_lshlrev_b32_e32 v20, 30, v17
	v_lshlrev_b32_e32 v21, 29, v17
	;; [unrolled: 1-line block ×4, first 2 shown]
	v_add_co_u32 v19, s8, v19, -1
	s_wait_alu 0xf1ff
	v_cndmask_b32_e64 v23, 0, 1, s8
	v_not_b32_e32 v69, v20
	v_cmp_gt_i32_e64 s8, 0, v20
	v_not_b32_e32 v20, v21
	v_lshlrev_b32_e32 v45, 26, v17
	v_cmp_ne_u32_e32 vcc_lo, 0, v23
	v_ashrrev_i32_e32 v23, 31, v69
	v_lshlrev_b32_e32 v46, 25, v17
	v_ashrrev_i32_e32 v20, 31, v20
	v_and_b32_e32 v18, 0xff, v17
	s_wait_alu 0xfffd
	v_xor_b32_e32 v19, vcc_lo, v19
	v_cmp_gt_i32_e32 vcc_lo, 0, v21
	v_not_b32_e32 v21, v22
	s_wait_alu 0xf1ff
	v_xor_b32_e32 v23, s8, v23
	v_cmp_gt_i32_e64 s8, 0, v22
	v_and_b32_e32 v19, exec_lo, v19
	v_not_b32_e32 v22, v40
	v_ashrrev_i32_e32 v21, 31, v21
	s_wait_alu 0xfffd
	v_xor_b32_e32 v20, vcc_lo, v20
	v_cmp_gt_i32_e32 vcc_lo, 0, v40
	v_and_b32_e32 v19, v19, v23
	v_not_b32_e32 v23, v45
	v_ashrrev_i32_e32 v22, 31, v22
	s_wait_alu 0xf1ff
	v_xor_b32_e32 v21, s8, v21
	v_lshlrev_b32_e32 v17, 24, v17
	v_and_b32_e32 v19, v19, v20
	v_cmp_gt_i32_e64 s8, 0, v45
	v_not_b32_e32 v20, v46
	v_ashrrev_i32_e32 v23, 31, v23
	s_wait_alu 0xfffd
	v_xor_b32_e32 v22, vcc_lo, v22
	v_and_b32_e32 v19, v19, v21
	v_cmp_gt_i32_e32 vcc_lo, 0, v46
	v_not_b32_e32 v21, v17
	v_ashrrev_i32_e32 v20, 31, v20
	s_wait_alu 0xf1ff
	v_xor_b32_e32 v23, s8, v23
	v_and_b32_e32 v19, v19, v22
	v_lshlrev_b32_e32 v18, 4, v18
	v_cmp_gt_i32_e64 s8, 0, v17
	v_ashrrev_i32_e32 v17, 31, v21
	s_wait_alu 0xfffd
	v_xor_b32_e32 v20, vcc_lo, v20
	v_and_b32_e32 v19, v19, v23
	v_add_nc_u32_e32 v46, v16, v18
	s_wait_alu 0xf1ff
	v_xor_b32_e32 v17, s8, v17
	s_delay_alu instid0(VALU_DEP_3) | instskip(SKIP_2) | instid1(VALU_DEP_1)
	v_and_b32_e32 v18, v19, v20
	ds_load_b32 v40, v46 offset:16
	; wave barrier
	v_and_b32_e32 v17, v18, v17
	v_mbcnt_lo_u32_b32 v45, v17, 0
	v_cmp_ne_u32_e64 s8, 0, v17
	s_delay_alu instid0(VALU_DEP_2)
	v_cmp_eq_u32_e32 vcc_lo, 0, v45
	s_and_b32 s10, s8, vcc_lo
	s_wait_alu 0xfffe
	s_and_saveexec_b32 s8, s10
	s_cbranch_execz .LBB102_69
; %bb.68:
	s_wait_dscnt 0x0
	v_bcnt_u32_b32 v17, v17, v40
	ds_store_b32 v46, v17 offset:16
.LBB102_69:
	s_wait_alu 0xfffe
	s_or_b32 exec_lo, exec_lo, s8
	v_and_b32_e32 v17, s9, v28
	; wave barrier
	s_delay_alu instid0(VALU_DEP_1)
	v_and_b32_e32 v19, 1, v17
	v_lshlrev_b32_e32 v20, 30, v17
	v_lshlrev_b32_e32 v21, 29, v17
	;; [unrolled: 1-line block ×4, first 2 shown]
	v_add_co_u32 v19, s8, v19, -1
	s_wait_alu 0xf1ff
	v_cndmask_b32_e64 v23, 0, 1, s8
	v_not_b32_e32 v72, v20
	v_cmp_gt_i32_e64 s8, 0, v20
	v_not_b32_e32 v20, v21
	v_lshlrev_b32_e32 v70, 26, v17
	v_cmp_ne_u32_e32 vcc_lo, 0, v23
	v_ashrrev_i32_e32 v23, 31, v72
	v_lshlrev_b32_e32 v71, 25, v17
	v_ashrrev_i32_e32 v20, 31, v20
	v_and_b32_e32 v18, 0xff, v17
	s_wait_alu 0xfffd
	v_xor_b32_e32 v19, vcc_lo, v19
	v_cmp_gt_i32_e32 vcc_lo, 0, v21
	v_not_b32_e32 v21, v22
	s_wait_alu 0xf1ff
	v_xor_b32_e32 v23, s8, v23
	v_cmp_gt_i32_e64 s8, 0, v22
	v_and_b32_e32 v19, exec_lo, v19
	v_not_b32_e32 v22, v69
	v_ashrrev_i32_e32 v21, 31, v21
	s_wait_alu 0xfffd
	v_xor_b32_e32 v20, vcc_lo, v20
	v_cmp_gt_i32_e32 vcc_lo, 0, v69
	v_and_b32_e32 v19, v19, v23
	v_not_b32_e32 v23, v70
	v_ashrrev_i32_e32 v22, 31, v22
	s_wait_alu 0xf1ff
	v_xor_b32_e32 v21, s8, v21
	v_lshlrev_b32_e32 v17, 24, v17
	v_and_b32_e32 v19, v19, v20
	v_cmp_gt_i32_e64 s8, 0, v70
	v_not_b32_e32 v20, v71
	v_ashrrev_i32_e32 v23, 31, v23
	s_wait_alu 0xfffd
	v_xor_b32_e32 v22, vcc_lo, v22
	v_and_b32_e32 v19, v19, v21
	v_cmp_gt_i32_e32 vcc_lo, 0, v71
	v_not_b32_e32 v21, v17
	v_ashrrev_i32_e32 v20, 31, v20
	s_wait_alu 0xf1ff
	v_xor_b32_e32 v23, s8, v23
	v_and_b32_e32 v19, v19, v22
	v_lshlrev_b32_e32 v18, 4, v18
	v_cmp_gt_i32_e64 s8, 0, v17
	v_ashrrev_i32_e32 v17, 31, v21
	s_wait_alu 0xfffd
	v_xor_b32_e32 v20, vcc_lo, v20
	v_and_b32_e32 v19, v19, v23
	v_add_nc_u32_e32 v71, v16, v18
	s_wait_alu 0xf1ff
	v_xor_b32_e32 v17, s8, v17
	s_delay_alu instid0(VALU_DEP_3) | instskip(SKIP_2) | instid1(VALU_DEP_1)
	v_and_b32_e32 v18, v19, v20
	ds_load_b32 v69, v71 offset:16
	; wave barrier
	v_and_b32_e32 v17, v18, v17
	v_mbcnt_lo_u32_b32 v70, v17, 0
	v_cmp_ne_u32_e64 s8, 0, v17
	s_delay_alu instid0(VALU_DEP_2)
	v_cmp_eq_u32_e32 vcc_lo, 0, v70
	s_and_b32 s10, s8, vcc_lo
	s_wait_alu 0xfffe
	s_and_saveexec_b32 s8, s10
	s_cbranch_execz .LBB102_71
; %bb.70:
	s_wait_dscnt 0x0
	v_bcnt_u32_b32 v17, v17, v69
	ds_store_b32 v71, v17 offset:16
.LBB102_71:
	s_wait_alu 0xfffe
	s_or_b32 exec_lo, exec_lo, s8
	v_and_b32_e32 v17, s9, v29
	; wave barrier
	s_delay_alu instid0(VALU_DEP_1)
	v_and_b32_e32 v19, 1, v17
	v_lshlrev_b32_e32 v20, 30, v17
	v_lshlrev_b32_e32 v21, 29, v17
	;; [unrolled: 1-line block ×4, first 2 shown]
	v_add_co_u32 v19, s8, v19, -1
	s_wait_alu 0xf1ff
	v_cndmask_b32_e64 v23, 0, 1, s8
	v_not_b32_e32 v75, v20
	v_cmp_gt_i32_e64 s8, 0, v20
	v_not_b32_e32 v20, v21
	v_lshlrev_b32_e32 v73, 26, v17
	v_cmp_ne_u32_e32 vcc_lo, 0, v23
	v_ashrrev_i32_e32 v23, 31, v75
	v_lshlrev_b32_e32 v74, 25, v17
	v_ashrrev_i32_e32 v20, 31, v20
	v_and_b32_e32 v18, 0xff, v17
	s_wait_alu 0xfffd
	v_xor_b32_e32 v19, vcc_lo, v19
	v_cmp_gt_i32_e32 vcc_lo, 0, v21
	v_not_b32_e32 v21, v22
	s_wait_alu 0xf1ff
	v_xor_b32_e32 v23, s8, v23
	v_cmp_gt_i32_e64 s8, 0, v22
	v_and_b32_e32 v19, exec_lo, v19
	v_not_b32_e32 v22, v72
	v_ashrrev_i32_e32 v21, 31, v21
	s_wait_alu 0xfffd
	v_xor_b32_e32 v20, vcc_lo, v20
	v_cmp_gt_i32_e32 vcc_lo, 0, v72
	v_and_b32_e32 v19, v19, v23
	v_not_b32_e32 v23, v73
	v_ashrrev_i32_e32 v22, 31, v22
	s_wait_alu 0xf1ff
	v_xor_b32_e32 v21, s8, v21
	v_lshlrev_b32_e32 v17, 24, v17
	v_and_b32_e32 v19, v19, v20
	v_cmp_gt_i32_e64 s8, 0, v73
	v_not_b32_e32 v20, v74
	v_ashrrev_i32_e32 v23, 31, v23
	s_wait_alu 0xfffd
	v_xor_b32_e32 v22, vcc_lo, v22
	v_and_b32_e32 v19, v19, v21
	v_cmp_gt_i32_e32 vcc_lo, 0, v74
	v_not_b32_e32 v21, v17
	v_ashrrev_i32_e32 v20, 31, v20
	s_wait_alu 0xf1ff
	v_xor_b32_e32 v23, s8, v23
	v_and_b32_e32 v19, v19, v22
	v_lshlrev_b32_e32 v18, 4, v18
	v_cmp_gt_i32_e64 s8, 0, v17
	v_ashrrev_i32_e32 v17, 31, v21
	s_wait_alu 0xfffd
	v_xor_b32_e32 v20, vcc_lo, v20
	v_and_b32_e32 v19, v19, v23
	v_add_nc_u32_e32 v74, v16, v18
	s_wait_alu 0xf1ff
	v_xor_b32_e32 v17, s8, v17
	s_delay_alu instid0(VALU_DEP_3) | instskip(SKIP_2) | instid1(VALU_DEP_1)
	v_and_b32_e32 v18, v19, v20
	ds_load_b32 v72, v74 offset:16
	; wave barrier
	v_and_b32_e32 v17, v18, v17
	v_mbcnt_lo_u32_b32 v73, v17, 0
	v_cmp_ne_u32_e64 s8, 0, v17
	s_delay_alu instid0(VALU_DEP_2)
	v_cmp_eq_u32_e32 vcc_lo, 0, v73
	s_and_b32 s10, s8, vcc_lo
	s_wait_alu 0xfffe
	s_and_saveexec_b32 s8, s10
	s_cbranch_execz .LBB102_73
; %bb.72:
	s_wait_dscnt 0x0
	v_bcnt_u32_b32 v17, v17, v72
	ds_store_b32 v74, v17 offset:16
.LBB102_73:
	s_wait_alu 0xfffe
	s_or_b32 exec_lo, exec_lo, s8
	v_and_b32_e32 v17, s9, v30
	; wave barrier
	s_delay_alu instid0(VALU_DEP_1)
	v_and_b32_e32 v19, 1, v17
	v_lshlrev_b32_e32 v20, 30, v17
	v_lshlrev_b32_e32 v21, 29, v17
	;; [unrolled: 1-line block ×4, first 2 shown]
	v_add_co_u32 v19, s8, v19, -1
	s_wait_alu 0xf1ff
	v_cndmask_b32_e64 v23, 0, 1, s8
	v_not_b32_e32 v78, v20
	v_cmp_gt_i32_e64 s8, 0, v20
	v_not_b32_e32 v20, v21
	v_lshlrev_b32_e32 v76, 26, v17
	v_cmp_ne_u32_e32 vcc_lo, 0, v23
	v_ashrrev_i32_e32 v23, 31, v78
	v_lshlrev_b32_e32 v77, 25, v17
	v_ashrrev_i32_e32 v20, 31, v20
	v_and_b32_e32 v18, 0xff, v17
	s_wait_alu 0xfffd
	v_xor_b32_e32 v19, vcc_lo, v19
	v_cmp_gt_i32_e32 vcc_lo, 0, v21
	v_not_b32_e32 v21, v22
	s_wait_alu 0xf1ff
	v_xor_b32_e32 v23, s8, v23
	v_cmp_gt_i32_e64 s8, 0, v22
	v_and_b32_e32 v19, exec_lo, v19
	v_not_b32_e32 v22, v75
	v_ashrrev_i32_e32 v21, 31, v21
	s_wait_alu 0xfffd
	v_xor_b32_e32 v20, vcc_lo, v20
	v_cmp_gt_i32_e32 vcc_lo, 0, v75
	v_and_b32_e32 v19, v19, v23
	v_not_b32_e32 v23, v76
	v_ashrrev_i32_e32 v22, 31, v22
	s_wait_alu 0xf1ff
	v_xor_b32_e32 v21, s8, v21
	v_lshlrev_b32_e32 v17, 24, v17
	v_and_b32_e32 v19, v19, v20
	v_cmp_gt_i32_e64 s8, 0, v76
	v_not_b32_e32 v20, v77
	v_ashrrev_i32_e32 v23, 31, v23
	s_wait_alu 0xfffd
	v_xor_b32_e32 v22, vcc_lo, v22
	v_and_b32_e32 v19, v19, v21
	v_cmp_gt_i32_e32 vcc_lo, 0, v77
	v_not_b32_e32 v21, v17
	v_ashrrev_i32_e32 v20, 31, v20
	s_wait_alu 0xf1ff
	v_xor_b32_e32 v23, s8, v23
	v_and_b32_e32 v19, v19, v22
	v_lshlrev_b32_e32 v18, 4, v18
	v_cmp_gt_i32_e64 s8, 0, v17
	v_ashrrev_i32_e32 v17, 31, v21
	s_wait_alu 0xfffd
	v_xor_b32_e32 v20, vcc_lo, v20
	v_and_b32_e32 v19, v19, v23
	v_add_nc_u32_e32 v77, v16, v18
	s_wait_alu 0xf1ff
	v_xor_b32_e32 v17, s8, v17
	s_delay_alu instid0(VALU_DEP_3) | instskip(SKIP_2) | instid1(VALU_DEP_1)
	v_and_b32_e32 v18, v19, v20
	ds_load_b32 v75, v77 offset:16
	; wave barrier
	v_and_b32_e32 v17, v18, v17
	v_mbcnt_lo_u32_b32 v76, v17, 0
	v_cmp_ne_u32_e64 s8, 0, v17
	s_delay_alu instid0(VALU_DEP_2)
	v_cmp_eq_u32_e32 vcc_lo, 0, v76
	s_and_b32 s10, s8, vcc_lo
	s_wait_alu 0xfffe
	s_and_saveexec_b32 s8, s10
	s_cbranch_execz .LBB102_75
; %bb.74:
	s_wait_dscnt 0x0
	v_bcnt_u32_b32 v17, v17, v75
	ds_store_b32 v77, v17 offset:16
.LBB102_75:
	s_wait_alu 0xfffe
	s_or_b32 exec_lo, exec_lo, s8
	v_and_b32_e32 v17, s9, v31
	; wave barrier
	s_delay_alu instid0(VALU_DEP_1)
	v_and_b32_e32 v19, 1, v17
	v_lshlrev_b32_e32 v20, 30, v17
	v_lshlrev_b32_e32 v21, 29, v17
	;; [unrolled: 1-line block ×4, first 2 shown]
	v_add_co_u32 v19, s8, v19, -1
	s_wait_alu 0xf1ff
	v_cndmask_b32_e64 v23, 0, 1, s8
	v_not_b32_e32 v81, v20
	v_cmp_gt_i32_e64 s8, 0, v20
	v_not_b32_e32 v20, v21
	v_lshlrev_b32_e32 v79, 26, v17
	v_cmp_ne_u32_e32 vcc_lo, 0, v23
	v_ashrrev_i32_e32 v23, 31, v81
	v_lshlrev_b32_e32 v80, 25, v17
	v_ashrrev_i32_e32 v20, 31, v20
	v_and_b32_e32 v18, 0xff, v17
	s_wait_alu 0xfffd
	v_xor_b32_e32 v19, vcc_lo, v19
	v_cmp_gt_i32_e32 vcc_lo, 0, v21
	v_not_b32_e32 v21, v22
	s_wait_alu 0xf1ff
	v_xor_b32_e32 v23, s8, v23
	v_cmp_gt_i32_e64 s8, 0, v22
	v_and_b32_e32 v19, exec_lo, v19
	v_not_b32_e32 v22, v78
	v_ashrrev_i32_e32 v21, 31, v21
	s_wait_alu 0xfffd
	v_xor_b32_e32 v20, vcc_lo, v20
	v_cmp_gt_i32_e32 vcc_lo, 0, v78
	v_and_b32_e32 v19, v19, v23
	v_not_b32_e32 v23, v79
	v_ashrrev_i32_e32 v22, 31, v22
	s_wait_alu 0xf1ff
	v_xor_b32_e32 v21, s8, v21
	v_lshlrev_b32_e32 v17, 24, v17
	v_and_b32_e32 v19, v19, v20
	v_cmp_gt_i32_e64 s8, 0, v79
	v_not_b32_e32 v20, v80
	v_ashrrev_i32_e32 v23, 31, v23
	s_wait_alu 0xfffd
	v_xor_b32_e32 v22, vcc_lo, v22
	v_and_b32_e32 v19, v19, v21
	v_cmp_gt_i32_e32 vcc_lo, 0, v80
	v_not_b32_e32 v21, v17
	v_ashrrev_i32_e32 v20, 31, v20
	s_wait_alu 0xf1ff
	v_xor_b32_e32 v23, s8, v23
	v_and_b32_e32 v19, v19, v22
	v_lshlrev_b32_e32 v18, 4, v18
	v_cmp_gt_i32_e64 s8, 0, v17
	v_ashrrev_i32_e32 v17, 31, v21
	s_wait_alu 0xfffd
	v_xor_b32_e32 v20, vcc_lo, v20
	v_and_b32_e32 v19, v19, v23
	v_add_nc_u32_e32 v80, v16, v18
	s_wait_alu 0xf1ff
	v_xor_b32_e32 v16, s8, v17
	s_delay_alu instid0(VALU_DEP_3) | instskip(SKIP_2) | instid1(VALU_DEP_1)
	v_and_b32_e32 v17, v19, v20
	ds_load_b32 v78, v80 offset:16
	; wave barrier
	v_and_b32_e32 v16, v17, v16
	v_mbcnt_lo_u32_b32 v79, v16, 0
	v_cmp_ne_u32_e64 s8, 0, v16
	s_delay_alu instid0(VALU_DEP_2)
	v_cmp_eq_u32_e32 vcc_lo, 0, v79
	s_and_b32 s9, s8, vcc_lo
	s_wait_alu 0xfffe
	s_and_saveexec_b32 s8, s9
	s_cbranch_execz .LBB102_77
; %bb.76:
	s_wait_dscnt 0x0
	v_bcnt_u32_b32 v16, v16, v78
	ds_store_b32 v80, v16 offset:16
.LBB102_77:
	s_wait_alu 0xfffe
	s_or_b32 exec_lo, exec_lo, s8
	; wave barrier
	s_wait_loadcnt_dscnt 0x0
	s_barrier_signal -1
	s_barrier_wait -1
	global_inv scope:SCOPE_SE
	ds_load_b128 v[20:23], v66 offset:16
	ds_load_b128 v[16:19], v66 offset:32
	v_min_u32_e32 v68, 0x60, v68
	s_mov_b32 s8, exec_lo
	s_delay_alu instid0(VALU_DEP_1) | instskip(SKIP_2) | instid1(VALU_DEP_1)
	v_or_b32_e32 v68, 31, v68
	s_wait_dscnt 0x1
	v_add_nc_u32_e32 v81, v21, v20
	v_add3_u32 v81, v81, v22, v23
	s_wait_dscnt 0x0
	s_delay_alu instid0(VALU_DEP_1) | instskip(NEXT) | instid1(VALU_DEP_1)
	v_add3_u32 v81, v81, v16, v17
	v_add3_u32 v19, v81, v18, v19
	v_and_b32_e32 v81, 15, v67
	s_delay_alu instid0(VALU_DEP_2) | instskip(NEXT) | instid1(VALU_DEP_2)
	v_mov_b32_dpp v82, v19 row_shr:1 row_mask:0xf bank_mask:0xf
	v_cmp_ne_u32_e32 vcc_lo, 0, v81
	s_wait_alu 0xfffd
	s_delay_alu instid0(VALU_DEP_2) | instskip(SKIP_1) | instid1(VALU_DEP_2)
	v_cndmask_b32_e32 v82, 0, v82, vcc_lo
	v_cmp_lt_u32_e32 vcc_lo, 1, v81
	v_add_nc_u32_e32 v19, v82, v19
	s_delay_alu instid0(VALU_DEP_1) | instskip(SKIP_1) | instid1(VALU_DEP_1)
	v_mov_b32_dpp v82, v19 row_shr:2 row_mask:0xf bank_mask:0xf
	s_wait_alu 0xfffd
	v_cndmask_b32_e32 v82, 0, v82, vcc_lo
	v_cmp_lt_u32_e32 vcc_lo, 3, v81
	s_delay_alu instid0(VALU_DEP_2) | instskip(NEXT) | instid1(VALU_DEP_1)
	v_add_nc_u32_e32 v19, v19, v82
	v_mov_b32_dpp v82, v19 row_shr:4 row_mask:0xf bank_mask:0xf
	s_wait_alu 0xfffd
	s_delay_alu instid0(VALU_DEP_1) | instskip(SKIP_1) | instid1(VALU_DEP_2)
	v_cndmask_b32_e32 v82, 0, v82, vcc_lo
	v_cmp_lt_u32_e32 vcc_lo, 7, v81
	v_add_nc_u32_e32 v19, v19, v82
	s_delay_alu instid0(VALU_DEP_1) | instskip(SKIP_1) | instid1(VALU_DEP_1)
	v_mov_b32_dpp v82, v19 row_shr:8 row_mask:0xf bank_mask:0xf
	s_wait_alu 0xfffd
	v_cndmask_b32_e32 v81, 0, v82, vcc_lo
	v_bfe_i32 v82, v67, 4, 1
	s_delay_alu instid0(VALU_DEP_2) | instskip(SKIP_3) | instid1(VALU_DEP_1)
	v_add_nc_u32_e32 v19, v19, v81
	ds_swizzle_b32 v81, v19 offset:swizzle(BROADCAST,32,15)
	s_wait_dscnt 0x0
	v_and_b32_e32 v81, v82, v81
	v_add_nc_u32_e32 v19, v19, v81
	v_cmpx_eq_u32_e64 v44, v68
; %bb.78:
	v_lshlrev_b32_e32 v68, 2, v65
	ds_store_b32 v68, v19
; %bb.79:
	s_wait_alu 0xfffe
	s_or_b32 exec_lo, exec_lo, s8
	s_delay_alu instid0(SALU_CYCLE_1)
	s_mov_b32 s8, exec_lo
	s_wait_loadcnt_dscnt 0x0
	s_barrier_signal -1
	s_barrier_wait -1
	global_inv scope:SCOPE_SE
	v_cmpx_gt_u32_e32 4, v44
	s_cbranch_execz .LBB102_81
; %bb.80:
	v_and_b32_e32 v82, 3, v67
	s_delay_alu instid0(VALU_DEP_1)
	v_cmp_ne_u32_e32 vcc_lo, 0, v82
	v_lshlrev_b32_e32 v68, 2, v44
	ds_load_b32 v81, v68
	s_wait_dscnt 0x0
	v_mov_b32_dpp v83, v81 row_shr:1 row_mask:0xf bank_mask:0xf
	s_wait_alu 0xfffd
	s_delay_alu instid0(VALU_DEP_1) | instskip(SKIP_1) | instid1(VALU_DEP_2)
	v_cndmask_b32_e32 v83, 0, v83, vcc_lo
	v_cmp_lt_u32_e32 vcc_lo, 1, v82
	v_add_nc_u32_e32 v81, v83, v81
	s_delay_alu instid0(VALU_DEP_1) | instskip(SKIP_1) | instid1(VALU_DEP_1)
	v_mov_b32_dpp v83, v81 row_shr:2 row_mask:0xf bank_mask:0xf
	s_wait_alu 0xfffd
	v_cndmask_b32_e32 v82, 0, v83, vcc_lo
	s_delay_alu instid0(VALU_DEP_1)
	v_add_nc_u32_e32 v81, v81, v82
	ds_store_b32 v68, v81
.LBB102_81:
	s_wait_alu 0xfffe
	s_or_b32 exec_lo, exec_lo, s8
	v_mov_b32_e32 v68, 0
	s_mov_b32 s8, exec_lo
	s_wait_loadcnt_dscnt 0x0
	s_barrier_signal -1
	s_barrier_wait -1
	global_inv scope:SCOPE_SE
	v_cmpx_lt_u32_e32 31, v44
; %bb.82:
	v_lshl_add_u32 v65, v65, 2, -4
	ds_load_b32 v68, v65
; %bb.83:
	s_wait_alu 0xfffe
	s_or_b32 exec_lo, exec_lo, s8
	v_sub_co_u32 v65, vcc_lo, v67, 1
	s_wait_dscnt 0x0
	v_add_nc_u32_e32 v19, v68, v19
	s_delay_alu instid0(VALU_DEP_2) | instskip(SKIP_1) | instid1(VALU_DEP_1)
	v_cmp_gt_i32_e64 s8, 0, v65
	s_wait_alu 0xf1ff
	v_cndmask_b32_e64 v65, v65, v67, s8
	s_delay_alu instid0(VALU_DEP_1)
	v_lshlrev_b32_e32 v65, 2, v65
	ds_bpermute_b32 v19, v65, v19
	s_wait_dscnt 0x0
	s_wait_alu 0xfffd
	v_cndmask_b32_e32 v19, v19, v68, vcc_lo
	v_cmp_ne_u32_e32 vcc_lo, 0, v44
	s_wait_alu 0xfffd
	s_delay_alu instid0(VALU_DEP_2) | instskip(NEXT) | instid1(VALU_DEP_1)
	v_cndmask_b32_e32 v19, 0, v19, vcc_lo
	v_add_nc_u32_e32 v20, v19, v20
	s_delay_alu instid0(VALU_DEP_1) | instskip(NEXT) | instid1(VALU_DEP_1)
	v_add_nc_u32_e32 v21, v20, v21
	v_add_nc_u32_e32 v22, v21, v22
	s_delay_alu instid0(VALU_DEP_1) | instskip(NEXT) | instid1(VALU_DEP_1)
	v_add_nc_u32_e32 v81, v22, v23
	;; [unrolled: 3-line block ×3, first 2 shown]
	v_add_nc_u32_e32 v84, v83, v18
	ds_store_b128 v66, v[19:22] offset:16
	ds_store_b128 v66, v[81:84] offset:32
	s_wait_loadcnt_dscnt 0x0
	s_barrier_signal -1
	s_barrier_wait -1
	global_inv scope:SCOPE_SE
	ds_load_b32 v16, v33 offset:16
	ds_load_b32 v17, v36 offset:16
	;; [unrolled: 1-line block ×8, first 2 shown]
	s_wait_loadcnt_dscnt 0x0
	s_barrier_signal -1
	s_barrier_wait -1
	global_inv scope:SCOPE_SE
	v_mad_u32_u24 v36, v44, 56, v60
	v_add_nc_u32_e32 v16, v16, v32
	v_add3_u32 v17, v35, v34, v17
	v_add3_u32 v18, v38, v37, v18
	;; [unrolled: 1-line block ×7, first 2 shown]
	ds_store_b8 v16, v24
	ds_store_b8 v17, v25
	;; [unrolled: 1-line block ×8, first 2 shown]
	s_wait_loadcnt_dscnt 0x0
	s_barrier_signal -1
	s_barrier_wait -1
	global_inv scope:SCOPE_SE
	ds_load_b64 v[33:34], v60
	v_lshlrev_b32_e32 v16, 3, v16
	v_lshlrev_b32_e32 v17, 3, v17
	;; [unrolled: 1-line block ×8, first 2 shown]
	s_wait_loadcnt_dscnt 0x0
	s_barrier_signal -1
	s_barrier_wait -1
	global_inv scope:SCOPE_SE
	ds_store_b64 v16, v[12:13]
	ds_store_b64 v17, v[14:15]
	;; [unrolled: 1-line block ×8, first 2 shown]
	s_wait_loadcnt_dscnt 0x0
	s_barrier_signal -1
	s_barrier_wait -1
	global_inv scope:SCOPE_SE
	ds_load_b128 v[21:24], v36
	ds_load_b128 v[17:20], v36 offset:16
	ds_load_b128 v[29:32], v36 offset:32
	;; [unrolled: 1-line block ×3, first 2 shown]
	v_lshrrev_b32_e32 v0, 16, v33
	v_lshrrev_b32_e32 v3, 16, v34
	v_and_b32_e32 v1, 0xffffff00, v33
	v_xor_b32_e32 v2, 0x7f, v33
	v_and_b32_e32 v4, 0xffffff00, v34
	v_xor_b32_e32 v5, 0x7f, v34
	;; [unrolled: 2-line block ×4, first 2 shown]
	v_xor_b32_e32 v1, 0x7f00, v1
	v_and_b32_e32 v2, 0xff, v2
	v_xor_b32_e32 v4, 0x7f00, v4
	v_and_b32_e32 v5, 0xff, v5
	;; [unrolled: 2-line block ×4, first 2 shown]
	v_or_b32_e32 v1, v2, v1
	v_or_b32_e32 v2, v5, v4
	;; [unrolled: 1-line block ×3, first 2 shown]
	s_delay_alu instid0(VALU_DEP_4) | instskip(NEXT) | instid1(VALU_DEP_4)
	v_or_b32_e32 v3, v3, v7
	v_and_b32_e32 v1, 0xffff, v1
	s_delay_alu instid0(VALU_DEP_4) | instskip(NEXT) | instid1(VALU_DEP_4)
	v_and_b32_e32 v2, 0xffff, v2
	v_lshlrev_b32_e32 v0, 16, v0
	s_delay_alu instid0(VALU_DEP_4) | instskip(NEXT) | instid1(VALU_DEP_2)
	v_lshlrev_b32_e32 v3, 16, v3
	v_or_b32_e32 v0, v1, v0
	s_delay_alu instid0(VALU_DEP_2)
	v_or_b32_e32 v33, v2, v3
.LBB102_84:
	s_wait_loadcnt_dscnt 0x0
	s_barrier_signal -1
	s_barrier_wait -1
	global_inv scope:SCOPE_SE
	ds_store_2addr_b32 v56, v0, v33 offset1:1
	s_wait_loadcnt_dscnt 0x0
	s_barrier_signal -1
	s_barrier_wait -1
	global_inv scope:SCOPE_SE
	ds_load_u8 v8, v49 offset:128
	ds_load_u8 v7, v50 offset:256
	;; [unrolled: 1-line block ×7, first 2 shown]
	v_add_co_u32 v0, s8, s18, v47
	s_wait_alu 0xf1ff
	v_add_co_ci_u32_e64 v1, null, s19, 0, s8
	s_and_saveexec_b32 s8, s0
	s_cbranch_execnz .LBB102_103
; %bb.85:
	s_wait_alu 0xfffe
	s_or_b32 exec_lo, exec_lo, s8
	s_and_saveexec_b32 s8, s1
	s_cbranch_execnz .LBB102_104
.LBB102_86:
	s_wait_alu 0xfffe
	s_or_b32 exec_lo, exec_lo, s8
	s_and_saveexec_b32 s8, s2
	s_cbranch_execnz .LBB102_105
.LBB102_87:
	s_wait_alu 0xfffe
	s_or_b32 exec_lo, exec_lo, s8
	s_and_saveexec_b32 s8, s3
	s_cbranch_execnz .LBB102_106
.LBB102_88:
	s_wait_alu 0xfffe
	s_or_b32 exec_lo, exec_lo, s8
	s_and_saveexec_b32 s8, s4
	s_cbranch_execnz .LBB102_107
.LBB102_89:
	s_wait_alu 0xfffe
	s_or_b32 exec_lo, exec_lo, s8
	s_and_saveexec_b32 s8, s5
	s_cbranch_execnz .LBB102_108
.LBB102_90:
	s_wait_alu 0xfffe
	s_or_b32 exec_lo, exec_lo, s8
	s_and_saveexec_b32 s8, s6
	s_cbranch_execnz .LBB102_109
.LBB102_91:
	s_wait_alu 0xfffe
	s_or_b32 exec_lo, exec_lo, s8
	s_and_saveexec_b32 s8, s7
	s_cbranch_execz .LBB102_93
.LBB102_92:
	s_mul_i32 s9, s14, 0x380
	s_wait_alu 0xfffe
	v_add_co_u32 v0, vcc_lo, v0, s9
	s_wait_alu 0xfffd
	v_add_co_ci_u32_e64 v1, null, 0, v1, vcc_lo
	s_wait_dscnt 0x0
	global_store_b8 v[0:1], v2, off
.LBB102_93:
	s_wait_alu 0xfffe
	s_or_b32 exec_lo, exec_lo, s8
	s_wait_storecnt 0x0
	s_wait_loadcnt_dscnt 0x0
	s_barrier_signal -1
	s_barrier_wait -1
	global_inv scope:SCOPE_SE
	ds_store_2addr_b64 v64, v[21:22], v[23:24] offset1:1
	ds_store_2addr_b64 v64, v[17:18], v[19:20] offset0:2 offset1:3
	ds_store_2addr_b64 v64, v[29:30], v[31:32] offset0:4 offset1:5
	;; [unrolled: 1-line block ×3, first 2 shown]
	s_wait_loadcnt_dscnt 0x0
	s_barrier_signal -1
	s_barrier_wait -1
	global_inv scope:SCOPE_SE
	ds_load_b64 v[14:15], v58 offset:1024
	ds_load_b64 v[12:13], v59 offset:2048
	;; [unrolled: 1-line block ×7, first 2 shown]
	v_mov_b32_e32 v42, 0
	s_delay_alu instid0(VALU_DEP_1) | instskip(NEXT) | instid1(VALU_DEP_1)
	v_lshlrev_b64_e32 v[2:3], 3, v[41:42]
	v_add_co_u32 v2, vcc_lo, s12, v2
	s_wait_alu 0xfffd
	s_delay_alu instid0(VALU_DEP_2)
	v_add_co_ci_u32_e64 v3, null, s13, v3, vcc_lo
	s_and_saveexec_b32 s8, s0
	s_cbranch_execnz .LBB102_110
; %bb.94:
	s_wait_alu 0xfffe
	s_or_b32 exec_lo, exec_lo, s8
	s_and_saveexec_b32 s0, s1
	s_cbranch_execnz .LBB102_111
.LBB102_95:
	s_or_b32 exec_lo, exec_lo, s0
	s_and_saveexec_b32 s0, s2
	s_cbranch_execnz .LBB102_112
.LBB102_96:
	s_or_b32 exec_lo, exec_lo, s0
	s_and_saveexec_b32 s0, s3
	s_cbranch_execnz .LBB102_113
.LBB102_97:
	s_or_b32 exec_lo, exec_lo, s0
	s_and_saveexec_b32 s0, s4
	s_cbranch_execnz .LBB102_114
.LBB102_98:
	s_or_b32 exec_lo, exec_lo, s0
	s_and_saveexec_b32 s0, s5
	s_cbranch_execnz .LBB102_115
.LBB102_99:
	s_or_b32 exec_lo, exec_lo, s0
	s_and_saveexec_b32 s0, s6
	s_cbranch_execnz .LBB102_116
.LBB102_100:
	s_or_b32 exec_lo, exec_lo, s0
	s_and_saveexec_b32 s0, s7
	s_cbranch_execz .LBB102_102
.LBB102_101:
	s_mul_i32 s0, s16, 0x380
	s_mov_b32 s1, 0
	s_delay_alu instid0(SALU_CYCLE_1) | instskip(NEXT) | instid1(SALU_CYCLE_1)
	s_lshl_b64 s[0:1], s[0:1], 3
	v_add_co_u32 v2, vcc_lo, v2, s0
	s_wait_alu 0xfffd
	v_add_co_ci_u32_e64 v3, null, s1, v3, vcc_lo
	s_wait_dscnt 0x0
	global_store_b64 v[2:3], v[0:1], off
.LBB102_102:
	s_nop 0
	s_sendmsg sendmsg(MSG_DEALLOC_VGPRS)
	s_endpgm
.LBB102_103:
	ds_load_u8 v9, v48
	s_wait_dscnt 0x0
	global_store_b8 v[0:1], v9, off
	s_wait_alu 0xfffe
	s_or_b32 exec_lo, exec_lo, s8
	s_and_saveexec_b32 s8, s1
	s_cbranch_execz .LBB102_86
.LBB102_104:
	s_lshl_b32 s9, s14, 7
	s_wait_alu 0xfffe
	v_add_co_u32 v9, vcc_lo, v0, s9
	s_wait_alu 0xfffd
	v_add_co_ci_u32_e64 v10, null, 0, v1, vcc_lo
	s_wait_dscnt 0x6
	global_store_b8 v[9:10], v8, off
	s_or_b32 exec_lo, exec_lo, s8
	s_and_saveexec_b32 s8, s2
	s_cbranch_execz .LBB102_87
.LBB102_105:
	s_lshl_b32 s9, s14, 8
	s_wait_dscnt 0x6
	s_wait_alu 0xfffe
	v_add_co_u32 v8, vcc_lo, v0, s9
	s_wait_alu 0xfffd
	v_add_co_ci_u32_e64 v9, null, 0, v1, vcc_lo
	s_wait_dscnt 0x5
	global_store_b8 v[8:9], v7, off
	s_or_b32 exec_lo, exec_lo, s8
	s_and_saveexec_b32 s8, s3
	s_cbranch_execz .LBB102_88
.LBB102_106:
	s_mul_i32 s9, s14, 0x180
	s_wait_dscnt 0x5
	s_wait_alu 0xfffe
	v_add_co_u32 v7, vcc_lo, v0, s9
	s_wait_alu 0xfffd
	v_add_co_ci_u32_e64 v8, null, 0, v1, vcc_lo
	s_wait_dscnt 0x4
	global_store_b8 v[7:8], v6, off
	s_or_b32 exec_lo, exec_lo, s8
	s_and_saveexec_b32 s8, s4
	s_cbranch_execz .LBB102_89
.LBB102_107:
	s_lshl_b32 s9, s14, 9
	s_wait_dscnt 0x4
	s_wait_alu 0xfffe
	v_add_co_u32 v6, vcc_lo, v0, s9
	s_wait_alu 0xfffd
	v_add_co_ci_u32_e64 v7, null, 0, v1, vcc_lo
	s_wait_dscnt 0x3
	global_store_b8 v[6:7], v5, off
	s_or_b32 exec_lo, exec_lo, s8
	s_and_saveexec_b32 s8, s5
	s_cbranch_execz .LBB102_90
.LBB102_108:
	s_mul_i32 s9, s14, 0x280
	s_wait_dscnt 0x3
	s_wait_alu 0xfffe
	v_add_co_u32 v5, vcc_lo, v0, s9
	s_wait_alu 0xfffd
	v_add_co_ci_u32_e64 v6, null, 0, v1, vcc_lo
	s_wait_dscnt 0x2
	global_store_b8 v[5:6], v4, off
	s_or_b32 exec_lo, exec_lo, s8
	s_and_saveexec_b32 s8, s6
	s_cbranch_execz .LBB102_91
.LBB102_109:
	s_mul_i32 s9, s14, 0x300
	s_wait_dscnt 0x2
	s_wait_alu 0xfffe
	v_add_co_u32 v4, vcc_lo, v0, s9
	s_wait_alu 0xfffd
	v_add_co_ci_u32_e64 v5, null, 0, v1, vcc_lo
	s_wait_dscnt 0x1
	global_store_b8 v[4:5], v3, off
	s_or_b32 exec_lo, exec_lo, s8
	s_and_saveexec_b32 s8, s7
	s_cbranch_execnz .LBB102_92
	s_branch .LBB102_93
.LBB102_110:
	ds_load_b64 v[16:17], v57
	s_wait_dscnt 0x0
	global_store_b64 v[2:3], v[16:17], off
	s_wait_alu 0xfffe
	s_or_b32 exec_lo, exec_lo, s8
	s_and_saveexec_b32 s0, s1
	s_cbranch_execz .LBB102_95
.LBB102_111:
	s_lshl_b32 s8, s16, 7
	s_mov_b32 s9, 0
	s_wait_alu 0xfffe
	s_lshl_b64 s[8:9], s[8:9], 3
	s_wait_alu 0xfffe
	v_add_co_u32 v16, vcc_lo, v2, s8
	s_wait_alu 0xfffd
	v_add_co_ci_u32_e64 v17, null, s9, v3, vcc_lo
	s_wait_dscnt 0x6
	global_store_b64 v[16:17], v[14:15], off
	s_or_b32 exec_lo, exec_lo, s0
	s_and_saveexec_b32 s0, s2
	s_cbranch_execz .LBB102_96
.LBB102_112:
	s_lshl_b32 s8, s16, 8
	s_mov_b32 s9, 0
	s_wait_alu 0xfffe
	s_lshl_b64 s[8:9], s[8:9], 3
	s_wait_dscnt 0x6
	s_wait_alu 0xfffe
	v_add_co_u32 v14, vcc_lo, v2, s8
	s_wait_alu 0xfffd
	v_add_co_ci_u32_e64 v15, null, s9, v3, vcc_lo
	s_wait_dscnt 0x5
	global_store_b64 v[14:15], v[12:13], off
	s_or_b32 exec_lo, exec_lo, s0
	s_and_saveexec_b32 s0, s3
	s_cbranch_execz .LBB102_97
.LBB102_113:
	s_mul_i32 s2, s16, 0x180
	s_mov_b32 s3, 0
	s_delay_alu instid0(SALU_CYCLE_1)
	s_lshl_b64 s[2:3], s[2:3], 3
	s_wait_dscnt 0x5
	v_add_co_u32 v12, vcc_lo, v2, s2
	s_wait_alu 0xfffd
	v_add_co_ci_u32_e64 v13, null, s3, v3, vcc_lo
	s_wait_dscnt 0x4
	global_store_b64 v[12:13], v[10:11], off
	s_or_b32 exec_lo, exec_lo, s0
	s_and_saveexec_b32 s0, s4
	s_cbranch_execz .LBB102_98
.LBB102_114:
	s_lshl_b32 s2, s16, 9
	s_mov_b32 s3, 0
	s_wait_alu 0xfffe
	s_lshl_b64 s[2:3], s[2:3], 3
	s_wait_dscnt 0x4
	s_wait_alu 0xfffe
	v_add_co_u32 v10, vcc_lo, v2, s2
	s_wait_alu 0xfffd
	v_add_co_ci_u32_e64 v11, null, s3, v3, vcc_lo
	s_wait_dscnt 0x3
	global_store_b64 v[10:11], v[8:9], off
	s_or_b32 exec_lo, exec_lo, s0
	s_and_saveexec_b32 s0, s5
	s_cbranch_execz .LBB102_99
.LBB102_115:
	s_mul_i32 s2, s16, 0x280
	s_mov_b32 s3, 0
	s_wait_alu 0xfffe
	s_lshl_b64 s[2:3], s[2:3], 3
	s_wait_dscnt 0x3
	s_wait_alu 0xfffe
	v_add_co_u32 v8, vcc_lo, v2, s2
	s_wait_alu 0xfffd
	v_add_co_ci_u32_e64 v9, null, s3, v3, vcc_lo
	s_wait_dscnt 0x2
	global_store_b64 v[8:9], v[6:7], off
	s_or_b32 exec_lo, exec_lo, s0
	s_and_saveexec_b32 s0, s6
	s_cbranch_execz .LBB102_100
.LBB102_116:
	s_mul_i32 s2, s16, 0x300
	s_mov_b32 s3, 0
	s_wait_alu 0xfffe
	s_lshl_b64 s[2:3], s[2:3], 3
	s_wait_dscnt 0x2
	s_wait_alu 0xfffe
	v_add_co_u32 v6, vcc_lo, v2, s2
	s_wait_alu 0xfffd
	v_add_co_ci_u32_e64 v7, null, s3, v3, vcc_lo
	s_wait_dscnt 0x1
	global_store_b64 v[6:7], v[4:5], off
	s_or_b32 exec_lo, exec_lo, s0
	s_and_saveexec_b32 s0, s7
	s_cbranch_execnz .LBB102_101
	s_branch .LBB102_102
	.section	.rodata,"a",@progbits
	.p2align	6, 0x0
	.amdhsa_kernel _ZN2at6native18radixSortKVInPlaceILin2ELin1ELi128ELi8EaljEEvNS_4cuda6detail10TensorInfoIT3_T5_EES6_S6_S6_NS4_IT4_S6_EES6_b
		.amdhsa_group_segment_fixed_size 8448
		.amdhsa_private_segment_fixed_size 0
		.amdhsa_kernarg_size 712
		.amdhsa_user_sgpr_count 2
		.amdhsa_user_sgpr_dispatch_ptr 0
		.amdhsa_user_sgpr_queue_ptr 0
		.amdhsa_user_sgpr_kernarg_segment_ptr 1
		.amdhsa_user_sgpr_dispatch_id 0
		.amdhsa_user_sgpr_private_segment_size 0
		.amdhsa_wavefront_size32 1
		.amdhsa_uses_dynamic_stack 0
		.amdhsa_enable_private_segment 0
		.amdhsa_system_sgpr_workgroup_id_x 1
		.amdhsa_system_sgpr_workgroup_id_y 1
		.amdhsa_system_sgpr_workgroup_id_z 1
		.amdhsa_system_sgpr_workgroup_info 0
		.amdhsa_system_vgpr_workitem_id 2
		.amdhsa_next_free_vgpr 114
		.amdhsa_next_free_sgpr 24
		.amdhsa_reserve_vcc 1
		.amdhsa_float_round_mode_32 0
		.amdhsa_float_round_mode_16_64 0
		.amdhsa_float_denorm_mode_32 3
		.amdhsa_float_denorm_mode_16_64 3
		.amdhsa_fp16_overflow 0
		.amdhsa_workgroup_processor_mode 1
		.amdhsa_memory_ordered 1
		.amdhsa_forward_progress 1
		.amdhsa_inst_pref_size 105
		.amdhsa_round_robin_scheduling 0
		.amdhsa_exception_fp_ieee_invalid_op 0
		.amdhsa_exception_fp_denorm_src 0
		.amdhsa_exception_fp_ieee_div_zero 0
		.amdhsa_exception_fp_ieee_overflow 0
		.amdhsa_exception_fp_ieee_underflow 0
		.amdhsa_exception_fp_ieee_inexact 0
		.amdhsa_exception_int_div_zero 0
	.end_amdhsa_kernel
	.section	.text._ZN2at6native18radixSortKVInPlaceILin2ELin1ELi128ELi8EaljEEvNS_4cuda6detail10TensorInfoIT3_T5_EES6_S6_S6_NS4_IT4_S6_EES6_b,"axG",@progbits,_ZN2at6native18radixSortKVInPlaceILin2ELin1ELi128ELi8EaljEEvNS_4cuda6detail10TensorInfoIT3_T5_EES6_S6_S6_NS4_IT4_S6_EES6_b,comdat
.Lfunc_end102:
	.size	_ZN2at6native18radixSortKVInPlaceILin2ELin1ELi128ELi8EaljEEvNS_4cuda6detail10TensorInfoIT3_T5_EES6_S6_S6_NS4_IT4_S6_EES6_b, .Lfunc_end102-_ZN2at6native18radixSortKVInPlaceILin2ELin1ELi128ELi8EaljEEvNS_4cuda6detail10TensorInfoIT3_T5_EES6_S6_S6_NS4_IT4_S6_EES6_b
                                        ; -- End function
	.set _ZN2at6native18radixSortKVInPlaceILin2ELin1ELi128ELi8EaljEEvNS_4cuda6detail10TensorInfoIT3_T5_EES6_S6_S6_NS4_IT4_S6_EES6_b.num_vgpr, 114
	.set _ZN2at6native18radixSortKVInPlaceILin2ELin1ELi128ELi8EaljEEvNS_4cuda6detail10TensorInfoIT3_T5_EES6_S6_S6_NS4_IT4_S6_EES6_b.num_agpr, 0
	.set _ZN2at6native18radixSortKVInPlaceILin2ELin1ELi128ELi8EaljEEvNS_4cuda6detail10TensorInfoIT3_T5_EES6_S6_S6_NS4_IT4_S6_EES6_b.numbered_sgpr, 24
	.set _ZN2at6native18radixSortKVInPlaceILin2ELin1ELi128ELi8EaljEEvNS_4cuda6detail10TensorInfoIT3_T5_EES6_S6_S6_NS4_IT4_S6_EES6_b.num_named_barrier, 0
	.set _ZN2at6native18radixSortKVInPlaceILin2ELin1ELi128ELi8EaljEEvNS_4cuda6detail10TensorInfoIT3_T5_EES6_S6_S6_NS4_IT4_S6_EES6_b.private_seg_size, 0
	.set _ZN2at6native18radixSortKVInPlaceILin2ELin1ELi128ELi8EaljEEvNS_4cuda6detail10TensorInfoIT3_T5_EES6_S6_S6_NS4_IT4_S6_EES6_b.uses_vcc, 1
	.set _ZN2at6native18radixSortKVInPlaceILin2ELin1ELi128ELi8EaljEEvNS_4cuda6detail10TensorInfoIT3_T5_EES6_S6_S6_NS4_IT4_S6_EES6_b.uses_flat_scratch, 0
	.set _ZN2at6native18radixSortKVInPlaceILin2ELin1ELi128ELi8EaljEEvNS_4cuda6detail10TensorInfoIT3_T5_EES6_S6_S6_NS4_IT4_S6_EES6_b.has_dyn_sized_stack, 0
	.set _ZN2at6native18radixSortKVInPlaceILin2ELin1ELi128ELi8EaljEEvNS_4cuda6detail10TensorInfoIT3_T5_EES6_S6_S6_NS4_IT4_S6_EES6_b.has_recursion, 0
	.set _ZN2at6native18radixSortKVInPlaceILin2ELin1ELi128ELi8EaljEEvNS_4cuda6detail10TensorInfoIT3_T5_EES6_S6_S6_NS4_IT4_S6_EES6_b.has_indirect_call, 0
	.section	.AMDGPU.csdata,"",@progbits
; Kernel info:
; codeLenInByte = 13436
; TotalNumSgprs: 26
; NumVgprs: 114
; ScratchSize: 0
; MemoryBound: 0
; FloatMode: 240
; IeeeMode: 1
; LDSByteSize: 8448 bytes/workgroup (compile time only)
; SGPRBlocks: 0
; VGPRBlocks: 14
; NumSGPRsForWavesPerEU: 26
; NumVGPRsForWavesPerEU: 114
; Occupancy: 12
; WaveLimiterHint : 1
; COMPUTE_PGM_RSRC2:SCRATCH_EN: 0
; COMPUTE_PGM_RSRC2:USER_SGPR: 2
; COMPUTE_PGM_RSRC2:TRAP_HANDLER: 0
; COMPUTE_PGM_RSRC2:TGID_X_EN: 1
; COMPUTE_PGM_RSRC2:TGID_Y_EN: 1
; COMPUTE_PGM_RSRC2:TGID_Z_EN: 1
; COMPUTE_PGM_RSRC2:TIDIG_COMP_CNT: 2
	.section	.text._ZN2at6native18radixSortKVInPlaceILin2ELin1ELi32ELi4EaljEEvNS_4cuda6detail10TensorInfoIT3_T5_EES6_S6_S6_NS4_IT4_S6_EES6_b,"axG",@progbits,_ZN2at6native18radixSortKVInPlaceILin2ELin1ELi32ELi4EaljEEvNS_4cuda6detail10TensorInfoIT3_T5_EES6_S6_S6_NS4_IT4_S6_EES6_b,comdat
	.protected	_ZN2at6native18radixSortKVInPlaceILin2ELin1ELi32ELi4EaljEEvNS_4cuda6detail10TensorInfoIT3_T5_EES6_S6_S6_NS4_IT4_S6_EES6_b ; -- Begin function _ZN2at6native18radixSortKVInPlaceILin2ELin1ELi32ELi4EaljEEvNS_4cuda6detail10TensorInfoIT3_T5_EES6_S6_S6_NS4_IT4_S6_EES6_b
	.globl	_ZN2at6native18radixSortKVInPlaceILin2ELin1ELi32ELi4EaljEEvNS_4cuda6detail10TensorInfoIT3_T5_EES6_S6_S6_NS4_IT4_S6_EES6_b
	.p2align	8
	.type	_ZN2at6native18radixSortKVInPlaceILin2ELin1ELi32ELi4EaljEEvNS_4cuda6detail10TensorInfoIT3_T5_EES6_S6_S6_NS4_IT4_S6_EES6_b,@function
_ZN2at6native18radixSortKVInPlaceILin2ELin1ELi32ELi4EaljEEvNS_4cuda6detail10TensorInfoIT3_T5_EES6_S6_S6_NS4_IT4_S6_EES6_b: ; @_ZN2at6native18radixSortKVInPlaceILin2ELin1ELi32ELi4EaljEEvNS_4cuda6detail10TensorInfoIT3_T5_EES6_S6_S6_NS4_IT4_S6_EES6_b
; %bb.0:
	s_clause 0x1
	s_load_b64 s[2:3], s[0:1], 0x1c8
	s_load_b96 s[8:10], s[0:1], 0xd8
	s_lshr_b32 s4, ttmp7, 16
	s_wait_kmcnt 0x0
	s_mul_i32 s3, s3, s4
	s_and_b32 s4, ttmp7, 0xffff
	s_delay_alu instid0(SALU_CYCLE_1) | instskip(NEXT) | instid1(SALU_CYCLE_1)
	s_add_co_i32 s3, s3, s4
	s_mul_i32 s11, s3, s2
	s_delay_alu instid0(SALU_CYCLE_1) | instskip(NEXT) | instid1(SALU_CYCLE_1)
	s_add_co_i32 s11, s11, ttmp9
	s_cmp_ge_u32 s11, s8
	s_cbranch_scc1 .LBB103_54
; %bb.1:
	s_load_b32 s2, s[0:1], 0x1b8
	s_add_nc_u64 s[6:7], s[0:1], 0xe8
	s_mov_b32 s5, 0
	s_mov_b32 s4, s11
	s_wait_kmcnt 0x0
	s_cmp_lt_i32 s2, 2
	s_cbranch_scc1 .LBB103_4
; %bb.2:
	s_add_co_i32 s4, s2, -1
	s_add_co_i32 s8, s2, 1
	s_lshl_b64 s[12:13], s[4:5], 2
	s_mov_b32 s4, s11
	s_add_nc_u64 s[12:13], s[6:7], s[12:13]
	s_delay_alu instid0(SALU_CYCLE_1)
	s_add_nc_u64 s[2:3], s[12:13], 8
.LBB103_3:                              ; =>This Inner Loop Header: Depth=1
	s_clause 0x1
	s_load_b32 s12, s[2:3], 0x0
	s_load_b32 s13, s[2:3], 0x64
	s_mov_b32 s16, s4
	s_add_nc_u64 s[2:3], s[2:3], -4
	s_wait_kmcnt 0x0
	s_cvt_f32_u32 s14, s12
	s_sub_co_i32 s15, 0, s12
	s_wait_alu 0xfffe
	s_delay_alu instid0(SALU_CYCLE_1) | instskip(NEXT) | instid1(TRANS32_DEP_1)
	v_rcp_iflag_f32_e32 v1, s14
	v_readfirstlane_b32 s14, v1
	s_mul_f32 s14, s14, 0x4f7ffffe
	s_wait_alu 0xfffe
	s_delay_alu instid0(SALU_CYCLE_2) | instskip(SKIP_1) | instid1(SALU_CYCLE_2)
	s_cvt_u32_f32 s14, s14
	s_wait_alu 0xfffe
	s_mul_i32 s15, s15, s14
	s_wait_alu 0xfffe
	s_mul_hi_u32 s15, s14, s15
	s_wait_alu 0xfffe
	s_add_co_i32 s14, s14, s15
	s_wait_alu 0xfffe
	s_mul_hi_u32 s4, s4, s14
	s_delay_alu instid0(SALU_CYCLE_1)
	s_mul_i32 s14, s4, s12
	s_add_co_i32 s15, s4, 1
	s_wait_alu 0xfffe
	s_sub_co_i32 s14, s16, s14
	s_wait_alu 0xfffe
	s_sub_co_i32 s17, s14, s12
	s_cmp_ge_u32 s14, s12
	s_cselect_b32 s4, s15, s4
	s_cselect_b32 s14, s17, s14
	s_add_co_i32 s15, s4, 1
	s_wait_alu 0xfffe
	s_cmp_ge_u32 s14, s12
	s_cselect_b32 s4, s15, s4
	s_add_co_i32 s8, s8, -1
	s_mul_i32 s12, s4, s12
	s_delay_alu instid0(SALU_CYCLE_1) | instskip(NEXT) | instid1(SALU_CYCLE_1)
	s_sub_co_i32 s12, s16, s12
	s_mul_i32 s12, s13, s12
	s_delay_alu instid0(SALU_CYCLE_1)
	s_add_co_i32 s5, s12, s5
	s_cmp_gt_u32 s8, 2
	s_cbranch_scc1 .LBB103_3
.LBB103_4:
	s_clause 0x2
	s_load_b64 s[12:13], s[0:1], 0x1c0
	s_load_b64 s[2:3], s[0:1], 0x0
	s_load_b32 s14, s[0:1], 0x6c
	s_add_nc_u64 s[18:19], s[0:1], 0x1c8
	s_mov_b32 s0, 0xff80
	s_movk_i32 s1, 0x8000
	s_wait_kmcnt 0x0
	s_bitcmp1_b32 s13, 0
	s_movk_i32 s13, 0x80
	s_cselect_b32 s8, -1, 0
	s_mul_i32 s14, s14, s11
	s_and_b32 s15, s8, exec_lo
	s_cselect_b32 s1, s1, 0x7f00
	s_cselect_b32 s13, s13, 0x7f
	;; [unrolled: 1-line block ×3, first 2 shown]
	s_wait_alu 0xfffe
	v_dual_mov_b32 v2, s15 :: v_dual_and_b32 v11, 0x3ff, v0
	s_or_b32 s0, s13, s1
	s_mov_b32 s15, 0
	s_and_b32 s1, s0, 0xffff
	s_lshl_b32 s0, s0, 16
	v_mul_lo_u32 v20, s10, v11
	s_or_b32 s1, s1, s0
	v_cmp_gt_u32_e64 s0, s9, v11
	v_mov_b32_e32 v1, s1
	s_wait_alu 0xfffe
	s_add_nc_u64 s[14:15], s[2:3], s[14:15]
	s_and_saveexec_b32 s2, s0
	s_cbranch_execz .LBB103_6
; %bb.5:
	global_load_u8 v2, v20, s[14:15]
	s_wait_loadcnt 0x0
	v_perm_b32 v1, v2, s1, 0x3020104
.LBB103_6:
	s_or_b32 exec_lo, exec_lo, s2
	v_add_nc_u32_e32 v5, 32, v11
	s_delay_alu instid0(VALU_DEP_1)
	v_cmp_gt_u32_e64 s3, s9, v5
	s_and_saveexec_b32 s1, s3
	s_cbranch_execz .LBB103_8
; %bb.7:
	v_mul_lo_u32 v3, s10, v5
	global_load_u8 v3, v3, s[14:15]
	s_wait_loadcnt 0x0
	v_perm_b32 v1, v1, v3, 0x7060004
.LBB103_8:
	s_wait_alu 0xfffe
	s_or_b32 exec_lo, exec_lo, s1
	v_add_nc_u32_e32 v16, 64, v11
	s_delay_alu instid0(VALU_DEP_1)
	v_cmp_gt_u32_e64 s1, s9, v16
	s_and_saveexec_b32 s2, s1
	s_cbranch_execz .LBB103_10
; %bb.9:
	v_mul_lo_u32 v3, s10, v16
	global_load_u8 v3, v3, s[14:15]
	s_wait_loadcnt 0x0
	v_perm_b32 v1, v1, v3, 0x7000504
.LBB103_10:
	s_or_b32 exec_lo, exec_lo, s2
	s_clause 0x1
	s_load_b32 s11, s[6:7], 0x6c
	s_load_b64 s[6:7], s[6:7], 0x0
	v_add_nc_u32_e32 v14, 0x60, v11
	s_delay_alu instid0(VALU_DEP_1)
	v_cmp_gt_u32_e64 s2, s9, v14
	s_and_saveexec_b32 s9, s2
	s_cbranch_execz .LBB103_12
; %bb.11:
	v_mul_lo_u32 v3, s10, v14
	global_load_u8 v3, v3, s[14:15]
	s_wait_loadcnt 0x0
	v_perm_b32 v1, v1, v3, 0x60504
.LBB103_12:
	s_wait_alu 0xfffe
	s_or_b32 exec_lo, exec_lo, s9
	v_lshrrev_b32_e32 v13, 5, v5
	v_lshrrev_b32_e32 v12, 5, v11
	;; [unrolled: 1-line block ×5, first 2 shown]
	v_and_b32_e32 v6, 60, v13
	v_and_b32_e32 v4, 28, v12
	;; [unrolled: 1-line block ×3, first 2 shown]
	v_lshlrev_b32_e32 v31, 2, v11
	v_lshrrev_b32_e32 v3, 8, v1
	v_add_nc_u32_e32 v22, v6, v11
	v_and_b32_e32 v6, 0x7c, v18
	v_add_nc_u32_e32 v21, v4, v11
	v_and_b32_e32 v4, 60, v17
	v_add_nc_u32_e32 v23, v7, v11
	v_lshrrev_b32_e32 v7, 24, v1
	v_add_nc_u32_e32 v25, v6, v31
	ds_store_b8 v21, v2
	ds_store_b8 v22, v3 offset:32
	v_add_nc_u32_e32 v24, v4, v11
	ds_store_b8_d16_hi v23, v1 offset:64
	ds_store_b8 v24, v7 offset:96
	s_wait_dscnt 0x0
	; wave barrier
	global_inv scope:SCOPE_SE
	ds_load_b32 v36, v25
	s_wait_kmcnt 0x0
	s_mul_i32 s4, s11, s4
	v_mul_lo_u32 v9, s12, v11
	s_add_co_i32 s4, s4, s5
	s_mov_b32 s5, 0
	v_mov_b32_e32 v1, 0
	v_dual_mov_b32 v3, 0 :: v_dual_mov_b32 v2, 0
	v_mov_b32_e32 v4, 0
	s_lshl_b64 s[4:5], s[4:5], 3
	s_wait_loadcnt_dscnt 0x0
	s_add_nc_u64 s[16:17], s[6:7], s[4:5]
	; wave barrier
	global_inv scope:SCOPE_SE
	s_and_saveexec_b32 s4, s0
	s_cbranch_execz .LBB103_14
; %bb.13:
	v_mov_b32_e32 v10, 0
	s_delay_alu instid0(VALU_DEP_1) | instskip(NEXT) | instid1(VALU_DEP_1)
	v_lshlrev_b64_e32 v[3:4], 3, v[9:10]
	v_add_co_u32 v3, vcc_lo, s16, v3
	s_delay_alu instid0(VALU_DEP_1)
	v_add_co_ci_u32_e64 v4, null, s17, v4, vcc_lo
	global_load_b64 v[3:4], v[3:4], off
.LBB103_14:
	s_or_b32 exec_lo, exec_lo, s4
	s_and_saveexec_b32 s4, s3
	s_cbranch_execz .LBB103_16
; %bb.15:
	v_mul_lo_u32 v1, s12, v5
	v_mov_b32_e32 v2, 0
	s_delay_alu instid0(VALU_DEP_1) | instskip(NEXT) | instid1(VALU_DEP_1)
	v_lshlrev_b64_e32 v[1:2], 3, v[1:2]
	v_add_co_u32 v1, vcc_lo, s16, v1
	s_wait_alu 0xfffd
	s_delay_alu instid0(VALU_DEP_2)
	v_add_co_ci_u32_e64 v2, null, s17, v2, vcc_lo
	global_load_b64 v[1:2], v[1:2], off
.LBB103_16:
	s_or_b32 exec_lo, exec_lo, s4
	v_mov_b32_e32 v5, 0
	v_dual_mov_b32 v6, 0 :: v_dual_mov_b32 v7, 0
	v_mov_b32_e32 v8, 0
	s_and_saveexec_b32 s4, s1
	s_cbranch_execz .LBB103_18
; %bb.17:
	v_mul_lo_u32 v7, s12, v16
	v_mov_b32_e32 v8, 0
	s_delay_alu instid0(VALU_DEP_1) | instskip(NEXT) | instid1(VALU_DEP_1)
	v_lshlrev_b64_e32 v[7:8], 3, v[7:8]
	v_add_co_u32 v7, vcc_lo, s16, v7
	s_wait_alu 0xfffd
	s_delay_alu instid0(VALU_DEP_2)
	v_add_co_ci_u32_e64 v8, null, s17, v8, vcc_lo
	global_load_b64 v[7:8], v[7:8], off
.LBB103_18:
	s_or_b32 exec_lo, exec_lo, s4
	s_xor_b32 s7, s8, -1
	s_and_saveexec_b32 s4, s2
	s_cbranch_execz .LBB103_20
; %bb.19:
	v_mul_lo_u32 v5, s12, v14
	v_mov_b32_e32 v6, 0
	s_delay_alu instid0(VALU_DEP_1) | instskip(NEXT) | instid1(VALU_DEP_1)
	v_lshlrev_b64_e32 v[5:6], 3, v[5:6]
	v_add_co_u32 v5, vcc_lo, s16, v5
	s_wait_alu 0xfffd
	s_delay_alu instid0(VALU_DEP_2)
	v_add_co_ci_u32_e64 v6, null, s17, v6, vcc_lo
	global_load_b64 v[5:6], v[5:6], off
.LBB103_20:
	s_or_b32 exec_lo, exec_lo, s4
	v_lshlrev_b32_e32 v14, 3, v11
	v_lshlrev_b32_e32 v10, 3, v31
	v_mbcnt_lo_u32_b32 v32, -1, 0
	v_lshrrev_b32_e32 v38, 24, v36
	v_lshrrev_b32_e32 v39, 16, v36
	v_lshl_add_u32 v26, v12, 3, v14
	v_lshl_add_u32 v30, v18, 3, v10
	v_lshl_add_u32 v27, v13, 3, v14
	v_lshl_add_u32 v28, v15, 3, v14
	v_lshl_add_u32 v29, v17, 3, v14
	s_wait_loadcnt 0x0
	ds_store_b64 v26, v[3:4]
	ds_store_b64 v27, v[1:2] offset:256
	ds_store_b64 v28, v[7:8] offset:512
	;; [unrolled: 1-line block ×3, first 2 shown]
	s_wait_dscnt 0x0
	; wave barrier
	global_inv scope:SCOPE_SE
	ds_load_2addr_b64 v[5:8], v30 offset1:1
	ds_load_2addr_b64 v[1:4], v30 offset0:2 offset1:3
	v_and_b32_e32 v37, 3, v32
	v_lshrrev_b32_e32 v40, 8, v36
	v_and_b32_e32 v34, 28, v32
	s_and_b32 vcc_lo, exec_lo, s7
	v_bfe_u32 v35, v0, 10, 10
	v_cmp_eq_u32_e64 s6, 0, v37
	v_cmp_eq_u32_e64 s5, 1, v37
	;; [unrolled: 1-line block ×3, first 2 shown]
	v_bfe_u32 v0, v0, 20, 10
	v_cmp_eq_u32_e64 s7, 3, v37
	v_lshlrev_b32_e32 v33, 5, v11
	s_mov_b32 s8, -1
	; wave barrier
	s_wait_loadcnt_dscnt 0x0
	global_inv scope:SCOPE_SE
                                        ; implicit-def: $vgpr12
	s_wait_alu 0xfffe
	s_cbranch_vccz .LBB103_32
; %bb.21:
	v_xor_b32_e32 v12, 0x80, v36
	v_xor_b32_e32 v13, 0x80, v40
	v_xor_b32_e32 v14, 0x80, v39
	v_xor_b32_e32 v17, 0x80, v38
	s_getpc_b64 s[8:9]
	s_wait_alu 0xfffe
	s_sext_i32_i16 s9, s9
	s_add_co_u32 s8, s8, _ZN7rocprim17ROCPRIM_400000_NS16block_radix_sortIaLj32ELj4ElLj1ELj1ELj0ELNS0_26block_radix_rank_algorithmE1ELNS0_18block_padding_hintE2ELNS0_4arch9wavefront6targetE0EE19radix_bits_per_passE@rel32@lo+12
	s_wait_alu 0xfffe
	s_add_co_ci_u32 s9, s9, _ZN7rocprim17ROCPRIM_400000_NS16block_radix_sortIaLj32ELj4ElLj1ELj1ELj0ELNS0_26block_radix_rank_algorithmE1ELNS0_18block_padding_hintE2ELNS0_4arch9wavefront6targetE0EE19radix_bits_per_passE@rel32@hi+24
	v_and_b32_e32 v12, 0xff, v12
	v_and_b32_e32 v13, 0xff, v13
	;; [unrolled: 1-line block ×4, first 2 shown]
	s_load_b32 s8, s[8:9], 0x0
	ds_bpermute_b32 v15, v34, v12
	ds_bpermute_b32 v16, v34, v13
	;; [unrolled: 1-line block ×4, first 2 shown]
	ds_bpermute_b32 v41, v34, v12 offset:32
	; wave barrier
	s_wait_loadcnt_dscnt 0x0
	global_inv scope:SCOPE_SE
	s_load_b32 s11, s[18:19], 0xc
	ds_bpermute_b32 v48, v34, v5
	ds_bpermute_b32 v49, v34, v6
	;; [unrolled: 1-line block ×7, first 2 shown]
	ds_bpermute_b32 v45, v34, v5 offset:32
	ds_bpermute_b32 v65, v34, v6 offset:32
	;; [unrolled: 1-line block ×4, first 2 shown]
	s_wait_kmcnt 0x0
	s_min_u32 s8, s8, 8
	v_and_b32_e32 v15, 0xff, v15
	v_and_b32_e32 v16, 0xff, v16
	;; [unrolled: 1-line block ×3, first 2 shown]
	s_wait_alu 0xfffe
	s_lshl_b32 s8, -1, s8
	ds_bpermute_b32 v53, v34, v1 offset:32
	v_cndmask_b32_e64 v15, 0, v15, s6
	s_wait_alu 0xfffe
	s_not_b32 s9, s8
	s_lshr_b32 s8, s11, 16
	s_and_b32 s11, s11, 0xffff
	ds_bpermute_b32 v55, v34, v2 offset:32
	v_cndmask_b32_e64 v15, v15, v16, s5
	ds_bpermute_b32 v51, v34, v3 offset:32
	ds_bpermute_b32 v56, v34, v4 offset:32
	;; [unrolled: 1-line block ×4, first 2 shown]
	v_cndmask_b32_e64 v15, v15, v18, s4
	v_lshlrev_b16 v18, 8, v41
	ds_bpermute_b32 v41, v34, v3
	ds_bpermute_b32 v60, v34, v7 offset:64
	ds_bpermute_b32 v63, v34, v8 offset:64
	v_perm_b32 v16, v19, v15, 0x3020104
	ds_bpermute_b32 v57, v34, v1 offset:64
	ds_bpermute_b32 v61, v34, v2 offset:64
	;; [unrolled: 1-line block ×4, first 2 shown]
	v_cndmask_b32_e64 v15, v15, v16, s7
	ds_bpermute_b32 v16, v34, v13 offset:32
	ds_bpermute_b32 v66, v34, v5 offset:96
	;; [unrolled: 1-line block ×4, first 2 shown]
	v_and_b32_e32 v19, 0xff, v15
	ds_bpermute_b32 v73, v34, v8 offset:96
	ds_bpermute_b32 v72, v34, v2 offset:96
	v_or_b32_e32 v18, v19, v18
	ds_bpermute_b32 v19, v34, v14 offset:32
	v_and_b32_e32 v18, 0xffff, v18
	s_delay_alu instid0(VALU_DEP_1) | instskip(SKIP_2) | instid1(VALU_DEP_2)
	v_cndmask_b32_e64 v15, v15, v18, s6
	s_wait_dscnt 0x6
	v_lshlrev_b16 v16, 8, v16
	v_and_b32_e32 v18, 0xff, v15
	s_delay_alu instid0(VALU_DEP_1) | instskip(NEXT) | instid1(VALU_DEP_1)
	v_or_b32_e32 v16, v18, v16
	v_and_b32_e32 v16, 0xffff, v16
	s_delay_alu instid0(VALU_DEP_1) | instskip(NEXT) | instid1(VALU_DEP_1)
	v_and_or_b32 v16, 0xffff0000, v15, v16
	v_cndmask_b32_e64 v15, v15, v16, s5
	s_wait_dscnt 0x0
	v_lshlrev_b16 v16, 8, v19
	ds_bpermute_b32 v19, v34, v17 offset:32
	v_and_b32_e32 v18, 0xff, v15
	s_delay_alu instid0(VALU_DEP_1) | instskip(NEXT) | instid1(VALU_DEP_1)
	v_or_b32_e32 v16, v18, v16
	v_and_b32_e32 v16, 0xffff, v16
	s_delay_alu instid0(VALU_DEP_1) | instskip(NEXT) | instid1(VALU_DEP_1)
	v_and_or_b32 v16, 0xffff0000, v15, v16
	v_cndmask_b32_e64 v15, v15, v16, s4
	s_wait_dscnt 0x0
	v_lshlrev_b16 v16, 8, v19
	ds_bpermute_b32 v19, v34, v12 offset:64
	ds_bpermute_b32 v12, v34, v12 offset:96
	v_and_b32_e32 v18, 0xff, v15
	s_delay_alu instid0(VALU_DEP_1) | instskip(NEXT) | instid1(VALU_DEP_1)
	v_or_b32_e32 v16, v18, v16
	v_and_b32_e32 v16, 0xffff, v16
	s_delay_alu instid0(VALU_DEP_1) | instskip(SKIP_2) | instid1(VALU_DEP_2)
	v_and_or_b32 v16, 0xffff0000, v15, v16
	s_wait_dscnt 0x0
	v_lshlrev_b16 v12, 8, v12
	v_cndmask_b32_e64 v15, v15, v16, s7
	ds_bpermute_b32 v16, v34, v13 offset:64
	ds_bpermute_b32 v13, v34, v13 offset:96
	v_perm_b32 v18, v19, v15, 0xc0c0304
	s_delay_alu instid0(VALU_DEP_1) | instskip(NEXT) | instid1(VALU_DEP_1)
	v_lshlrev_b32_e32 v18, 16, v18
	v_and_or_b32 v18, 0xffff, v15, v18
	s_delay_alu instid0(VALU_DEP_1)
	v_cndmask_b32_e64 v15, v15, v18, s6
	ds_bpermute_b32 v18, v34, v14 offset:64
	s_wait_dscnt 0x1
	v_lshlrev_b16 v13, 8, v13
	ds_bpermute_b32 v14, v34, v14 offset:96
	v_perm_b32 v16, v16, v15, 0xc0c0304
	s_delay_alu instid0(VALU_DEP_1) | instskip(NEXT) | instid1(VALU_DEP_1)
	v_lshlrev_b32_e32 v16, 16, v16
	v_and_or_b32 v16, 0xffff, v15, v16
	s_delay_alu instid0(VALU_DEP_1) | instskip(SKIP_4) | instid1(VALU_DEP_1)
	v_cndmask_b32_e64 v15, v15, v16, s5
	ds_bpermute_b32 v16, v34, v17 offset:64
	s_wait_dscnt 0x1
	v_lshlrev_b16 v14, 8, v14
	v_perm_b32 v18, v18, v15, 0xc0c0304
	v_lshlrev_b32_e32 v18, 16, v18
	s_delay_alu instid0(VALU_DEP_1) | instskip(NEXT) | instid1(VALU_DEP_1)
	v_and_or_b32 v18, 0xffff, v15, v18
	v_cndmask_b32_e64 v15, v15, v18, s4
	s_wait_dscnt 0x0
	s_delay_alu instid0(VALU_DEP_1) | instskip(NEXT) | instid1(VALU_DEP_1)
	v_perm_b32 v16, v16, v15, 0xc0c0304
	v_lshlrev_b32_e32 v16, 16, v16
	s_delay_alu instid0(VALU_DEP_1) | instskip(NEXT) | instid1(VALU_DEP_1)
	v_and_or_b32 v16, 0xffff, v15, v16
	v_cndmask_b32_e64 v15, v15, v16, s7
	s_delay_alu instid0(VALU_DEP_1) | instskip(NEXT) | instid1(VALU_DEP_1)
	v_lshrrev_b32_e32 v16, 16, v15
	v_and_b32_e32 v16, 0xff, v16
	s_delay_alu instid0(VALU_DEP_1) | instskip(NEXT) | instid1(VALU_DEP_1)
	v_or_b32_e32 v12, v16, v12
	v_lshlrev_b32_e32 v12, 16, v12
	s_delay_alu instid0(VALU_DEP_1) | instskip(NEXT) | instid1(VALU_DEP_1)
	v_and_or_b32 v12, 0xffff, v15, v12
	v_cndmask_b32_e64 v12, v15, v12, s6
	s_delay_alu instid0(VALU_DEP_1) | instskip(NEXT) | instid1(VALU_DEP_1)
	v_lshrrev_b32_e32 v15, 16, v12
	v_and_b32_e32 v15, 0xff, v15
	s_delay_alu instid0(VALU_DEP_1) | instskip(NEXT) | instid1(VALU_DEP_1)
	v_or_b32_e32 v13, v15, v13
	v_lshlrev_b32_e32 v13, 16, v13
	s_delay_alu instid0(VALU_DEP_1) | instskip(NEXT) | instid1(VALU_DEP_1)
	v_and_or_b32 v13, 0xffff, v12, v13
	v_cndmask_b32_e64 v12, v12, v13, s5
	s_delay_alu instid0(VALU_DEP_1) | instskip(NEXT) | instid1(VALU_DEP_1)
	v_lshrrev_b32_e32 v13, 16, v12
	v_and_b32_e32 v13, 0xff, v13
	s_delay_alu instid0(VALU_DEP_1) | instskip(SKIP_2) | instid1(VALU_DEP_1)
	v_or_b32_e32 v13, v13, v14
	ds_bpermute_b32 v14, v34, v17 offset:96
	v_lshlrev_b32_e32 v13, 16, v13
	v_and_or_b32 v13, 0xffff, v12, v13
	s_delay_alu instid0(VALU_DEP_1) | instskip(NEXT) | instid1(VALU_DEP_1)
	v_cndmask_b32_e64 v12, v12, v13, s4
	v_lshrrev_b32_e32 v13, 16, v12
	s_wait_dscnt 0x0
	v_lshlrev_b16 v14, 8, v14
	s_delay_alu instid0(VALU_DEP_2) | instskip(NEXT) | instid1(VALU_DEP_1)
	v_and_b32_e32 v13, 0xff, v13
	v_or_b32_e32 v13, v13, v14
	s_delay_alu instid0(VALU_DEP_1) | instskip(NEXT) | instid1(VALU_DEP_1)
	v_lshlrev_b32_e32 v13, 16, v13
	v_and_or_b32 v13, 0xffff, v12, v13
	s_delay_alu instid0(VALU_DEP_1) | instskip(SKIP_2) | instid1(VALU_DEP_2)
	v_cndmask_b32_e64 v68, v12, v13, s7
	s_wait_alu 0xfffe
	v_mad_u32_u24 v12, v0, s8, v35
	v_and_b32_e32 v14, s9, v68
	s_delay_alu instid0(VALU_DEP_1)
	v_and_b32_e32 v13, 1, v14
	v_lshlrev_b32_e32 v15, 30, v14
	v_lshlrev_b32_e32 v16, 29, v14
	;; [unrolled: 1-line block ×4, first 2 shown]
	v_add_co_u32 v13, s8, v13, -1
	s_wait_alu 0xf1ff
	v_cndmask_b32_e64 v18, 0, 1, s8
	v_not_b32_e32 v71, v15
	v_cmp_gt_i32_e64 s8, 0, v15
	v_not_b32_e32 v15, v16
	v_lshlrev_b32_e32 v69, 26, v14
	v_cmp_ne_u32_e32 vcc_lo, 0, v18
	v_ashrrev_i32_e32 v71, 31, v71
	v_lshlrev_b32_e32 v70, 25, v14
	v_ashrrev_i32_e32 v15, 31, v15
	v_lshlrev_b32_e32 v18, 24, v14
	s_wait_alu 0xfffd
	v_xor_b32_e32 v13, vcc_lo, v13
	v_cmp_gt_i32_e32 vcc_lo, 0, v16
	v_not_b32_e32 v16, v17
	s_wait_alu 0xf1ff
	v_xor_b32_e32 v71, s8, v71
	v_cmp_gt_i32_e64 s8, 0, v17
	v_and_b32_e32 v13, exec_lo, v13
	v_not_b32_e32 v17, v19
	v_ashrrev_i32_e32 v16, 31, v16
	s_wait_alu 0xfffd
	v_xor_b32_e32 v15, vcc_lo, v15
	v_cmp_gt_i32_e32 vcc_lo, 0, v19
	v_and_b32_e32 v13, v13, v71
	v_not_b32_e32 v19, v69
	v_ashrrev_i32_e32 v17, 31, v17
	s_wait_alu 0xf1ff
	v_xor_b32_e32 v16, s8, v16
	v_cmp_gt_i32_e64 s8, 0, v69
	v_and_b32_e32 v13, v13, v15
	v_not_b32_e32 v15, v70
	v_ashrrev_i32_e32 v19, 31, v19
	s_wait_alu 0xfffd
	v_xor_b32_e32 v17, vcc_lo, v17
	v_cmp_gt_i32_e32 vcc_lo, 0, v70
	v_and_b32_e32 v13, v13, v16
	v_not_b32_e32 v16, v18
	v_ashrrev_i32_e32 v15, 31, v15
	s_wait_alu 0xf1ff
	v_xor_b32_e32 v19, s8, v19
	v_cmp_gt_i32_e64 s8, 0, v18
	v_and_b32_e32 v17, v13, v17
	v_mad_co_u64_u32 v[12:13], null, v12, s11, v[11:12]
	v_ashrrev_i32_e32 v13, 31, v16
	s_wait_alu 0xfffd
	v_xor_b32_e32 v15, vcc_lo, v15
	v_and_b32_e32 v16, v17, v19
	ds_bpermute_b32 v70, v34, v1 offset:96
	ds_bpermute_b32 v69, v34, v3 offset:96
	s_wait_alu 0xf1ff
	v_xor_b32_e32 v13, s8, v13
	ds_bpermute_b32 v71, v34, v4 offset:96
	v_and_b32_e32 v15, v16, v15
	v_lshrrev_b32_e32 v12, 3, v12
	v_and_b32_e32 v14, 0xff, v14
	s_delay_alu instid0(VALU_DEP_3) | instskip(NEXT) | instid1(VALU_DEP_3)
	v_and_b32_e32 v13, v15, v13
	v_dual_mov_b32 v15, 0 :: v_dual_and_b32 v12, 0x1ffffffc, v12
	ds_store_2addr_b32 v33, v15, v15 offset0:1 offset1:2
	ds_store_2addr_b32 v33, v15, v15 offset0:3 offset1:4
	;; [unrolled: 1-line block ×4, first 2 shown]
	v_mbcnt_lo_u32_b32 v74, v13, 0
	v_cmp_ne_u32_e64 s8, 0, v13
	v_lshl_add_u32 v76, v14, 2, v12
	; wave barrier
	s_wait_loadcnt_dscnt 0x0
	global_inv scope:SCOPE_SE
	v_cmp_eq_u32_e32 vcc_lo, 0, v74
	; wave barrier
	s_and_b32 s11, s8, vcc_lo
	s_wait_alu 0xfffe
	s_and_saveexec_b32 s8, s11
; %bb.22:
	v_bcnt_u32_b32 v13, v13, 0
	ds_store_b32 v76, v13 offset:4
; %bb.23:
	s_wait_alu 0xfffe
	s_or_b32 exec_lo, exec_lo, s8
	v_lshrrev_b32_e32 v75, 8, v68
	; wave barrier
	s_delay_alu instid0(VALU_DEP_1) | instskip(NEXT) | instid1(VALU_DEP_1)
	v_and_b32_e32 v13, s9, v75
	v_and_b32_e32 v14, 1, v13
	v_lshlrev_b32_e32 v15, 30, v13
	v_lshlrev_b32_e32 v16, 29, v13
	;; [unrolled: 1-line block ×4, first 2 shown]
	v_add_co_u32 v14, s8, v14, -1
	s_wait_alu 0xf1ff
	v_cndmask_b32_e64 v18, 0, 1, s8
	v_not_b32_e32 v79, v15
	v_cmp_gt_i32_e64 s8, 0, v15
	v_not_b32_e32 v15, v16
	v_lshlrev_b32_e32 v77, 26, v13
	v_cmp_ne_u32_e32 vcc_lo, 0, v18
	v_ashrrev_i32_e32 v79, 31, v79
	v_lshlrev_b32_e32 v78, 25, v13
	v_ashrrev_i32_e32 v15, 31, v15
	v_lshlrev_b32_e32 v18, 24, v13
	s_wait_alu 0xfffd
	v_xor_b32_e32 v14, vcc_lo, v14
	v_cmp_gt_i32_e32 vcc_lo, 0, v16
	v_not_b32_e32 v16, v17
	s_wait_alu 0xf1ff
	v_xor_b32_e32 v79, s8, v79
	v_cmp_gt_i32_e64 s8, 0, v17
	v_and_b32_e32 v14, exec_lo, v14
	v_not_b32_e32 v17, v19
	v_ashrrev_i32_e32 v16, 31, v16
	s_wait_alu 0xfffd
	v_xor_b32_e32 v15, vcc_lo, v15
	v_cmp_gt_i32_e32 vcc_lo, 0, v19
	v_and_b32_e32 v14, v14, v79
	v_not_b32_e32 v19, v77
	v_ashrrev_i32_e32 v17, 31, v17
	s_wait_alu 0xf1ff
	v_xor_b32_e32 v16, s8, v16
	v_cmp_gt_i32_e64 s8, 0, v77
	v_and_b32_e32 v14, v14, v15
	v_not_b32_e32 v15, v78
	v_ashrrev_i32_e32 v19, 31, v19
	s_wait_alu 0xfffd
	v_xor_b32_e32 v17, vcc_lo, v17
	v_cmp_gt_i32_e32 vcc_lo, 0, v78
	v_and_b32_e32 v14, v14, v16
	v_not_b32_e32 v16, v18
	v_ashrrev_i32_e32 v15, 31, v15
	s_wait_alu 0xf1ff
	v_xor_b32_e32 v19, s8, v19
	v_and_b32_e32 v13, 0xff, v13
	v_and_b32_e32 v14, v14, v17
	v_cmp_gt_i32_e64 s8, 0, v18
	v_ashrrev_i32_e32 v16, 31, v16
	s_wait_alu 0xfffd
	v_xor_b32_e32 v15, vcc_lo, v15
	v_lshl_add_u32 v79, v13, 2, v12
	v_and_b32_e32 v14, v14, v19
	s_wait_alu 0xf1ff
	v_xor_b32_e32 v13, s8, v16
	ds_load_b32 v77, v79 offset:4
	v_and_b32_e32 v14, v14, v15
	; wave barrier
	s_delay_alu instid0(VALU_DEP_1) | instskip(NEXT) | instid1(VALU_DEP_1)
	v_and_b32_e32 v13, v14, v13
	v_mbcnt_lo_u32_b32 v78, v13, 0
	v_cmp_ne_u32_e64 s8, 0, v13
	s_delay_alu instid0(VALU_DEP_2)
	v_cmp_eq_u32_e32 vcc_lo, 0, v78
	s_and_b32 s11, s8, vcc_lo
	s_wait_alu 0xfffe
	s_and_saveexec_b32 s8, s11
	s_cbranch_execz .LBB103_25
; %bb.24:
	s_wait_dscnt 0x0
	v_bcnt_u32_b32 v13, v13, v77
	ds_store_b32 v79, v13 offset:4
.LBB103_25:
	s_wait_alu 0xfffe
	s_or_b32 exec_lo, exec_lo, s8
	v_lshrrev_b32_e32 v80, 16, v68
	; wave barrier
	s_delay_alu instid0(VALU_DEP_1) | instskip(NEXT) | instid1(VALU_DEP_1)
	v_and_b32_e32 v13, s9, v80
	v_and_b32_e32 v14, 1, v13
	v_lshlrev_b32_e32 v15, 30, v13
	v_lshlrev_b32_e32 v16, 29, v13
	;; [unrolled: 1-line block ×4, first 2 shown]
	v_add_co_u32 v14, s8, v14, -1
	s_wait_alu 0xf1ff
	v_cndmask_b32_e64 v18, 0, 1, s8
	v_not_b32_e32 v83, v15
	v_cmp_gt_i32_e64 s8, 0, v15
	v_not_b32_e32 v15, v16
	v_lshlrev_b32_e32 v81, 26, v13
	v_cmp_ne_u32_e32 vcc_lo, 0, v18
	v_ashrrev_i32_e32 v83, 31, v83
	v_lshlrev_b32_e32 v82, 25, v13
	v_ashrrev_i32_e32 v15, 31, v15
	v_lshlrev_b32_e32 v18, 24, v13
	s_wait_alu 0xfffd
	v_xor_b32_e32 v14, vcc_lo, v14
	v_cmp_gt_i32_e32 vcc_lo, 0, v16
	v_not_b32_e32 v16, v17
	s_wait_alu 0xf1ff
	v_xor_b32_e32 v83, s8, v83
	v_cmp_gt_i32_e64 s8, 0, v17
	v_and_b32_e32 v14, exec_lo, v14
	v_not_b32_e32 v17, v19
	v_ashrrev_i32_e32 v16, 31, v16
	s_wait_alu 0xfffd
	v_xor_b32_e32 v15, vcc_lo, v15
	v_cmp_gt_i32_e32 vcc_lo, 0, v19
	v_and_b32_e32 v14, v14, v83
	v_not_b32_e32 v19, v81
	v_ashrrev_i32_e32 v17, 31, v17
	s_wait_alu 0xf1ff
	v_xor_b32_e32 v16, s8, v16
	v_cmp_gt_i32_e64 s8, 0, v81
	v_and_b32_e32 v14, v14, v15
	v_not_b32_e32 v15, v82
	v_ashrrev_i32_e32 v19, 31, v19
	s_wait_alu 0xfffd
	v_xor_b32_e32 v17, vcc_lo, v17
	v_cmp_gt_i32_e32 vcc_lo, 0, v82
	v_and_b32_e32 v14, v14, v16
	v_not_b32_e32 v16, v18
	v_ashrrev_i32_e32 v15, 31, v15
	s_wait_alu 0xf1ff
	v_xor_b32_e32 v19, s8, v19
	v_and_b32_e32 v13, 0xff, v13
	v_and_b32_e32 v14, v14, v17
	v_cmp_gt_i32_e64 s8, 0, v18
	v_ashrrev_i32_e32 v16, 31, v16
	s_wait_alu 0xfffd
	v_xor_b32_e32 v15, vcc_lo, v15
	v_lshl_add_u32 v83, v13, 2, v12
	v_and_b32_e32 v14, v14, v19
	s_wait_alu 0xf1ff
	v_xor_b32_e32 v13, s8, v16
	ds_load_b32 v81, v83 offset:4
	v_and_b32_e32 v14, v14, v15
	; wave barrier
	s_delay_alu instid0(VALU_DEP_1) | instskip(NEXT) | instid1(VALU_DEP_1)
	v_and_b32_e32 v13, v14, v13
	v_mbcnt_lo_u32_b32 v82, v13, 0
	v_cmp_ne_u32_e64 s8, 0, v13
	s_delay_alu instid0(VALU_DEP_2)
	v_cmp_eq_u32_e32 vcc_lo, 0, v82
	s_and_b32 s11, s8, vcc_lo
	s_wait_alu 0xfffe
	s_and_saveexec_b32 s8, s11
	s_cbranch_execz .LBB103_27
; %bb.26:
	s_wait_dscnt 0x0
	v_bcnt_u32_b32 v13, v13, v81
	ds_store_b32 v83, v13 offset:4
.LBB103_27:
	s_wait_alu 0xfffe
	s_or_b32 exec_lo, exec_lo, s8
	v_lshrrev_b32_e32 v84, 24, v68
	; wave barrier
	s_delay_alu instid0(VALU_DEP_1) | instskip(NEXT) | instid1(VALU_DEP_1)
	v_and_b32_e32 v13, s9, v84
	v_and_b32_e32 v14, 1, v13
	v_lshlrev_b32_e32 v15, 30, v13
	v_lshlrev_b32_e32 v16, 29, v13
	;; [unrolled: 1-line block ×4, first 2 shown]
	v_add_co_u32 v14, s8, v14, -1
	s_wait_alu 0xf1ff
	v_cndmask_b32_e64 v18, 0, 1, s8
	v_not_b32_e32 v87, v15
	v_cmp_gt_i32_e64 s8, 0, v15
	v_not_b32_e32 v15, v16
	v_lshlrev_b32_e32 v85, 26, v13
	v_cmp_ne_u32_e32 vcc_lo, 0, v18
	v_ashrrev_i32_e32 v87, 31, v87
	v_lshlrev_b32_e32 v86, 25, v13
	v_ashrrev_i32_e32 v15, 31, v15
	v_lshlrev_b32_e32 v18, 24, v13
	s_wait_alu 0xfffd
	v_xor_b32_e32 v14, vcc_lo, v14
	v_cmp_gt_i32_e32 vcc_lo, 0, v16
	v_not_b32_e32 v16, v17
	s_wait_alu 0xf1ff
	v_xor_b32_e32 v87, s8, v87
	v_cmp_gt_i32_e64 s8, 0, v17
	v_and_b32_e32 v14, exec_lo, v14
	v_not_b32_e32 v17, v19
	v_ashrrev_i32_e32 v16, 31, v16
	s_wait_alu 0xfffd
	v_xor_b32_e32 v15, vcc_lo, v15
	v_cmp_gt_i32_e32 vcc_lo, 0, v19
	v_and_b32_e32 v14, v14, v87
	v_not_b32_e32 v19, v85
	v_ashrrev_i32_e32 v17, 31, v17
	s_wait_alu 0xf1ff
	v_xor_b32_e32 v16, s8, v16
	v_cmp_gt_i32_e64 s8, 0, v85
	v_and_b32_e32 v14, v14, v15
	v_not_b32_e32 v15, v86
	v_ashrrev_i32_e32 v19, 31, v19
	s_wait_alu 0xfffd
	v_xor_b32_e32 v17, vcc_lo, v17
	v_cmp_gt_i32_e32 vcc_lo, 0, v86
	v_and_b32_e32 v14, v14, v16
	v_not_b32_e32 v16, v18
	v_ashrrev_i32_e32 v15, 31, v15
	s_wait_alu 0xf1ff
	v_xor_b32_e32 v19, s8, v19
	v_cmp_gt_i32_e64 s8, 0, v18
	v_and_b32_e32 v14, v14, v17
	v_ashrrev_i32_e32 v16, 31, v16
	s_wait_alu 0xfffd
	v_xor_b32_e32 v15, vcc_lo, v15
	v_lshl_add_u32 v87, v13, 2, v12
	v_and_b32_e32 v14, v14, v19
	s_wait_alu 0xf1ff
	v_xor_b32_e32 v12, s8, v16
	ds_load_b32 v85, v87 offset:4
	v_and_b32_e32 v13, v14, v15
	; wave barrier
	s_delay_alu instid0(VALU_DEP_1) | instskip(NEXT) | instid1(VALU_DEP_1)
	v_and_b32_e32 v12, v13, v12
	v_mbcnt_lo_u32_b32 v86, v12, 0
	v_cmp_ne_u32_e64 s8, 0, v12
	s_delay_alu instid0(VALU_DEP_2)
	v_cmp_eq_u32_e32 vcc_lo, 0, v86
	s_and_b32 s9, s8, vcc_lo
	s_wait_alu 0xfffe
	s_and_saveexec_b32 s8, s9
	s_cbranch_execz .LBB103_29
; %bb.28:
	s_wait_dscnt 0x0
	v_bcnt_u32_b32 v12, v12, v85
	ds_store_b32 v87, v12 offset:4
.LBB103_29:
	s_wait_alu 0xfffe
	s_or_b32 exec_lo, exec_lo, s8
	; wave barrier
	; wave barrier
	s_wait_loadcnt_dscnt 0x0
	global_inv scope:SCOPE_SE
	ds_load_2addr_b32 v[18:19], v33 offset0:1 offset1:2
	ds_load_2addr_b32 v[16:17], v33 offset0:3 offset1:4
	;; [unrolled: 1-line block ×4, first 2 shown]
	s_mov_b32 s8, exec_lo
	s_wait_dscnt 0x3
	v_add_nc_u32_e32 v88, v19, v18
	s_wait_dscnt 0x2
	s_delay_alu instid0(VALU_DEP_1) | instskip(SKIP_1) | instid1(VALU_DEP_1)
	v_add3_u32 v88, v88, v16, v17
	s_wait_dscnt 0x1
	v_add3_u32 v88, v88, v14, v15
	s_wait_dscnt 0x0
	s_delay_alu instid0(VALU_DEP_1) | instskip(SKIP_1) | instid1(VALU_DEP_2)
	v_add3_u32 v13, v88, v12, v13
	v_and_b32_e32 v88, 15, v32
	v_mov_b32_dpp v89, v13 row_shr:1 row_mask:0xf bank_mask:0xf
	s_delay_alu instid0(VALU_DEP_2) | instskip(SKIP_1) | instid1(VALU_DEP_2)
	v_cmp_ne_u32_e32 vcc_lo, 0, v88
	s_wait_alu 0xfffd
	v_cndmask_b32_e32 v89, 0, v89, vcc_lo
	v_cmp_lt_u32_e32 vcc_lo, 1, v88
	s_delay_alu instid0(VALU_DEP_2) | instskip(NEXT) | instid1(VALU_DEP_1)
	v_add_nc_u32_e32 v13, v89, v13
	v_mov_b32_dpp v89, v13 row_shr:2 row_mask:0xf bank_mask:0xf
	s_wait_alu 0xfffd
	s_delay_alu instid0(VALU_DEP_1) | instskip(SKIP_1) | instid1(VALU_DEP_2)
	v_cndmask_b32_e32 v89, 0, v89, vcc_lo
	v_cmp_lt_u32_e32 vcc_lo, 3, v88
	v_add_nc_u32_e32 v13, v13, v89
	s_delay_alu instid0(VALU_DEP_1) | instskip(SKIP_1) | instid1(VALU_DEP_1)
	v_mov_b32_dpp v89, v13 row_shr:4 row_mask:0xf bank_mask:0xf
	s_wait_alu 0xfffd
	v_cndmask_b32_e32 v89, 0, v89, vcc_lo
	v_cmp_lt_u32_e32 vcc_lo, 7, v88
	s_delay_alu instid0(VALU_DEP_2) | instskip(NEXT) | instid1(VALU_DEP_1)
	v_add_nc_u32_e32 v13, v13, v89
	v_mov_b32_dpp v89, v13 row_shr:8 row_mask:0xf bank_mask:0xf
	s_wait_alu 0xfffd
	s_delay_alu instid0(VALU_DEP_1) | instskip(SKIP_1) | instid1(VALU_DEP_2)
	v_cndmask_b32_e32 v88, 0, v89, vcc_lo
	v_bfe_i32 v89, v32, 4, 1
	v_add_nc_u32_e32 v13, v13, v88
	ds_swizzle_b32 v88, v13 offset:swizzle(BROADCAST,32,15)
	s_wait_dscnt 0x0
	v_and_b32_e32 v88, v89, v88
	s_delay_alu instid0(VALU_DEP_1)
	v_add_nc_u32_e32 v13, v13, v88
	v_cmpx_eq_u32_e32 31, v11
; %bb.30:
	v_mov_b32_e32 v88, 0
	ds_store_b32 v88, v13
; %bb.31:
	s_wait_alu 0xfffe
	s_or_b32 exec_lo, exec_lo, s8
	v_sub_co_u32 v88, s8, v32, 1
	; wave barrier
	s_wait_loadcnt_dscnt 0x0
	global_inv scope:SCOPE_SE
	v_cmp_gt_i32_e32 vcc_lo, 0, v88
	s_wait_alu 0xfffd
	v_cndmask_b32_e32 v88, v88, v32, vcc_lo
	v_cmp_eq_u32_e32 vcc_lo, 0, v11
	s_delay_alu instid0(VALU_DEP_2)
	v_lshlrev_b32_e32 v88, 2, v88
	s_or_b32 s8, vcc_lo, s8
	ds_bpermute_b32 v13, v88, v13
	s_wait_dscnt 0x0
	s_wait_alu 0xfffe
	v_cndmask_b32_e64 v13, v13, 0, s8
	s_mov_b32 s8, 0
	s_delay_alu instid0(VALU_DEP_1) | instskip(NEXT) | instid1(VALU_DEP_1)
	v_add_nc_u32_e32 v18, v13, v18
	v_add_nc_u32_e32 v19, v18, v19
	s_delay_alu instid0(VALU_DEP_1) | instskip(NEXT) | instid1(VALU_DEP_1)
	v_add_nc_u32_e32 v16, v19, v16
	v_add_nc_u32_e32 v17, v16, v17
	s_delay_alu instid0(VALU_DEP_1) | instskip(NEXT) | instid1(VALU_DEP_1)
	v_add_nc_u32_e32 v14, v17, v14
	v_add_nc_u32_e32 v15, v14, v15
	s_delay_alu instid0(VALU_DEP_1)
	v_add_nc_u32_e32 v12, v15, v12
	ds_store_2addr_b32 v33, v13, v18 offset0:1 offset1:2
	ds_store_2addr_b32 v33, v19, v16 offset0:3 offset1:4
	;; [unrolled: 1-line block ×4, first 2 shown]
	; wave barrier
	s_wait_loadcnt_dscnt 0x0
	global_inv scope:SCOPE_SE
	ds_load_b32 v12, v76 offset:4
	ds_load_b32 v13, v79 offset:4
	;; [unrolled: 1-line block ×4, first 2 shown]
	v_cndmask_b32_e64 v17, 0, v48, s6
	v_cndmask_b32_e64 v16, 0, v49, s6
	; wave barrier
	s_wait_loadcnt_dscnt 0x0
	global_inv scope:SCOPE_SE
	v_cndmask_b32_e64 v18, 0, v65, s6
	v_cndmask_b32_e64 v17, v17, v47, s5
	;; [unrolled: 1-line block ×3, first 2 shown]
	v_add_nc_u32_e32 v47, v12, v74
	v_add3_u32 v48, v78, v77, v13
	v_add3_u32 v49, v82, v81, v14
	;; [unrolled: 1-line block ×3, first 2 shown]
	ds_store_b8 v47, v68
	ds_store_b8 v48, v75
	;; [unrolled: 1-line block ×4, first 2 shown]
	; wave barrier
	s_wait_loadcnt_dscnt 0x0
	global_inv scope:SCOPE_SE
	ds_load_b32 v19, v31
	v_cndmask_b32_e64 v12, 0, v45, s6
	v_cndmask_b32_e64 v13, v16, v44, s4
	;; [unrolled: 1-line block ×19, first 2 shown]
	s_wait_dscnt 0x0
	v_lshrrev_b32_e32 v42, 16, v19
	v_xor_b32_e32 v16, 0x80, v19
	v_and_b32_e32 v19, 0xffffff00, v19
	v_cndmask_b32_e64 v41, v41, v73, s5
	v_cndmask_b32_e64 v43, v43, v70, s4
	v_xor_b32_e32 v44, 0x80, v42
	v_and_b32_e32 v45, 0xff, v16
	v_and_b32_e32 v42, 0xffffff00, v42
	v_cndmask_b32_e64 v41, v41, v72, s4
	v_cndmask_b32_e64 v16, v18, v46, s7
	v_and_b32_e32 v44, 0xff, v44
	v_or_b32_e32 v45, v45, v19
	v_cndmask_b32_e64 v18, v43, v69, s7
	v_cndmask_b32_e64 v15, v15, v55, s4
	v_cndmask_b32_e64 v19, v41, v71, s7
	v_or_b32_e32 v42, v44, v42
	v_add_nc_u16 v43, 0x8000, v45
	v_lshlrev_b32_e32 v41, 3, v47
	v_cndmask_b32_e64 v15, v15, v56, s7
	v_lshlrev_b32_e32 v44, 3, v48
	v_add_nc_u16 v42, 0x8000, v42
	v_and_b32_e32 v43, 0xffff, v43
	v_lshlrev_b32_e32 v45, 3, v49
	s_wait_loadcnt 0x0
	; wave barrier
	global_inv scope:SCOPE_SE
	v_lshlrev_b32_e32 v42, 16, v42
	ds_store_b64 v41, v[12:13]
	ds_store_b64 v44, v[14:15]
	v_lshlrev_b32_e32 v46, 3, v50
	ds_store_b64 v45, v[16:17]
	ds_store_b64 v46, v[18:19]
	v_or_b32_e32 v12, v43, v42
	; wave barrier
	s_wait_loadcnt_dscnt 0x0
	global_inv scope:SCOPE_SE
.LBB103_32:
	s_wait_alu 0xfffe
	s_and_b32 vcc_lo, exec_lo, s8
	s_wait_alu 0xfffe
	s_cbranch_vccz .LBB103_44
; %bb.33:
	v_xor_b32_e32 v12, 0x7f, v36
	v_xor_b32_e32 v13, 0x7f, v40
	;; [unrolled: 1-line block ×3, first 2 shown]
	v_cmp_eq_u32_e32 vcc_lo, 3, v37
	v_xor_b32_e32 v17, 0x7f, v38
	v_and_b32_e32 v12, 0xff, v12
	v_and_b32_e32 v13, 0xff, v13
	;; [unrolled: 1-line block ×3, first 2 shown]
	s_getpc_b64 s[8:9]
	s_wait_alu 0xfffe
	s_sext_i32_i16 s9, s9
	s_add_co_u32 s8, s8, _ZN7rocprim17ROCPRIM_400000_NS16block_radix_sortIaLj32ELj4ElLj1ELj1ELj0ELNS0_26block_radix_rank_algorithmE1ELNS0_18block_padding_hintE2ELNS0_4arch9wavefront6targetE0EE19radix_bits_per_passE@rel32@lo+12
	s_wait_alu 0xfffe
	s_add_co_ci_u32 s9, s9, _ZN7rocprim17ROCPRIM_400000_NS16block_radix_sortIaLj32ELj4ElLj1ELj1ELj0ELNS0_26block_radix_rank_algorithmE1ELNS0_18block_padding_hintE2ELNS0_4arch9wavefront6targetE0EE19radix_bits_per_passE@rel32@hi+24
	v_and_b32_e32 v17, 0xffff, v17
	ds_bpermute_b32 v15, v34, v12
	ds_bpermute_b32 v16, v34, v13
	;; [unrolled: 1-line block ×3, first 2 shown]
	ds_bpermute_b32 v36, v34, v12 offset:32
	ds_bpermute_b32 v19, v34, v17
	s_load_b32 s7, s[8:9], 0x0
	; wave barrier
	s_wait_loadcnt_dscnt 0x0
	global_inv scope:SCOPE_SE
	s_load_b32 s8, s[18:19], 0xc
	ds_bpermute_b32 v40, v34, v5 offset:32
	ds_bpermute_b32 v52, v34, v5 offset:64
	;; [unrolled: 1-line block ×3, first 2 shown]
	ds_bpermute_b32 v37, v34, v6
	ds_bpermute_b32 v49, v34, v6 offset:32
	ds_bpermute_b32 v53, v34, v6 offset:64
	ds_bpermute_b32 v55, v34, v6 offset:96
	ds_bpermute_b32 v42, v34, v7 offset:32
	ds_bpermute_b32 v47, v34, v7 offset:64
	ds_bpermute_b32 v38, v34, v1 offset:32
	ds_bpermute_b32 v45, v34, v1 offset:64
	v_and_b32_e32 v15, 0xff, v15
	v_and_b32_e32 v16, 0xff, v16
	;; [unrolled: 1-line block ×3, first 2 shown]
	ds_bpermute_b32 v43, v34, v8 offset:32
	ds_bpermute_b32 v39, v34, v2 offset:32
	v_cndmask_b32_e64 v15, 0, v15, s6
	s_wait_kmcnt 0x0
	s_min_u32 s7, s7, 8
	ds_bpermute_b32 v48, v34, v8 offset:64
	s_wait_alu 0xfffe
	s_lshl_b32 s7, -1, s7
	s_and_b32 s11, s8, 0xffff
	v_cndmask_b32_e64 v15, v15, v16, s5
	s_wait_alu 0xfffe
	s_not_b32 s9, s7
	s_lshr_b32 s7, s8, 16
	ds_bpermute_b32 v46, v34, v2 offset:64
	s_wait_alu 0xfffe
	v_mad_u32_u24 v0, v0, s7, v35
	v_cndmask_b32_e64 v15, v15, v18, s4
	v_lshlrev_b16 v18, 8, v36
	ds_bpermute_b32 v36, v34, v5
	ds_bpermute_b32 v44, v34, v4 offset:64
	v_perm_b32 v16, v19, v15, 0x3020104
	s_delay_alu instid0(VALU_DEP_1) | instskip(SKIP_2) | instid1(VALU_DEP_1)
	v_cndmask_b32_e32 v15, v15, v16, vcc_lo
	ds_bpermute_b32 v16, v34, v13 offset:32
	v_and_b32_e32 v19, 0xff, v15
	v_or_b32_e32 v18, v19, v18
	ds_bpermute_b32 v19, v34, v14 offset:32
	v_and_b32_e32 v18, 0xffff, v18
	s_delay_alu instid0(VALU_DEP_1) | instskip(SKIP_2) | instid1(VALU_DEP_2)
	v_cndmask_b32_e64 v15, v15, v18, s6
	s_wait_dscnt 0x1
	v_lshlrev_b16 v16, 8, v16
	v_and_b32_e32 v18, 0xff, v15
	s_delay_alu instid0(VALU_DEP_1) | instskip(NEXT) | instid1(VALU_DEP_1)
	v_or_b32_e32 v16, v18, v16
	v_and_b32_e32 v16, 0xffff, v16
	s_delay_alu instid0(VALU_DEP_1) | instskip(NEXT) | instid1(VALU_DEP_1)
	v_and_or_b32 v16, 0xffff0000, v15, v16
	v_cndmask_b32_e64 v15, v15, v16, s5
	s_wait_dscnt 0x0
	v_lshlrev_b16 v16, 8, v19
	ds_bpermute_b32 v19, v34, v17 offset:32
	v_and_b32_e32 v18, 0xff, v15
	s_delay_alu instid0(VALU_DEP_1) | instskip(NEXT) | instid1(VALU_DEP_1)
	v_or_b32_e32 v16, v18, v16
	v_and_b32_e32 v16, 0xffff, v16
	s_delay_alu instid0(VALU_DEP_1) | instskip(NEXT) | instid1(VALU_DEP_1)
	v_and_or_b32 v16, 0xffff0000, v15, v16
	v_cndmask_b32_e64 v15, v15, v16, s4
	s_wait_dscnt 0x0
	v_lshlrev_b16 v16, 8, v19
	ds_bpermute_b32 v19, v34, v12 offset:64
	ds_bpermute_b32 v12, v34, v12 offset:96
	v_and_b32_e32 v18, 0xff, v15
	s_delay_alu instid0(VALU_DEP_1) | instskip(NEXT) | instid1(VALU_DEP_1)
	v_or_b32_e32 v16, v18, v16
	v_and_b32_e32 v16, 0xffff, v16
	s_delay_alu instid0(VALU_DEP_1) | instskip(SKIP_2) | instid1(VALU_DEP_2)
	v_and_or_b32 v16, 0xffff0000, v15, v16
	s_wait_dscnt 0x0
	v_lshlrev_b16 v12, 8, v12
	v_cndmask_b32_e32 v15, v15, v16, vcc_lo
	ds_bpermute_b32 v16, v34, v13 offset:64
	ds_bpermute_b32 v13, v34, v13 offset:96
	v_perm_b32 v18, v19, v15, 0xc0c0304
	s_delay_alu instid0(VALU_DEP_1) | instskip(NEXT) | instid1(VALU_DEP_1)
	v_lshlrev_b32_e32 v18, 16, v18
	v_and_or_b32 v18, 0xffff, v15, v18
	s_delay_alu instid0(VALU_DEP_1)
	v_cndmask_b32_e64 v15, v15, v18, s6
	ds_bpermute_b32 v18, v34, v14 offset:64
	s_wait_dscnt 0x1
	v_lshlrev_b16 v13, 8, v13
	ds_bpermute_b32 v14, v34, v14 offset:96
	v_perm_b32 v16, v16, v15, 0xc0c0304
	s_delay_alu instid0(VALU_DEP_1) | instskip(NEXT) | instid1(VALU_DEP_1)
	v_lshlrev_b32_e32 v16, 16, v16
	v_and_or_b32 v16, 0xffff, v15, v16
	s_delay_alu instid0(VALU_DEP_1) | instskip(SKIP_4) | instid1(VALU_DEP_1)
	v_cndmask_b32_e64 v15, v15, v16, s5
	ds_bpermute_b32 v16, v34, v17 offset:64
	s_wait_dscnt 0x1
	v_lshlrev_b16 v14, 8, v14
	v_perm_b32 v18, v18, v15, 0xc0c0304
	v_lshlrev_b32_e32 v18, 16, v18
	s_delay_alu instid0(VALU_DEP_1) | instskip(NEXT) | instid1(VALU_DEP_1)
	v_and_or_b32 v18, 0xffff, v15, v18
	v_cndmask_b32_e64 v15, v15, v18, s4
	ds_bpermute_b32 v18, v34, v17 offset:96
	ds_bpermute_b32 v17, v34, v8
	s_wait_dscnt 0x2
	v_perm_b32 v16, v16, v15, 0xc0c0304
	s_delay_alu instid0(VALU_DEP_1) | instskip(NEXT) | instid1(VALU_DEP_1)
	v_lshlrev_b32_e32 v16, 16, v16
	v_and_or_b32 v16, 0xffff, v15, v16
	s_delay_alu instid0(VALU_DEP_1) | instskip(SKIP_2) | instid1(VALU_DEP_2)
	v_cndmask_b32_e32 v15, v15, v16, vcc_lo
	s_wait_dscnt 0x1
	v_lshlrev_b16 v18, 8, v18
	v_lshrrev_b32_e32 v16, 16, v15
	s_delay_alu instid0(VALU_DEP_1) | instskip(NEXT) | instid1(VALU_DEP_1)
	v_and_b32_e32 v16, 0xff, v16
	v_or_b32_e32 v12, v16, v12
	ds_bpermute_b32 v16, v34, v7
	v_lshlrev_b32_e32 v12, 16, v12
	s_delay_alu instid0(VALU_DEP_1) | instskip(NEXT) | instid1(VALU_DEP_1)
	v_and_or_b32 v12, 0xffff, v15, v12
	v_cndmask_b32_e64 v12, v15, v12, s6
	s_delay_alu instid0(VALU_DEP_1) | instskip(NEXT) | instid1(VALU_DEP_1)
	v_lshrrev_b32_e32 v15, 16, v12
	v_and_b32_e32 v15, 0xff, v15
	s_delay_alu instid0(VALU_DEP_1) | instskip(SKIP_2) | instid1(VALU_DEP_1)
	v_or_b32_e32 v13, v15, v13
	ds_bpermute_b32 v15, v34, v2
	v_lshlrev_b32_e32 v13, 16, v13
	v_and_or_b32 v13, 0xffff, v12, v13
	s_delay_alu instid0(VALU_DEP_1) | instskip(NEXT) | instid1(VALU_DEP_1)
	v_cndmask_b32_e64 v13, v12, v13, s5
	v_lshrrev_b32_e32 v12, 16, v13
	s_delay_alu instid0(VALU_DEP_1) | instskip(NEXT) | instid1(VALU_DEP_1)
	v_and_b32_e32 v12, 0xff, v12
	v_or_b32_e32 v12, v12, v14
	ds_bpermute_b32 v14, v34, v1
	v_lshlrev_b32_e32 v12, 16, v12
	s_delay_alu instid0(VALU_DEP_1) | instskip(SKIP_4) | instid1(VALU_DEP_1)
	v_and_or_b32 v19, 0xffff, v13, v12
	ds_bpermute_b32 v12, v34, v3
	v_cndmask_b32_e64 v50, v13, v19, s4
	ds_bpermute_b32 v13, v34, v4
	v_lshrrev_b32_e32 v19, 16, v50
	v_and_b32_e32 v41, 0xff, v19
	ds_bpermute_b32 v19, v34, v3 offset:32
	v_or_b32_e32 v18, v41, v18
	ds_bpermute_b32 v41, v34, v4 offset:32
	v_lshlrev_b32_e32 v18, 16, v18
	s_delay_alu instid0(VALU_DEP_1) | instskip(SKIP_4) | instid1(VALU_DEP_1)
	v_and_or_b32 v51, 0xffff, v50, v18
	ds_bpermute_b32 v18, v34, v3 offset:64
	v_cndmask_b32_e32 v50, v50, v51, vcc_lo
	ds_bpermute_b32 v51, v34, v7 offset:96
	v_and_b32_e32 v58, s9, v50
	v_and_b32_e32 v5, 1, v58
	v_lshlrev_b32_e32 v6, 30, v58
	v_lshlrev_b32_e32 v7, 29, v58
	;; [unrolled: 1-line block ×4, first 2 shown]
	v_add_co_u32 v5, s7, v5, -1
	s_wait_alu 0xf1ff
	v_cndmask_b32_e64 v56, 0, 1, s7
	v_not_b32_e32 v61, v6
	v_cmp_gt_i32_e64 s8, 0, v6
	v_not_b32_e32 v6, v7
	v_lshlrev_b32_e32 v59, 26, v58
	v_cmp_ne_u32_e64 s7, 0, v56
	v_ashrrev_i32_e32 v61, 31, v61
	v_lshlrev_b32_e32 v60, 25, v58
	v_ashrrev_i32_e32 v6, 31, v6
	v_lshlrev_b32_e32 v56, 24, v58
	s_wait_alu 0xf1ff
	v_xor_b32_e32 v5, s7, v5
	v_cmp_gt_i32_e64 s7, 0, v7
	v_not_b32_e32 v7, v35
	v_xor_b32_e32 v61, s8, v61
	v_cmp_gt_i32_e64 s8, 0, v35
	v_and_b32_e32 v5, exec_lo, v5
	v_not_b32_e32 v35, v57
	v_ashrrev_i32_e32 v7, 31, v7
	s_wait_alu 0xf1ff
	v_xor_b32_e32 v6, s7, v6
	v_cmp_gt_i32_e64 s7, 0, v57
	v_and_b32_e32 v5, v5, v61
	v_not_b32_e32 v57, v59
	v_ashrrev_i32_e32 v35, 31, v35
	v_xor_b32_e32 v7, s8, v7
	v_cmp_gt_i32_e64 s8, 0, v59
	v_and_b32_e32 v5, v5, v6
	v_not_b32_e32 v6, v60
	v_ashrrev_i32_e32 v57, 31, v57
	s_wait_alu 0xf1ff
	v_xor_b32_e32 v35, s7, v35
	v_cmp_gt_i32_e64 s7, 0, v60
	v_and_b32_e32 v5, v5, v7
	v_not_b32_e32 v7, v56
	v_ashrrev_i32_e32 v59, 31, v6
	v_xor_b32_e32 v57, s8, v57
	v_cmp_gt_i32_e64 s8, 0, v56
	v_and_b32_e32 v35, v5, v35
	s_wait_dscnt 0x5
	v_mad_co_u64_u32 v[5:6], null, v0, s11, v[11:12]
	v_ashrrev_i32_e32 v0, 31, v7
	s_wait_alu 0xf1ff
	v_xor_b32_e32 v6, s7, v59
	v_and_b32_e32 v7, v35, v57
	ds_bpermute_b32 v35, v34, v1 offset:96
	ds_bpermute_b32 v57, v34, v8 offset:96
	v_xor_b32_e32 v0, s8, v0
	ds_bpermute_b32 v56, v34, v2 offset:96
	v_and_b32_e32 v1, v7, v6
	ds_bpermute_b32 v8, v34, v3 offset:96
	ds_bpermute_b32 v34, v34, v4 offset:96
	v_lshrrev_b32_e32 v2, 3, v5
	v_mov_b32_e32 v3, 0
	v_and_b32_e32 v1, v1, v0
	ds_store_2addr_b32 v33, v3, v3 offset0:1 offset1:2
	ds_store_2addr_b32 v33, v3, v3 offset0:3 offset1:4
	;; [unrolled: 1-line block ×4, first 2 shown]
	v_and_b32_e32 v0, 0x1ffffffc, v2
	v_and_b32_e32 v2, 0xff, v58
	v_mbcnt_lo_u32_b32 v58, v1, 0
	v_cmp_ne_u32_e64 s8, 0, v1
	; wave barrier
	s_wait_loadcnt_dscnt 0x0
	global_inv scope:SCOPE_SE
	v_lshl_add_u32 v60, v2, 2, v0
	v_cmp_eq_u32_e64 s7, 0, v58
	; wave barrier
	s_and_b32 s8, s8, s7
	s_wait_alu 0xfffe
	s_and_saveexec_b32 s7, s8
; %bb.34:
	v_bcnt_u32_b32 v1, v1, 0
	ds_store_b32 v60, v1 offset:4
; %bb.35:
	s_wait_alu 0xfffe
	s_or_b32 exec_lo, exec_lo, s7
	v_lshrrev_b32_e32 v59, 8, v50
	; wave barrier
	s_delay_alu instid0(VALU_DEP_1) | instskip(NEXT) | instid1(VALU_DEP_1)
	v_and_b32_e32 v1, s9, v59
	v_and_b32_e32 v2, 1, v1
	v_lshlrev_b32_e32 v3, 30, v1
	v_lshlrev_b32_e32 v4, 29, v1
	;; [unrolled: 1-line block ×4, first 2 shown]
	v_add_co_u32 v2, s7, v2, -1
	s_wait_alu 0xf1ff
	v_cndmask_b32_e64 v6, 0, 1, s7
	v_not_b32_e32 v63, v3
	v_cmp_gt_i32_e64 s8, 0, v3
	v_not_b32_e32 v3, v4
	v_lshlrev_b32_e32 v61, 26, v1
	v_cmp_ne_u32_e64 s7, 0, v6
	v_ashrrev_i32_e32 v63, 31, v63
	v_lshlrev_b32_e32 v62, 25, v1
	v_ashrrev_i32_e32 v3, 31, v3
	v_lshlrev_b32_e32 v6, 24, v1
	s_wait_alu 0xf1ff
	v_xor_b32_e32 v2, s7, v2
	v_cmp_gt_i32_e64 s7, 0, v4
	v_not_b32_e32 v4, v5
	v_xor_b32_e32 v63, s8, v63
	v_cmp_gt_i32_e64 s8, 0, v5
	v_and_b32_e32 v2, exec_lo, v2
	v_not_b32_e32 v5, v7
	v_ashrrev_i32_e32 v4, 31, v4
	s_wait_alu 0xf1ff
	v_xor_b32_e32 v3, s7, v3
	v_cmp_gt_i32_e64 s7, 0, v7
	v_and_b32_e32 v2, v2, v63
	v_not_b32_e32 v7, v61
	v_ashrrev_i32_e32 v5, 31, v5
	v_xor_b32_e32 v4, s8, v4
	v_cmp_gt_i32_e64 s8, 0, v61
	v_and_b32_e32 v2, v2, v3
	v_not_b32_e32 v3, v62
	v_ashrrev_i32_e32 v7, 31, v7
	s_wait_alu 0xf1ff
	v_xor_b32_e32 v5, s7, v5
	v_cmp_gt_i32_e64 s7, 0, v62
	v_and_b32_e32 v2, v2, v4
	v_not_b32_e32 v4, v6
	v_ashrrev_i32_e32 v3, 31, v3
	v_xor_b32_e32 v7, s8, v7
	v_and_b32_e32 v1, 0xff, v1
	v_and_b32_e32 v2, v2, v5
	v_cmp_gt_i32_e64 s8, 0, v6
	v_ashrrev_i32_e32 v4, 31, v4
	s_wait_alu 0xf1ff
	v_xor_b32_e32 v3, s7, v3
	v_lshl_add_u32 v63, v1, 2, v0
	v_and_b32_e32 v2, v2, v7
	v_xor_b32_e32 v1, s8, v4
	ds_load_b32 v61, v63 offset:4
	v_and_b32_e32 v2, v2, v3
	; wave barrier
	s_delay_alu instid0(VALU_DEP_1) | instskip(NEXT) | instid1(VALU_DEP_1)
	v_and_b32_e32 v1, v2, v1
	v_mbcnt_lo_u32_b32 v62, v1, 0
	v_cmp_ne_u32_e64 s8, 0, v1
	s_delay_alu instid0(VALU_DEP_2)
	v_cmp_eq_u32_e64 s7, 0, v62
	s_and_b32 s8, s8, s7
	s_wait_alu 0xfffe
	s_and_saveexec_b32 s7, s8
	s_cbranch_execz .LBB103_37
; %bb.36:
	s_wait_dscnt 0x0
	v_bcnt_u32_b32 v1, v1, v61
	ds_store_b32 v63, v1 offset:4
.LBB103_37:
	s_wait_alu 0xfffe
	s_or_b32 exec_lo, exec_lo, s7
	v_lshrrev_b32_e32 v64, 16, v50
	; wave barrier
	s_delay_alu instid0(VALU_DEP_1) | instskip(NEXT) | instid1(VALU_DEP_1)
	v_and_b32_e32 v1, s9, v64
	v_and_b32_e32 v2, 1, v1
	v_lshlrev_b32_e32 v3, 30, v1
	v_lshlrev_b32_e32 v4, 29, v1
	;; [unrolled: 1-line block ×4, first 2 shown]
	v_add_co_u32 v2, s7, v2, -1
	s_wait_alu 0xf1ff
	v_cndmask_b32_e64 v6, 0, 1, s7
	v_not_b32_e32 v67, v3
	v_cmp_gt_i32_e64 s8, 0, v3
	v_not_b32_e32 v3, v4
	v_lshlrev_b32_e32 v65, 26, v1
	v_cmp_ne_u32_e64 s7, 0, v6
	v_ashrrev_i32_e32 v67, 31, v67
	v_lshlrev_b32_e32 v66, 25, v1
	v_ashrrev_i32_e32 v3, 31, v3
	v_lshlrev_b32_e32 v6, 24, v1
	s_wait_alu 0xf1ff
	v_xor_b32_e32 v2, s7, v2
	v_cmp_gt_i32_e64 s7, 0, v4
	v_not_b32_e32 v4, v5
	v_xor_b32_e32 v67, s8, v67
	v_cmp_gt_i32_e64 s8, 0, v5
	v_and_b32_e32 v2, exec_lo, v2
	v_not_b32_e32 v5, v7
	v_ashrrev_i32_e32 v4, 31, v4
	s_wait_alu 0xf1ff
	v_xor_b32_e32 v3, s7, v3
	v_cmp_gt_i32_e64 s7, 0, v7
	v_and_b32_e32 v2, v2, v67
	v_not_b32_e32 v7, v65
	v_ashrrev_i32_e32 v5, 31, v5
	v_xor_b32_e32 v4, s8, v4
	v_cmp_gt_i32_e64 s8, 0, v65
	v_and_b32_e32 v2, v2, v3
	v_not_b32_e32 v3, v66
	v_ashrrev_i32_e32 v7, 31, v7
	s_wait_alu 0xf1ff
	v_xor_b32_e32 v5, s7, v5
	v_cmp_gt_i32_e64 s7, 0, v66
	v_and_b32_e32 v2, v2, v4
	v_not_b32_e32 v4, v6
	v_ashrrev_i32_e32 v3, 31, v3
	v_xor_b32_e32 v7, s8, v7
	v_and_b32_e32 v1, 0xff, v1
	v_and_b32_e32 v2, v2, v5
	v_cmp_gt_i32_e64 s8, 0, v6
	v_ashrrev_i32_e32 v4, 31, v4
	s_wait_alu 0xf1ff
	v_xor_b32_e32 v3, s7, v3
	v_lshl_add_u32 v67, v1, 2, v0
	v_and_b32_e32 v2, v2, v7
	v_xor_b32_e32 v1, s8, v4
	ds_load_b32 v65, v67 offset:4
	v_and_b32_e32 v2, v2, v3
	; wave barrier
	s_delay_alu instid0(VALU_DEP_1) | instskip(NEXT) | instid1(VALU_DEP_1)
	v_and_b32_e32 v1, v2, v1
	v_mbcnt_lo_u32_b32 v66, v1, 0
	v_cmp_ne_u32_e64 s8, 0, v1
	s_delay_alu instid0(VALU_DEP_2)
	v_cmp_eq_u32_e64 s7, 0, v66
	s_and_b32 s8, s8, s7
	s_wait_alu 0xfffe
	s_and_saveexec_b32 s7, s8
	s_cbranch_execz .LBB103_39
; %bb.38:
	s_wait_dscnt 0x0
	v_bcnt_u32_b32 v1, v1, v65
	ds_store_b32 v67, v1 offset:4
.LBB103_39:
	s_wait_alu 0xfffe
	s_or_b32 exec_lo, exec_lo, s7
	v_lshrrev_b32_e32 v68, 24, v50
	; wave barrier
	s_delay_alu instid0(VALU_DEP_1) | instskip(NEXT) | instid1(VALU_DEP_1)
	v_and_b32_e32 v1, s9, v68
	v_and_b32_e32 v2, 1, v1
	v_lshlrev_b32_e32 v3, 30, v1
	v_lshlrev_b32_e32 v4, 29, v1
	;; [unrolled: 1-line block ×4, first 2 shown]
	v_add_co_u32 v2, s7, v2, -1
	s_wait_alu 0xf1ff
	v_cndmask_b32_e64 v6, 0, 1, s7
	v_not_b32_e32 v71, v3
	v_cmp_gt_i32_e64 s8, 0, v3
	v_not_b32_e32 v3, v4
	v_lshlrev_b32_e32 v69, 26, v1
	v_cmp_ne_u32_e64 s7, 0, v6
	v_ashrrev_i32_e32 v71, 31, v71
	v_lshlrev_b32_e32 v70, 25, v1
	v_ashrrev_i32_e32 v3, 31, v3
	v_lshlrev_b32_e32 v6, 24, v1
	s_wait_alu 0xf1ff
	v_xor_b32_e32 v2, s7, v2
	v_cmp_gt_i32_e64 s7, 0, v4
	v_not_b32_e32 v4, v5
	v_xor_b32_e32 v71, s8, v71
	v_cmp_gt_i32_e64 s8, 0, v5
	v_and_b32_e32 v2, exec_lo, v2
	v_not_b32_e32 v5, v7
	v_ashrrev_i32_e32 v4, 31, v4
	s_wait_alu 0xf1ff
	v_xor_b32_e32 v3, s7, v3
	v_cmp_gt_i32_e64 s7, 0, v7
	v_and_b32_e32 v2, v2, v71
	v_not_b32_e32 v7, v69
	v_ashrrev_i32_e32 v5, 31, v5
	v_xor_b32_e32 v4, s8, v4
	v_cmp_gt_i32_e64 s8, 0, v69
	v_and_b32_e32 v2, v2, v3
	v_not_b32_e32 v3, v70
	v_ashrrev_i32_e32 v7, 31, v7
	s_wait_alu 0xf1ff
	v_xor_b32_e32 v5, s7, v5
	v_cmp_gt_i32_e64 s7, 0, v70
	v_and_b32_e32 v2, v2, v4
	v_not_b32_e32 v4, v6
	v_ashrrev_i32_e32 v3, 31, v3
	v_xor_b32_e32 v7, s8, v7
	v_cmp_gt_i32_e64 s8, 0, v6
	v_and_b32_e32 v2, v2, v5
	v_ashrrev_i32_e32 v4, 31, v4
	s_wait_alu 0xf1ff
	v_xor_b32_e32 v3, s7, v3
	v_lshl_add_u32 v71, v1, 2, v0
	v_and_b32_e32 v2, v2, v7
	v_xor_b32_e32 v0, s8, v4
	ds_load_b32 v69, v71 offset:4
	v_and_b32_e32 v1, v2, v3
	; wave barrier
	s_delay_alu instid0(VALU_DEP_1) | instskip(NEXT) | instid1(VALU_DEP_1)
	v_and_b32_e32 v0, v1, v0
	v_mbcnt_lo_u32_b32 v70, v0, 0
	v_cmp_ne_u32_e64 s8, 0, v0
	s_delay_alu instid0(VALU_DEP_2)
	v_cmp_eq_u32_e64 s7, 0, v70
	s_and_b32 s8, s8, s7
	s_wait_alu 0xfffe
	s_and_saveexec_b32 s7, s8
	s_cbranch_execz .LBB103_41
; %bb.40:
	s_wait_dscnt 0x0
	v_bcnt_u32_b32 v0, v0, v69
	ds_store_b32 v71, v0 offset:4
.LBB103_41:
	s_wait_alu 0xfffe
	s_or_b32 exec_lo, exec_lo, s7
	; wave barrier
	; wave barrier
	s_wait_loadcnt_dscnt 0x0
	global_inv scope:SCOPE_SE
	ds_load_2addr_b32 v[6:7], v33 offset0:1 offset1:2
	ds_load_2addr_b32 v[4:5], v33 offset0:3 offset1:4
	;; [unrolled: 1-line block ×4, first 2 shown]
	s_mov_b32 s8, exec_lo
	s_wait_dscnt 0x3
	v_add_nc_u32_e32 v72, v7, v6
	s_wait_dscnt 0x2
	s_delay_alu instid0(VALU_DEP_1) | instskip(SKIP_1) | instid1(VALU_DEP_1)
	v_add3_u32 v72, v72, v4, v5
	s_wait_dscnt 0x1
	v_add3_u32 v72, v72, v2, v3
	s_wait_dscnt 0x0
	s_delay_alu instid0(VALU_DEP_1) | instskip(SKIP_1) | instid1(VALU_DEP_2)
	v_add3_u32 v1, v72, v0, v1
	v_and_b32_e32 v72, 15, v32
	v_mov_b32_dpp v73, v1 row_shr:1 row_mask:0xf bank_mask:0xf
	s_delay_alu instid0(VALU_DEP_2) | instskip(SKIP_1) | instid1(VALU_DEP_1)
	v_cmp_ne_u32_e64 s7, 0, v72
	s_wait_alu 0xf1ff
	v_cndmask_b32_e64 v73, 0, v73, s7
	v_cmp_lt_u32_e64 s7, 1, v72
	s_delay_alu instid0(VALU_DEP_2) | instskip(NEXT) | instid1(VALU_DEP_1)
	v_add_nc_u32_e32 v1, v73, v1
	v_mov_b32_dpp v73, v1 row_shr:2 row_mask:0xf bank_mask:0xf
	s_wait_alu 0xf1ff
	s_delay_alu instid0(VALU_DEP_1) | instskip(SKIP_1) | instid1(VALU_DEP_2)
	v_cndmask_b32_e64 v73, 0, v73, s7
	v_cmp_lt_u32_e64 s7, 3, v72
	v_add_nc_u32_e32 v1, v1, v73
	s_delay_alu instid0(VALU_DEP_1) | instskip(SKIP_1) | instid1(VALU_DEP_1)
	v_mov_b32_dpp v73, v1 row_shr:4 row_mask:0xf bank_mask:0xf
	s_wait_alu 0xf1ff
	v_cndmask_b32_e64 v73, 0, v73, s7
	v_cmp_lt_u32_e64 s7, 7, v72
	s_delay_alu instid0(VALU_DEP_2) | instskip(NEXT) | instid1(VALU_DEP_1)
	v_add_nc_u32_e32 v1, v1, v73
	v_mov_b32_dpp v73, v1 row_shr:8 row_mask:0xf bank_mask:0xf
	s_wait_alu 0xf1ff
	s_delay_alu instid0(VALU_DEP_1) | instskip(SKIP_1) | instid1(VALU_DEP_2)
	v_cndmask_b32_e64 v72, 0, v73, s7
	v_bfe_i32 v73, v32, 4, 1
	v_add_nc_u32_e32 v1, v1, v72
	ds_swizzle_b32 v72, v1 offset:swizzle(BROADCAST,32,15)
	s_wait_dscnt 0x0
	v_and_b32_e32 v72, v73, v72
	s_delay_alu instid0(VALU_DEP_1)
	v_add_nc_u32_e32 v1, v1, v72
	v_cmpx_eq_u32_e32 31, v11
; %bb.42:
	v_mov_b32_e32 v72, 0
	ds_store_b32 v72, v1
; %bb.43:
	s_wait_alu 0xfffe
	s_or_b32 exec_lo, exec_lo, s8
	v_sub_co_u32 v72, s8, v32, 1
	; wave barrier
	s_wait_loadcnt_dscnt 0x0
	global_inv scope:SCOPE_SE
	v_cmp_gt_i32_e64 s7, 0, v72
	s_wait_alu 0xf1ff
	s_delay_alu instid0(VALU_DEP_1) | instskip(SKIP_2) | instid1(VALU_DEP_3)
	v_cndmask_b32_e64 v32, v72, v32, s7
	v_cmp_eq_u32_e64 s7, 0, v11
	v_cndmask_b32_e64 v11, 0, v52, s6
	v_lshlrev_b32_e32 v32, 2, v32
	s_or_b32 s7, s7, s8
	ds_bpermute_b32 v1, v32, v1
	v_cndmask_b32_e64 v32, 0, v53, s6
	s_wait_dscnt 0x0
	s_wait_alu 0xfffe
	v_cndmask_b32_e64 v1, v1, 0, s7
	s_delay_alu instid0(VALU_DEP_1) | instskip(NEXT) | instid1(VALU_DEP_1)
	v_add_nc_u32_e32 v6, v1, v6
	v_add_nc_u32_e32 v7, v6, v7
	s_delay_alu instid0(VALU_DEP_1) | instskip(NEXT) | instid1(VALU_DEP_1)
	v_add_nc_u32_e32 v4, v7, v4
	v_add_nc_u32_e32 v5, v4, v5
	;; [unrolled: 3-line block ×3, first 2 shown]
	s_delay_alu instid0(VALU_DEP_1)
	v_add_nc_u32_e32 v0, v3, v0
	ds_store_2addr_b32 v33, v1, v6 offset0:1 offset1:2
	ds_store_2addr_b32 v33, v7, v4 offset0:3 offset1:4
	ds_store_2addr_b32 v33, v5, v2 offset0:5 offset1:6
	ds_store_2addr_b32 v33, v3, v0 offset0:7 offset1:8
	; wave barrier
	s_wait_loadcnt_dscnt 0x0
	global_inv scope:SCOPE_SE
	ds_load_b32 v0, v60 offset:4
	ds_load_b32 v1, v63 offset:4
	;; [unrolled: 1-line block ×4, first 2 shown]
	v_cndmask_b32_e64 v5, 0, v37, s6
	v_cndmask_b32_e64 v6, 0, v40, s6
	;; [unrolled: 1-line block ×3, first 2 shown]
	; wave barrier
	s_wait_loadcnt_dscnt 0x0
	global_inv scope:SCOPE_SE
	v_cndmask_b32_e64 v4, 0, v36, s6
	v_cndmask_b32_e64 v33, 0, v54, s6
	;; [unrolled: 1-line block ×3, first 2 shown]
	v_add_nc_u32_e32 v37, v0, v58
	v_add3_u32 v40, v62, v61, v1
	v_add3_u32 v49, v66, v65, v2
	;; [unrolled: 1-line block ×3, first 2 shown]
	ds_store_b8 v37, v50
	ds_store_b8 v40, v59
	;; [unrolled: 1-line block ×4, first 2 shown]
	; wave barrier
	s_wait_loadcnt_dscnt 0x0
	global_inv scope:SCOPE_SE
	ds_load_b32 v31, v31
	v_cndmask_b32_e64 v0, v5, v17, s5
	v_cndmask_b32_e64 v1, v4, v16, s5
	;; [unrolled: 1-line block ×13, first 2 shown]
	v_dual_cndmask_b32 v1, v0, v13 :: v_dual_cndmask_b32 v0, v11, v12
	v_cndmask_b32_e64 v4, v32, v48, s5
	s_delay_alu instid0(VALU_DEP_4)
	v_cndmask_b32_e32 v3, v2, v41, vcc_lo
	v_cndmask_b32_e32 v2, v14, v19, vcc_lo
	v_cndmask_b32_e64 v15, v5, v45, s4
	s_wait_dscnt 0x0
	v_lshrrev_b32_e32 v7, 16, v31
	v_and_b32_e32 v11, 0xffffff00, v31
	v_xor_b32_e32 v12, 0x7f, v31
	v_cndmask_b32_e64 v4, v4, v46, s4
	s_wait_loadcnt 0x0
	v_and_b32_e32 v13, 0xffffff00, v7
	v_xor_b32_e32 v7, 0x7f, v7
	v_and_b32_e32 v12, 0xff, v12
	v_dual_cndmask_b32 v5, v4, v44 :: v_dual_cndmask_b32 v4, v15, v18
	s_delay_alu instid0(VALU_DEP_4) | instskip(NEXT) | instid1(VALU_DEP_4)
	v_xor_b32_e32 v13, 0x7f00, v13
	v_dual_cndmask_b32 v7, v6, v34 :: v_dual_and_b32 v14, 0xff, v7
	v_cndmask_b32_e32 v6, v16, v8, vcc_lo
	v_xor_b32_e32 v11, 0x7f00, v11
	v_lshlrev_b32_e32 v8, 3, v37
	v_lshlrev_b32_e32 v15, 3, v52
	; wave barrier
	global_inv scope:SCOPE_SE
	v_or_b32_e32 v11, v12, v11
	v_or_b32_e32 v12, v14, v13
	v_lshlrev_b32_e32 v14, 3, v49
	v_lshlrev_b32_e32 v13, 3, v40
	ds_store_b64 v8, v[0:1]
	ds_store_b64 v13, v[2:3]
	v_and_b32_e32 v11, 0xffff, v11
	v_lshlrev_b32_e32 v12, 16, v12
	ds_store_b64 v14, v[4:5]
	ds_store_b64 v15, v[6:7]
	; wave barrier
	s_wait_loadcnt_dscnt 0x0
	global_inv scope:SCOPE_SE
	v_or_b32_e32 v12, v11, v12
.LBB103_44:
	ds_load_b128 v[0:3], v10
	ds_load_b128 v[4:7], v10 offset:16
	; wave barrier
	s_wait_loadcnt_dscnt 0x0
	global_inv scope:SCOPE_SE
	ds_store_b32 v25, v12
	; wave barrier
	s_wait_loadcnt_dscnt 0x0
	global_inv scope:SCOPE_SE
	ds_load_u8 v13, v22 offset:32
	ds_load_u8 v12, v23 offset:64
	;; [unrolled: 1-line block ×3, first 2 shown]
	v_add_co_u32 v10, s4, s14, v20
	s_wait_alu 0xf1ff
	v_add_co_ci_u32_e64 v11, null, s15, 0, s4
	s_and_saveexec_b32 s4, s0
	s_cbranch_execnz .LBB103_55
; %bb.45:
	s_wait_alu 0xfffe
	s_or_b32 exec_lo, exec_lo, s4
	s_and_saveexec_b32 s4, s3
	s_cbranch_execnz .LBB103_56
.LBB103_46:
	s_wait_alu 0xfffe
	s_or_b32 exec_lo, exec_lo, s4
	s_and_saveexec_b32 s4, s1
	s_cbranch_execnz .LBB103_57
.LBB103_47:
	s_wait_alu 0xfffe
	s_or_b32 exec_lo, exec_lo, s4
	s_and_saveexec_b32 s4, s2
	s_cbranch_execz .LBB103_49
.LBB103_48:
	s_mul_i32 s5, s10, 0x60
	s_wait_alu 0xfffe
	v_add_co_u32 v10, vcc_lo, v10, s5
	s_wait_alu 0xfffd
	v_add_co_ci_u32_e64 v11, null, 0, v11, vcc_lo
	s_wait_dscnt 0x0
	global_store_b8 v[10:11], v8, off
.LBB103_49:
	s_wait_alu 0xfffe
	s_or_b32 exec_lo, exec_lo, s4
	s_wait_storecnt 0x0
	; wave barrier
	s_wait_loadcnt_dscnt 0x0
	global_inv scope:SCOPE_SE
	ds_store_2addr_b64 v30, v[0:1], v[2:3] offset1:1
	ds_store_2addr_b64 v30, v[4:5], v[6:7] offset0:2 offset1:3
	; wave barrier
	s_wait_loadcnt_dscnt 0x0
	global_inv scope:SCOPE_SE
	ds_load_b64 v[6:7], v27 offset:256
	ds_load_b64 v[4:5], v28 offset:512
	;; [unrolled: 1-line block ×3, first 2 shown]
	v_mov_b32_e32 v10, 0
	s_delay_alu instid0(VALU_DEP_1) | instskip(NEXT) | instid1(VALU_DEP_1)
	v_lshlrev_b64_e32 v[2:3], 3, v[9:10]
	v_add_co_u32 v2, vcc_lo, s16, v2
	s_wait_alu 0xfffd
	s_delay_alu instid0(VALU_DEP_2)
	v_add_co_ci_u32_e64 v3, null, s17, v3, vcc_lo
	s_and_saveexec_b32 s4, s0
	s_cbranch_execnz .LBB103_58
; %bb.50:
	s_wait_alu 0xfffe
	s_or_b32 exec_lo, exec_lo, s4
	s_and_saveexec_b32 s0, s3
	s_cbranch_execnz .LBB103_59
.LBB103_51:
	s_wait_alu 0xfffe
	s_or_b32 exec_lo, exec_lo, s0
	s_and_saveexec_b32 s0, s1
	s_cbranch_execnz .LBB103_60
.LBB103_52:
	s_wait_alu 0xfffe
	s_or_b32 exec_lo, exec_lo, s0
	s_and_saveexec_b32 s0, s2
	s_cbranch_execz .LBB103_54
.LBB103_53:
	s_mul_i32 s0, s12, 0x60
	s_mov_b32 s1, 0
	s_wait_alu 0xfffe
	s_lshl_b64 s[0:1], s[0:1], 3
	s_wait_alu 0xfffe
	v_add_co_u32 v2, vcc_lo, v2, s0
	s_wait_alu 0xfffd
	v_add_co_ci_u32_e64 v3, null, s1, v3, vcc_lo
	s_wait_dscnt 0x0
	global_store_b64 v[2:3], v[0:1], off
.LBB103_54:
	s_endpgm
.LBB103_55:
	ds_load_u8 v14, v21
	s_wait_dscnt 0x0
	global_store_b8 v[10:11], v14, off
	s_wait_alu 0xfffe
	s_or_b32 exec_lo, exec_lo, s4
	s_and_saveexec_b32 s4, s3
	s_cbranch_execz .LBB103_46
.LBB103_56:
	s_lshl_b32 s5, s10, 5
	s_wait_alu 0xfffe
	v_add_co_u32 v14, vcc_lo, v10, s5
	s_wait_alu 0xfffd
	v_add_co_ci_u32_e64 v15, null, 0, v11, vcc_lo
	s_wait_dscnt 0x2
	global_store_b8 v[14:15], v13, off
	s_or_b32 exec_lo, exec_lo, s4
	s_and_saveexec_b32 s4, s1
	s_cbranch_execz .LBB103_47
.LBB103_57:
	s_lshl_b32 s5, s10, 6
	s_wait_dscnt 0x2
	s_wait_alu 0xfffe
	v_add_co_u32 v13, vcc_lo, v10, s5
	s_wait_alu 0xfffd
	v_add_co_ci_u32_e64 v14, null, 0, v11, vcc_lo
	s_wait_dscnt 0x1
	global_store_b8 v[13:14], v12, off
	s_or_b32 exec_lo, exec_lo, s4
	s_and_saveexec_b32 s4, s2
	s_cbranch_execnz .LBB103_48
	s_branch .LBB103_49
.LBB103_58:
	ds_load_b64 v[8:9], v26
	s_wait_dscnt 0x0
	global_store_b64 v[2:3], v[8:9], off
	s_wait_alu 0xfffe
	s_or_b32 exec_lo, exec_lo, s4
	s_and_saveexec_b32 s0, s3
	s_cbranch_execz .LBB103_51
.LBB103_59:
	s_lshl_b32 s4, s12, 5
	s_mov_b32 s5, 0
	s_wait_alu 0xfffe
	s_lshl_b64 s[4:5], s[4:5], 3
	s_wait_alu 0xfffe
	v_add_co_u32 v8, vcc_lo, v2, s4
	s_wait_alu 0xfffd
	v_add_co_ci_u32_e64 v9, null, s5, v3, vcc_lo
	s_wait_dscnt 0x2
	global_store_b64 v[8:9], v[6:7], off
	s_or_b32 exec_lo, exec_lo, s0
	s_and_saveexec_b32 s0, s1
	s_cbranch_execz .LBB103_52
.LBB103_60:
	s_lshl_b32 s4, s12, 6
	s_mov_b32 s5, 0
	s_wait_alu 0xfffe
	s_lshl_b64 s[4:5], s[4:5], 3
	s_wait_dscnt 0x2
	s_wait_alu 0xfffe
	v_add_co_u32 v6, vcc_lo, v2, s4
	s_wait_alu 0xfffd
	v_add_co_ci_u32_e64 v7, null, s5, v3, vcc_lo
	s_wait_dscnt 0x1
	global_store_b64 v[6:7], v[4:5], off
	s_or_b32 exec_lo, exec_lo, s0
	s_and_saveexec_b32 s0, s2
	s_cbranch_execnz .LBB103_53
	s_branch .LBB103_54
	.section	.rodata,"a",@progbits
	.p2align	6, 0x0
	.amdhsa_kernel _ZN2at6native18radixSortKVInPlaceILin2ELin1ELi32ELi4EaljEEvNS_4cuda6detail10TensorInfoIT3_T5_EES6_S6_S6_NS4_IT4_S6_EES6_b
		.amdhsa_group_segment_fixed_size 1056
		.amdhsa_private_segment_fixed_size 0
		.amdhsa_kernarg_size 712
		.amdhsa_user_sgpr_count 2
		.amdhsa_user_sgpr_dispatch_ptr 0
		.amdhsa_user_sgpr_queue_ptr 0
		.amdhsa_user_sgpr_kernarg_segment_ptr 1
		.amdhsa_user_sgpr_dispatch_id 0
		.amdhsa_user_sgpr_private_segment_size 0
		.amdhsa_wavefront_size32 1
		.amdhsa_uses_dynamic_stack 0
		.amdhsa_enable_private_segment 0
		.amdhsa_system_sgpr_workgroup_id_x 1
		.amdhsa_system_sgpr_workgroup_id_y 1
		.amdhsa_system_sgpr_workgroup_id_z 1
		.amdhsa_system_sgpr_workgroup_info 0
		.amdhsa_system_vgpr_workitem_id 2
		.amdhsa_next_free_vgpr 90
		.amdhsa_next_free_sgpr 20
		.amdhsa_reserve_vcc 1
		.amdhsa_float_round_mode_32 0
		.amdhsa_float_round_mode_16_64 0
		.amdhsa_float_denorm_mode_32 3
		.amdhsa_float_denorm_mode_16_64 3
		.amdhsa_fp16_overflow 0
		.amdhsa_workgroup_processor_mode 1
		.amdhsa_memory_ordered 1
		.amdhsa_forward_progress 1
		.amdhsa_inst_pref_size 77
		.amdhsa_round_robin_scheduling 0
		.amdhsa_exception_fp_ieee_invalid_op 0
		.amdhsa_exception_fp_denorm_src 0
		.amdhsa_exception_fp_ieee_div_zero 0
		.amdhsa_exception_fp_ieee_overflow 0
		.amdhsa_exception_fp_ieee_underflow 0
		.amdhsa_exception_fp_ieee_inexact 0
		.amdhsa_exception_int_div_zero 0
	.end_amdhsa_kernel
	.section	.text._ZN2at6native18radixSortKVInPlaceILin2ELin1ELi32ELi4EaljEEvNS_4cuda6detail10TensorInfoIT3_T5_EES6_S6_S6_NS4_IT4_S6_EES6_b,"axG",@progbits,_ZN2at6native18radixSortKVInPlaceILin2ELin1ELi32ELi4EaljEEvNS_4cuda6detail10TensorInfoIT3_T5_EES6_S6_S6_NS4_IT4_S6_EES6_b,comdat
.Lfunc_end103:
	.size	_ZN2at6native18radixSortKVInPlaceILin2ELin1ELi32ELi4EaljEEvNS_4cuda6detail10TensorInfoIT3_T5_EES6_S6_S6_NS4_IT4_S6_EES6_b, .Lfunc_end103-_ZN2at6native18radixSortKVInPlaceILin2ELin1ELi32ELi4EaljEEvNS_4cuda6detail10TensorInfoIT3_T5_EES6_S6_S6_NS4_IT4_S6_EES6_b
                                        ; -- End function
	.set _ZN2at6native18radixSortKVInPlaceILin2ELin1ELi32ELi4EaljEEvNS_4cuda6detail10TensorInfoIT3_T5_EES6_S6_S6_NS4_IT4_S6_EES6_b.num_vgpr, 90
	.set _ZN2at6native18radixSortKVInPlaceILin2ELin1ELi32ELi4EaljEEvNS_4cuda6detail10TensorInfoIT3_T5_EES6_S6_S6_NS4_IT4_S6_EES6_b.num_agpr, 0
	.set _ZN2at6native18radixSortKVInPlaceILin2ELin1ELi32ELi4EaljEEvNS_4cuda6detail10TensorInfoIT3_T5_EES6_S6_S6_NS4_IT4_S6_EES6_b.numbered_sgpr, 20
	.set _ZN2at6native18radixSortKVInPlaceILin2ELin1ELi32ELi4EaljEEvNS_4cuda6detail10TensorInfoIT3_T5_EES6_S6_S6_NS4_IT4_S6_EES6_b.num_named_barrier, 0
	.set _ZN2at6native18radixSortKVInPlaceILin2ELin1ELi32ELi4EaljEEvNS_4cuda6detail10TensorInfoIT3_T5_EES6_S6_S6_NS4_IT4_S6_EES6_b.private_seg_size, 0
	.set _ZN2at6native18radixSortKVInPlaceILin2ELin1ELi32ELi4EaljEEvNS_4cuda6detail10TensorInfoIT3_T5_EES6_S6_S6_NS4_IT4_S6_EES6_b.uses_vcc, 1
	.set _ZN2at6native18radixSortKVInPlaceILin2ELin1ELi32ELi4EaljEEvNS_4cuda6detail10TensorInfoIT3_T5_EES6_S6_S6_NS4_IT4_S6_EES6_b.uses_flat_scratch, 0
	.set _ZN2at6native18radixSortKVInPlaceILin2ELin1ELi32ELi4EaljEEvNS_4cuda6detail10TensorInfoIT3_T5_EES6_S6_S6_NS4_IT4_S6_EES6_b.has_dyn_sized_stack, 0
	.set _ZN2at6native18radixSortKVInPlaceILin2ELin1ELi32ELi4EaljEEvNS_4cuda6detail10TensorInfoIT3_T5_EES6_S6_S6_NS4_IT4_S6_EES6_b.has_recursion, 0
	.set _ZN2at6native18radixSortKVInPlaceILin2ELin1ELi32ELi4EaljEEvNS_4cuda6detail10TensorInfoIT3_T5_EES6_S6_S6_NS4_IT4_S6_EES6_b.has_indirect_call, 0
	.section	.AMDGPU.csdata,"",@progbits
; Kernel info:
; codeLenInByte = 9840
; TotalNumSgprs: 22
; NumVgprs: 90
; ScratchSize: 0
; MemoryBound: 0
; FloatMode: 240
; IeeeMode: 1
; LDSByteSize: 1056 bytes/workgroup (compile time only)
; SGPRBlocks: 0
; VGPRBlocks: 11
; NumSGPRsForWavesPerEU: 22
; NumVGPRsForWavesPerEU: 90
; Occupancy: 16
; WaveLimiterHint : 1
; COMPUTE_PGM_RSRC2:SCRATCH_EN: 0
; COMPUTE_PGM_RSRC2:USER_SGPR: 2
; COMPUTE_PGM_RSRC2:TRAP_HANDLER: 0
; COMPUTE_PGM_RSRC2:TGID_X_EN: 1
; COMPUTE_PGM_RSRC2:TGID_Y_EN: 1
; COMPUTE_PGM_RSRC2:TGID_Z_EN: 1
; COMPUTE_PGM_RSRC2:TIDIG_COMP_CNT: 2
	.section	.text._ZN2at6native18radixSortKVInPlaceILin2ELin1ELi16ELi2EaljEEvNS_4cuda6detail10TensorInfoIT3_T5_EES6_S6_S6_NS4_IT4_S6_EES6_b,"axG",@progbits,_ZN2at6native18radixSortKVInPlaceILin2ELin1ELi16ELi2EaljEEvNS_4cuda6detail10TensorInfoIT3_T5_EES6_S6_S6_NS4_IT4_S6_EES6_b,comdat
	.protected	_ZN2at6native18radixSortKVInPlaceILin2ELin1ELi16ELi2EaljEEvNS_4cuda6detail10TensorInfoIT3_T5_EES6_S6_S6_NS4_IT4_S6_EES6_b ; -- Begin function _ZN2at6native18radixSortKVInPlaceILin2ELin1ELi16ELi2EaljEEvNS_4cuda6detail10TensorInfoIT3_T5_EES6_S6_S6_NS4_IT4_S6_EES6_b
	.globl	_ZN2at6native18radixSortKVInPlaceILin2ELin1ELi16ELi2EaljEEvNS_4cuda6detail10TensorInfoIT3_T5_EES6_S6_S6_NS4_IT4_S6_EES6_b
	.p2align	8
	.type	_ZN2at6native18radixSortKVInPlaceILin2ELin1ELi16ELi2EaljEEvNS_4cuda6detail10TensorInfoIT3_T5_EES6_S6_S6_NS4_IT4_S6_EES6_b,@function
_ZN2at6native18radixSortKVInPlaceILin2ELin1ELi16ELi2EaljEEvNS_4cuda6detail10TensorInfoIT3_T5_EES6_S6_S6_NS4_IT4_S6_EES6_b: ; @_ZN2at6native18radixSortKVInPlaceILin2ELin1ELi16ELi2EaljEEvNS_4cuda6detail10TensorInfoIT3_T5_EES6_S6_S6_NS4_IT4_S6_EES6_b
; %bb.0:
	s_clause 0x1
	s_load_b64 s[2:3], s[0:1], 0x1c8
	s_load_b96 s[8:10], s[0:1], 0xd8
	s_lshr_b32 s4, ttmp7, 16
	s_wait_kmcnt 0x0
	s_mul_i32 s3, s3, s4
	s_and_b32 s4, ttmp7, 0xffff
	s_delay_alu instid0(SALU_CYCLE_1) | instskip(NEXT) | instid1(SALU_CYCLE_1)
	s_add_co_i32 s3, s3, s4
	s_mul_i32 s11, s3, s2
	s_delay_alu instid0(SALU_CYCLE_1) | instskip(NEXT) | instid1(SALU_CYCLE_1)
	s_add_co_i32 s11, s11, ttmp9
	s_cmp_ge_u32 s11, s8
	s_cbranch_scc1 .LBB104_68
; %bb.1:
	s_load_b32 s6, s[0:1], 0x1b8
	s_add_nc_u64 s[4:5], s[0:1], 0xe8
	s_mov_b32 s3, 0
	s_mov_b32 s2, s11
	s_wait_kmcnt 0x0
	s_cmp_lt_i32 s6, 2
	s_cbranch_scc1 .LBB104_4
; %bb.2:
	s_add_co_i32 s2, s6, -1
	s_add_co_i32 s8, s6, 1
	s_lshl_b64 s[12:13], s[2:3], 2
	s_mov_b32 s2, s11
	s_add_nc_u64 s[12:13], s[4:5], s[12:13]
	s_delay_alu instid0(SALU_CYCLE_1)
	s_add_nc_u64 s[6:7], s[12:13], 8
.LBB104_3:                              ; =>This Inner Loop Header: Depth=1
	s_clause 0x1
	s_load_b32 s12, s[6:7], 0x0
	s_load_b32 s13, s[6:7], 0x64
	s_mov_b32 s16, s2
	s_add_nc_u64 s[6:7], s[6:7], -4
	s_wait_kmcnt 0x0
	s_cvt_f32_u32 s14, s12
	s_sub_co_i32 s15, 0, s12
	s_wait_alu 0xfffe
	s_delay_alu instid0(SALU_CYCLE_1) | instskip(NEXT) | instid1(TRANS32_DEP_1)
	v_rcp_iflag_f32_e32 v1, s14
	v_readfirstlane_b32 s14, v1
	s_mul_f32 s14, s14, 0x4f7ffffe
	s_wait_alu 0xfffe
	s_delay_alu instid0(SALU_CYCLE_2) | instskip(SKIP_1) | instid1(SALU_CYCLE_2)
	s_cvt_u32_f32 s14, s14
	s_wait_alu 0xfffe
	s_mul_i32 s15, s15, s14
	s_wait_alu 0xfffe
	s_mul_hi_u32 s15, s14, s15
	s_wait_alu 0xfffe
	s_add_co_i32 s14, s14, s15
	s_wait_alu 0xfffe
	s_mul_hi_u32 s2, s2, s14
	s_delay_alu instid0(SALU_CYCLE_1)
	s_mul_i32 s14, s2, s12
	s_add_co_i32 s15, s2, 1
	s_wait_alu 0xfffe
	s_sub_co_i32 s14, s16, s14
	s_wait_alu 0xfffe
	s_sub_co_i32 s17, s14, s12
	s_cmp_ge_u32 s14, s12
	s_cselect_b32 s2, s15, s2
	s_cselect_b32 s14, s17, s14
	s_add_co_i32 s15, s2, 1
	s_wait_alu 0xfffe
	s_cmp_ge_u32 s14, s12
	s_cselect_b32 s2, s15, s2
	s_add_co_i32 s8, s8, -1
	s_mul_i32 s12, s2, s12
	s_delay_alu instid0(SALU_CYCLE_1) | instskip(NEXT) | instid1(SALU_CYCLE_1)
	s_sub_co_i32 s12, s16, s12
	s_mul_i32 s12, s13, s12
	s_delay_alu instid0(SALU_CYCLE_1)
	s_add_co_i32 s3, s12, s3
	s_cmp_gt_u32 s8, 2
	s_cbranch_scc1 .LBB104_3
.LBB104_4:
	s_clause 0x2
	s_load_b64 s[6:7], s[0:1], 0x0
	s_load_b32 s8, s[0:1], 0x6c
	s_load_b64 s[12:13], s[0:1], 0x1c0
	s_movk_i32 s1, 0x8000
	s_mov_b32 s0, 0xff80
	v_mul_lo_u32 v20, s10, v0
	s_mov_b32 s15, 0
	s_wait_kmcnt 0x0
	s_mul_i32 s14, s8, s11
	s_bitcmp1_b32 s13, 0
	s_movk_i32 s8, 0x80
	s_cselect_b32 s11, -1, 0
	s_wait_alu 0xfffe
	s_add_nc_u64 s[14:15], s[6:7], s[14:15]
	s_and_b32 s13, s11, exec_lo
	s_cselect_b32 s1, s1, 0x7f00
	s_cselect_b32 s8, s8, 0x7f
	;; [unrolled: 1-line block ×3, first 2 shown]
	s_or_b32 s0, s8, s1
	v_mov_b32_e32 v1, s13
	s_and_b32 s1, s0, 0xffff
	v_cmp_gt_u32_e64 s0, s9, v0
	v_mov_b32_e32 v2, s1
	s_and_saveexec_b32 s6, s0
	s_cbranch_execz .LBB104_6
; %bb.5:
	global_load_u8 v1, v20, s[14:15]
	s_wait_loadcnt 0x0
	v_perm_b32 v2, v1, s1, 0xc0c0104
.LBB104_6:
	s_or_b32 exec_lo, exec_lo, s6
	s_clause 0x1
	s_load_b32 s6, s[4:5], 0x6c
	s_load_b64 s[4:5], s[4:5], 0x0
	v_or_b32_e32 v3, 16, v0
	s_delay_alu instid0(VALU_DEP_1)
	v_cmp_gt_u32_e64 s1, s9, v3
	s_and_saveexec_b32 s7, s1
	s_cbranch_execz .LBB104_8
; %bb.7:
	v_mul_lo_u32 v4, s10, v3
	global_load_u8 v4, v4, s[14:15]
	s_wait_loadcnt 0x0
	v_perm_b32 v2, v2, v4, 0xc0c0004
.LBB104_8:
	s_or_b32 exec_lo, exec_lo, s7
	v_dual_mov_b32 v18, 0 :: v_dual_lshlrev_b32 v21, 1, v0
	s_delay_alu instid0(VALU_DEP_2)
	v_lshrrev_b16 v2, 8, v2
	s_wait_kmcnt 0x0
	s_mul_i32 s2, s6, s2
	ds_store_b8 v0, v1
	ds_store_b8 v0, v2 offset:16
	s_wait_dscnt 0x0
	; wave barrier
	global_inv scope:SCOPE_SE
	ds_load_u16 v26, v21
	v_mul_lo_u32 v17, s12, v0
	s_add_co_i32 s2, s2, s3
	s_mov_b32 s3, 0
	v_mov_b32_e32 v1, 0
	v_dual_mov_b32 v2, 0 :: v_dual_mov_b32 v19, v18
	s_lshl_b64 s[2:3], s[2:3], 3
	s_wait_loadcnt_dscnt 0x0
	s_add_nc_u64 s[8:9], s[4:5], s[2:3]
	; wave barrier
	global_inv scope:SCOPE_SE
	s_and_saveexec_b32 s2, s0
	s_cbranch_execz .LBB104_10
; %bb.9:
	v_lshlrev_b64_e32 v[1:2], 3, v[17:18]
	v_mov_b32_e32 v19, v18
	s_wait_alu 0xfffe
	s_delay_alu instid0(VALU_DEP_2) | instskip(NEXT) | instid1(VALU_DEP_1)
	v_add_co_u32 v1, vcc_lo, s8, v1
	v_add_co_ci_u32_e64 v2, null, s9, v2, vcc_lo
	global_load_b64 v[1:2], v[1:2], off
.LBB104_10:
	s_or_b32 exec_lo, exec_lo, s2
	s_xor_b32 s16, s11, -1
	s_and_saveexec_b32 s2, s1
	s_cbranch_execz .LBB104_12
; %bb.11:
	v_mul_lo_u32 v3, s12, v3
	v_mov_b32_e32 v4, 0
	s_delay_alu instid0(VALU_DEP_1) | instskip(SKIP_1) | instid1(VALU_DEP_1)
	v_lshlrev_b64_e32 v[3:4], 3, v[3:4]
	s_wait_alu 0xfffe
	v_add_co_u32 v3, vcc_lo, s8, v3
	s_wait_alu 0xfffd
	s_delay_alu instid0(VALU_DEP_2)
	v_add_co_ci_u32_e64 v4, null, s9, v4, vcc_lo
	global_load_b64 v[18:19], v[3:4], off
.LBB104_12:
	s_or_b32 exec_lo, exec_lo, s2
	v_mbcnt_lo_u32_b32 v5, -1, 0
	v_lshlrev_b32_e32 v23, 3, v21
	s_getpc_b64 s[2:3]
	s_sext_i32_i16 s3, s3
	s_add_co_u32 s2, s2, _ZN7rocprim17ROCPRIM_400000_NS16block_radix_sortIaLj16ELj2ElLj1ELj1ELj0ELNS0_26block_radix_rank_algorithmE1ELNS0_18block_padding_hintE2ELNS0_4arch9wavefront6targetE0EE19radix_bits_per_passE@rel32@lo+8
	s_add_co_ci_u32 s3, s3, _ZN7rocprim17ROCPRIM_400000_NS16block_radix_sortIaLj16ELj2ElLj1ELj1ELj0ELNS0_26block_radix_rank_algorithmE1ELNS0_18block_padding_hintE2ELNS0_4arch9wavefront6targetE0EE19radix_bits_per_passE@rel32@hi+16
	v_lshlrev_b32_e32 v24, 5, v0
	s_load_b32 s13, s[2:3], 0x0
	v_sub_co_u32 v7, s11, v5, 1
	v_and_b32_e32 v8, 16, v5
	v_and_b32_e32 v6, 15, v5
	v_lshrrev_b16 v27, 8, v26
	v_cmp_gt_u32_e64 s7, 0x80, v0
	v_cmp_eq_u32_e64 s2, 15, v0
	v_cmp_lt_i32_e32 vcc_lo, v7, v8
	v_lshlrev_b32_e32 v22, 3, v0
	v_cmp_eq_u32_e64 s5, 0, v6
	v_cmp_lt_u32_e64 s3, 1, v6
	v_cmp_lt_u32_e64 s6, 3, v6
	s_wait_alu 0xfffd
	v_cndmask_b32_e32 v5, v7, v5, vcc_lo
	s_wait_loadcnt 0x0
	ds_store_2addr_b64 v22, v[1:2], v[18:19] offset1:16
	s_wait_dscnt 0x0
	; wave barrier
	global_inv scope:SCOPE_SE
	ds_load_2addr_b64 v[1:4], v23 offset1:1
	v_mad_i32_i24 v19, 0xffffffe2, v0, v24
	v_cmp_lt_u32_e64 s4, 7, v6
	v_lshlrev_b32_e32 v25, 2, v5
	s_mov_b32 s17, -1
	s_and_b32 vcc_lo, exec_lo, s16
	v_mad_u32_u24 v18, v0, 14, v19
	s_wait_kmcnt 0x0
	s_min_u32 s16, s13, 8
	; wave barrier
	s_wait_loadcnt_dscnt 0x0
	global_inv scope:SCOPE_SE
	s_wait_alu 0xfffe
	s_cbranch_vccz .LBB104_36
; %bb.13:
	s_and_saveexec_b32 s17, s7
	s_cbranch_execz .LBB104_22
; %bb.14:
	v_dual_mov_b32 v6, 0 :: v_dual_lshlrev_b32 v5, 2, v0
	v_cmp_gt_u32_e32 vcc_lo, 0x70, v0
	ds_store_b32 v5, v6
	s_and_b32 exec_lo, exec_lo, vcc_lo
	s_cbranch_execz .LBB104_22
; %bb.15:
	v_cmp_gt_u32_e32 vcc_lo, 0x60, v0
	ds_store_b32 v5, v6 offset:64
	s_and_b32 exec_lo, exec_lo, vcc_lo
	s_cbranch_execz .LBB104_22
; %bb.16:
	v_mov_b32_e32 v6, 0
	v_cmp_gt_u32_e32 vcc_lo, 0x50, v0
	ds_store_b32 v5, v6 offset:128
	s_and_b32 exec_lo, exec_lo, vcc_lo
	s_cbranch_execz .LBB104_22
; %bb.17:
	v_cmp_gt_u32_e32 vcc_lo, 64, v0
	ds_store_b32 v5, v6 offset:192
	s_and_b32 exec_lo, exec_lo, vcc_lo
	s_cbranch_execz .LBB104_22
; %bb.18:
	v_mov_b32_e32 v6, 0
	v_cmp_gt_u32_e32 vcc_lo, 48, v0
	ds_store_b32 v5, v6 offset:256
	;; [unrolled: 11-line block ×3, first 2 shown]
	s_and_b32 exec_lo, exec_lo, vcc_lo
; %bb.21:
	ds_store_b32 v5, v6 offset:448
.LBB104_22:
	s_or_b32 exec_lo, exec_lo, s17
	v_xor_b32_e32 v13, 0xffffff80, v26
	s_lshl_b32 s17, -1, s16
	v_xor_b32_e32 v14, 0xffffff80, v27
	s_not_b32 s17, s17
	s_delay_alu instid0(VALU_DEP_2) | instid1(SALU_CYCLE_1)
	v_and_b32_e32 v5, s17, v13
	s_delay_alu instid0(VALU_DEP_1) | instskip(SKIP_1) | instid1(VALU_DEP_2)
	v_lshlrev_b32_e32 v6, 4, v5
	v_lshrrev_b32_e32 v5, 2, v5
	v_and_or_b32 v6, 0x70, v6, v0
	s_delay_alu instid0(VALU_DEP_2) | instskip(NEXT) | instid1(VALU_DEP_1)
	v_and_b32_e32 v5, 62, v5
	v_lshl_add_u32 v16, v6, 2, v5
	v_and_b32_e32 v5, s17, v14
	ds_load_u16 v15, v16
	v_lshlrev_b32_e32 v6, 4, v5
	v_lshrrev_b32_e32 v5, 2, v5
	s_delay_alu instid0(VALU_DEP_2) | instskip(NEXT) | instid1(VALU_DEP_2)
	v_and_or_b32 v6, 0x70, v6, v0
	v_and_b32_e32 v5, 62, v5
	s_delay_alu instid0(VALU_DEP_1)
	v_lshl_add_u32 v28, v6, 2, v5
	s_wait_dscnt 0x0
	v_add_nc_u16 v7, v15, 1
	ds_store_b16 v16, v7
	ds_load_u16 v30, v28
	s_wait_dscnt 0x0
	v_add_nc_u16 v5, v30, 1
	ds_store_b16 v28, v5
	; wave barrier
	s_wait_loadcnt_dscnt 0x0
	global_inv scope:SCOPE_SE
	ds_load_b128 v[9:12], v24
	ds_load_b128 v[5:8], v24 offset:16
	s_wait_dscnt 0x1
	v_add_nc_u32_e32 v29, v10, v9
	s_delay_alu instid0(VALU_DEP_1) | instskip(SKIP_1) | instid1(VALU_DEP_1)
	v_add3_u32 v29, v29, v11, v12
	s_wait_dscnt 0x0
	v_add3_u32 v29, v29, v5, v6
	s_delay_alu instid0(VALU_DEP_1) | instskip(NEXT) | instid1(VALU_DEP_1)
	v_add3_u32 v8, v29, v7, v8
	v_mov_b32_dpp v29, v8 row_shr:1 row_mask:0xf bank_mask:0xf
	s_delay_alu instid0(VALU_DEP_1) | instskip(NEXT) | instid1(VALU_DEP_1)
	v_cndmask_b32_e64 v29, v29, 0, s5
	v_add_nc_u32_e32 v8, v29, v8
	s_delay_alu instid0(VALU_DEP_1) | instskip(NEXT) | instid1(VALU_DEP_1)
	v_mov_b32_dpp v29, v8 row_shr:2 row_mask:0xf bank_mask:0xf
	v_cndmask_b32_e64 v29, 0, v29, s3
	s_delay_alu instid0(VALU_DEP_1) | instskip(NEXT) | instid1(VALU_DEP_1)
	v_add_nc_u32_e32 v8, v8, v29
	v_mov_b32_dpp v29, v8 row_shr:4 row_mask:0xf bank_mask:0xf
	s_delay_alu instid0(VALU_DEP_1) | instskip(NEXT) | instid1(VALU_DEP_1)
	v_cndmask_b32_e64 v29, 0, v29, s6
	v_add_nc_u32_e32 v8, v8, v29
	s_delay_alu instid0(VALU_DEP_1) | instskip(NEXT) | instid1(VALU_DEP_1)
	v_mov_b32_dpp v29, v8 row_shr:8 row_mask:0xf bank_mask:0xf
	v_cndmask_b32_e64 v29, 0, v29, s4
	s_delay_alu instid0(VALU_DEP_1)
	v_add_nc_u32_e32 v8, v8, v29
	s_and_saveexec_b32 s17, s2
; %bb.23:
	v_mov_b32_e32 v29, 0
	ds_store_b32 v29, v8 offset:512
; %bb.24:
	s_wait_alu 0xfffe
	s_or_b32 exec_lo, exec_lo, s17
	ds_bpermute_b32 v8, v25, v8
	v_mov_b32_e32 v29, 0
	; wave barrier
	s_wait_loadcnt_dscnt 0x0
	global_inv scope:SCOPE_SE
	ds_load_b32 v31, v29 offset:512
	v_cndmask_b32_e64 v8, v8, 0, s11
	s_wait_dscnt 0x0
	s_delay_alu instid0(VALU_DEP_1) | instskip(NEXT) | instid1(VALU_DEP_1)
	v_lshl_add_u32 v8, v31, 16, v8
	v_add_nc_u32_e32 v9, v8, v9
	s_delay_alu instid0(VALU_DEP_1) | instskip(NEXT) | instid1(VALU_DEP_1)
	v_add_nc_u32_e32 v10, v9, v10
	v_add_nc_u32_e32 v11, v10, v11
	s_delay_alu instid0(VALU_DEP_1) | instskip(NEXT) | instid1(VALU_DEP_1)
	v_add_nc_u32_e32 v31, v11, v12
	;; [unrolled: 3-line block ×3, first 2 shown]
	v_add_nc_u32_e32 v34, v33, v7
	v_and_b32_e32 v7, 0xffff, v15
	ds_store_b128 v24, v[8:11]
	ds_store_b128 v24, v[31:34] offset:16
	; wave barrier
	s_wait_loadcnt_dscnt 0x0
	global_inv scope:SCOPE_SE
	ds_load_u16 v5, v16
	ds_load_u16 v6, v28
	v_and_b32_e32 v8, 0xffff, v30
	; wave barrier
	s_wait_loadcnt_dscnt 0x0
	global_inv scope:SCOPE_SE
	v_add_nc_u32_e32 v5, v5, v7
	v_add_nc_u32_e32 v6, v6, v8
	ds_store_b8 v5, v13
	ds_store_b8 v6, v14
	v_lshlrev_b32_e32 v5, 3, v5
	v_lshlrev_b32_e32 v6, 3, v6
	; wave barrier
	s_wait_loadcnt_dscnt 0x0
	global_inv scope:SCOPE_SE
	ds_load_u16 v28, v19
	; wave barrier
	s_wait_loadcnt_dscnt 0x0
	global_inv scope:SCOPE_SE
	ds_store_b64 v5, v[1:2]
	ds_store_b64 v6, v[3:4]
	; wave barrier
	s_wait_loadcnt_dscnt 0x0
	global_inv scope:SCOPE_SE
	ds_load_b128 v[5:8], v18
	; wave barrier
	s_wait_loadcnt_dscnt 0x0
	global_inv scope:SCOPE_SE
	s_and_saveexec_b32 s17, s7
	s_cbranch_execz .LBB104_33
; %bb.25:
	v_lshlrev_b32_e32 v9, 2, v0
	v_cmp_gt_u32_e32 vcc_lo, 0x70, v0
	ds_store_b32 v9, v29
	s_and_b32 exec_lo, exec_lo, vcc_lo
	s_cbranch_execz .LBB104_33
; %bb.26:
	v_mov_b32_e32 v10, 0
	v_cmp_gt_u32_e32 vcc_lo, 0x60, v0
	ds_store_b32 v9, v10 offset:64
	s_and_b32 exec_lo, exec_lo, vcc_lo
	s_cbranch_execz .LBB104_33
; %bb.27:
	v_cmp_gt_u32_e32 vcc_lo, 0x50, v0
	ds_store_b32 v9, v10 offset:128
	s_and_b32 exec_lo, exec_lo, vcc_lo
	s_cbranch_execz .LBB104_33
; %bb.28:
	v_mov_b32_e32 v10, 0
	v_cmp_gt_u32_e32 vcc_lo, 64, v0
	ds_store_b32 v9, v10 offset:192
	s_and_b32 exec_lo, exec_lo, vcc_lo
	s_cbranch_execz .LBB104_33
; %bb.29:
	v_cmp_gt_u32_e32 vcc_lo, 48, v0
	ds_store_b32 v9, v10 offset:256
	;; [unrolled: 11-line block ×3, first 2 shown]
	s_and_b32 exec_lo, exec_lo, vcc_lo
; %bb.32:
	v_mov_b32_e32 v10, 0
	ds_store_b32 v9, v10 offset:448
.LBB104_33:
	s_wait_alu 0xfffe
	s_or_b32 exec_lo, exec_lo, s17
	v_lshrrev_b16 v9, 4, v28
	s_min_u32 s17, s13, 4
	s_wait_alu 0xfffe
	s_lshl_b32 s17, -1, s17
	s_wait_alu 0xfffe
	s_not_b32 s17, s17
	v_and_b32_e32 v9, 15, v9
	s_delay_alu instid0(VALU_DEP_1) | instskip(SKIP_1) | instid1(VALU_DEP_1)
	v_and_b32_e32 v9, 0xffff, v9
	s_wait_alu 0xfffe
	v_and_b32_e32 v9, s17, v9
	s_delay_alu instid0(VALU_DEP_1) | instskip(SKIP_1) | instid1(VALU_DEP_2)
	v_lshlrev_b32_e32 v10, 4, v9
	v_lshrrev_b32_e32 v9, 2, v9
	v_and_or_b32 v10, 0x70, v10, v0
	s_delay_alu instid0(VALU_DEP_2) | instskip(NEXT) | instid1(VALU_DEP_1)
	v_and_b32_e32 v9, 2, v9
	v_lshl_or_b32 v29, v10, 2, v9
	v_lshrrev_b16 v9, 12, v28
	ds_load_u16 v30, v29
	v_and_b32_e32 v9, 0xffff, v9
	s_delay_alu instid0(VALU_DEP_1) | instskip(SKIP_1) | instid1(VALU_DEP_1)
	v_and_b32_e32 v9, s17, v9
	s_mov_b32 s17, 0
	v_lshlrev_b32_e32 v10, 4, v9
	v_lshrrev_b32_e32 v9, 2, v9
	s_delay_alu instid0(VALU_DEP_2) | instskip(NEXT) | instid1(VALU_DEP_2)
	v_and_or_b32 v10, 0x70, v10, v0
	v_and_b32_e32 v9, 2, v9
	s_wait_dscnt 0x0
	v_add_nc_u16 v11, v30, 1
	s_delay_alu instid0(VALU_DEP_2)
	v_lshl_or_b32 v31, v10, 2, v9
	ds_store_b16 v29, v11
	ds_load_u16 v32, v31
	s_wait_dscnt 0x0
	v_add_nc_u16 v9, v32, 1
	ds_store_b16 v31, v9
	; wave barrier
	s_wait_loadcnt_dscnt 0x0
	global_inv scope:SCOPE_SE
	ds_load_b128 v[13:16], v24
	ds_load_b128 v[9:12], v24 offset:16
	s_wait_dscnt 0x1
	v_add_nc_u32_e32 v33, v14, v13
	s_delay_alu instid0(VALU_DEP_1) | instskip(SKIP_1) | instid1(VALU_DEP_1)
	v_add3_u32 v33, v33, v15, v16
	s_wait_dscnt 0x0
	v_add3_u32 v33, v33, v9, v10
	s_delay_alu instid0(VALU_DEP_1) | instskip(NEXT) | instid1(VALU_DEP_1)
	v_add3_u32 v12, v33, v11, v12
	v_mov_b32_dpp v33, v12 row_shr:1 row_mask:0xf bank_mask:0xf
	s_delay_alu instid0(VALU_DEP_1) | instskip(NEXT) | instid1(VALU_DEP_1)
	v_cndmask_b32_e64 v33, v33, 0, s5
	v_add_nc_u32_e32 v12, v33, v12
	s_delay_alu instid0(VALU_DEP_1) | instskip(NEXT) | instid1(VALU_DEP_1)
	v_mov_b32_dpp v33, v12 row_shr:2 row_mask:0xf bank_mask:0xf
	v_cndmask_b32_e64 v33, 0, v33, s3
	s_delay_alu instid0(VALU_DEP_1) | instskip(NEXT) | instid1(VALU_DEP_1)
	v_add_nc_u32_e32 v12, v12, v33
	v_mov_b32_dpp v33, v12 row_shr:4 row_mask:0xf bank_mask:0xf
	s_delay_alu instid0(VALU_DEP_1) | instskip(NEXT) | instid1(VALU_DEP_1)
	v_cndmask_b32_e64 v33, 0, v33, s6
	v_add_nc_u32_e32 v33, v12, v33
	s_delay_alu instid0(VALU_DEP_1) | instskip(NEXT) | instid1(VALU_DEP_1)
	v_mov_b32_dpp v12, v33 row_shr:8 row_mask:0xf bank_mask:0xf
	v_cndmask_b32_e64 v34, 0, v12, s4
	v_lshrrev_b16 v12, 8, v28
	s_delay_alu instid0(VALU_DEP_2)
	v_add_nc_u32_e32 v33, v33, v34
	s_and_saveexec_b32 s18, s2
; %bb.34:
	v_mov_b32_e32 v34, 0
	ds_store_b32 v34, v33 offset:512
; %bb.35:
	s_or_b32 exec_lo, exec_lo, s18
	ds_bpermute_b32 v33, v25, v33
	v_mov_b32_e32 v34, 0
	; wave barrier
	s_wait_loadcnt_dscnt 0x0
	global_inv scope:SCOPE_SE
	ds_load_b32 v34, v34 offset:512
	v_cndmask_b32_e64 v33, v33, 0, s11
	s_wait_dscnt 0x0
	s_delay_alu instid0(VALU_DEP_1) | instskip(NEXT) | instid1(VALU_DEP_1)
	v_lshl_add_u32 v33, v34, 16, v33
	v_add_nc_u32_e32 v34, v33, v13
	s_delay_alu instid0(VALU_DEP_1) | instskip(NEXT) | instid1(VALU_DEP_1)
	v_add_nc_u32_e32 v35, v34, v14
	v_add_nc_u32_e32 v36, v35, v15
	s_delay_alu instid0(VALU_DEP_1) | instskip(NEXT) | instid1(VALU_DEP_1)
	v_add_nc_u32_e32 v13, v36, v16
	;; [unrolled: 3-line block ×3, first 2 shown]
	v_add_nc_u32_e32 v16, v15, v11
	v_and_b32_e32 v11, 0xffff, v30
	ds_store_b128 v24, v[33:36]
	ds_store_b128 v24, v[13:16] offset:16
	; wave barrier
	s_wait_loadcnt_dscnt 0x0
	global_inv scope:SCOPE_SE
	ds_load_u16 v9, v29
	ds_load_u16 v10, v31
	v_and_b32_e32 v13, 0xffff, v32
	; wave barrier
	s_wait_loadcnt_dscnt 0x0
	global_inv scope:SCOPE_SE
	v_add_nc_u32_e32 v9, v9, v11
	v_add_nc_u32_e32 v10, v10, v13
	ds_store_b8 v9, v28
	ds_store_b8 v10, v12
	; wave barrier
	s_wait_loadcnt_dscnt 0x0
	global_inv scope:SCOPE_SE
	ds_load_u16 v11, v19
	v_lshlrev_b32_e32 v9, 3, v9
	v_lshlrev_b32_e32 v10, 3, v10
	; wave barrier
	s_wait_loadcnt_dscnt 0x0
	global_inv scope:SCOPE_SE
	ds_store_b64 v9, v[5:6]
	ds_store_b64 v10, v[7:8]
	; wave barrier
	s_wait_loadcnt_dscnt 0x0
	global_inv scope:SCOPE_SE
	ds_load_b128 v[5:8], v18
	v_xor_b32_e32 v9, 0x80, v11
	v_and_b32_e32 v10, 0xffffff00, v11
	s_delay_alu instid0(VALU_DEP_2) | instskip(NEXT) | instid1(VALU_DEP_1)
	v_and_b32_e32 v9, 0xff, v9
	v_or_b32_e32 v9, v9, v10
	s_delay_alu instid0(VALU_DEP_1) | instskip(NEXT) | instid1(VALU_DEP_1)
	v_add_nc_u16 v9, 0x8000, v9
	v_and_b32_e32 v9, 0xffff, v9
	s_wait_alu 0xfffe
	s_and_b32 vcc_lo, exec_lo, s17
	s_wait_alu 0xfffe
	s_cbranch_vccnz .LBB104_37
	s_branch .LBB104_60
.LBB104_36:
                                        ; implicit-def: $vgpr7_vgpr8
                                        ; implicit-def: $vgpr9
	s_and_b32 vcc_lo, exec_lo, s17
	s_wait_alu 0xfffe
	s_cbranch_vccz .LBB104_60
.LBB104_37:
	s_and_saveexec_b32 s17, s7
	s_cbranch_execz .LBB104_46
; %bb.38:
	s_wait_dscnt 0x0
	v_mad_i32_i24 v5, v0, -12, v18
	v_mov_b32_e32 v6, 0
	v_cmp_gt_u32_e32 vcc_lo, 0x70, v0
	ds_store_b32 v5, v6
	s_and_b32 exec_lo, exec_lo, vcc_lo
	s_cbranch_execz .LBB104_46
; %bb.39:
	v_mul_i32_i24_e32 v5, -12, v0
	v_cmp_gt_u32_e32 vcc_lo, 0x60, v0
	s_delay_alu instid0(VALU_DEP_2)
	v_add_nc_u32_e32 v5, v18, v5
	ds_store_b32 v5, v6 offset:64
	s_and_b32 exec_lo, exec_lo, vcc_lo
	s_cbranch_execz .LBB104_46
; %bb.40:
	v_mov_b32_e32 v6, 0
	v_cmp_gt_u32_e32 vcc_lo, 0x50, v0
	ds_store_b32 v5, v6 offset:128
	s_and_b32 exec_lo, exec_lo, vcc_lo
	s_cbranch_execz .LBB104_46
; %bb.41:
	v_cmp_gt_u32_e32 vcc_lo, 64, v0
	ds_store_b32 v5, v6 offset:192
	s_and_b32 exec_lo, exec_lo, vcc_lo
	s_cbranch_execz .LBB104_46
; %bb.42:
	v_mov_b32_e32 v6, 0
	v_cmp_gt_u32_e32 vcc_lo, 48, v0
	ds_store_b32 v5, v6 offset:256
	s_and_b32 exec_lo, exec_lo, vcc_lo
	s_cbranch_execz .LBB104_46
; %bb.43:
	v_cmp_gt_u32_e32 vcc_lo, 32, v0
	ds_store_b32 v5, v6 offset:320
	s_and_b32 exec_lo, exec_lo, vcc_lo
	s_cbranch_execz .LBB104_46
; %bb.44:
	v_mov_b32_e32 v6, 0
	v_cmp_gt_u32_e32 vcc_lo, 16, v0
	ds_store_b32 v5, v6 offset:384
	s_and_b32 exec_lo, exec_lo, vcc_lo
; %bb.45:
	ds_store_b32 v5, v6 offset:448
.LBB104_46:
	s_wait_alu 0xfffe
	s_or_b32 exec_lo, exec_lo, s17
	v_xor_b32_e32 v13, 0x7f, v26
	s_lshl_b32 s16, -1, s16
	v_xor_b32_e32 v14, 0x7f, v27
	s_wait_alu 0xfffe
	s_not_b32 s16, s16
	s_wait_dscnt 0x0
	s_wait_alu 0xfffe
	v_and_b32_e32 v5, s16, v13
	s_delay_alu instid0(VALU_DEP_1) | instskip(SKIP_1) | instid1(VALU_DEP_2)
	v_lshlrev_b32_e32 v6, 4, v5
	v_lshrrev_b32_e32 v5, 2, v5
	v_and_or_b32 v6, 0x70, v6, v0
	s_delay_alu instid0(VALU_DEP_2) | instskip(NEXT) | instid1(VALU_DEP_1)
	v_and_b32_e32 v5, 62, v5
	v_lshl_add_u32 v16, v6, 2, v5
	v_and_b32_e32 v5, 0xffff, v14
	ds_load_u16 v15, v16
	v_and_b32_e32 v5, s16, v5
	s_delay_alu instid0(VALU_DEP_1) | instskip(SKIP_1) | instid1(VALU_DEP_2)
	v_lshlrev_b32_e32 v6, 4, v5
	v_lshrrev_b32_e32 v5, 2, v5
	v_and_or_b32 v6, 0x70, v6, v0
	s_delay_alu instid0(VALU_DEP_2) | instskip(NEXT) | instid1(VALU_DEP_1)
	v_and_b32_e32 v5, 62, v5
	v_lshl_add_u32 v26, v6, 2, v5
	s_wait_dscnt 0x0
	v_add_nc_u16 v7, v15, 1
	ds_store_b16 v16, v7
	ds_load_u16 v27, v26
	s_wait_dscnt 0x0
	v_add_nc_u16 v5, v27, 1
	ds_store_b16 v26, v5
	; wave barrier
	s_wait_loadcnt_dscnt 0x0
	global_inv scope:SCOPE_SE
	ds_load_b128 v[9:12], v24
	ds_load_b128 v[5:8], v24 offset:16
	s_wait_dscnt 0x1
	v_add_nc_u32_e32 v28, v10, v9
	s_delay_alu instid0(VALU_DEP_1) | instskip(SKIP_1) | instid1(VALU_DEP_1)
	v_add3_u32 v28, v28, v11, v12
	s_wait_dscnt 0x0
	v_add3_u32 v28, v28, v5, v6
	s_delay_alu instid0(VALU_DEP_1) | instskip(NEXT) | instid1(VALU_DEP_1)
	v_add3_u32 v8, v28, v7, v8
	v_mov_b32_dpp v28, v8 row_shr:1 row_mask:0xf bank_mask:0xf
	s_delay_alu instid0(VALU_DEP_1) | instskip(NEXT) | instid1(VALU_DEP_1)
	v_cndmask_b32_e64 v28, v28, 0, s5
	v_add_nc_u32_e32 v8, v28, v8
	s_delay_alu instid0(VALU_DEP_1) | instskip(NEXT) | instid1(VALU_DEP_1)
	v_mov_b32_dpp v28, v8 row_shr:2 row_mask:0xf bank_mask:0xf
	v_cndmask_b32_e64 v28, 0, v28, s3
	s_delay_alu instid0(VALU_DEP_1) | instskip(NEXT) | instid1(VALU_DEP_1)
	v_add_nc_u32_e32 v8, v8, v28
	v_mov_b32_dpp v28, v8 row_shr:4 row_mask:0xf bank_mask:0xf
	s_delay_alu instid0(VALU_DEP_1) | instskip(NEXT) | instid1(VALU_DEP_1)
	v_cndmask_b32_e64 v28, 0, v28, s6
	v_add_nc_u32_e32 v8, v8, v28
	s_delay_alu instid0(VALU_DEP_1) | instskip(NEXT) | instid1(VALU_DEP_1)
	v_mov_b32_dpp v28, v8 row_shr:8 row_mask:0xf bank_mask:0xf
	v_cndmask_b32_e64 v28, 0, v28, s4
	s_delay_alu instid0(VALU_DEP_1)
	v_add_nc_u32_e32 v8, v8, v28
	s_and_saveexec_b32 s16, s2
; %bb.47:
	v_mov_b32_e32 v28, 0
	ds_store_b32 v28, v8 offset:512
; %bb.48:
	s_wait_alu 0xfffe
	s_or_b32 exec_lo, exec_lo, s16
	ds_bpermute_b32 v28, v25, v8
	v_mov_b32_e32 v8, 0
	; wave barrier
	s_wait_loadcnt_dscnt 0x0
	global_inv scope:SCOPE_SE
	ds_load_b32 v29, v8 offset:512
	v_cndmask_b32_e64 v28, v28, 0, s11
	s_wait_dscnt 0x0
	s_delay_alu instid0(VALU_DEP_1) | instskip(NEXT) | instid1(VALU_DEP_1)
	v_lshl_add_u32 v28, v29, 16, v28
	v_add_nc_u32_e32 v29, v28, v9
	s_delay_alu instid0(VALU_DEP_1) | instskip(NEXT) | instid1(VALU_DEP_1)
	v_add_nc_u32_e32 v30, v29, v10
	v_add_nc_u32_e32 v31, v30, v11
	s_delay_alu instid0(VALU_DEP_1) | instskip(NEXT) | instid1(VALU_DEP_1)
	v_add_nc_u32_e32 v9, v31, v12
	;; [unrolled: 3-line block ×3, first 2 shown]
	v_add_nc_u32_e32 v12, v11, v7
	v_and_b32_e32 v7, 0xffff, v15
	ds_store_b128 v24, v[28:31]
	ds_store_b128 v24, v[9:12] offset:16
	; wave barrier
	s_wait_loadcnt_dscnt 0x0
	global_inv scope:SCOPE_SE
	ds_load_u16 v5, v16
	ds_load_u16 v6, v26
	v_and_b32_e32 v9, 0xffff, v27
	; wave barrier
	s_wait_loadcnt_dscnt 0x0
	global_inv scope:SCOPE_SE
	v_add_nc_u32_e32 v5, v5, v7
	v_add_nc_u32_e32 v6, v6, v9
	ds_store_b8 v5, v13
	ds_store_b8 v6, v14
	v_lshlrev_b32_e32 v5, 3, v5
	v_lshlrev_b32_e32 v6, 3, v6
	; wave barrier
	s_wait_loadcnt_dscnt 0x0
	global_inv scope:SCOPE_SE
	ds_load_u16 v13, v19
	; wave barrier
	s_wait_loadcnt_dscnt 0x0
	global_inv scope:SCOPE_SE
	ds_store_b64 v5, v[1:2]
	ds_store_b64 v6, v[3:4]
	; wave barrier
	s_wait_loadcnt_dscnt 0x0
	global_inv scope:SCOPE_SE
	ds_load_b128 v[1:4], v18
	; wave barrier
	s_wait_loadcnt_dscnt 0x0
	global_inv scope:SCOPE_SE
	s_and_saveexec_b32 s16, s7
	s_cbranch_execz .LBB104_57
; %bb.49:
	v_lshlrev_b32_e32 v5, 2, v0
	v_cmp_gt_u32_e32 vcc_lo, 0x70, v0
	ds_store_b32 v5, v8
	s_and_b32 exec_lo, exec_lo, vcc_lo
	s_cbranch_execz .LBB104_57
; %bb.50:
	v_mov_b32_e32 v6, 0
	v_cmp_gt_u32_e32 vcc_lo, 0x60, v0
	ds_store_b32 v5, v6 offset:64
	s_and_b32 exec_lo, exec_lo, vcc_lo
	s_cbranch_execz .LBB104_57
; %bb.51:
	v_cmp_gt_u32_e32 vcc_lo, 0x50, v0
	ds_store_b32 v5, v6 offset:128
	s_and_b32 exec_lo, exec_lo, vcc_lo
	s_cbranch_execz .LBB104_57
; %bb.52:
	v_mov_b32_e32 v6, 0
	v_cmp_gt_u32_e32 vcc_lo, 64, v0
	ds_store_b32 v5, v6 offset:192
	s_and_b32 exec_lo, exec_lo, vcc_lo
	s_cbranch_execz .LBB104_57
; %bb.53:
	v_cmp_gt_u32_e32 vcc_lo, 48, v0
	ds_store_b32 v5, v6 offset:256
	;; [unrolled: 11-line block ×3, first 2 shown]
	s_and_b32 exec_lo, exec_lo, vcc_lo
; %bb.56:
	v_mov_b32_e32 v6, 0
	ds_store_b32 v5, v6 offset:448
.LBB104_57:
	s_wait_alu 0xfffe
	s_or_b32 exec_lo, exec_lo, s16
	v_lshrrev_b16 v5, 4, v13
	s_min_u32 s7, s13, 4
	s_wait_alu 0xfffe
	s_lshl_b32 s7, -1, s7
	s_wait_alu 0xfffe
	s_not_b32 s7, s7
	v_and_b32_e32 v5, 15, v5
	s_delay_alu instid0(VALU_DEP_1) | instskip(SKIP_1) | instid1(VALU_DEP_1)
	v_and_b32_e32 v5, 0xffff, v5
	s_wait_alu 0xfffe
	v_and_b32_e32 v5, s7, v5
	s_delay_alu instid0(VALU_DEP_1) | instskip(SKIP_1) | instid1(VALU_DEP_2)
	v_lshlrev_b32_e32 v6, 4, v5
	v_lshrrev_b32_e32 v5, 2, v5
	v_and_or_b32 v6, 0x70, v6, v0
	s_delay_alu instid0(VALU_DEP_2) | instskip(NEXT) | instid1(VALU_DEP_1)
	v_and_b32_e32 v5, 2, v5
	v_lshl_or_b32 v14, v6, 2, v5
	v_lshrrev_b16 v5, 12, v13
	ds_load_u16 v15, v14
	v_and_b32_e32 v5, 0xffff, v5
	s_delay_alu instid0(VALU_DEP_1) | instskip(NEXT) | instid1(VALU_DEP_1)
	v_and_b32_e32 v5, s7, v5
	v_lshlrev_b32_e32 v6, 4, v5
	v_lshrrev_b32_e32 v5, 2, v5
	s_delay_alu instid0(VALU_DEP_2) | instskip(NEXT) | instid1(VALU_DEP_2)
	v_and_or_b32 v6, 0x70, v6, v0
	v_and_b32_e32 v5, 2, v5
	s_wait_dscnt 0x0
	v_add_nc_u16 v7, v15, 1
	s_delay_alu instid0(VALU_DEP_2)
	v_lshl_or_b32 v16, v6, 2, v5
	ds_store_b16 v14, v7
	ds_load_u16 v26, v16
	s_wait_dscnt 0x0
	v_add_nc_u16 v5, v26, 1
	ds_store_b16 v16, v5
	; wave barrier
	s_wait_loadcnt_dscnt 0x0
	global_inv scope:SCOPE_SE
	ds_load_b128 v[9:12], v24
	ds_load_b128 v[5:8], v24 offset:16
	s_wait_dscnt 0x1
	v_add_nc_u32_e32 v27, v10, v9
	s_delay_alu instid0(VALU_DEP_1) | instskip(SKIP_1) | instid1(VALU_DEP_1)
	v_add3_u32 v27, v27, v11, v12
	s_wait_dscnt 0x0
	v_add3_u32 v27, v27, v5, v6
	s_delay_alu instid0(VALU_DEP_1) | instskip(NEXT) | instid1(VALU_DEP_1)
	v_add3_u32 v8, v27, v7, v8
	v_mov_b32_dpp v27, v8 row_shr:1 row_mask:0xf bank_mask:0xf
	s_delay_alu instid0(VALU_DEP_1) | instskip(NEXT) | instid1(VALU_DEP_1)
	v_cndmask_b32_e64 v27, v27, 0, s5
	v_add_nc_u32_e32 v8, v27, v8
	s_delay_alu instid0(VALU_DEP_1) | instskip(NEXT) | instid1(VALU_DEP_1)
	v_mov_b32_dpp v27, v8 row_shr:2 row_mask:0xf bank_mask:0xf
	v_cndmask_b32_e64 v27, 0, v27, s3
	s_delay_alu instid0(VALU_DEP_1) | instskip(NEXT) | instid1(VALU_DEP_1)
	v_add_nc_u32_e32 v8, v8, v27
	v_mov_b32_dpp v27, v8 row_shr:4 row_mask:0xf bank_mask:0xf
	s_delay_alu instid0(VALU_DEP_1) | instskip(NEXT) | instid1(VALU_DEP_1)
	v_cndmask_b32_e64 v27, 0, v27, s6
	v_add_nc_u32_e32 v27, v8, v27
	s_delay_alu instid0(VALU_DEP_1) | instskip(NEXT) | instid1(VALU_DEP_1)
	v_mov_b32_dpp v8, v27 row_shr:8 row_mask:0xf bank_mask:0xf
	v_cndmask_b32_e64 v28, 0, v8, s4
	v_lshrrev_b16 v8, 8, v13
	s_delay_alu instid0(VALU_DEP_2)
	v_add_nc_u32_e32 v27, v27, v28
	s_and_saveexec_b32 s3, s2
; %bb.58:
	v_mov_b32_e32 v28, 0
	ds_store_b32 v28, v27 offset:512
; %bb.59:
	s_wait_alu 0xfffe
	s_or_b32 exec_lo, exec_lo, s3
	ds_bpermute_b32 v25, v25, v27
	v_mov_b32_e32 v27, 0
	; wave barrier
	s_wait_loadcnt_dscnt 0x0
	global_inv scope:SCOPE_SE
	ds_load_b32 v27, v27 offset:512
	v_cndmask_b32_e64 v25, v25, 0, s11
	s_wait_dscnt 0x0
	s_delay_alu instid0(VALU_DEP_1) | instskip(NEXT) | instid1(VALU_DEP_1)
	v_lshl_add_u32 v27, v27, 16, v25
	v_add_nc_u32_e32 v28, v27, v9
	s_delay_alu instid0(VALU_DEP_1) | instskip(NEXT) | instid1(VALU_DEP_1)
	v_add_nc_u32_e32 v29, v28, v10
	v_add_nc_u32_e32 v30, v29, v11
	s_delay_alu instid0(VALU_DEP_1) | instskip(NEXT) | instid1(VALU_DEP_1)
	v_add_nc_u32_e32 v9, v30, v12
	;; [unrolled: 3-line block ×3, first 2 shown]
	v_add_nc_u32_e32 v12, v11, v7
	v_and_b32_e32 v7, 0xffff, v15
	ds_store_b128 v24, v[27:30]
	ds_store_b128 v24, v[9:12] offset:16
	; wave barrier
	s_wait_loadcnt_dscnt 0x0
	global_inv scope:SCOPE_SE
	ds_load_u16 v5, v14
	ds_load_u16 v6, v16
	v_and_b32_e32 v9, 0xffff, v26
	; wave barrier
	s_wait_loadcnt_dscnt 0x0
	global_inv scope:SCOPE_SE
	v_add_nc_u32_e32 v5, v5, v7
	v_add_nc_u32_e32 v6, v6, v9
	ds_store_b8 v5, v13
	ds_store_b8 v6, v8
	; wave barrier
	s_wait_loadcnt_dscnt 0x0
	global_inv scope:SCOPE_SE
	ds_load_u16 v9, v19
	v_lshlrev_b32_e32 v5, 3, v5
	v_lshlrev_b32_e32 v6, 3, v6
	; wave barrier
	s_wait_loadcnt_dscnt 0x0
	global_inv scope:SCOPE_SE
	ds_store_b64 v5, v[1:2]
	ds_store_b64 v6, v[3:4]
	; wave barrier
	s_wait_loadcnt_dscnt 0x0
	global_inv scope:SCOPE_SE
	ds_load_b128 v[5:8], v18
	v_and_b32_e32 v1, 0xffffff00, v9
	v_xor_b32_e32 v2, 0x7f, v9
	s_delay_alu instid0(VALU_DEP_2) | instskip(NEXT) | instid1(VALU_DEP_2)
	v_xor_b32_e32 v1, 0x7f00, v1
	v_and_b32_e32 v2, 0xff, v2
	s_delay_alu instid0(VALU_DEP_1) | instskip(NEXT) | instid1(VALU_DEP_1)
	v_or_b32_e32 v1, v2, v1
	v_and_b32_e32 v9, 0xffff, v1
.LBB104_60:
	; wave barrier
	s_wait_loadcnt_dscnt 0x0
	global_inv scope:SCOPE_SE
	ds_store_b16 v21, v9
	; wave barrier
	s_wait_loadcnt_dscnt 0x0
	global_inv scope:SCOPE_SE
	ds_load_u8 v3, v0 offset:16
	v_add_co_u32 v1, s2, s14, v20
	s_wait_alu 0xf1ff
	v_add_co_ci_u32_e64 v2, null, s15, 0, s2
	s_and_saveexec_b32 s2, s0
	s_cbranch_execz .LBB104_62
; %bb.61:
	ds_load_u8 v0, v0
	s_wait_dscnt 0x0
	global_store_b8 v[1:2], v0, off
.LBB104_62:
	s_wait_alu 0xfffe
	s_or_b32 exec_lo, exec_lo, s2
	s_and_saveexec_b32 s2, s1
	s_cbranch_execz .LBB104_64
; %bb.63:
	s_lshl_b32 s3, s10, 4
	s_wait_alu 0xfffe
	v_add_co_u32 v0, vcc_lo, v1, s3
	s_wait_alu 0xfffd
	v_add_co_ci_u32_e64 v1, null, 0, v2, vcc_lo
	s_wait_dscnt 0x0
	global_store_b8 v[0:1], v3, off
.LBB104_64:
	s_wait_alu 0xfffe
	s_or_b32 exec_lo, exec_lo, s2
	s_wait_storecnt 0x0
	; wave barrier
	s_wait_loadcnt_dscnt 0x0
	global_inv scope:SCOPE_SE
	ds_store_2addr_b64 v23, v[5:6], v[7:8] offset1:1
	; wave barrier
	s_wait_loadcnt_dscnt 0x0
	global_inv scope:SCOPE_SE
	ds_load_b64 v[0:1], v22 offset:128
	v_mov_b32_e32 v18, 0
	s_delay_alu instid0(VALU_DEP_1) | instskip(NEXT) | instid1(VALU_DEP_1)
	v_lshlrev_b64_e32 v[2:3], 3, v[17:18]
	v_add_co_u32 v2, vcc_lo, s8, v2
	s_wait_alu 0xfffd
	s_delay_alu instid0(VALU_DEP_2)
	v_add_co_ci_u32_e64 v3, null, s9, v3, vcc_lo
	s_and_saveexec_b32 s2, s0
	s_cbranch_execz .LBB104_66
; %bb.65:
	ds_load_b64 v[4:5], v22
	s_wait_dscnt 0x0
	global_store_b64 v[2:3], v[4:5], off
.LBB104_66:
	s_wait_alu 0xfffe
	s_or_b32 exec_lo, exec_lo, s2
	s_and_saveexec_b32 s0, s1
	s_cbranch_execz .LBB104_68
; %bb.67:
	s_lshl_b32 s0, s12, 4
	s_mov_b32 s1, 0
	s_wait_alu 0xfffe
	s_lshl_b64 s[0:1], s[0:1], 3
	s_wait_alu 0xfffe
	v_add_co_u32 v2, vcc_lo, v2, s0
	s_wait_alu 0xfffd
	v_add_co_ci_u32_e64 v3, null, s1, v3, vcc_lo
	s_wait_dscnt 0x0
	global_store_b64 v[2:3], v[0:1], off
.LBB104_68:
	s_endpgm
	.section	.rodata,"a",@progbits
	.p2align	6, 0x0
	.amdhsa_kernel _ZN2at6native18radixSortKVInPlaceILin2ELin1ELi16ELi2EaljEEvNS_4cuda6detail10TensorInfoIT3_T5_EES6_S6_S6_NS4_IT4_S6_EES6_b
		.amdhsa_group_segment_fixed_size 528
		.amdhsa_private_segment_fixed_size 0
		.amdhsa_kernarg_size 712
		.amdhsa_user_sgpr_count 2
		.amdhsa_user_sgpr_dispatch_ptr 0
		.amdhsa_user_sgpr_queue_ptr 0
		.amdhsa_user_sgpr_kernarg_segment_ptr 1
		.amdhsa_user_sgpr_dispatch_id 0
		.amdhsa_user_sgpr_private_segment_size 0
		.amdhsa_wavefront_size32 1
		.amdhsa_uses_dynamic_stack 0
		.amdhsa_enable_private_segment 0
		.amdhsa_system_sgpr_workgroup_id_x 1
		.amdhsa_system_sgpr_workgroup_id_y 1
		.amdhsa_system_sgpr_workgroup_id_z 1
		.amdhsa_system_sgpr_workgroup_info 0
		.amdhsa_system_vgpr_workitem_id 0
		.amdhsa_next_free_vgpr 37
		.amdhsa_next_free_sgpr 19
		.amdhsa_reserve_vcc 1
		.amdhsa_float_round_mode_32 0
		.amdhsa_float_round_mode_16_64 0
		.amdhsa_float_denorm_mode_32 3
		.amdhsa_float_denorm_mode_16_64 3
		.amdhsa_fp16_overflow 0
		.amdhsa_workgroup_processor_mode 1
		.amdhsa_memory_ordered 1
		.amdhsa_forward_progress 1
		.amdhsa_inst_pref_size 41
		.amdhsa_round_robin_scheduling 0
		.amdhsa_exception_fp_ieee_invalid_op 0
		.amdhsa_exception_fp_denorm_src 0
		.amdhsa_exception_fp_ieee_div_zero 0
		.amdhsa_exception_fp_ieee_overflow 0
		.amdhsa_exception_fp_ieee_underflow 0
		.amdhsa_exception_fp_ieee_inexact 0
		.amdhsa_exception_int_div_zero 0
	.end_amdhsa_kernel
	.section	.text._ZN2at6native18radixSortKVInPlaceILin2ELin1ELi16ELi2EaljEEvNS_4cuda6detail10TensorInfoIT3_T5_EES6_S6_S6_NS4_IT4_S6_EES6_b,"axG",@progbits,_ZN2at6native18radixSortKVInPlaceILin2ELin1ELi16ELi2EaljEEvNS_4cuda6detail10TensorInfoIT3_T5_EES6_S6_S6_NS4_IT4_S6_EES6_b,comdat
.Lfunc_end104:
	.size	_ZN2at6native18radixSortKVInPlaceILin2ELin1ELi16ELi2EaljEEvNS_4cuda6detail10TensorInfoIT3_T5_EES6_S6_S6_NS4_IT4_S6_EES6_b, .Lfunc_end104-_ZN2at6native18radixSortKVInPlaceILin2ELin1ELi16ELi2EaljEEvNS_4cuda6detail10TensorInfoIT3_T5_EES6_S6_S6_NS4_IT4_S6_EES6_b
                                        ; -- End function
	.set _ZN2at6native18radixSortKVInPlaceILin2ELin1ELi16ELi2EaljEEvNS_4cuda6detail10TensorInfoIT3_T5_EES6_S6_S6_NS4_IT4_S6_EES6_b.num_vgpr, 37
	.set _ZN2at6native18radixSortKVInPlaceILin2ELin1ELi16ELi2EaljEEvNS_4cuda6detail10TensorInfoIT3_T5_EES6_S6_S6_NS4_IT4_S6_EES6_b.num_agpr, 0
	.set _ZN2at6native18radixSortKVInPlaceILin2ELin1ELi16ELi2EaljEEvNS_4cuda6detail10TensorInfoIT3_T5_EES6_S6_S6_NS4_IT4_S6_EES6_b.numbered_sgpr, 19
	.set _ZN2at6native18radixSortKVInPlaceILin2ELin1ELi16ELi2EaljEEvNS_4cuda6detail10TensorInfoIT3_T5_EES6_S6_S6_NS4_IT4_S6_EES6_b.num_named_barrier, 0
	.set _ZN2at6native18radixSortKVInPlaceILin2ELin1ELi16ELi2EaljEEvNS_4cuda6detail10TensorInfoIT3_T5_EES6_S6_S6_NS4_IT4_S6_EES6_b.private_seg_size, 0
	.set _ZN2at6native18radixSortKVInPlaceILin2ELin1ELi16ELi2EaljEEvNS_4cuda6detail10TensorInfoIT3_T5_EES6_S6_S6_NS4_IT4_S6_EES6_b.uses_vcc, 1
	.set _ZN2at6native18radixSortKVInPlaceILin2ELin1ELi16ELi2EaljEEvNS_4cuda6detail10TensorInfoIT3_T5_EES6_S6_S6_NS4_IT4_S6_EES6_b.uses_flat_scratch, 0
	.set _ZN2at6native18radixSortKVInPlaceILin2ELin1ELi16ELi2EaljEEvNS_4cuda6detail10TensorInfoIT3_T5_EES6_S6_S6_NS4_IT4_S6_EES6_b.has_dyn_sized_stack, 0
	.set _ZN2at6native18radixSortKVInPlaceILin2ELin1ELi16ELi2EaljEEvNS_4cuda6detail10TensorInfoIT3_T5_EES6_S6_S6_NS4_IT4_S6_EES6_b.has_recursion, 0
	.set _ZN2at6native18radixSortKVInPlaceILin2ELin1ELi16ELi2EaljEEvNS_4cuda6detail10TensorInfoIT3_T5_EES6_S6_S6_NS4_IT4_S6_EES6_b.has_indirect_call, 0
	.section	.AMDGPU.csdata,"",@progbits
; Kernel info:
; codeLenInByte = 5188
; TotalNumSgprs: 21
; NumVgprs: 37
; ScratchSize: 0
; MemoryBound: 0
; FloatMode: 240
; IeeeMode: 1
; LDSByteSize: 528 bytes/workgroup (compile time only)
; SGPRBlocks: 0
; VGPRBlocks: 4
; NumSGPRsForWavesPerEU: 21
; NumVGPRsForWavesPerEU: 37
; Occupancy: 16
; WaveLimiterHint : 1
; COMPUTE_PGM_RSRC2:SCRATCH_EN: 0
; COMPUTE_PGM_RSRC2:USER_SGPR: 2
; COMPUTE_PGM_RSRC2:TRAP_HANDLER: 0
; COMPUTE_PGM_RSRC2:TGID_X_EN: 1
; COMPUTE_PGM_RSRC2:TGID_Y_EN: 1
; COMPUTE_PGM_RSRC2:TGID_Z_EN: 1
; COMPUTE_PGM_RSRC2:TIDIG_COMP_CNT: 0
	.section	.text._ZN2at6native18radixSortKVInPlaceILi2ELin1ELi512ELi8EaljEEvNS_4cuda6detail10TensorInfoIT3_T5_EES6_S6_S6_NS4_IT4_S6_EES6_b,"axG",@progbits,_ZN2at6native18radixSortKVInPlaceILi2ELin1ELi512ELi8EaljEEvNS_4cuda6detail10TensorInfoIT3_T5_EES6_S6_S6_NS4_IT4_S6_EES6_b,comdat
	.protected	_ZN2at6native18radixSortKVInPlaceILi2ELin1ELi512ELi8EaljEEvNS_4cuda6detail10TensorInfoIT3_T5_EES6_S6_S6_NS4_IT4_S6_EES6_b ; -- Begin function _ZN2at6native18radixSortKVInPlaceILi2ELin1ELi512ELi8EaljEEvNS_4cuda6detail10TensorInfoIT3_T5_EES6_S6_S6_NS4_IT4_S6_EES6_b
	.globl	_ZN2at6native18radixSortKVInPlaceILi2ELin1ELi512ELi8EaljEEvNS_4cuda6detail10TensorInfoIT3_T5_EES6_S6_S6_NS4_IT4_S6_EES6_b
	.p2align	8
	.type	_ZN2at6native18radixSortKVInPlaceILi2ELin1ELi512ELi8EaljEEvNS_4cuda6detail10TensorInfoIT3_T5_EES6_S6_S6_NS4_IT4_S6_EES6_b,@function
_ZN2at6native18radixSortKVInPlaceILi2ELin1ELi512ELi8EaljEEvNS_4cuda6detail10TensorInfoIT3_T5_EES6_S6_S6_NS4_IT4_S6_EES6_b: ; @_ZN2at6native18radixSortKVInPlaceILi2ELin1ELi512ELi8EaljEEvNS_4cuda6detail10TensorInfoIT3_T5_EES6_S6_S6_NS4_IT4_S6_EES6_b
; %bb.0:
	s_clause 0x1
	s_load_b64 s[2:3], s[0:1], 0x1c8
	s_load_b96 s[12:14], s[0:1], 0xd8
	s_lshr_b32 s4, ttmp7, 16
	s_wait_kmcnt 0x0
	s_mul_i32 s3, s3, s4
	s_and_b32 s4, ttmp7, 0xffff
	s_delay_alu instid0(SALU_CYCLE_1) | instskip(NEXT) | instid1(SALU_CYCLE_1)
	s_add_co_i32 s3, s3, s4
	s_mul_i32 s2, s3, s2
	s_delay_alu instid0(SALU_CYCLE_1) | instskip(NEXT) | instid1(SALU_CYCLE_1)
	s_add_co_i32 s2, s2, ttmp9
	s_cmp_ge_u32 s2, s12
	s_cbranch_scc1 .LBB105_102
; %bb.1:
	s_clause 0x2
	s_load_b32 s15, s[0:1], 0xc
	s_load_b64 s[4:5], s[0:1], 0x6c
	s_load_b32 s16, s[0:1], 0x1b8
	s_add_nc_u64 s[10:11], s[0:1], 0xe8
	s_mov_b32 s12, s2
	s_wait_kmcnt 0x0
	s_cvt_f32_u32 s3, s15
	s_delay_alu instid0(SALU_CYCLE_3) | instskip(NEXT) | instid1(TRANS32_DEP_1)
	v_rcp_iflag_f32_e32 v1, s3
	v_readfirstlane_b32 s3, v1
	s_mul_f32 s3, s3, 0x4f7ffffe
	s_wait_alu 0xfffe
	s_delay_alu instid0(SALU_CYCLE_2) | instskip(SKIP_2) | instid1(SALU_CYCLE_1)
	s_cvt_u32_f32 s6, s3
	s_sub_co_i32 s3, 0, s15
	s_wait_alu 0xfffe
	s_mul_i32 s7, s3, s6
	s_mov_b32 s3, 0
	s_mul_hi_u32 s8, s6, s7
	s_wait_alu 0xfffe
	s_mov_b32 s7, s3
	s_add_co_i32 s6, s6, s8
	s_cmp_lt_i32 s16, 2
	s_mov_b32 s9, s3
	s_cbranch_scc1 .LBB105_4
; %bb.2:
	s_add_co_i32 s8, s16, -1
	s_mov_b32 s9, 0
	s_mov_b32 s12, s2
	s_lshl_b64 s[18:19], s[8:9], 2
	s_add_co_i32 s8, s16, 1
	s_add_nc_u64 s[18:19], s[10:11], s[18:19]
	s_delay_alu instid0(SALU_CYCLE_1)
	s_add_nc_u64 s[16:17], s[18:19], 8
.LBB105_3:                              ; =>This Inner Loop Header: Depth=1
	s_clause 0x1
	s_load_b32 s18, s[16:17], 0x0
	s_load_b32 s19, s[16:17], 0x64
	s_mov_b32 s22, s12
	s_add_nc_u64 s[16:17], s[16:17], -4
	s_wait_kmcnt 0x0
	s_cvt_f32_u32 s20, s18
	s_sub_co_i32 s21, 0, s18
	s_wait_alu 0xfffe
	s_delay_alu instid0(SALU_CYCLE_1) | instskip(NEXT) | instid1(TRANS32_DEP_1)
	v_rcp_iflag_f32_e32 v1, s20
	v_readfirstlane_b32 s20, v1
	s_mul_f32 s20, s20, 0x4f7ffffe
	s_wait_alu 0xfffe
	s_delay_alu instid0(SALU_CYCLE_2) | instskip(SKIP_1) | instid1(SALU_CYCLE_2)
	s_cvt_u32_f32 s20, s20
	s_wait_alu 0xfffe
	s_mul_i32 s21, s21, s20
	s_wait_alu 0xfffe
	s_mul_hi_u32 s21, s20, s21
	s_wait_alu 0xfffe
	s_add_co_i32 s20, s20, s21
	s_wait_alu 0xfffe
	s_mul_hi_u32 s12, s12, s20
	s_delay_alu instid0(SALU_CYCLE_1)
	s_mul_i32 s20, s12, s18
	s_add_co_i32 s21, s12, 1
	s_wait_alu 0xfffe
	s_sub_co_i32 s20, s22, s20
	s_wait_alu 0xfffe
	s_sub_co_i32 s23, s20, s18
	s_cmp_ge_u32 s20, s18
	s_cselect_b32 s12, s21, s12
	s_cselect_b32 s20, s23, s20
	s_add_co_i32 s21, s12, 1
	s_wait_alu 0xfffe
	s_cmp_ge_u32 s20, s18
	s_cselect_b32 s12, s21, s12
	s_add_co_i32 s8, s8, -1
	s_mul_i32 s18, s12, s18
	s_delay_alu instid0(SALU_CYCLE_1) | instskip(NEXT) | instid1(SALU_CYCLE_1)
	s_sub_co_i32 s18, s22, s18
	s_mul_i32 s18, s19, s18
	s_delay_alu instid0(SALU_CYCLE_1)
	s_add_co_i32 s9, s18, s9
	s_cmp_gt_u32 s8, 2
	s_cbranch_scc1 .LBB105_3
.LBB105_4:
	s_mul_u64 s[6:7], s[2:3], s[6:7]
	s_clause 0x1
	s_load_b64 s[18:19], s[0:1], 0x0
	s_load_b64 s[16:17], s[0:1], 0x1c0
	s_mul_i32 s3, s7, s15
	s_add_nc_u64 s[20:21], s[0:1], 0x1c8
	s_wait_alu 0xfffe
	s_sub_co_i32 s0, s2, s3
	s_add_co_i32 s1, s7, 1
	s_sub_co_i32 s3, s0, s15
	s_cmp_ge_u32 s0, s15
	s_cselect_b32 s1, s1, s7
	s_wait_alu 0xfffe
	s_cselect_b32 s0, s3, s0
	s_add_co_i32 s3, s1, 1
	s_cmp_ge_u32 s0, s15
	s_wait_alu 0xfffe
	s_cselect_b32 s0, s3, s1
	s_delay_alu instid0(SALU_CYCLE_1) | instskip(SKIP_4) | instid1(SALU_CYCLE_1)
	s_mul_i32 s1, s0, s15
	s_mul_i32 s0, s0, s4
	s_sub_co_i32 s1, s2, s1
	s_mov_b32 s2, 0xff80
	s_mul_i32 s1, s1, s5
	s_add_co_i32 s4, s0, s1
	s_wait_kmcnt 0x0
	s_bitcmp1_b32 s17, 0
	s_movk_i32 s0, 0x8000
	s_cselect_b32 s8, -1, 0
	s_movk_i32 s1, 0x80
	s_and_b32 s3, s8, exec_lo
	s_cselect_b32 s0, s0, 0x7f00
	s_cselect_b32 s1, s1, 0x7f
	s_wait_alu 0xfffe
	s_cselect_b32 s5, s2, 0x7f
	s_or_b32 s0, s1, s0
	v_mov_b32_e32 v3, s5
	s_and_b32 s1, s0, 0xffff
	s_lshl_b32 s0, s0, 16
	s_mov_b32 s5, 0
	s_or_b32 s2, s1, s0
	s_wait_alu 0xfffe
	s_add_nc_u64 s[18:19], s[18:19], s[4:5]
	s_mov_b32 s3, s2
	v_dual_mov_b32 v1, s2 :: v_dual_and_b32 v44, 0x3ff, v0
	s_wait_alu 0xfffe
	v_mov_b32_e32 v2, s3
	s_delay_alu instid0(VALU_DEP_2)
	v_mul_lo_u32 v47, s14, v44
	v_cmp_gt_u32_e64 s0, s13, v44
	s_and_saveexec_b32 s1, s0
	s_cbranch_execz .LBB105_6
; %bb.5:
	global_load_u8 v3, v47, s[18:19]
	v_mov_b32_e32 v2, s2
	s_wait_loadcnt 0x0
	v_perm_b32 v1, v3, s2, 0x3020104
.LBB105_6:
	s_or_b32 exec_lo, exec_lo, s1
	v_add_nc_u32_e32 v29, 0x200, v44
	s_delay_alu instid0(VALU_DEP_1)
	v_cmp_gt_u32_e64 s1, s13, v29
	s_and_saveexec_b32 s2, s1
	s_cbranch_execz .LBB105_8
; %bb.7:
	v_mul_lo_u32 v4, s14, v29
	global_load_u8 v4, v4, s[18:19]
	s_wait_loadcnt 0x0
	v_perm_b32 v1, v1, v4, 0x7060004
.LBB105_8:
	s_wait_alu 0xfffe
	s_or_b32 exec_lo, exec_lo, s2
	v_or_b32_e32 v28, 0x400, v44
	s_delay_alu instid0(VALU_DEP_1)
	v_cmp_gt_u32_e64 s2, s13, v28
	s_and_saveexec_b32 s3, s2
	s_cbranch_execz .LBB105_10
; %bb.9:
	v_mul_lo_u32 v4, s14, v28
	global_load_u8 v4, v4, s[18:19]
	s_wait_loadcnt 0x0
	v_perm_b32 v4, v4, v1, 0xc0c0304
	s_delay_alu instid0(VALU_DEP_1) | instskip(NEXT) | instid1(VALU_DEP_1)
	v_lshlrev_b32_e32 v4, 16, v4
	v_and_or_b32 v1, 0xffff, v1, v4
.LBB105_10:
	s_wait_alu 0xfffe
	s_or_b32 exec_lo, exec_lo, s3
	v_add_nc_u32_e32 v26, 0x600, v44
	s_delay_alu instid0(VALU_DEP_1)
	v_cmp_gt_u32_e64 s3, s13, v26
	s_and_saveexec_b32 s4, s3
	s_cbranch_execz .LBB105_12
; %bb.11:
	v_mul_lo_u32 v4, s14, v26
	global_load_u8 v4, v4, s[18:19]
	s_wait_loadcnt 0x0
	v_perm_b32 v4, v1, v4, 0xc0c0006
	s_delay_alu instid0(VALU_DEP_1) | instskip(NEXT) | instid1(VALU_DEP_1)
	v_lshlrev_b32_e32 v4, 16, v4
	v_and_or_b32 v1, 0xffff, v1, v4
.LBB105_12:
	s_wait_alu 0xfffe
	s_or_b32 exec_lo, exec_lo, s4
	v_or_b32_e32 v22, 0x800, v44
	s_delay_alu instid0(VALU_DEP_1)
	v_cmp_gt_u32_e64 s4, s13, v22
	s_and_saveexec_b32 s5, s4
	s_cbranch_execz .LBB105_14
; %bb.13:
	v_mul_lo_u32 v4, s14, v22
	global_load_u8 v4, v4, s[18:19]
	s_wait_loadcnt 0x0
	v_perm_b32 v2, v4, v2, 0x3020104
.LBB105_14:
	s_wait_alu 0xfffe
	s_or_b32 exec_lo, exec_lo, s5
	v_add_nc_u32_e32 v19, 0xa00, v44
	s_delay_alu instid0(VALU_DEP_1)
	v_cmp_gt_u32_e64 s5, s13, v19
	s_and_saveexec_b32 s6, s5
	s_cbranch_execz .LBB105_16
; %bb.15:
	v_mul_lo_u32 v4, s14, v19
	global_load_u8 v4, v4, s[18:19]
	s_wait_loadcnt 0x0
	v_perm_b32 v2, v2, v4, 0x7060004
.LBB105_16:
	s_or_b32 exec_lo, exec_lo, s6
	v_or_b32_e32 v16, 0xc00, v44
	s_delay_alu instid0(VALU_DEP_1)
	v_cmp_gt_u32_e64 s6, s13, v16
	s_and_saveexec_b32 s7, s6
	s_cbranch_execz .LBB105_18
; %bb.17:
	v_mul_lo_u32 v4, s14, v16
	global_load_u8 v4, v4, s[18:19]
	s_wait_loadcnt 0x0
	v_perm_b32 v2, v2, v4, 0x7000504
.LBB105_18:
	s_or_b32 exec_lo, exec_lo, s7
	s_clause 0x1
	s_load_b32 s15, s[10:11], 0x6c
	s_load_b64 s[10:11], s[10:11], 0x0
	v_add_nc_u32_e32 v15, 0xe00, v44
	s_delay_alu instid0(VALU_DEP_1)
	v_cmp_gt_u32_e64 s7, s13, v15
	s_and_saveexec_b32 s13, s7
	s_cbranch_execz .LBB105_20
; %bb.19:
	v_mul_lo_u32 v4, s14, v15
	global_load_u8 v4, v4, s[18:19]
	s_wait_loadcnt 0x0
	v_perm_b32 v2, v2, v4, 0x60504
.LBB105_20:
	s_wait_alu 0xfffe
	s_or_b32 exec_lo, exec_lo, s13
	v_lshrrev_b32_e32 v65, 5, v44
	v_lshrrev_b32_e32 v17, 5, v29
	;; [unrolled: 1-line block ×5, first 2 shown]
	s_delay_alu instid0(VALU_DEP_4) | instskip(SKIP_4) | instid1(VALU_DEP_4)
	v_dual_mov_b32 v42, 0 :: v_dual_and_b32 v5, 60, v17
	v_and_b32_e32 v4, 28, v65
	v_and_b32_e32 v7, 0x5c, v20
	v_lshrrev_b32_e32 v21, 5, v26
	v_lshrrev_b32_e32 v27, 2, v44
	v_dual_mov_b32 v43, v42 :: v_dual_add_nc_u32 v48, v4, v44
	v_dual_mov_b32 v11, v42 :: v_dual_and_b32 v4, 60, v18
	v_mov_b32_e32 v12, v42
	v_add_nc_u32_e32 v52, v7, v44
	v_and_b32_e32 v7, 0x7c, v24
	s_delay_alu instid0(VALU_DEP_4)
	v_add_nc_u32_e32 v50, v4, v44
	v_and_b32_e32 v4, 0x7c, v21
	v_lshrrev_b32_e32 v23, 5, v19
	v_lshrrev_b32_e32 v25, 5, v15
	v_dual_mov_b32 v13, 0 :: v_dual_add_nc_u32 v54, v7, v44
	v_lshlrev_b32_e32 v60, 3, v44
	v_and_b32_e32 v7, 0xfc, v27
	v_add_nc_u32_e32 v51, v4, v44
	v_and_b32_e32 v4, 0x7c, v23
	v_and_b32_e32 v9, 0xfc, v25
	v_lshrrev_b32_e32 v6, 8, v1
	v_add_nc_u32_e32 v56, v7, v60
	v_dual_mov_b32 v10, v42 :: v_dual_add_nc_u32 v49, v5, v44
	v_lshrrev_b32_e32 v5, 24, v1
	v_lshrrev_b32_e32 v8, 8, v2
	v_dual_mov_b32 v14, 0 :: v_dual_add_nc_u32 v53, v4, v44
	v_lshrrev_b32_e32 v4, 24, v2
	v_add_nc_u32_e32 v55, v9, v44
	v_mov_b32_e32 v9, v42
	v_mov_b32_e32 v7, v42
	ds_store_b8 v48, v3
	ds_store_b8 v49, v6 offset:512
	ds_store_b8_d16_hi v50, v1 offset:1024
	ds_store_b8 v51, v5 offset:1536
	ds_store_b8 v52, v2 offset:2048
	;; [unrolled: 1-line block ×3, first 2 shown]
	ds_store_b8_d16_hi v54, v2 offset:3072
	ds_store_b8 v55, v4 offset:3584
	s_wait_dscnt 0x0
	s_barrier_signal -1
	s_barrier_wait -1
	global_inv scope:SCOPE_SE
	ds_load_2addr_b32 v[45:46], v56 offset1:1
	s_wait_kmcnt 0x0
	s_mul_i32 s12, s15, s12
	v_mul_lo_u32 v41, s16, v44
	s_mov_b32 s13, 0
	s_wait_alu 0xfffe
	s_add_co_i32 s12, s12, s9
	v_dual_mov_b32 v1, v42 :: v_dual_mov_b32 v2, v42
	v_dual_mov_b32 v3, v42 :: v_dual_mov_b32 v4, v42
	v_dual_mov_b32 v5, v42 :: v_dual_mov_b32 v6, v42
	v_mov_b32_e32 v8, v42
	s_wait_alu 0xfffe
	s_lshl_b64 s[12:13], s[12:13], 3
	s_wait_loadcnt_dscnt 0x0
	s_wait_alu 0xfffe
	s_add_nc_u64 s[12:13], s[10:11], s[12:13]
	s_barrier_signal -1
	s_barrier_wait -1
	global_inv scope:SCOPE_SE
	s_and_saveexec_b32 s9, s0
	s_cbranch_execnz .LBB105_53
; %bb.21:
	s_or_b32 exec_lo, exec_lo, s9
	s_and_saveexec_b32 s9, s1
	s_cbranch_execnz .LBB105_54
.LBB105_22:
	s_or_b32 exec_lo, exec_lo, s9
	s_and_saveexec_b32 s9, s2
	s_cbranch_execnz .LBB105_55
.LBB105_23:
	s_or_b32 exec_lo, exec_lo, s9
	s_and_saveexec_b32 s9, s3
	s_cbranch_execnz .LBB105_56
.LBB105_24:
	s_or_b32 exec_lo, exec_lo, s9
	s_and_saveexec_b32 s9, s4
	s_cbranch_execnz .LBB105_57
.LBB105_25:
	s_or_b32 exec_lo, exec_lo, s9
	s_and_saveexec_b32 s9, s5
	s_cbranch_execnz .LBB105_58
.LBB105_26:
	s_or_b32 exec_lo, exec_lo, s9
	s_and_saveexec_b32 s9, s6
	s_cbranch_execnz .LBB105_59
.LBB105_27:
	s_or_b32 exec_lo, exec_lo, s9
	s_xor_b32 s9, s8, -1
	s_and_saveexec_b32 s8, s7
	s_cbranch_execz .LBB105_29
.LBB105_28:
	v_mul_lo_u32 v7, s16, v15
	v_mov_b32_e32 v8, 0
	s_delay_alu instid0(VALU_DEP_1) | instskip(SKIP_1) | instid1(VALU_DEP_1)
	v_lshlrev_b64_e32 v[7:8], 3, v[7:8]
	s_wait_alu 0xfffe
	v_add_co_u32 v7, vcc_lo, s12, v7
	s_wait_alu 0xfffd
	s_delay_alu instid0(VALU_DEP_2)
	v_add_co_ci_u32_e64 v8, null, s13, v8, vcc_lo
	global_load_b64 v[7:8], v[7:8], off
.LBB105_29:
	s_or_b32 exec_lo, exec_lo, s8
	v_lshl_add_u32 v57, v65, 3, v60
	v_lshl_add_u32 v58, v17, 3, v60
	;; [unrolled: 1-line block ×5, first 2 shown]
	s_wait_loadcnt 0x0
	ds_store_b64 v57, v[13:14]
	ds_store_b64 v58, v[42:43] offset:4096
	ds_store_b64 v59, v[9:10] offset:8192
	;; [unrolled: 1-line block ×3, first 2 shown]
	v_lshlrev_b32_e32 v9, 3, v60
	v_lshl_add_u32 v42, v20, 3, v60
	v_lshl_add_u32 v43, v23, 3, v60
	v_lshl_add_u32 v63, v25, 3, v60
	ds_store_b64 v42, v[1:2] offset:16384
	ds_store_b64 v43, v[3:4] offset:20480
	;; [unrolled: 1-line block ×4, first 2 shown]
	v_lshl_add_u32 v64, v27, 3, v9
	s_wait_dscnt 0x0
	s_barrier_signal -1
	s_barrier_wait -1
	global_inv scope:SCOPE_SE
	ds_load_2addr_b64 v[13:16], v64 offset1:1
	ds_load_2addr_b64 v[9:12], v64 offset0:2 offset1:3
	ds_load_2addr_b64 v[5:8], v64 offset0:4 offset1:5
	;; [unrolled: 1-line block ×3, first 2 shown]
	v_mbcnt_lo_u32_b32 v67, -1, 0
	v_and_b32_e32 v68, 0x3e0, v44
	v_lshrrev_b32_e32 v74, 24, v46
	v_lshrrev_b32_e32 v75, 16, v46
	;; [unrolled: 1-line block ×3, first 2 shown]
	v_and_or_b32 v73, 0x1f00, v60, v67
	v_or_b32_e32 v17, v67, v68
	v_lshrrev_b32_e32 v77, 24, v45
	v_lshrrev_b32_e32 v78, 16, v45
	;; [unrolled: 1-line block ×3, first 2 shown]
	v_bfe_u32 v69, v0, 10, 10
	v_lshlrev_b32_e32 v72, 3, v17
	v_bfe_u32 v70, v0, 20, 10
	v_mad_u32_u24 v71, v73, 7, v73
	v_lshlrev_b32_e32 v66, 2, v60
	s_mov_b32 s8, 0
	s_and_b32 vcc_lo, exec_lo, s9
	s_mov_b32 s9, -1
	s_wait_loadcnt_dscnt 0x0
	s_barrier_signal -1
	s_barrier_wait -1
	global_inv scope:SCOPE_SE
	s_wait_alu 0xfffe
	s_cbranch_vccz .LBB105_60
; %bb.30:
	v_xor_b32_e32 v0, 0x80, v45
	v_xor_b32_e32 v17, 0x80, v79
	;; [unrolled: 1-line block ×8, first 2 shown]
	s_getpc_b64 s[10:11]
	s_sext_i32_i16 s11, s11
	s_add_co_u32 s10, s10, _ZN7rocprim17ROCPRIM_400000_NS16block_radix_sortIaLj512ELj8ElLj1ELj1ELj0ELNS0_26block_radix_rank_algorithmE1ELNS0_18block_padding_hintE2ELNS0_4arch9wavefront6targetE0EE19radix_bits_per_passE@rel32@lo+8
	s_add_co_ci_u32 s11, s11, _ZN7rocprim17ROCPRIM_400000_NS16block_radix_sortIaLj512ELj8ElLj1ELj1ELj0ELNS0_26block_radix_rank_algorithmE1ELNS0_18block_padding_hintE2ELNS0_4arch9wavefront6targetE0EE19radix_bits_per_passE@rel32@hi+16
	v_lshlrev_b16 v17, 8, v17
	v_lshlrev_b16 v19, 8, v19
	v_and_b32_e32 v20, 0xff, v20
	v_lshlrev_b16 v21, 8, v21
	v_and_b32_e32 v22, 0xff, v22
	v_lshlrev_b16 v23, 8, v23
	s_load_b32 s9, s[10:11], 0x0
	s_mov_b32 s11, s8
	v_and_b32_e32 v0, 0xff, v0
	v_and_b32_e32 v18, 0xff, v18
	s_delay_alu instid0(VALU_DEP_2) | instskip(NEXT) | instid1(VALU_DEP_2)
	v_or_b32_e32 v0, v0, v17
	v_or_b32_e32 v17, v18, v19
	;; [unrolled: 1-line block ×4, first 2 shown]
	s_delay_alu instid0(VALU_DEP_4) | instskip(NEXT) | instid1(VALU_DEP_4)
	v_and_b32_e32 v0, 0xffff, v0
	v_lshlrev_b32_e32 v17, 16, v17
	s_delay_alu instid0(VALU_DEP_4) | instskip(NEXT) | instid1(VALU_DEP_4)
	v_and_b32_e32 v18, 0xffff, v18
	v_lshlrev_b32_e32 v19, 16, v19
	s_delay_alu instid0(VALU_DEP_3) | instskip(NEXT) | instid1(VALU_DEP_2)
	v_or_b32_e32 v17, v0, v17
	v_or_b32_e32 v18, v18, v19
	s_wait_kmcnt 0x0
	s_min_u32 s9, s9, 8
	s_delay_alu instid0(SALU_CYCLE_1)
	s_lshl_b32 s9, -1, s9
	ds_store_b64 v72, v[17:18]
	; wave barrier
	ds_load_u8 v0, v73
	ds_load_u8 v80, v73 offset:32
	ds_load_u8 v81, v73 offset:64
	;; [unrolled: 1-line block ×7, first 2 shown]
	s_not_b32 s15, s9
	v_lshlrev_b32_e32 v17, 3, v72
	s_wait_loadcnt_dscnt 0x0
	s_barrier_signal -1
	s_barrier_wait -1
	global_inv scope:SCOPE_SE
	ds_store_b128 v17, v[13:16]
	ds_store_b128 v17, v[9:12] offset:16
	ds_store_b128 v17, v[5:8] offset:32
	;; [unrolled: 1-line block ×3, first 2 shown]
	; wave barrier
	ds_load_2addr_b64 v[21:24], v71 offset1:32
	ds_load_2addr_b64 v[17:20], v71 offset0:64 offset1:96
	ds_load_2addr_b64 v[29:32], v71 offset0:192 offset1:224
	s_wait_alu 0xfffe
	v_and_b32_e32 v39, s15, v0
	s_delay_alu instid0(VALU_DEP_1) | instskip(SKIP_3) | instid1(VALU_DEP_4)
	v_and_b32_e32 v25, 1, v39
	v_lshlrev_b32_e32 v35, 30, v39
	v_lshlrev_b32_e32 v36, 29, v39
	;; [unrolled: 1-line block ×3, first 2 shown]
	v_add_co_u32 v33, s9, v25, -1
	s_delay_alu instid0(VALU_DEP_1)
	v_cndmask_b32_e64 v34, 0, 1, s9
	ds_load_2addr_b64 v[25:28], v71 offset0:128 offset1:160
	s_wait_loadcnt_dscnt 0x0
	s_barrier_signal -1
	s_barrier_wait -1
	v_cmp_ne_u32_e32 vcc_lo, 0, v34
	v_not_b32_e32 v34, v35
	global_inv scope:SCOPE_SE
	s_load_b32 s9, s[20:21], 0xc
	v_xor_b32_e32 v33, vcc_lo, v33
	v_cmp_gt_i32_e32 vcc_lo, 0, v35
	v_ashrrev_i32_e32 v34, 31, v34
	v_not_b32_e32 v35, v36
	s_delay_alu instid0(VALU_DEP_4) | instskip(SKIP_1) | instid1(VALU_DEP_3)
	v_and_b32_e32 v33, exec_lo, v33
	s_wait_alu 0xfffd
	v_xor_b32_e32 v34, vcc_lo, v34
	v_cmp_gt_i32_e32 vcc_lo, 0, v36
	v_ashrrev_i32_e32 v35, 31, v35
	v_not_b32_e32 v36, v37
	s_delay_alu instid0(VALU_DEP_4)
	v_and_b32_e32 v33, v33, v34
	v_lshlrev_b32_e32 v34, 27, v39
	s_wait_alu 0xfffd
	v_xor_b32_e32 v35, vcc_lo, v35
	v_cmp_gt_i32_e32 vcc_lo, 0, v37
	v_ashrrev_i32_e32 v36, 31, v36
	v_not_b32_e32 v37, v34
	s_delay_alu instid0(VALU_DEP_4)
	v_and_b32_e32 v33, v33, v35
	v_lshlrev_b32_e32 v35, 26, v39
	s_wait_alu 0xfffd
	v_xor_b32_e32 v36, vcc_lo, v36
	v_cmp_gt_i32_e32 vcc_lo, 0, v34
	v_ashrrev_i32_e32 v34, 31, v37
	s_wait_kmcnt 0x0
	s_lshr_b32 s10, s9, 16
	v_not_b32_e32 v37, v35
	v_and_b32_e32 v33, v33, v36
	v_lshlrev_b32_e32 v36, 25, v39
	s_wait_alu 0xfffd
	v_xor_b32_e32 v34, vcc_lo, v34
	v_cmp_gt_i32_e32 vcc_lo, 0, v35
	v_ashrrev_i32_e32 v35, 31, v37
	v_mad_u32_u24 v38, v70, s10, v69
	v_not_b32_e32 v37, v36
	v_and_b32_e32 v33, v33, v34
	v_lshlrev_b32_e32 v34, 24, v39
	s_wait_alu 0xfffd
	v_xor_b32_e32 v35, vcc_lo, v35
	v_cmp_gt_i32_e32 vcc_lo, 0, v36
	v_ashrrev_i32_e32 v36, 31, v37
	s_and_b32 s9, s9, 0xffff
	v_not_b32_e32 v37, v34
	v_and_b32_e32 v35, v33, v35
	s_mov_b32 s10, s8
	s_wait_alu 0xfffd
	v_xor_b32_e32 v36, vcc_lo, v36
	v_cmp_gt_i32_e32 vcc_lo, 0, v34
	v_ashrrev_i32_e32 v37, 31, v37
	s_wait_alu 0xfffe
	v_mad_co_u64_u32 v[33:34], null, v38, s9, v[44:45]
	v_and_b32_e32 v34, v35, v36
	s_mov_b32 s9, s8
	s_wait_alu 0xfffd
	v_xor_b32_e32 v40, vcc_lo, v37
	v_dual_mov_b32 v38, s11 :: v_dual_mov_b32 v37, s10
	s_wait_alu 0xfffe
	v_dual_mov_b32 v36, s9 :: v_dual_mov_b32 v35, s8
	s_delay_alu instid0(VALU_DEP_3)
	v_and_b32_e32 v34, v34, v40
	v_and_b32_e32 v39, 0xff, v39
	v_lshrrev_b32_e32 v33, 3, v33
	ds_store_b128 v66, v[35:38] offset:64
	ds_store_b128 v66, v[35:38] offset:80
	v_mbcnt_lo_u32_b32 v87, v34, 0
	v_lshlrev_b32_e32 v35, 6, v39
	v_and_b32_e32 v33, 0x1ffffffc, v33
	v_cmp_ne_u32_e64 s8, 0, v34
	s_wait_loadcnt_dscnt 0x0
	v_cmp_eq_u32_e32 vcc_lo, 0, v87
	s_barrier_signal -1
	v_add_nc_u32_e32 v88, v33, v35
	s_barrier_wait -1
	global_inv scope:SCOPE_SE
	s_and_b32 s9, s8, vcc_lo
	; wave barrier
	s_wait_alu 0xfffe
	s_and_saveexec_b32 s8, s9
; %bb.31:
	v_bcnt_u32_b32 v34, v34, 0
	ds_store_b32 v88, v34 offset:64
; %bb.32:
	s_wait_alu 0xfffe
	s_or_b32 exec_lo, exec_lo, s8
	v_and_b32_e32 v34, s15, v80
	; wave barrier
	s_delay_alu instid0(VALU_DEP_1)
	v_and_b32_e32 v36, 1, v34
	v_lshlrev_b32_e32 v37, 30, v34
	v_lshlrev_b32_e32 v38, 29, v34
	;; [unrolled: 1-line block ×4, first 2 shown]
	v_add_co_u32 v36, s8, v36, -1
	s_wait_alu 0xf1ff
	v_cndmask_b32_e64 v40, 0, 1, s8
	v_not_b32_e32 v92, v37
	v_cmp_gt_i32_e64 s8, 0, v37
	v_not_b32_e32 v37, v38
	v_lshlrev_b32_e32 v90, 26, v34
	v_cmp_ne_u32_e32 vcc_lo, 0, v40
	v_ashrrev_i32_e32 v40, 31, v92
	v_lshlrev_b32_e32 v91, 25, v34
	v_ashrrev_i32_e32 v37, 31, v37
	v_and_b32_e32 v35, 0xff, v34
	s_wait_alu 0xfffd
	v_xor_b32_e32 v36, vcc_lo, v36
	v_cmp_gt_i32_e32 vcc_lo, 0, v38
	v_not_b32_e32 v38, v39
	s_wait_alu 0xf1ff
	v_xor_b32_e32 v40, s8, v40
	v_cmp_gt_i32_e64 s8, 0, v39
	v_and_b32_e32 v36, exec_lo, v36
	v_not_b32_e32 v39, v89
	v_ashrrev_i32_e32 v38, 31, v38
	s_wait_alu 0xfffd
	v_xor_b32_e32 v37, vcc_lo, v37
	v_cmp_gt_i32_e32 vcc_lo, 0, v89
	v_and_b32_e32 v36, v36, v40
	v_not_b32_e32 v40, v90
	v_ashrrev_i32_e32 v39, 31, v39
	s_wait_alu 0xf1ff
	v_xor_b32_e32 v38, s8, v38
	v_lshlrev_b32_e32 v34, 24, v34
	v_and_b32_e32 v36, v36, v37
	v_cmp_gt_i32_e64 s8, 0, v90
	v_not_b32_e32 v37, v91
	v_ashrrev_i32_e32 v40, 31, v40
	s_wait_alu 0xfffd
	v_xor_b32_e32 v39, vcc_lo, v39
	v_and_b32_e32 v36, v36, v38
	v_cmp_gt_i32_e32 vcc_lo, 0, v91
	v_not_b32_e32 v38, v34
	v_ashrrev_i32_e32 v37, 31, v37
	s_wait_alu 0xf1ff
	v_xor_b32_e32 v40, s8, v40
	v_and_b32_e32 v36, v36, v39
	v_lshlrev_b32_e32 v35, 6, v35
	v_cmp_gt_i32_e64 s8, 0, v34
	v_ashrrev_i32_e32 v34, 31, v38
	s_wait_alu 0xfffd
	v_xor_b32_e32 v37, vcc_lo, v37
	v_and_b32_e32 v36, v36, v40
	v_add_nc_u32_e32 v91, v33, v35
	s_wait_alu 0xf1ff
	v_xor_b32_e32 v34, s8, v34
	s_delay_alu instid0(VALU_DEP_3) | instskip(SKIP_2) | instid1(VALU_DEP_1)
	v_and_b32_e32 v35, v36, v37
	ds_load_b32 v89, v91 offset:64
	; wave barrier
	v_and_b32_e32 v34, v35, v34
	v_mbcnt_lo_u32_b32 v90, v34, 0
	v_cmp_ne_u32_e64 s8, 0, v34
	s_delay_alu instid0(VALU_DEP_2)
	v_cmp_eq_u32_e32 vcc_lo, 0, v90
	s_and_b32 s9, s8, vcc_lo
	s_wait_alu 0xfffe
	s_and_saveexec_b32 s8, s9
	s_cbranch_execz .LBB105_34
; %bb.33:
	s_wait_dscnt 0x0
	v_bcnt_u32_b32 v34, v34, v89
	ds_store_b32 v91, v34 offset:64
.LBB105_34:
	s_wait_alu 0xfffe
	s_or_b32 exec_lo, exec_lo, s8
	v_and_b32_e32 v34, s15, v81
	; wave barrier
	s_delay_alu instid0(VALU_DEP_1)
	v_and_b32_e32 v36, 1, v34
	v_lshlrev_b32_e32 v37, 30, v34
	v_lshlrev_b32_e32 v38, 29, v34
	;; [unrolled: 1-line block ×4, first 2 shown]
	v_add_co_u32 v36, s8, v36, -1
	s_wait_alu 0xf1ff
	v_cndmask_b32_e64 v40, 0, 1, s8
	v_not_b32_e32 v95, v37
	v_cmp_gt_i32_e64 s8, 0, v37
	v_not_b32_e32 v37, v38
	v_lshlrev_b32_e32 v93, 26, v34
	v_cmp_ne_u32_e32 vcc_lo, 0, v40
	v_ashrrev_i32_e32 v40, 31, v95
	v_lshlrev_b32_e32 v94, 25, v34
	v_ashrrev_i32_e32 v37, 31, v37
	v_and_b32_e32 v35, 0xff, v34
	s_wait_alu 0xfffd
	v_xor_b32_e32 v36, vcc_lo, v36
	v_cmp_gt_i32_e32 vcc_lo, 0, v38
	v_not_b32_e32 v38, v39
	s_wait_alu 0xf1ff
	v_xor_b32_e32 v40, s8, v40
	v_cmp_gt_i32_e64 s8, 0, v39
	v_and_b32_e32 v36, exec_lo, v36
	v_not_b32_e32 v39, v92
	v_ashrrev_i32_e32 v38, 31, v38
	s_wait_alu 0xfffd
	v_xor_b32_e32 v37, vcc_lo, v37
	v_cmp_gt_i32_e32 vcc_lo, 0, v92
	v_and_b32_e32 v36, v36, v40
	v_not_b32_e32 v40, v93
	v_ashrrev_i32_e32 v39, 31, v39
	s_wait_alu 0xf1ff
	v_xor_b32_e32 v38, s8, v38
	v_lshlrev_b32_e32 v34, 24, v34
	v_and_b32_e32 v36, v36, v37
	v_cmp_gt_i32_e64 s8, 0, v93
	v_not_b32_e32 v37, v94
	v_ashrrev_i32_e32 v40, 31, v40
	s_wait_alu 0xfffd
	v_xor_b32_e32 v39, vcc_lo, v39
	v_and_b32_e32 v36, v36, v38
	v_cmp_gt_i32_e32 vcc_lo, 0, v94
	v_not_b32_e32 v38, v34
	v_ashrrev_i32_e32 v37, 31, v37
	s_wait_alu 0xf1ff
	v_xor_b32_e32 v40, s8, v40
	v_and_b32_e32 v36, v36, v39
	v_lshlrev_b32_e32 v35, 6, v35
	v_cmp_gt_i32_e64 s8, 0, v34
	v_ashrrev_i32_e32 v34, 31, v38
	s_wait_alu 0xfffd
	v_xor_b32_e32 v37, vcc_lo, v37
	v_and_b32_e32 v36, v36, v40
	v_add_nc_u32_e32 v94, v33, v35
	s_wait_alu 0xf1ff
	v_xor_b32_e32 v34, s8, v34
	s_delay_alu instid0(VALU_DEP_3) | instskip(SKIP_2) | instid1(VALU_DEP_1)
	v_and_b32_e32 v35, v36, v37
	ds_load_b32 v92, v94 offset:64
	; wave barrier
	v_and_b32_e32 v34, v35, v34
	v_mbcnt_lo_u32_b32 v93, v34, 0
	v_cmp_ne_u32_e64 s8, 0, v34
	s_delay_alu instid0(VALU_DEP_2)
	v_cmp_eq_u32_e32 vcc_lo, 0, v93
	s_and_b32 s9, s8, vcc_lo
	s_wait_alu 0xfffe
	s_and_saveexec_b32 s8, s9
	s_cbranch_execz .LBB105_36
; %bb.35:
	s_wait_dscnt 0x0
	v_bcnt_u32_b32 v34, v34, v92
	ds_store_b32 v94, v34 offset:64
.LBB105_36:
	s_wait_alu 0xfffe
	s_or_b32 exec_lo, exec_lo, s8
	v_and_b32_e32 v34, s15, v82
	; wave barrier
	s_delay_alu instid0(VALU_DEP_1)
	v_and_b32_e32 v36, 1, v34
	v_lshlrev_b32_e32 v37, 30, v34
	v_lshlrev_b32_e32 v38, 29, v34
	;; [unrolled: 1-line block ×4, first 2 shown]
	v_add_co_u32 v36, s8, v36, -1
	s_wait_alu 0xf1ff
	v_cndmask_b32_e64 v40, 0, 1, s8
	v_not_b32_e32 v98, v37
	v_cmp_gt_i32_e64 s8, 0, v37
	v_not_b32_e32 v37, v38
	v_lshlrev_b32_e32 v96, 26, v34
	v_cmp_ne_u32_e32 vcc_lo, 0, v40
	v_ashrrev_i32_e32 v40, 31, v98
	v_lshlrev_b32_e32 v97, 25, v34
	v_ashrrev_i32_e32 v37, 31, v37
	v_and_b32_e32 v35, 0xff, v34
	s_wait_alu 0xfffd
	v_xor_b32_e32 v36, vcc_lo, v36
	v_cmp_gt_i32_e32 vcc_lo, 0, v38
	v_not_b32_e32 v38, v39
	s_wait_alu 0xf1ff
	v_xor_b32_e32 v40, s8, v40
	v_cmp_gt_i32_e64 s8, 0, v39
	v_and_b32_e32 v36, exec_lo, v36
	v_not_b32_e32 v39, v95
	v_ashrrev_i32_e32 v38, 31, v38
	s_wait_alu 0xfffd
	v_xor_b32_e32 v37, vcc_lo, v37
	v_cmp_gt_i32_e32 vcc_lo, 0, v95
	v_and_b32_e32 v36, v36, v40
	v_not_b32_e32 v40, v96
	v_ashrrev_i32_e32 v39, 31, v39
	s_wait_alu 0xf1ff
	v_xor_b32_e32 v38, s8, v38
	v_lshlrev_b32_e32 v34, 24, v34
	v_and_b32_e32 v36, v36, v37
	v_cmp_gt_i32_e64 s8, 0, v96
	v_not_b32_e32 v37, v97
	v_ashrrev_i32_e32 v40, 31, v40
	s_wait_alu 0xfffd
	v_xor_b32_e32 v39, vcc_lo, v39
	v_and_b32_e32 v36, v36, v38
	v_cmp_gt_i32_e32 vcc_lo, 0, v97
	v_not_b32_e32 v38, v34
	v_ashrrev_i32_e32 v37, 31, v37
	s_wait_alu 0xf1ff
	v_xor_b32_e32 v40, s8, v40
	v_and_b32_e32 v36, v36, v39
	v_lshlrev_b32_e32 v35, 6, v35
	v_cmp_gt_i32_e64 s8, 0, v34
	v_ashrrev_i32_e32 v34, 31, v38
	s_wait_alu 0xfffd
	v_xor_b32_e32 v37, vcc_lo, v37
	v_and_b32_e32 v36, v36, v40
	v_add_nc_u32_e32 v97, v33, v35
	s_wait_alu 0xf1ff
	v_xor_b32_e32 v34, s8, v34
	s_delay_alu instid0(VALU_DEP_3) | instskip(SKIP_2) | instid1(VALU_DEP_1)
	v_and_b32_e32 v35, v36, v37
	ds_load_b32 v95, v97 offset:64
	; wave barrier
	v_and_b32_e32 v34, v35, v34
	v_mbcnt_lo_u32_b32 v96, v34, 0
	v_cmp_ne_u32_e64 s8, 0, v34
	s_delay_alu instid0(VALU_DEP_2)
	v_cmp_eq_u32_e32 vcc_lo, 0, v96
	s_and_b32 s9, s8, vcc_lo
	s_wait_alu 0xfffe
	s_and_saveexec_b32 s8, s9
	s_cbranch_execz .LBB105_38
; %bb.37:
	s_wait_dscnt 0x0
	v_bcnt_u32_b32 v34, v34, v95
	ds_store_b32 v97, v34 offset:64
.LBB105_38:
	s_wait_alu 0xfffe
	s_or_b32 exec_lo, exec_lo, s8
	v_and_b32_e32 v34, s15, v83
	; wave barrier
	s_delay_alu instid0(VALU_DEP_1)
	v_and_b32_e32 v36, 1, v34
	v_lshlrev_b32_e32 v37, 30, v34
	v_lshlrev_b32_e32 v38, 29, v34
	;; [unrolled: 1-line block ×4, first 2 shown]
	v_add_co_u32 v36, s8, v36, -1
	s_wait_alu 0xf1ff
	v_cndmask_b32_e64 v40, 0, 1, s8
	v_not_b32_e32 v101, v37
	v_cmp_gt_i32_e64 s8, 0, v37
	v_not_b32_e32 v37, v38
	v_lshlrev_b32_e32 v99, 26, v34
	v_cmp_ne_u32_e32 vcc_lo, 0, v40
	v_ashrrev_i32_e32 v40, 31, v101
	v_lshlrev_b32_e32 v100, 25, v34
	v_ashrrev_i32_e32 v37, 31, v37
	v_and_b32_e32 v35, 0xff, v34
	s_wait_alu 0xfffd
	v_xor_b32_e32 v36, vcc_lo, v36
	v_cmp_gt_i32_e32 vcc_lo, 0, v38
	v_not_b32_e32 v38, v39
	s_wait_alu 0xf1ff
	v_xor_b32_e32 v40, s8, v40
	v_cmp_gt_i32_e64 s8, 0, v39
	v_and_b32_e32 v36, exec_lo, v36
	v_not_b32_e32 v39, v98
	v_ashrrev_i32_e32 v38, 31, v38
	s_wait_alu 0xfffd
	v_xor_b32_e32 v37, vcc_lo, v37
	v_cmp_gt_i32_e32 vcc_lo, 0, v98
	v_and_b32_e32 v36, v36, v40
	v_not_b32_e32 v40, v99
	v_ashrrev_i32_e32 v39, 31, v39
	s_wait_alu 0xf1ff
	v_xor_b32_e32 v38, s8, v38
	v_lshlrev_b32_e32 v34, 24, v34
	v_and_b32_e32 v36, v36, v37
	v_cmp_gt_i32_e64 s8, 0, v99
	v_not_b32_e32 v37, v100
	v_ashrrev_i32_e32 v40, 31, v40
	s_wait_alu 0xfffd
	v_xor_b32_e32 v39, vcc_lo, v39
	v_and_b32_e32 v36, v36, v38
	v_cmp_gt_i32_e32 vcc_lo, 0, v100
	v_not_b32_e32 v38, v34
	v_ashrrev_i32_e32 v37, 31, v37
	s_wait_alu 0xf1ff
	v_xor_b32_e32 v40, s8, v40
	v_and_b32_e32 v36, v36, v39
	v_lshlrev_b32_e32 v35, 6, v35
	v_cmp_gt_i32_e64 s8, 0, v34
	v_ashrrev_i32_e32 v34, 31, v38
	s_wait_alu 0xfffd
	v_xor_b32_e32 v37, vcc_lo, v37
	v_and_b32_e32 v36, v36, v40
	v_add_nc_u32_e32 v100, v33, v35
	s_wait_alu 0xf1ff
	v_xor_b32_e32 v34, s8, v34
	s_delay_alu instid0(VALU_DEP_3) | instskip(SKIP_2) | instid1(VALU_DEP_1)
	v_and_b32_e32 v35, v36, v37
	ds_load_b32 v98, v100 offset:64
	; wave barrier
	v_and_b32_e32 v34, v35, v34
	v_mbcnt_lo_u32_b32 v99, v34, 0
	v_cmp_ne_u32_e64 s8, 0, v34
	s_delay_alu instid0(VALU_DEP_2)
	v_cmp_eq_u32_e32 vcc_lo, 0, v99
	s_and_b32 s9, s8, vcc_lo
	s_wait_alu 0xfffe
	s_and_saveexec_b32 s8, s9
	s_cbranch_execz .LBB105_40
; %bb.39:
	s_wait_dscnt 0x0
	v_bcnt_u32_b32 v34, v34, v98
	ds_store_b32 v100, v34 offset:64
.LBB105_40:
	s_wait_alu 0xfffe
	s_or_b32 exec_lo, exec_lo, s8
	v_and_b32_e32 v34, s15, v84
	; wave barrier
	s_delay_alu instid0(VALU_DEP_1)
	v_and_b32_e32 v36, 1, v34
	v_lshlrev_b32_e32 v37, 30, v34
	v_lshlrev_b32_e32 v38, 29, v34
	;; [unrolled: 1-line block ×4, first 2 shown]
	v_add_co_u32 v36, s8, v36, -1
	s_wait_alu 0xf1ff
	v_cndmask_b32_e64 v40, 0, 1, s8
	v_not_b32_e32 v104, v37
	v_cmp_gt_i32_e64 s8, 0, v37
	v_not_b32_e32 v37, v38
	v_lshlrev_b32_e32 v102, 26, v34
	v_cmp_ne_u32_e32 vcc_lo, 0, v40
	v_ashrrev_i32_e32 v40, 31, v104
	v_lshlrev_b32_e32 v103, 25, v34
	v_ashrrev_i32_e32 v37, 31, v37
	v_and_b32_e32 v35, 0xff, v34
	s_wait_alu 0xfffd
	v_xor_b32_e32 v36, vcc_lo, v36
	v_cmp_gt_i32_e32 vcc_lo, 0, v38
	v_not_b32_e32 v38, v39
	s_wait_alu 0xf1ff
	v_xor_b32_e32 v40, s8, v40
	v_cmp_gt_i32_e64 s8, 0, v39
	v_and_b32_e32 v36, exec_lo, v36
	v_not_b32_e32 v39, v101
	v_ashrrev_i32_e32 v38, 31, v38
	s_wait_alu 0xfffd
	v_xor_b32_e32 v37, vcc_lo, v37
	v_cmp_gt_i32_e32 vcc_lo, 0, v101
	v_and_b32_e32 v36, v36, v40
	v_not_b32_e32 v40, v102
	v_ashrrev_i32_e32 v39, 31, v39
	s_wait_alu 0xf1ff
	v_xor_b32_e32 v38, s8, v38
	v_lshlrev_b32_e32 v34, 24, v34
	v_and_b32_e32 v36, v36, v37
	v_cmp_gt_i32_e64 s8, 0, v102
	v_not_b32_e32 v37, v103
	v_ashrrev_i32_e32 v40, 31, v40
	s_wait_alu 0xfffd
	v_xor_b32_e32 v39, vcc_lo, v39
	v_and_b32_e32 v36, v36, v38
	v_cmp_gt_i32_e32 vcc_lo, 0, v103
	v_not_b32_e32 v38, v34
	v_ashrrev_i32_e32 v37, 31, v37
	s_wait_alu 0xf1ff
	v_xor_b32_e32 v40, s8, v40
	v_and_b32_e32 v36, v36, v39
	v_lshlrev_b32_e32 v35, 6, v35
	v_cmp_gt_i32_e64 s8, 0, v34
	v_ashrrev_i32_e32 v34, 31, v38
	s_wait_alu 0xfffd
	v_xor_b32_e32 v37, vcc_lo, v37
	v_and_b32_e32 v36, v36, v40
	v_add_nc_u32_e32 v103, v33, v35
	s_wait_alu 0xf1ff
	v_xor_b32_e32 v34, s8, v34
	s_delay_alu instid0(VALU_DEP_3) | instskip(SKIP_2) | instid1(VALU_DEP_1)
	v_and_b32_e32 v35, v36, v37
	ds_load_b32 v101, v103 offset:64
	; wave barrier
	v_and_b32_e32 v34, v35, v34
	v_mbcnt_lo_u32_b32 v102, v34, 0
	v_cmp_ne_u32_e64 s8, 0, v34
	s_delay_alu instid0(VALU_DEP_2)
	v_cmp_eq_u32_e32 vcc_lo, 0, v102
	s_and_b32 s9, s8, vcc_lo
	s_wait_alu 0xfffe
	s_and_saveexec_b32 s8, s9
	s_cbranch_execz .LBB105_42
; %bb.41:
	s_wait_dscnt 0x0
	v_bcnt_u32_b32 v34, v34, v101
	ds_store_b32 v103, v34 offset:64
.LBB105_42:
	s_wait_alu 0xfffe
	s_or_b32 exec_lo, exec_lo, s8
	v_and_b32_e32 v34, s15, v85
	; wave barrier
	s_delay_alu instid0(VALU_DEP_1)
	v_and_b32_e32 v36, 1, v34
	v_lshlrev_b32_e32 v37, 30, v34
	v_lshlrev_b32_e32 v38, 29, v34
	;; [unrolled: 1-line block ×4, first 2 shown]
	v_add_co_u32 v36, s8, v36, -1
	s_wait_alu 0xf1ff
	v_cndmask_b32_e64 v40, 0, 1, s8
	v_not_b32_e32 v107, v37
	v_cmp_gt_i32_e64 s8, 0, v37
	v_not_b32_e32 v37, v38
	v_lshlrev_b32_e32 v105, 26, v34
	v_cmp_ne_u32_e32 vcc_lo, 0, v40
	v_ashrrev_i32_e32 v40, 31, v107
	v_lshlrev_b32_e32 v106, 25, v34
	v_ashrrev_i32_e32 v37, 31, v37
	v_and_b32_e32 v35, 0xff, v34
	s_wait_alu 0xfffd
	v_xor_b32_e32 v36, vcc_lo, v36
	v_cmp_gt_i32_e32 vcc_lo, 0, v38
	v_not_b32_e32 v38, v39
	s_wait_alu 0xf1ff
	v_xor_b32_e32 v40, s8, v40
	v_cmp_gt_i32_e64 s8, 0, v39
	v_and_b32_e32 v36, exec_lo, v36
	v_not_b32_e32 v39, v104
	v_ashrrev_i32_e32 v38, 31, v38
	s_wait_alu 0xfffd
	v_xor_b32_e32 v37, vcc_lo, v37
	v_cmp_gt_i32_e32 vcc_lo, 0, v104
	v_and_b32_e32 v36, v36, v40
	v_not_b32_e32 v40, v105
	v_ashrrev_i32_e32 v39, 31, v39
	s_wait_alu 0xf1ff
	v_xor_b32_e32 v38, s8, v38
	v_lshlrev_b32_e32 v34, 24, v34
	v_and_b32_e32 v36, v36, v37
	v_cmp_gt_i32_e64 s8, 0, v105
	v_not_b32_e32 v37, v106
	v_ashrrev_i32_e32 v40, 31, v40
	s_wait_alu 0xfffd
	v_xor_b32_e32 v39, vcc_lo, v39
	v_and_b32_e32 v36, v36, v38
	v_cmp_gt_i32_e32 vcc_lo, 0, v106
	v_not_b32_e32 v38, v34
	v_ashrrev_i32_e32 v37, 31, v37
	s_wait_alu 0xf1ff
	v_xor_b32_e32 v40, s8, v40
	v_and_b32_e32 v36, v36, v39
	v_lshlrev_b32_e32 v35, 6, v35
	v_cmp_gt_i32_e64 s8, 0, v34
	v_ashrrev_i32_e32 v34, 31, v38
	s_wait_alu 0xfffd
	v_xor_b32_e32 v37, vcc_lo, v37
	v_and_b32_e32 v36, v36, v40
	v_add_nc_u32_e32 v106, v33, v35
	s_wait_alu 0xf1ff
	v_xor_b32_e32 v34, s8, v34
	s_delay_alu instid0(VALU_DEP_3) | instskip(SKIP_2) | instid1(VALU_DEP_1)
	v_and_b32_e32 v35, v36, v37
	ds_load_b32 v104, v106 offset:64
	; wave barrier
	v_and_b32_e32 v34, v35, v34
	v_mbcnt_lo_u32_b32 v105, v34, 0
	v_cmp_ne_u32_e64 s8, 0, v34
	s_delay_alu instid0(VALU_DEP_2)
	v_cmp_eq_u32_e32 vcc_lo, 0, v105
	s_and_b32 s9, s8, vcc_lo
	s_wait_alu 0xfffe
	s_and_saveexec_b32 s8, s9
	s_cbranch_execz .LBB105_44
; %bb.43:
	s_wait_dscnt 0x0
	v_bcnt_u32_b32 v34, v34, v104
	ds_store_b32 v106, v34 offset:64
.LBB105_44:
	s_wait_alu 0xfffe
	s_or_b32 exec_lo, exec_lo, s8
	v_and_b32_e32 v34, s15, v86
	; wave barrier
	s_delay_alu instid0(VALU_DEP_1)
	v_and_b32_e32 v36, 1, v34
	v_lshlrev_b32_e32 v37, 30, v34
	v_lshlrev_b32_e32 v38, 29, v34
	;; [unrolled: 1-line block ×4, first 2 shown]
	v_add_co_u32 v36, s8, v36, -1
	s_wait_alu 0xf1ff
	v_cndmask_b32_e64 v40, 0, 1, s8
	v_not_b32_e32 v110, v37
	v_cmp_gt_i32_e64 s8, 0, v37
	v_not_b32_e32 v37, v38
	v_lshlrev_b32_e32 v108, 26, v34
	v_cmp_ne_u32_e32 vcc_lo, 0, v40
	v_ashrrev_i32_e32 v40, 31, v110
	v_lshlrev_b32_e32 v109, 25, v34
	v_ashrrev_i32_e32 v37, 31, v37
	v_and_b32_e32 v35, 0xff, v34
	s_wait_alu 0xfffd
	v_xor_b32_e32 v36, vcc_lo, v36
	v_cmp_gt_i32_e32 vcc_lo, 0, v38
	v_not_b32_e32 v38, v39
	s_wait_alu 0xf1ff
	v_xor_b32_e32 v40, s8, v40
	v_cmp_gt_i32_e64 s8, 0, v39
	v_and_b32_e32 v36, exec_lo, v36
	v_not_b32_e32 v39, v107
	v_ashrrev_i32_e32 v38, 31, v38
	s_wait_alu 0xfffd
	v_xor_b32_e32 v37, vcc_lo, v37
	v_cmp_gt_i32_e32 vcc_lo, 0, v107
	v_and_b32_e32 v36, v36, v40
	v_not_b32_e32 v40, v108
	v_ashrrev_i32_e32 v39, 31, v39
	s_wait_alu 0xf1ff
	v_xor_b32_e32 v38, s8, v38
	v_lshlrev_b32_e32 v34, 24, v34
	v_and_b32_e32 v36, v36, v37
	v_cmp_gt_i32_e64 s8, 0, v108
	v_not_b32_e32 v37, v109
	v_ashrrev_i32_e32 v40, 31, v40
	s_wait_alu 0xfffd
	v_xor_b32_e32 v39, vcc_lo, v39
	v_and_b32_e32 v36, v36, v38
	v_cmp_gt_i32_e32 vcc_lo, 0, v109
	v_not_b32_e32 v38, v34
	v_ashrrev_i32_e32 v37, 31, v37
	s_wait_alu 0xf1ff
	v_xor_b32_e32 v40, s8, v40
	v_and_b32_e32 v36, v36, v39
	v_lshlrev_b32_e32 v35, 6, v35
	v_cmp_gt_i32_e64 s8, 0, v34
	v_ashrrev_i32_e32 v34, 31, v38
	s_wait_alu 0xfffd
	v_xor_b32_e32 v37, vcc_lo, v37
	v_and_b32_e32 v36, v36, v40
	v_add_nc_u32_e32 v109, v33, v35
	s_wait_alu 0xf1ff
	v_xor_b32_e32 v33, s8, v34
	s_delay_alu instid0(VALU_DEP_3) | instskip(SKIP_2) | instid1(VALU_DEP_1)
	v_and_b32_e32 v34, v36, v37
	ds_load_b32 v107, v109 offset:64
	; wave barrier
	v_and_b32_e32 v33, v34, v33
	v_mbcnt_lo_u32_b32 v108, v33, 0
	v_cmp_ne_u32_e64 s8, 0, v33
	s_delay_alu instid0(VALU_DEP_2)
	v_cmp_eq_u32_e32 vcc_lo, 0, v108
	s_and_b32 s9, s8, vcc_lo
	s_wait_alu 0xfffe
	s_and_saveexec_b32 s8, s9
	s_cbranch_execz .LBB105_46
; %bb.45:
	s_wait_dscnt 0x0
	v_bcnt_u32_b32 v33, v33, v107
	ds_store_b32 v109, v33 offset:64
.LBB105_46:
	s_wait_alu 0xfffe
	s_or_b32 exec_lo, exec_lo, s8
	; wave barrier
	s_wait_loadcnt_dscnt 0x0
	s_barrier_signal -1
	s_barrier_wait -1
	global_inv scope:SCOPE_SE
	ds_load_b128 v[37:40], v66 offset:64
	ds_load_b128 v[33:36], v66 offset:80
	v_min_u32_e32 v112, 0x1e0, v68
	s_mov_b32 s15, exec_lo
	s_wait_dscnt 0x1
	v_add_nc_u32_e32 v110, v38, v37
	s_delay_alu instid0(VALU_DEP_1) | instskip(SKIP_1) | instid1(VALU_DEP_1)
	v_add3_u32 v110, v110, v39, v40
	s_wait_dscnt 0x0
	v_add3_u32 v110, v110, v33, v34
	s_delay_alu instid0(VALU_DEP_1) | instskip(SKIP_1) | instid1(VALU_DEP_2)
	v_add3_u32 v36, v110, v35, v36
	v_and_b32_e32 v110, 15, v67
	v_mov_b32_dpp v111, v36 row_shr:1 row_mask:0xf bank_mask:0xf
	s_delay_alu instid0(VALU_DEP_2)
	v_cmp_eq_u32_e32 vcc_lo, 0, v110
	v_cmp_lt_u32_e64 s8, 1, v110
	v_cmp_lt_u32_e64 s9, 3, v110
	;; [unrolled: 1-line block ×3, first 2 shown]
	s_wait_alu 0xfffd
	v_cndmask_b32_e64 v111, v111, 0, vcc_lo
	s_delay_alu instid0(VALU_DEP_1) | instskip(NEXT) | instid1(VALU_DEP_1)
	v_add_nc_u32_e32 v36, v111, v36
	v_mov_b32_dpp v111, v36 row_shr:2 row_mask:0xf bank_mask:0xf
	s_wait_alu 0xf1ff
	s_delay_alu instid0(VALU_DEP_1) | instskip(NEXT) | instid1(VALU_DEP_1)
	v_cndmask_b32_e64 v111, 0, v111, s8
	v_add_nc_u32_e32 v36, v36, v111
	s_delay_alu instid0(VALU_DEP_1) | instskip(NEXT) | instid1(VALU_DEP_1)
	v_mov_b32_dpp v111, v36 row_shr:4 row_mask:0xf bank_mask:0xf
	v_cndmask_b32_e64 v111, 0, v111, s9
	s_delay_alu instid0(VALU_DEP_1) | instskip(NEXT) | instid1(VALU_DEP_1)
	v_add_nc_u32_e32 v36, v36, v111
	v_mov_b32_dpp v111, v36 row_shr:8 row_mask:0xf bank_mask:0xf
	s_delay_alu instid0(VALU_DEP_1) | instskip(SKIP_1) | instid1(VALU_DEP_2)
	v_cndmask_b32_e64 v110, 0, v111, s10
	v_bfe_i32 v111, v67, 4, 1
	v_add_nc_u32_e32 v36, v36, v110
	ds_swizzle_b32 v110, v36 offset:swizzle(BROADCAST,32,15)
	s_wait_dscnt 0x0
	v_and_b32_e32 v110, v111, v110
	v_or_b32_e32 v111, 31, v112
	s_delay_alu instid0(VALU_DEP_2) | instskip(NEXT) | instid1(VALU_DEP_2)
	v_add_nc_u32_e32 v36, v36, v110
	v_cmpx_eq_u32_e64 v44, v111
; %bb.47:
	v_lshlrev_b32_e32 v110, 2, v65
	ds_store_b32 v110, v36
; %bb.48:
	s_wait_alu 0xfffe
	s_or_b32 exec_lo, exec_lo, s15
	s_delay_alu instid0(SALU_CYCLE_1)
	s_mov_b32 s15, exec_lo
	s_wait_loadcnt_dscnt 0x0
	s_barrier_signal -1
	s_barrier_wait -1
	global_inv scope:SCOPE_SE
	v_cmpx_gt_u32_e32 16, v44
	s_cbranch_execz .LBB105_50
; %bb.49:
	v_lshlrev_b32_e32 v110, 2, v44
	ds_load_b32 v111, v110
	s_wait_dscnt 0x0
	v_mov_b32_dpp v112, v111 row_shr:1 row_mask:0xf bank_mask:0xf
	s_delay_alu instid0(VALU_DEP_1) | instskip(NEXT) | instid1(VALU_DEP_1)
	v_cndmask_b32_e64 v112, v112, 0, vcc_lo
	v_add_nc_u32_e32 v111, v112, v111
	s_delay_alu instid0(VALU_DEP_1) | instskip(NEXT) | instid1(VALU_DEP_1)
	v_mov_b32_dpp v112, v111 row_shr:2 row_mask:0xf bank_mask:0xf
	v_cndmask_b32_e64 v112, 0, v112, s8
	s_delay_alu instid0(VALU_DEP_1) | instskip(NEXT) | instid1(VALU_DEP_1)
	v_add_nc_u32_e32 v111, v111, v112
	v_mov_b32_dpp v112, v111 row_shr:4 row_mask:0xf bank_mask:0xf
	s_delay_alu instid0(VALU_DEP_1) | instskip(NEXT) | instid1(VALU_DEP_1)
	v_cndmask_b32_e64 v112, 0, v112, s9
	v_add_nc_u32_e32 v111, v111, v112
	s_delay_alu instid0(VALU_DEP_1) | instskip(NEXT) | instid1(VALU_DEP_1)
	v_mov_b32_dpp v112, v111 row_shr:8 row_mask:0xf bank_mask:0xf
	v_cndmask_b32_e64 v112, 0, v112, s10
	s_delay_alu instid0(VALU_DEP_1)
	v_add_nc_u32_e32 v111, v111, v112
	ds_store_b32 v110, v111
.LBB105_50:
	s_wait_alu 0xfffe
	s_or_b32 exec_lo, exec_lo, s15
	v_mov_b32_e32 v110, 0
	s_mov_b32 s8, exec_lo
	s_wait_loadcnt_dscnt 0x0
	s_barrier_signal -1
	s_barrier_wait -1
	global_inv scope:SCOPE_SE
	v_cmpx_lt_u32_e32 31, v44
; %bb.51:
	v_lshl_add_u32 v110, v65, 2, -4
	ds_load_b32 v110, v110
; %bb.52:
	s_wait_alu 0xfffe
	s_or_b32 exec_lo, exec_lo, s8
	v_sub_co_u32 v111, vcc_lo, v67, 1
	s_wait_dscnt 0x0
	v_add_nc_u32_e32 v36, v110, v36
	s_delay_alu instid0(VALU_DEP_2) | instskip(SKIP_1) | instid1(VALU_DEP_1)
	v_cmp_gt_i32_e64 s8, 0, v111
	s_wait_alu 0xf1ff
	v_cndmask_b32_e64 v111, v111, v67, s8
	s_delay_alu instid0(VALU_DEP_1)
	v_lshlrev_b32_e32 v111, 2, v111
	ds_bpermute_b32 v36, v111, v36
	s_wait_dscnt 0x0
	s_wait_alu 0xfffd
	v_cndmask_b32_e32 v36, v36, v110, vcc_lo
	v_cmp_ne_u32_e32 vcc_lo, 0, v44
	s_wait_alu 0xfffd
	s_delay_alu instid0(VALU_DEP_2) | instskip(NEXT) | instid1(VALU_DEP_1)
	v_cndmask_b32_e32 v36, 0, v36, vcc_lo
	v_add_nc_u32_e32 v37, v36, v37
	s_delay_alu instid0(VALU_DEP_1) | instskip(NEXT) | instid1(VALU_DEP_1)
	v_add_nc_u32_e32 v38, v37, v38
	v_add_nc_u32_e32 v39, v38, v39
	s_delay_alu instid0(VALU_DEP_1) | instskip(NEXT) | instid1(VALU_DEP_1)
	v_add_nc_u32_e32 v110, v39, v40
	;; [unrolled: 3-line block ×3, first 2 shown]
	v_add_nc_u32_e32 v113, v112, v35
	ds_store_b128 v66, v[36:39] offset:64
	ds_store_b128 v66, v[110:113] offset:80
	s_wait_loadcnt_dscnt 0x0
	s_barrier_signal -1
	s_barrier_wait -1
	global_inv scope:SCOPE_SE
	ds_load_b32 v33, v88 offset:64
	ds_load_b32 v34, v91 offset:64
	;; [unrolled: 1-line block ×8, first 2 shown]
	s_wait_loadcnt_dscnt 0x0
	s_barrier_signal -1
	s_barrier_wait -1
	global_inv scope:SCOPE_SE
	v_mad_u32_u24 v88, v44, 56, v60
	v_add_nc_u32_e32 v33, v33, v87
	v_add3_u32 v34, v90, v89, v34
	v_add3_u32 v35, v93, v92, v35
	v_add3_u32 v36, v96, v95, v36
	v_add3_u32 v37, v99, v98, v37
	v_add3_u32 v38, v102, v101, v38
	v_add3_u32 v39, v105, v104, v39
	v_add3_u32 v40, v108, v107, v40
	ds_store_b8 v33, v0
	ds_store_b8 v34, v80
	ds_store_b8 v35, v81
	ds_store_b8 v36, v82
	ds_store_b8 v37, v83
	ds_store_b8 v38, v84
	ds_store_b8 v39, v85
	ds_store_b8 v40, v86
	s_wait_loadcnt_dscnt 0x0
	s_barrier_signal -1
	s_barrier_wait -1
	global_inv scope:SCOPE_SE
	v_lshlrev_b32_e32 v0, 3, v33
	v_lshlrev_b32_e32 v80, 3, v34
	ds_load_b64 v[33:34], v60
	v_lshlrev_b32_e32 v35, 3, v35
	v_lshlrev_b32_e32 v36, 3, v36
	;; [unrolled: 1-line block ×6, first 2 shown]
	s_wait_loadcnt_dscnt 0x0
	s_barrier_signal -1
	s_barrier_wait -1
	global_inv scope:SCOPE_SE
	ds_store_b64 v0, v[21:22]
	ds_store_b64 v80, v[23:24]
	;; [unrolled: 1-line block ×8, first 2 shown]
	s_wait_loadcnt_dscnt 0x0
	s_barrier_signal -1
	s_barrier_wait -1
	global_inv scope:SCOPE_SE
	ds_load_b128 v[21:24], v88
	ds_load_b128 v[17:20], v88 offset:16
	v_lshrrev_b32_e32 v0, 16, v33
	v_xor_b32_e32 v25, 0x80, v33
	v_lshrrev_b32_e32 v26, 16, v34
	v_and_b32_e32 v35, 0xffffff00, v34
	v_xor_b32_e32 v27, 0x80, v34
	v_and_b32_e32 v33, 0xffffff00, v33
	v_and_b32_e32 v34, 0xff, v25
	v_xor_b32_e32 v25, 0x80, v0
	v_xor_b32_e32 v28, 0x80, v26
	v_and_b32_e32 v0, 0xffffff00, v0
	v_and_b32_e32 v36, 0xff, v27
	;; [unrolled: 1-line block ×5, first 2 shown]
	ds_load_b128 v[29:32], v88 offset:32
	ds_load_b128 v[25:28], v88 offset:48
	v_or_b32_e32 v33, v34, v33
	v_or_b32_e32 v34, v36, v35
	;; [unrolled: 1-line block ×4, first 2 shown]
	s_delay_alu instid0(VALU_DEP_4) | instskip(NEXT) | instid1(VALU_DEP_4)
	v_add_nc_u16 v33, 0x8000, v33
	v_add_nc_u16 v34, 0x8000, v34
	s_delay_alu instid0(VALU_DEP_4) | instskip(NEXT) | instid1(VALU_DEP_4)
	v_add_nc_u16 v0, 0x8000, v0
	v_add_nc_u16 v35, 0x8000, v35
	s_delay_alu instid0(VALU_DEP_4) | instskip(NEXT) | instid1(VALU_DEP_4)
	v_and_b32_e32 v33, 0xffff, v33
	v_and_b32_e32 v34, 0xffff, v34
	s_delay_alu instid0(VALU_DEP_4) | instskip(NEXT) | instid1(VALU_DEP_4)
	v_lshlrev_b32_e32 v0, 16, v0
	v_lshlrev_b32_e32 v35, 16, v35
	s_delay_alu instid0(VALU_DEP_2) | instskip(NEXT) | instid1(VALU_DEP_2)
	v_or_b32_e32 v0, v33, v0
	v_or_b32_e32 v33, v34, v35
	s_branch .LBB105_84
.LBB105_53:
	v_lshlrev_b64_e32 v[1:2], 3, v[41:42]
	v_dual_mov_b32 v43, v42 :: v_dual_mov_b32 v10, v42
	v_dual_mov_b32 v9, v42 :: v_dual_mov_b32 v12, v42
	v_mov_b32_e32 v11, v42
	s_wait_alu 0xfffe
	s_delay_alu instid0(VALU_DEP_4) | instskip(NEXT) | instid1(VALU_DEP_1)
	v_add_co_u32 v1, vcc_lo, s12, v1
	v_add_co_ci_u32_e64 v2, null, s13, v2, vcc_lo
	v_dual_mov_b32 v3, v42 :: v_dual_mov_b32 v6, v42
	v_dual_mov_b32 v5, v42 :: v_dual_mov_b32 v8, v42
	global_load_b64 v[13:14], v[1:2], off
	v_dual_mov_b32 v1, v42 :: v_dual_mov_b32 v4, v42
	v_dual_mov_b32 v2, v42 :: v_dual_mov_b32 v7, v42
	s_or_b32 exec_lo, exec_lo, s9
	s_and_saveexec_b32 s9, s1
	s_cbranch_execz .LBB105_22
.LBB105_54:
	v_mul_lo_u32 v29, s16, v29
	v_mov_b32_e32 v30, 0
	s_delay_alu instid0(VALU_DEP_1) | instskip(SKIP_1) | instid1(VALU_DEP_1)
	v_lshlrev_b64_e32 v[29:30], 3, v[29:30]
	s_wait_alu 0xfffe
	v_add_co_u32 v29, vcc_lo, s12, v29
	s_wait_alu 0xfffd
	s_delay_alu instid0(VALU_DEP_2)
	v_add_co_ci_u32_e64 v30, null, s13, v30, vcc_lo
	global_load_b64 v[42:43], v[29:30], off
	s_or_b32 exec_lo, exec_lo, s9
	s_and_saveexec_b32 s9, s2
	s_cbranch_execz .LBB105_23
.LBB105_55:
	v_mul_lo_u32 v9, s16, v28
	v_mov_b32_e32 v10, 0
	s_delay_alu instid0(VALU_DEP_1) | instskip(SKIP_1) | instid1(VALU_DEP_1)
	v_lshlrev_b64_e32 v[9:10], 3, v[9:10]
	s_wait_alu 0xfffe
	v_add_co_u32 v9, vcc_lo, s12, v9
	s_wait_alu 0xfffd
	s_delay_alu instid0(VALU_DEP_2)
	v_add_co_ci_u32_e64 v10, null, s13, v10, vcc_lo
	global_load_b64 v[9:10], v[9:10], off
	s_or_b32 exec_lo, exec_lo, s9
	s_and_saveexec_b32 s9, s3
	s_cbranch_execz .LBB105_24
.LBB105_56:
	v_mul_lo_u32 v11, s16, v26
	v_mov_b32_e32 v12, 0
	s_delay_alu instid0(VALU_DEP_1) | instskip(SKIP_1) | instid1(VALU_DEP_1)
	v_lshlrev_b64_e32 v[11:12], 3, v[11:12]
	s_wait_alu 0xfffe
	v_add_co_u32 v11, vcc_lo, s12, v11
	s_wait_alu 0xfffd
	s_delay_alu instid0(VALU_DEP_2)
	v_add_co_ci_u32_e64 v12, null, s13, v12, vcc_lo
	global_load_b64 v[11:12], v[11:12], off
	s_or_b32 exec_lo, exec_lo, s9
	s_and_saveexec_b32 s9, s4
	s_cbranch_execz .LBB105_25
.LBB105_57:
	v_mul_lo_u32 v1, s16, v22
	v_mov_b32_e32 v2, 0
	s_delay_alu instid0(VALU_DEP_1) | instskip(SKIP_1) | instid1(VALU_DEP_1)
	v_lshlrev_b64_e32 v[1:2], 3, v[1:2]
	s_wait_alu 0xfffe
	v_add_co_u32 v1, vcc_lo, s12, v1
	s_wait_alu 0xfffd
	s_delay_alu instid0(VALU_DEP_2)
	v_add_co_ci_u32_e64 v2, null, s13, v2, vcc_lo
	global_load_b64 v[1:2], v[1:2], off
	s_or_b32 exec_lo, exec_lo, s9
	s_and_saveexec_b32 s9, s5
	s_cbranch_execz .LBB105_26
.LBB105_58:
	v_mul_lo_u32 v3, s16, v19
	v_mov_b32_e32 v4, 0
	s_delay_alu instid0(VALU_DEP_1) | instskip(SKIP_1) | instid1(VALU_DEP_1)
	v_lshlrev_b64_e32 v[3:4], 3, v[3:4]
	s_wait_alu 0xfffe
	v_add_co_u32 v3, vcc_lo, s12, v3
	s_wait_alu 0xfffd
	s_delay_alu instid0(VALU_DEP_2)
	v_add_co_ci_u32_e64 v4, null, s13, v4, vcc_lo
	global_load_b64 v[3:4], v[3:4], off
	s_or_b32 exec_lo, exec_lo, s9
	s_and_saveexec_b32 s9, s6
	s_cbranch_execz .LBB105_27
.LBB105_59:
	v_mul_lo_u32 v5, s16, v16
	v_mov_b32_e32 v6, 0
	s_delay_alu instid0(VALU_DEP_1) | instskip(SKIP_1) | instid1(VALU_DEP_1)
	v_lshlrev_b64_e32 v[5:6], 3, v[5:6]
	s_wait_alu 0xfffe
	v_add_co_u32 v5, vcc_lo, s12, v5
	s_wait_alu 0xfffd
	s_delay_alu instid0(VALU_DEP_2)
	v_add_co_ci_u32_e64 v6, null, s13, v6, vcc_lo
	global_load_b64 v[5:6], v[5:6], off
	s_or_b32 exec_lo, exec_lo, s9
	s_xor_b32 s9, s8, -1
	s_and_saveexec_b32 s8, s7
	s_cbranch_execnz .LBB105_28
	s_branch .LBB105_29
.LBB105_60:
                                        ; implicit-def: $vgpr27_vgpr28
                                        ; implicit-def: $vgpr31_vgpr32
                                        ; implicit-def: $vgpr19_vgpr20
                                        ; implicit-def: $vgpr23_vgpr24
                                        ; implicit-def: $vgpr33
                                        ; implicit-def: $vgpr0
	s_and_b32 vcc_lo, exec_lo, s9
	s_wait_alu 0xfffe
	s_cbranch_vccz .LBB105_84
; %bb.61:
	v_xor_b32_e32 v0, 0x7f, v45
	s_wait_dscnt 0x2
	v_xor_b32_e32 v17, 0x7f, v79
	v_xor_b32_e32 v18, 0x7f, v78
	;; [unrolled: 1-line block ×7, first 2 shown]
	v_and_b32_e32 v0, 0xff, v0
	v_lshlrev_b16 v17, 8, v17
	v_and_b32_e32 v18, 0xff, v18
	v_lshlrev_b16 v19, 8, v19
	v_and_b32_e32 v20, 0xff, v20
	v_lshlrev_b16 v21, 8, v21
	v_and_b32_e32 v22, 0xff, v22
	v_lshlrev_b16 v23, 8, v23
	v_or_b32_e32 v0, v0, v17
	v_or_b32_e32 v17, v18, v19
	;; [unrolled: 1-line block ×3, first 2 shown]
	s_getpc_b64 s[8:9]
	s_sext_i32_i16 s9, s9
	s_add_co_u32 s8, s8, _ZN7rocprim17ROCPRIM_400000_NS16block_radix_sortIaLj512ELj8ElLj1ELj1ELj0ELNS0_26block_radix_rank_algorithmE1ELNS0_18block_padding_hintE2ELNS0_4arch9wavefront6targetE0EE19radix_bits_per_passE@rel32@lo+8
	s_add_co_ci_u32 s9, s9, _ZN7rocprim17ROCPRIM_400000_NS16block_radix_sortIaLj512ELj8ElLj1ELj1ELj0ELNS0_26block_radix_rank_algorithmE1ELNS0_18block_padding_hintE2ELNS0_4arch9wavefront6targetE0EE19radix_bits_per_passE@rel32@hi+16
	v_or_b32_e32 v19, v22, v23
	s_load_b32 s8, s[8:9], 0x0
	v_and_b32_e32 v0, 0xffff, v0
	v_lshlrev_b32_e32 v17, 16, v17
	v_and_b32_e32 v18, 0xffff, v18
	v_lshlrev_b32_e32 v19, 16, v19
	s_delay_alu instid0(VALU_DEP_3) | instskip(SKIP_1) | instid1(VALU_DEP_3)
	v_or_b32_e32 v17, v0, v17
	v_mad_u32_u24 v0, v72, 7, v72
	v_or_b32_e32 v18, v18, v19
	ds_store_b64 v72, v[17:18]
	; wave barrier
	ds_load_u8 v24, v73
	s_wait_dscnt 0x2
	ds_load_u8 v25, v73 offset:32
	ds_load_u8 v26, v73 offset:64
	;; [unrolled: 1-line block ×7, first 2 shown]
	s_wait_loadcnt_dscnt 0x0
	s_barrier_signal -1
	s_wait_kmcnt 0x0
	s_min_u32 s8, s8, 8
	s_barrier_wait -1
	s_lshl_b32 s8, -1, s8
	global_inv scope:SCOPE_SE
	s_not_b32 s9, s8
	ds_store_b128 v0, v[13:16]
	ds_store_b128 v0, v[9:12] offset:16
	ds_store_b128 v0, v[5:8] offset:32
	;; [unrolled: 1-line block ×3, first 2 shown]
	; wave barrier
	ds_load_2addr_b64 v[12:15], v71 offset1:32
	ds_load_2addr_b64 v[4:7], v71 offset0:64 offset1:96
	ds_load_2addr_b64 v[0:3], v71 offset0:128 offset1:160
	v_and_b32_e32 v22, s9, v24
	s_delay_alu instid0(VALU_DEP_1) | instskip(SKIP_3) | instid1(VALU_DEP_4)
	v_and_b32_e32 v8, 1, v22
	v_lshlrev_b32_e32 v18, 30, v22
	v_lshlrev_b32_e32 v19, 29, v22
	;; [unrolled: 1-line block ×3, first 2 shown]
	v_add_co_u32 v16, s8, v8, -1
	s_wait_alu 0xf1ff
	v_cndmask_b32_e64 v17, 0, 1, s8
	ds_load_2addr_b64 v[8:11], v71 offset0:192 offset1:224
	s_wait_loadcnt_dscnt 0x0
	s_barrier_signal -1
	s_barrier_wait -1
	v_cmp_ne_u32_e32 vcc_lo, 0, v17
	v_not_b32_e32 v17, v18
	global_inv scope:SCOPE_SE
	s_load_b32 s8, s[20:21], 0xc
	s_mov_b32 s20, 0
	v_xor_b32_e32 v16, vcc_lo, v16
	v_cmp_gt_i32_e32 vcc_lo, 0, v18
	v_ashrrev_i32_e32 v17, 31, v17
	v_not_b32_e32 v18, v19
	s_wait_alu 0xfffe
	s_mov_b32 s21, s20
	v_and_b32_e32 v16, exec_lo, v16
	s_mov_b32 s22, s20
	s_wait_alu 0xfffd
	v_xor_b32_e32 v17, vcc_lo, v17
	v_cmp_gt_i32_e32 vcc_lo, 0, v19
	v_ashrrev_i32_e32 v18, 31, v18
	v_not_b32_e32 v19, v20
	s_mov_b32 s23, s20
	v_and_b32_e32 v16, v16, v17
	v_lshlrev_b32_e32 v17, 27, v22
	s_wait_alu 0xfffd
	v_xor_b32_e32 v18, vcc_lo, v18
	v_cmp_gt_i32_e32 vcc_lo, 0, v20
	v_ashrrev_i32_e32 v19, 31, v19
	v_not_b32_e32 v20, v17
	s_delay_alu instid0(VALU_DEP_4)
	v_and_b32_e32 v16, v16, v18
	v_lshlrev_b32_e32 v18, 26, v22
	s_wait_alu 0xfffd
	v_xor_b32_e32 v19, vcc_lo, v19
	v_cmp_gt_i32_e32 vcc_lo, 0, v17
	v_ashrrev_i32_e32 v17, 31, v20
	s_wait_kmcnt 0x0
	s_lshr_b32 s10, s8, 16
	v_not_b32_e32 v20, v18
	v_and_b32_e32 v16, v16, v19
	v_lshlrev_b32_e32 v19, 25, v22
	s_wait_alu 0xfffd
	v_xor_b32_e32 v17, vcc_lo, v17
	v_cmp_gt_i32_e32 vcc_lo, 0, v18
	v_ashrrev_i32_e32 v18, 31, v20
	s_and_b32 s8, s8, 0xffff
	v_not_b32_e32 v20, v19
	v_and_b32_e32 v16, v16, v17
	v_lshlrev_b32_e32 v17, 24, v22
	s_wait_alu 0xfffd
	v_xor_b32_e32 v18, vcc_lo, v18
	v_cmp_gt_i32_e32 vcc_lo, 0, v19
	v_ashrrev_i32_e32 v19, 31, v20
	v_mad_u32_u24 v20, v70, s10, v69
	v_not_b32_e32 v21, v17
	v_and_b32_e32 v18, v16, v18
	v_and_b32_e32 v22, 0xff, v22
	s_wait_alu 0xfffd
	v_xor_b32_e32 v19, vcc_lo, v19
	v_cmp_gt_i32_e32 vcc_lo, 0, v17
	v_ashrrev_i32_e32 v21, 31, v21
	s_wait_alu 0xfffe
	v_mad_co_u64_u32 v[16:17], null, v20, s8, v[44:45]
	v_and_b32_e32 v17, v18, v19
	s_wait_alu 0xfffd
	v_xor_b32_e32 v23, vcc_lo, v21
	v_dual_mov_b32 v18, s20 :: v_dual_mov_b32 v19, s21
	v_dual_mov_b32 v20, s22 :: v_dual_mov_b32 v21, s23
	s_delay_alu instid0(VALU_DEP_3)
	v_and_b32_e32 v17, v17, v23
	v_lshrrev_b32_e32 v16, 3, v16
	ds_store_b128 v66, v[18:21] offset:64
	ds_store_b128 v66, v[18:21] offset:80
	v_mbcnt_lo_u32_b32 v32, v17, 0
	v_and_b32_e32 v16, 0x1ffffffc, v16
	v_lshlrev_b32_e32 v18, 6, v22
	v_cmp_ne_u32_e64 s8, 0, v17
	s_wait_loadcnt_dscnt 0x0
	v_cmp_eq_u32_e32 vcc_lo, 0, v32
	s_barrier_signal -1
	v_add_nc_u32_e32 v33, v16, v18
	s_barrier_wait -1
	global_inv scope:SCOPE_SE
	s_and_b32 s10, s8, vcc_lo
	; wave barrier
	s_wait_alu 0xfffe
	s_and_saveexec_b32 s8, s10
; %bb.62:
	v_bcnt_u32_b32 v17, v17, 0
	ds_store_b32 v33, v17 offset:64
; %bb.63:
	s_wait_alu 0xfffe
	s_or_b32 exec_lo, exec_lo, s8
	v_and_b32_e32 v17, s9, v25
	; wave barrier
	s_delay_alu instid0(VALU_DEP_1)
	v_and_b32_e32 v19, 1, v17
	v_lshlrev_b32_e32 v20, 30, v17
	v_lshlrev_b32_e32 v21, 29, v17
	;; [unrolled: 1-line block ×4, first 2 shown]
	v_add_co_u32 v19, s8, v19, -1
	s_wait_alu 0xf1ff
	v_cndmask_b32_e64 v23, 0, 1, s8
	v_not_b32_e32 v37, v20
	v_cmp_gt_i32_e64 s8, 0, v20
	v_not_b32_e32 v20, v21
	v_lshlrev_b32_e32 v35, 26, v17
	v_cmp_ne_u32_e32 vcc_lo, 0, v23
	v_ashrrev_i32_e32 v23, 31, v37
	v_lshlrev_b32_e32 v36, 25, v17
	v_ashrrev_i32_e32 v20, 31, v20
	v_and_b32_e32 v18, 0xff, v17
	s_wait_alu 0xfffd
	v_xor_b32_e32 v19, vcc_lo, v19
	v_cmp_gt_i32_e32 vcc_lo, 0, v21
	v_not_b32_e32 v21, v22
	s_wait_alu 0xf1ff
	v_xor_b32_e32 v23, s8, v23
	v_cmp_gt_i32_e64 s8, 0, v22
	v_and_b32_e32 v19, exec_lo, v19
	v_not_b32_e32 v22, v34
	v_ashrrev_i32_e32 v21, 31, v21
	s_wait_alu 0xfffd
	v_xor_b32_e32 v20, vcc_lo, v20
	v_cmp_gt_i32_e32 vcc_lo, 0, v34
	v_and_b32_e32 v19, v19, v23
	v_not_b32_e32 v23, v35
	v_ashrrev_i32_e32 v22, 31, v22
	s_wait_alu 0xf1ff
	v_xor_b32_e32 v21, s8, v21
	v_lshlrev_b32_e32 v17, 24, v17
	v_and_b32_e32 v19, v19, v20
	v_cmp_gt_i32_e64 s8, 0, v35
	v_not_b32_e32 v20, v36
	v_ashrrev_i32_e32 v23, 31, v23
	s_wait_alu 0xfffd
	v_xor_b32_e32 v22, vcc_lo, v22
	v_and_b32_e32 v19, v19, v21
	v_cmp_gt_i32_e32 vcc_lo, 0, v36
	v_not_b32_e32 v21, v17
	v_ashrrev_i32_e32 v20, 31, v20
	s_wait_alu 0xf1ff
	v_xor_b32_e32 v23, s8, v23
	v_and_b32_e32 v19, v19, v22
	v_lshlrev_b32_e32 v18, 6, v18
	v_cmp_gt_i32_e64 s8, 0, v17
	v_ashrrev_i32_e32 v17, 31, v21
	s_wait_alu 0xfffd
	v_xor_b32_e32 v20, vcc_lo, v20
	v_and_b32_e32 v19, v19, v23
	v_add_nc_u32_e32 v36, v16, v18
	s_wait_alu 0xf1ff
	v_xor_b32_e32 v17, s8, v17
	s_delay_alu instid0(VALU_DEP_3) | instskip(SKIP_2) | instid1(VALU_DEP_1)
	v_and_b32_e32 v18, v19, v20
	ds_load_b32 v34, v36 offset:64
	; wave barrier
	v_and_b32_e32 v17, v18, v17
	v_mbcnt_lo_u32_b32 v35, v17, 0
	v_cmp_ne_u32_e64 s8, 0, v17
	s_delay_alu instid0(VALU_DEP_2)
	v_cmp_eq_u32_e32 vcc_lo, 0, v35
	s_and_b32 s10, s8, vcc_lo
	s_wait_alu 0xfffe
	s_and_saveexec_b32 s8, s10
	s_cbranch_execz .LBB105_65
; %bb.64:
	s_wait_dscnt 0x0
	v_bcnt_u32_b32 v17, v17, v34
	ds_store_b32 v36, v17 offset:64
.LBB105_65:
	s_wait_alu 0xfffe
	s_or_b32 exec_lo, exec_lo, s8
	v_and_b32_e32 v17, s9, v26
	; wave barrier
	s_delay_alu instid0(VALU_DEP_1)
	v_and_b32_e32 v19, 1, v17
	v_lshlrev_b32_e32 v20, 30, v17
	v_lshlrev_b32_e32 v21, 29, v17
	v_lshlrev_b32_e32 v22, 28, v17
	v_lshlrev_b32_e32 v37, 27, v17
	v_add_co_u32 v19, s8, v19, -1
	s_wait_alu 0xf1ff
	v_cndmask_b32_e64 v23, 0, 1, s8
	v_not_b32_e32 v40, v20
	v_cmp_gt_i32_e64 s8, 0, v20
	v_not_b32_e32 v20, v21
	v_lshlrev_b32_e32 v38, 26, v17
	v_cmp_ne_u32_e32 vcc_lo, 0, v23
	v_ashrrev_i32_e32 v23, 31, v40
	v_lshlrev_b32_e32 v39, 25, v17
	v_ashrrev_i32_e32 v20, 31, v20
	v_and_b32_e32 v18, 0xff, v17
	s_wait_alu 0xfffd
	v_xor_b32_e32 v19, vcc_lo, v19
	v_cmp_gt_i32_e32 vcc_lo, 0, v21
	v_not_b32_e32 v21, v22
	s_wait_alu 0xf1ff
	v_xor_b32_e32 v23, s8, v23
	v_cmp_gt_i32_e64 s8, 0, v22
	v_and_b32_e32 v19, exec_lo, v19
	v_not_b32_e32 v22, v37
	v_ashrrev_i32_e32 v21, 31, v21
	s_wait_alu 0xfffd
	v_xor_b32_e32 v20, vcc_lo, v20
	v_cmp_gt_i32_e32 vcc_lo, 0, v37
	v_and_b32_e32 v19, v19, v23
	v_not_b32_e32 v23, v38
	v_ashrrev_i32_e32 v22, 31, v22
	s_wait_alu 0xf1ff
	v_xor_b32_e32 v21, s8, v21
	v_lshlrev_b32_e32 v17, 24, v17
	v_and_b32_e32 v19, v19, v20
	v_cmp_gt_i32_e64 s8, 0, v38
	v_not_b32_e32 v20, v39
	v_ashrrev_i32_e32 v23, 31, v23
	s_wait_alu 0xfffd
	v_xor_b32_e32 v22, vcc_lo, v22
	v_and_b32_e32 v19, v19, v21
	v_cmp_gt_i32_e32 vcc_lo, 0, v39
	v_not_b32_e32 v21, v17
	v_ashrrev_i32_e32 v20, 31, v20
	s_wait_alu 0xf1ff
	v_xor_b32_e32 v23, s8, v23
	v_and_b32_e32 v19, v19, v22
	v_lshlrev_b32_e32 v18, 6, v18
	v_cmp_gt_i32_e64 s8, 0, v17
	v_ashrrev_i32_e32 v17, 31, v21
	s_wait_alu 0xfffd
	v_xor_b32_e32 v20, vcc_lo, v20
	v_and_b32_e32 v19, v19, v23
	v_add_nc_u32_e32 v39, v16, v18
	s_wait_alu 0xf1ff
	v_xor_b32_e32 v17, s8, v17
	s_delay_alu instid0(VALU_DEP_3) | instskip(SKIP_2) | instid1(VALU_DEP_1)
	v_and_b32_e32 v18, v19, v20
	ds_load_b32 v37, v39 offset:64
	; wave barrier
	v_and_b32_e32 v17, v18, v17
	v_mbcnt_lo_u32_b32 v38, v17, 0
	v_cmp_ne_u32_e64 s8, 0, v17
	s_delay_alu instid0(VALU_DEP_2)
	v_cmp_eq_u32_e32 vcc_lo, 0, v38
	s_and_b32 s10, s8, vcc_lo
	s_wait_alu 0xfffe
	s_and_saveexec_b32 s8, s10
	s_cbranch_execz .LBB105_67
; %bb.66:
	s_wait_dscnt 0x0
	v_bcnt_u32_b32 v17, v17, v37
	ds_store_b32 v39, v17 offset:64
.LBB105_67:
	s_wait_alu 0xfffe
	s_or_b32 exec_lo, exec_lo, s8
	v_and_b32_e32 v17, s9, v27
	; wave barrier
	s_delay_alu instid0(VALU_DEP_1)
	v_and_b32_e32 v19, 1, v17
	v_lshlrev_b32_e32 v20, 30, v17
	v_lshlrev_b32_e32 v21, 29, v17
	;; [unrolled: 1-line block ×4, first 2 shown]
	v_add_co_u32 v19, s8, v19, -1
	s_wait_alu 0xf1ff
	v_cndmask_b32_e64 v23, 0, 1, s8
	v_not_b32_e32 v69, v20
	v_cmp_gt_i32_e64 s8, 0, v20
	v_not_b32_e32 v20, v21
	v_lshlrev_b32_e32 v45, 26, v17
	v_cmp_ne_u32_e32 vcc_lo, 0, v23
	v_ashrrev_i32_e32 v23, 31, v69
	v_lshlrev_b32_e32 v46, 25, v17
	v_ashrrev_i32_e32 v20, 31, v20
	v_and_b32_e32 v18, 0xff, v17
	s_wait_alu 0xfffd
	v_xor_b32_e32 v19, vcc_lo, v19
	v_cmp_gt_i32_e32 vcc_lo, 0, v21
	v_not_b32_e32 v21, v22
	s_wait_alu 0xf1ff
	v_xor_b32_e32 v23, s8, v23
	v_cmp_gt_i32_e64 s8, 0, v22
	v_and_b32_e32 v19, exec_lo, v19
	v_not_b32_e32 v22, v40
	v_ashrrev_i32_e32 v21, 31, v21
	s_wait_alu 0xfffd
	v_xor_b32_e32 v20, vcc_lo, v20
	v_cmp_gt_i32_e32 vcc_lo, 0, v40
	v_and_b32_e32 v19, v19, v23
	v_not_b32_e32 v23, v45
	v_ashrrev_i32_e32 v22, 31, v22
	s_wait_alu 0xf1ff
	v_xor_b32_e32 v21, s8, v21
	v_lshlrev_b32_e32 v17, 24, v17
	v_and_b32_e32 v19, v19, v20
	v_cmp_gt_i32_e64 s8, 0, v45
	v_not_b32_e32 v20, v46
	v_ashrrev_i32_e32 v23, 31, v23
	s_wait_alu 0xfffd
	v_xor_b32_e32 v22, vcc_lo, v22
	v_and_b32_e32 v19, v19, v21
	v_cmp_gt_i32_e32 vcc_lo, 0, v46
	v_not_b32_e32 v21, v17
	v_ashrrev_i32_e32 v20, 31, v20
	s_wait_alu 0xf1ff
	v_xor_b32_e32 v23, s8, v23
	v_and_b32_e32 v19, v19, v22
	v_lshlrev_b32_e32 v18, 6, v18
	v_cmp_gt_i32_e64 s8, 0, v17
	v_ashrrev_i32_e32 v17, 31, v21
	s_wait_alu 0xfffd
	v_xor_b32_e32 v20, vcc_lo, v20
	v_and_b32_e32 v19, v19, v23
	v_add_nc_u32_e32 v46, v16, v18
	s_wait_alu 0xf1ff
	v_xor_b32_e32 v17, s8, v17
	s_delay_alu instid0(VALU_DEP_3) | instskip(SKIP_2) | instid1(VALU_DEP_1)
	v_and_b32_e32 v18, v19, v20
	ds_load_b32 v40, v46 offset:64
	; wave barrier
	v_and_b32_e32 v17, v18, v17
	v_mbcnt_lo_u32_b32 v45, v17, 0
	v_cmp_ne_u32_e64 s8, 0, v17
	s_delay_alu instid0(VALU_DEP_2)
	v_cmp_eq_u32_e32 vcc_lo, 0, v45
	s_and_b32 s10, s8, vcc_lo
	s_wait_alu 0xfffe
	s_and_saveexec_b32 s8, s10
	s_cbranch_execz .LBB105_69
; %bb.68:
	s_wait_dscnt 0x0
	v_bcnt_u32_b32 v17, v17, v40
	ds_store_b32 v46, v17 offset:64
.LBB105_69:
	s_wait_alu 0xfffe
	s_or_b32 exec_lo, exec_lo, s8
	v_and_b32_e32 v17, s9, v28
	; wave barrier
	s_delay_alu instid0(VALU_DEP_1)
	v_and_b32_e32 v19, 1, v17
	v_lshlrev_b32_e32 v20, 30, v17
	v_lshlrev_b32_e32 v21, 29, v17
	v_lshlrev_b32_e32 v22, 28, v17
	v_lshlrev_b32_e32 v69, 27, v17
	v_add_co_u32 v19, s8, v19, -1
	s_wait_alu 0xf1ff
	v_cndmask_b32_e64 v23, 0, 1, s8
	v_not_b32_e32 v72, v20
	v_cmp_gt_i32_e64 s8, 0, v20
	v_not_b32_e32 v20, v21
	v_lshlrev_b32_e32 v70, 26, v17
	v_cmp_ne_u32_e32 vcc_lo, 0, v23
	v_ashrrev_i32_e32 v23, 31, v72
	v_lshlrev_b32_e32 v71, 25, v17
	v_ashrrev_i32_e32 v20, 31, v20
	v_and_b32_e32 v18, 0xff, v17
	s_wait_alu 0xfffd
	v_xor_b32_e32 v19, vcc_lo, v19
	v_cmp_gt_i32_e32 vcc_lo, 0, v21
	v_not_b32_e32 v21, v22
	s_wait_alu 0xf1ff
	v_xor_b32_e32 v23, s8, v23
	v_cmp_gt_i32_e64 s8, 0, v22
	v_and_b32_e32 v19, exec_lo, v19
	v_not_b32_e32 v22, v69
	v_ashrrev_i32_e32 v21, 31, v21
	s_wait_alu 0xfffd
	v_xor_b32_e32 v20, vcc_lo, v20
	v_cmp_gt_i32_e32 vcc_lo, 0, v69
	v_and_b32_e32 v19, v19, v23
	v_not_b32_e32 v23, v70
	v_ashrrev_i32_e32 v22, 31, v22
	s_wait_alu 0xf1ff
	v_xor_b32_e32 v21, s8, v21
	v_lshlrev_b32_e32 v17, 24, v17
	v_and_b32_e32 v19, v19, v20
	v_cmp_gt_i32_e64 s8, 0, v70
	v_not_b32_e32 v20, v71
	v_ashrrev_i32_e32 v23, 31, v23
	s_wait_alu 0xfffd
	v_xor_b32_e32 v22, vcc_lo, v22
	v_and_b32_e32 v19, v19, v21
	v_cmp_gt_i32_e32 vcc_lo, 0, v71
	v_not_b32_e32 v21, v17
	v_ashrrev_i32_e32 v20, 31, v20
	s_wait_alu 0xf1ff
	v_xor_b32_e32 v23, s8, v23
	v_and_b32_e32 v19, v19, v22
	v_lshlrev_b32_e32 v18, 6, v18
	v_cmp_gt_i32_e64 s8, 0, v17
	v_ashrrev_i32_e32 v17, 31, v21
	s_wait_alu 0xfffd
	v_xor_b32_e32 v20, vcc_lo, v20
	v_and_b32_e32 v19, v19, v23
	v_add_nc_u32_e32 v71, v16, v18
	s_wait_alu 0xf1ff
	v_xor_b32_e32 v17, s8, v17
	s_delay_alu instid0(VALU_DEP_3) | instskip(SKIP_2) | instid1(VALU_DEP_1)
	v_and_b32_e32 v18, v19, v20
	ds_load_b32 v69, v71 offset:64
	; wave barrier
	v_and_b32_e32 v17, v18, v17
	v_mbcnt_lo_u32_b32 v70, v17, 0
	v_cmp_ne_u32_e64 s8, 0, v17
	s_delay_alu instid0(VALU_DEP_2)
	v_cmp_eq_u32_e32 vcc_lo, 0, v70
	s_and_b32 s10, s8, vcc_lo
	s_wait_alu 0xfffe
	s_and_saveexec_b32 s8, s10
	s_cbranch_execz .LBB105_71
; %bb.70:
	s_wait_dscnt 0x0
	v_bcnt_u32_b32 v17, v17, v69
	ds_store_b32 v71, v17 offset:64
.LBB105_71:
	s_wait_alu 0xfffe
	s_or_b32 exec_lo, exec_lo, s8
	v_and_b32_e32 v17, s9, v29
	; wave barrier
	s_delay_alu instid0(VALU_DEP_1)
	v_and_b32_e32 v19, 1, v17
	v_lshlrev_b32_e32 v20, 30, v17
	v_lshlrev_b32_e32 v21, 29, v17
	;; [unrolled: 1-line block ×4, first 2 shown]
	v_add_co_u32 v19, s8, v19, -1
	s_wait_alu 0xf1ff
	v_cndmask_b32_e64 v23, 0, 1, s8
	v_not_b32_e32 v75, v20
	v_cmp_gt_i32_e64 s8, 0, v20
	v_not_b32_e32 v20, v21
	v_lshlrev_b32_e32 v73, 26, v17
	v_cmp_ne_u32_e32 vcc_lo, 0, v23
	v_ashrrev_i32_e32 v23, 31, v75
	v_lshlrev_b32_e32 v74, 25, v17
	v_ashrrev_i32_e32 v20, 31, v20
	v_and_b32_e32 v18, 0xff, v17
	s_wait_alu 0xfffd
	v_xor_b32_e32 v19, vcc_lo, v19
	v_cmp_gt_i32_e32 vcc_lo, 0, v21
	v_not_b32_e32 v21, v22
	s_wait_alu 0xf1ff
	v_xor_b32_e32 v23, s8, v23
	v_cmp_gt_i32_e64 s8, 0, v22
	v_and_b32_e32 v19, exec_lo, v19
	v_not_b32_e32 v22, v72
	v_ashrrev_i32_e32 v21, 31, v21
	s_wait_alu 0xfffd
	v_xor_b32_e32 v20, vcc_lo, v20
	v_cmp_gt_i32_e32 vcc_lo, 0, v72
	v_and_b32_e32 v19, v19, v23
	v_not_b32_e32 v23, v73
	v_ashrrev_i32_e32 v22, 31, v22
	s_wait_alu 0xf1ff
	v_xor_b32_e32 v21, s8, v21
	v_lshlrev_b32_e32 v17, 24, v17
	v_and_b32_e32 v19, v19, v20
	v_cmp_gt_i32_e64 s8, 0, v73
	v_not_b32_e32 v20, v74
	v_ashrrev_i32_e32 v23, 31, v23
	s_wait_alu 0xfffd
	v_xor_b32_e32 v22, vcc_lo, v22
	v_and_b32_e32 v19, v19, v21
	v_cmp_gt_i32_e32 vcc_lo, 0, v74
	v_not_b32_e32 v21, v17
	v_ashrrev_i32_e32 v20, 31, v20
	s_wait_alu 0xf1ff
	v_xor_b32_e32 v23, s8, v23
	v_and_b32_e32 v19, v19, v22
	v_lshlrev_b32_e32 v18, 6, v18
	v_cmp_gt_i32_e64 s8, 0, v17
	v_ashrrev_i32_e32 v17, 31, v21
	s_wait_alu 0xfffd
	v_xor_b32_e32 v20, vcc_lo, v20
	v_and_b32_e32 v19, v19, v23
	v_add_nc_u32_e32 v74, v16, v18
	s_wait_alu 0xf1ff
	v_xor_b32_e32 v17, s8, v17
	s_delay_alu instid0(VALU_DEP_3) | instskip(SKIP_2) | instid1(VALU_DEP_1)
	v_and_b32_e32 v18, v19, v20
	ds_load_b32 v72, v74 offset:64
	; wave barrier
	v_and_b32_e32 v17, v18, v17
	v_mbcnt_lo_u32_b32 v73, v17, 0
	v_cmp_ne_u32_e64 s8, 0, v17
	s_delay_alu instid0(VALU_DEP_2)
	v_cmp_eq_u32_e32 vcc_lo, 0, v73
	s_and_b32 s10, s8, vcc_lo
	s_wait_alu 0xfffe
	s_and_saveexec_b32 s8, s10
	s_cbranch_execz .LBB105_73
; %bb.72:
	s_wait_dscnt 0x0
	v_bcnt_u32_b32 v17, v17, v72
	ds_store_b32 v74, v17 offset:64
.LBB105_73:
	s_wait_alu 0xfffe
	s_or_b32 exec_lo, exec_lo, s8
	v_and_b32_e32 v17, s9, v30
	; wave barrier
	s_delay_alu instid0(VALU_DEP_1)
	v_and_b32_e32 v19, 1, v17
	v_lshlrev_b32_e32 v20, 30, v17
	v_lshlrev_b32_e32 v21, 29, v17
	;; [unrolled: 1-line block ×4, first 2 shown]
	v_add_co_u32 v19, s8, v19, -1
	s_wait_alu 0xf1ff
	v_cndmask_b32_e64 v23, 0, 1, s8
	v_not_b32_e32 v78, v20
	v_cmp_gt_i32_e64 s8, 0, v20
	v_not_b32_e32 v20, v21
	v_lshlrev_b32_e32 v76, 26, v17
	v_cmp_ne_u32_e32 vcc_lo, 0, v23
	v_ashrrev_i32_e32 v23, 31, v78
	v_lshlrev_b32_e32 v77, 25, v17
	v_ashrrev_i32_e32 v20, 31, v20
	v_and_b32_e32 v18, 0xff, v17
	s_wait_alu 0xfffd
	v_xor_b32_e32 v19, vcc_lo, v19
	v_cmp_gt_i32_e32 vcc_lo, 0, v21
	v_not_b32_e32 v21, v22
	s_wait_alu 0xf1ff
	v_xor_b32_e32 v23, s8, v23
	v_cmp_gt_i32_e64 s8, 0, v22
	v_and_b32_e32 v19, exec_lo, v19
	v_not_b32_e32 v22, v75
	v_ashrrev_i32_e32 v21, 31, v21
	s_wait_alu 0xfffd
	v_xor_b32_e32 v20, vcc_lo, v20
	v_cmp_gt_i32_e32 vcc_lo, 0, v75
	v_and_b32_e32 v19, v19, v23
	v_not_b32_e32 v23, v76
	v_ashrrev_i32_e32 v22, 31, v22
	s_wait_alu 0xf1ff
	v_xor_b32_e32 v21, s8, v21
	v_lshlrev_b32_e32 v17, 24, v17
	v_and_b32_e32 v19, v19, v20
	v_cmp_gt_i32_e64 s8, 0, v76
	v_not_b32_e32 v20, v77
	v_ashrrev_i32_e32 v23, 31, v23
	s_wait_alu 0xfffd
	v_xor_b32_e32 v22, vcc_lo, v22
	v_and_b32_e32 v19, v19, v21
	v_cmp_gt_i32_e32 vcc_lo, 0, v77
	v_not_b32_e32 v21, v17
	v_ashrrev_i32_e32 v20, 31, v20
	s_wait_alu 0xf1ff
	v_xor_b32_e32 v23, s8, v23
	v_and_b32_e32 v19, v19, v22
	v_lshlrev_b32_e32 v18, 6, v18
	v_cmp_gt_i32_e64 s8, 0, v17
	v_ashrrev_i32_e32 v17, 31, v21
	s_wait_alu 0xfffd
	v_xor_b32_e32 v20, vcc_lo, v20
	v_and_b32_e32 v19, v19, v23
	v_add_nc_u32_e32 v77, v16, v18
	s_wait_alu 0xf1ff
	v_xor_b32_e32 v17, s8, v17
	s_delay_alu instid0(VALU_DEP_3) | instskip(SKIP_2) | instid1(VALU_DEP_1)
	v_and_b32_e32 v18, v19, v20
	ds_load_b32 v75, v77 offset:64
	; wave barrier
	v_and_b32_e32 v17, v18, v17
	v_mbcnt_lo_u32_b32 v76, v17, 0
	v_cmp_ne_u32_e64 s8, 0, v17
	s_delay_alu instid0(VALU_DEP_2)
	v_cmp_eq_u32_e32 vcc_lo, 0, v76
	s_and_b32 s10, s8, vcc_lo
	s_wait_alu 0xfffe
	s_and_saveexec_b32 s8, s10
	s_cbranch_execz .LBB105_75
; %bb.74:
	s_wait_dscnt 0x0
	v_bcnt_u32_b32 v17, v17, v75
	ds_store_b32 v77, v17 offset:64
.LBB105_75:
	s_wait_alu 0xfffe
	s_or_b32 exec_lo, exec_lo, s8
	v_and_b32_e32 v17, s9, v31
	; wave barrier
	s_delay_alu instid0(VALU_DEP_1)
	v_and_b32_e32 v19, 1, v17
	v_lshlrev_b32_e32 v20, 30, v17
	v_lshlrev_b32_e32 v21, 29, v17
	;; [unrolled: 1-line block ×4, first 2 shown]
	v_add_co_u32 v19, s8, v19, -1
	s_wait_alu 0xf1ff
	v_cndmask_b32_e64 v23, 0, 1, s8
	v_not_b32_e32 v81, v20
	v_cmp_gt_i32_e64 s8, 0, v20
	v_not_b32_e32 v20, v21
	v_lshlrev_b32_e32 v79, 26, v17
	v_cmp_ne_u32_e32 vcc_lo, 0, v23
	v_ashrrev_i32_e32 v23, 31, v81
	v_lshlrev_b32_e32 v80, 25, v17
	v_ashrrev_i32_e32 v20, 31, v20
	v_and_b32_e32 v18, 0xff, v17
	s_wait_alu 0xfffd
	v_xor_b32_e32 v19, vcc_lo, v19
	v_cmp_gt_i32_e32 vcc_lo, 0, v21
	v_not_b32_e32 v21, v22
	s_wait_alu 0xf1ff
	v_xor_b32_e32 v23, s8, v23
	v_cmp_gt_i32_e64 s8, 0, v22
	v_and_b32_e32 v19, exec_lo, v19
	v_not_b32_e32 v22, v78
	v_ashrrev_i32_e32 v21, 31, v21
	s_wait_alu 0xfffd
	v_xor_b32_e32 v20, vcc_lo, v20
	v_cmp_gt_i32_e32 vcc_lo, 0, v78
	v_and_b32_e32 v19, v19, v23
	v_not_b32_e32 v23, v79
	v_ashrrev_i32_e32 v22, 31, v22
	s_wait_alu 0xf1ff
	v_xor_b32_e32 v21, s8, v21
	v_lshlrev_b32_e32 v17, 24, v17
	v_and_b32_e32 v19, v19, v20
	v_cmp_gt_i32_e64 s8, 0, v79
	v_not_b32_e32 v20, v80
	v_ashrrev_i32_e32 v23, 31, v23
	s_wait_alu 0xfffd
	v_xor_b32_e32 v22, vcc_lo, v22
	v_and_b32_e32 v19, v19, v21
	v_cmp_gt_i32_e32 vcc_lo, 0, v80
	v_not_b32_e32 v21, v17
	v_ashrrev_i32_e32 v20, 31, v20
	s_wait_alu 0xf1ff
	v_xor_b32_e32 v23, s8, v23
	v_and_b32_e32 v19, v19, v22
	v_lshlrev_b32_e32 v18, 6, v18
	v_cmp_gt_i32_e64 s8, 0, v17
	v_ashrrev_i32_e32 v17, 31, v21
	s_wait_alu 0xfffd
	v_xor_b32_e32 v20, vcc_lo, v20
	v_and_b32_e32 v19, v19, v23
	v_add_nc_u32_e32 v80, v16, v18
	s_wait_alu 0xf1ff
	v_xor_b32_e32 v16, s8, v17
	s_delay_alu instid0(VALU_DEP_3) | instskip(SKIP_2) | instid1(VALU_DEP_1)
	v_and_b32_e32 v17, v19, v20
	ds_load_b32 v78, v80 offset:64
	; wave barrier
	v_and_b32_e32 v16, v17, v16
	v_mbcnt_lo_u32_b32 v79, v16, 0
	v_cmp_ne_u32_e64 s8, 0, v16
	s_delay_alu instid0(VALU_DEP_2)
	v_cmp_eq_u32_e32 vcc_lo, 0, v79
	s_and_b32 s9, s8, vcc_lo
	s_wait_alu 0xfffe
	s_and_saveexec_b32 s8, s9
	s_cbranch_execz .LBB105_77
; %bb.76:
	s_wait_dscnt 0x0
	v_bcnt_u32_b32 v16, v16, v78
	ds_store_b32 v80, v16 offset:64
.LBB105_77:
	s_wait_alu 0xfffe
	s_or_b32 exec_lo, exec_lo, s8
	; wave barrier
	s_wait_loadcnt_dscnt 0x0
	s_barrier_signal -1
	s_barrier_wait -1
	global_inv scope:SCOPE_SE
	ds_load_b128 v[20:23], v66 offset:64
	ds_load_b128 v[16:19], v66 offset:80
	v_min_u32_e32 v68, 0x1e0, v68
	s_mov_b32 s15, exec_lo
	s_delay_alu instid0(VALU_DEP_1) | instskip(SKIP_2) | instid1(VALU_DEP_1)
	v_or_b32_e32 v68, 31, v68
	s_wait_dscnt 0x1
	v_add_nc_u32_e32 v81, v21, v20
	v_add3_u32 v81, v81, v22, v23
	s_wait_dscnt 0x0
	s_delay_alu instid0(VALU_DEP_1) | instskip(NEXT) | instid1(VALU_DEP_1)
	v_add3_u32 v81, v81, v16, v17
	v_add3_u32 v19, v81, v18, v19
	v_and_b32_e32 v81, 15, v67
	s_delay_alu instid0(VALU_DEP_2) | instskip(NEXT) | instid1(VALU_DEP_2)
	v_mov_b32_dpp v82, v19 row_shr:1 row_mask:0xf bank_mask:0xf
	v_cmp_eq_u32_e32 vcc_lo, 0, v81
	v_cmp_lt_u32_e64 s8, 1, v81
	v_cmp_lt_u32_e64 s9, 3, v81
	;; [unrolled: 1-line block ×3, first 2 shown]
	s_wait_alu 0xfffd
	v_cndmask_b32_e64 v82, v82, 0, vcc_lo
	s_delay_alu instid0(VALU_DEP_1) | instskip(NEXT) | instid1(VALU_DEP_1)
	v_add_nc_u32_e32 v19, v82, v19
	v_mov_b32_dpp v82, v19 row_shr:2 row_mask:0xf bank_mask:0xf
	s_wait_alu 0xf1ff
	s_delay_alu instid0(VALU_DEP_1) | instskip(NEXT) | instid1(VALU_DEP_1)
	v_cndmask_b32_e64 v82, 0, v82, s8
	v_add_nc_u32_e32 v19, v19, v82
	s_delay_alu instid0(VALU_DEP_1) | instskip(NEXT) | instid1(VALU_DEP_1)
	v_mov_b32_dpp v82, v19 row_shr:4 row_mask:0xf bank_mask:0xf
	v_cndmask_b32_e64 v82, 0, v82, s9
	s_delay_alu instid0(VALU_DEP_1) | instskip(NEXT) | instid1(VALU_DEP_1)
	v_add_nc_u32_e32 v19, v19, v82
	v_mov_b32_dpp v82, v19 row_shr:8 row_mask:0xf bank_mask:0xf
	s_delay_alu instid0(VALU_DEP_1) | instskip(SKIP_1) | instid1(VALU_DEP_2)
	v_cndmask_b32_e64 v81, 0, v82, s10
	v_bfe_i32 v82, v67, 4, 1
	v_add_nc_u32_e32 v19, v19, v81
	ds_swizzle_b32 v81, v19 offset:swizzle(BROADCAST,32,15)
	s_wait_dscnt 0x0
	v_and_b32_e32 v81, v82, v81
	s_delay_alu instid0(VALU_DEP_1)
	v_add_nc_u32_e32 v19, v19, v81
	v_cmpx_eq_u32_e64 v44, v68
; %bb.78:
	v_lshlrev_b32_e32 v68, 2, v65
	ds_store_b32 v68, v19
; %bb.79:
	s_wait_alu 0xfffe
	s_or_b32 exec_lo, exec_lo, s15
	s_delay_alu instid0(SALU_CYCLE_1)
	s_mov_b32 s15, exec_lo
	s_wait_loadcnt_dscnt 0x0
	s_barrier_signal -1
	s_barrier_wait -1
	global_inv scope:SCOPE_SE
	v_cmpx_gt_u32_e32 16, v44
	s_cbranch_execz .LBB105_81
; %bb.80:
	v_lshlrev_b32_e32 v68, 2, v44
	ds_load_b32 v81, v68
	s_wait_dscnt 0x0
	v_mov_b32_dpp v82, v81 row_shr:1 row_mask:0xf bank_mask:0xf
	s_delay_alu instid0(VALU_DEP_1) | instskip(NEXT) | instid1(VALU_DEP_1)
	v_cndmask_b32_e64 v82, v82, 0, vcc_lo
	v_add_nc_u32_e32 v81, v82, v81
	s_delay_alu instid0(VALU_DEP_1) | instskip(NEXT) | instid1(VALU_DEP_1)
	v_mov_b32_dpp v82, v81 row_shr:2 row_mask:0xf bank_mask:0xf
	v_cndmask_b32_e64 v82, 0, v82, s8
	s_delay_alu instid0(VALU_DEP_1) | instskip(NEXT) | instid1(VALU_DEP_1)
	v_add_nc_u32_e32 v81, v81, v82
	v_mov_b32_dpp v82, v81 row_shr:4 row_mask:0xf bank_mask:0xf
	s_delay_alu instid0(VALU_DEP_1) | instskip(NEXT) | instid1(VALU_DEP_1)
	v_cndmask_b32_e64 v82, 0, v82, s9
	v_add_nc_u32_e32 v81, v81, v82
	s_delay_alu instid0(VALU_DEP_1) | instskip(NEXT) | instid1(VALU_DEP_1)
	v_mov_b32_dpp v82, v81 row_shr:8 row_mask:0xf bank_mask:0xf
	v_cndmask_b32_e64 v82, 0, v82, s10
	s_delay_alu instid0(VALU_DEP_1)
	v_add_nc_u32_e32 v81, v81, v82
	ds_store_b32 v68, v81
.LBB105_81:
	s_wait_alu 0xfffe
	s_or_b32 exec_lo, exec_lo, s15
	v_mov_b32_e32 v68, 0
	s_mov_b32 s8, exec_lo
	s_wait_loadcnt_dscnt 0x0
	s_barrier_signal -1
	s_barrier_wait -1
	global_inv scope:SCOPE_SE
	v_cmpx_lt_u32_e32 31, v44
; %bb.82:
	v_lshl_add_u32 v65, v65, 2, -4
	ds_load_b32 v68, v65
; %bb.83:
	s_wait_alu 0xfffe
	s_or_b32 exec_lo, exec_lo, s8
	v_sub_co_u32 v65, vcc_lo, v67, 1
	s_wait_dscnt 0x0
	v_add_nc_u32_e32 v19, v68, v19
	s_delay_alu instid0(VALU_DEP_2) | instskip(SKIP_1) | instid1(VALU_DEP_1)
	v_cmp_gt_i32_e64 s8, 0, v65
	s_wait_alu 0xf1ff
	v_cndmask_b32_e64 v65, v65, v67, s8
	s_delay_alu instid0(VALU_DEP_1)
	v_lshlrev_b32_e32 v65, 2, v65
	ds_bpermute_b32 v19, v65, v19
	s_wait_dscnt 0x0
	s_wait_alu 0xfffd
	v_cndmask_b32_e32 v19, v19, v68, vcc_lo
	v_cmp_ne_u32_e32 vcc_lo, 0, v44
	s_wait_alu 0xfffd
	s_delay_alu instid0(VALU_DEP_2) | instskip(NEXT) | instid1(VALU_DEP_1)
	v_cndmask_b32_e32 v19, 0, v19, vcc_lo
	v_add_nc_u32_e32 v20, v19, v20
	s_delay_alu instid0(VALU_DEP_1) | instskip(NEXT) | instid1(VALU_DEP_1)
	v_add_nc_u32_e32 v21, v20, v21
	v_add_nc_u32_e32 v22, v21, v22
	s_delay_alu instid0(VALU_DEP_1) | instskip(NEXT) | instid1(VALU_DEP_1)
	v_add_nc_u32_e32 v81, v22, v23
	v_add_nc_u32_e32 v82, v81, v16
	s_delay_alu instid0(VALU_DEP_1) | instskip(NEXT) | instid1(VALU_DEP_1)
	v_add_nc_u32_e32 v83, v82, v17
	v_add_nc_u32_e32 v84, v83, v18
	ds_store_b128 v66, v[19:22] offset:64
	ds_store_b128 v66, v[81:84] offset:80
	s_wait_loadcnt_dscnt 0x0
	s_barrier_signal -1
	s_barrier_wait -1
	global_inv scope:SCOPE_SE
	ds_load_b32 v16, v33 offset:64
	ds_load_b32 v17, v36 offset:64
	;; [unrolled: 1-line block ×8, first 2 shown]
	s_wait_loadcnt_dscnt 0x0
	s_barrier_signal -1
	s_barrier_wait -1
	global_inv scope:SCOPE_SE
	v_mad_u32_u24 v36, v44, 56, v60
	v_add_nc_u32_e32 v16, v16, v32
	v_add3_u32 v17, v35, v34, v17
	v_add3_u32 v18, v38, v37, v18
	;; [unrolled: 1-line block ×7, first 2 shown]
	ds_store_b8 v16, v24
	ds_store_b8 v17, v25
	;; [unrolled: 1-line block ×8, first 2 shown]
	s_wait_loadcnt_dscnt 0x0
	s_barrier_signal -1
	s_barrier_wait -1
	global_inv scope:SCOPE_SE
	ds_load_b64 v[33:34], v60
	v_lshlrev_b32_e32 v16, 3, v16
	v_lshlrev_b32_e32 v17, 3, v17
	;; [unrolled: 1-line block ×8, first 2 shown]
	s_wait_loadcnt_dscnt 0x0
	s_barrier_signal -1
	s_barrier_wait -1
	global_inv scope:SCOPE_SE
	ds_store_b64 v16, v[12:13]
	ds_store_b64 v17, v[14:15]
	;; [unrolled: 1-line block ×8, first 2 shown]
	s_wait_loadcnt_dscnt 0x0
	s_barrier_signal -1
	s_barrier_wait -1
	global_inv scope:SCOPE_SE
	ds_load_b128 v[21:24], v36
	ds_load_b128 v[17:20], v36 offset:16
	ds_load_b128 v[29:32], v36 offset:32
	;; [unrolled: 1-line block ×3, first 2 shown]
	v_lshrrev_b32_e32 v0, 16, v33
	v_lshrrev_b32_e32 v3, 16, v34
	v_and_b32_e32 v1, 0xffffff00, v33
	v_xor_b32_e32 v2, 0x7f, v33
	v_and_b32_e32 v4, 0xffffff00, v34
	v_xor_b32_e32 v5, 0x7f, v34
	;; [unrolled: 2-line block ×4, first 2 shown]
	v_xor_b32_e32 v1, 0x7f00, v1
	v_and_b32_e32 v2, 0xff, v2
	v_xor_b32_e32 v4, 0x7f00, v4
	v_and_b32_e32 v5, 0xff, v5
	;; [unrolled: 2-line block ×4, first 2 shown]
	v_or_b32_e32 v1, v2, v1
	v_or_b32_e32 v2, v5, v4
	;; [unrolled: 1-line block ×3, first 2 shown]
	s_delay_alu instid0(VALU_DEP_4) | instskip(NEXT) | instid1(VALU_DEP_4)
	v_or_b32_e32 v3, v3, v7
	v_and_b32_e32 v1, 0xffff, v1
	s_delay_alu instid0(VALU_DEP_4) | instskip(NEXT) | instid1(VALU_DEP_4)
	v_and_b32_e32 v2, 0xffff, v2
	v_lshlrev_b32_e32 v0, 16, v0
	s_delay_alu instid0(VALU_DEP_4) | instskip(NEXT) | instid1(VALU_DEP_2)
	v_lshlrev_b32_e32 v3, 16, v3
	v_or_b32_e32 v0, v1, v0
	s_delay_alu instid0(VALU_DEP_2)
	v_or_b32_e32 v33, v2, v3
.LBB105_84:
	s_wait_loadcnt_dscnt 0x0
	s_barrier_signal -1
	s_barrier_wait -1
	global_inv scope:SCOPE_SE
	ds_store_2addr_b32 v56, v0, v33 offset1:1
	s_wait_loadcnt_dscnt 0x0
	s_barrier_signal -1
	s_barrier_wait -1
	global_inv scope:SCOPE_SE
	ds_load_u8 v8, v49 offset:512
	ds_load_u8 v7, v50 offset:1024
	;; [unrolled: 1-line block ×7, first 2 shown]
	v_add_co_u32 v0, s8, s18, v47
	s_wait_alu 0xf1ff
	v_add_co_ci_u32_e64 v1, null, s19, 0, s8
	s_and_saveexec_b32 s8, s0
	s_cbranch_execnz .LBB105_103
; %bb.85:
	s_wait_alu 0xfffe
	s_or_b32 exec_lo, exec_lo, s8
	s_and_saveexec_b32 s8, s1
	s_cbranch_execnz .LBB105_104
.LBB105_86:
	s_wait_alu 0xfffe
	s_or_b32 exec_lo, exec_lo, s8
	s_and_saveexec_b32 s8, s2
	s_cbranch_execnz .LBB105_105
.LBB105_87:
	s_wait_alu 0xfffe
	s_or_b32 exec_lo, exec_lo, s8
	s_and_saveexec_b32 s8, s3
	s_cbranch_execnz .LBB105_106
.LBB105_88:
	s_wait_alu 0xfffe
	s_or_b32 exec_lo, exec_lo, s8
	s_and_saveexec_b32 s8, s4
	s_cbranch_execnz .LBB105_107
.LBB105_89:
	s_wait_alu 0xfffe
	s_or_b32 exec_lo, exec_lo, s8
	s_and_saveexec_b32 s8, s5
	s_cbranch_execnz .LBB105_108
.LBB105_90:
	s_wait_alu 0xfffe
	s_or_b32 exec_lo, exec_lo, s8
	s_and_saveexec_b32 s8, s6
	s_cbranch_execnz .LBB105_109
.LBB105_91:
	s_wait_alu 0xfffe
	s_or_b32 exec_lo, exec_lo, s8
	s_and_saveexec_b32 s8, s7
	s_cbranch_execz .LBB105_93
.LBB105_92:
	s_mul_i32 s9, s14, 0xe00
	s_wait_alu 0xfffe
	v_add_co_u32 v0, vcc_lo, v0, s9
	s_wait_alu 0xfffd
	v_add_co_ci_u32_e64 v1, null, 0, v1, vcc_lo
	s_wait_dscnt 0x0
	global_store_b8 v[0:1], v2, off
.LBB105_93:
	s_wait_alu 0xfffe
	s_or_b32 exec_lo, exec_lo, s8
	s_wait_storecnt 0x0
	s_wait_loadcnt_dscnt 0x0
	s_barrier_signal -1
	s_barrier_wait -1
	global_inv scope:SCOPE_SE
	ds_store_2addr_b64 v64, v[21:22], v[23:24] offset1:1
	ds_store_2addr_b64 v64, v[17:18], v[19:20] offset0:2 offset1:3
	ds_store_2addr_b64 v64, v[29:30], v[31:32] offset0:4 offset1:5
	;; [unrolled: 1-line block ×3, first 2 shown]
	s_wait_loadcnt_dscnt 0x0
	s_barrier_signal -1
	s_barrier_wait -1
	global_inv scope:SCOPE_SE
	ds_load_b64 v[14:15], v58 offset:4096
	ds_load_b64 v[12:13], v59 offset:8192
	;; [unrolled: 1-line block ×7, first 2 shown]
	v_mov_b32_e32 v42, 0
	s_delay_alu instid0(VALU_DEP_1) | instskip(NEXT) | instid1(VALU_DEP_1)
	v_lshlrev_b64_e32 v[2:3], 3, v[41:42]
	v_add_co_u32 v2, vcc_lo, s12, v2
	s_wait_alu 0xfffd
	s_delay_alu instid0(VALU_DEP_2)
	v_add_co_ci_u32_e64 v3, null, s13, v3, vcc_lo
	s_and_saveexec_b32 s8, s0
	s_cbranch_execnz .LBB105_110
; %bb.94:
	s_wait_alu 0xfffe
	s_or_b32 exec_lo, exec_lo, s8
	s_and_saveexec_b32 s0, s1
	s_cbranch_execnz .LBB105_111
.LBB105_95:
	s_or_b32 exec_lo, exec_lo, s0
	s_and_saveexec_b32 s0, s2
	s_cbranch_execnz .LBB105_112
.LBB105_96:
	s_or_b32 exec_lo, exec_lo, s0
	s_and_saveexec_b32 s0, s3
	s_cbranch_execnz .LBB105_113
.LBB105_97:
	s_or_b32 exec_lo, exec_lo, s0
	s_and_saveexec_b32 s0, s4
	s_cbranch_execnz .LBB105_114
.LBB105_98:
	s_or_b32 exec_lo, exec_lo, s0
	s_and_saveexec_b32 s0, s5
	s_cbranch_execnz .LBB105_115
.LBB105_99:
	s_or_b32 exec_lo, exec_lo, s0
	s_and_saveexec_b32 s0, s6
	s_cbranch_execnz .LBB105_116
.LBB105_100:
	s_or_b32 exec_lo, exec_lo, s0
	s_and_saveexec_b32 s0, s7
	s_cbranch_execz .LBB105_102
.LBB105_101:
	s_mul_i32 s0, s16, 0xe00
	s_mov_b32 s1, 0
	s_delay_alu instid0(SALU_CYCLE_1) | instskip(NEXT) | instid1(SALU_CYCLE_1)
	s_lshl_b64 s[0:1], s[0:1], 3
	v_add_co_u32 v2, vcc_lo, v2, s0
	s_wait_alu 0xfffd
	v_add_co_ci_u32_e64 v3, null, s1, v3, vcc_lo
	s_wait_dscnt 0x0
	global_store_b64 v[2:3], v[0:1], off
.LBB105_102:
	s_nop 0
	s_sendmsg sendmsg(MSG_DEALLOC_VGPRS)
	s_endpgm
.LBB105_103:
	ds_load_u8 v9, v48
	s_wait_dscnt 0x0
	global_store_b8 v[0:1], v9, off
	s_wait_alu 0xfffe
	s_or_b32 exec_lo, exec_lo, s8
	s_and_saveexec_b32 s8, s1
	s_cbranch_execz .LBB105_86
.LBB105_104:
	s_lshl_b32 s9, s14, 9
	s_wait_alu 0xfffe
	v_add_co_u32 v9, vcc_lo, v0, s9
	s_wait_alu 0xfffd
	v_add_co_ci_u32_e64 v10, null, 0, v1, vcc_lo
	s_wait_dscnt 0x6
	global_store_b8 v[9:10], v8, off
	s_or_b32 exec_lo, exec_lo, s8
	s_and_saveexec_b32 s8, s2
	s_cbranch_execz .LBB105_87
.LBB105_105:
	s_lshl_b32 s9, s14, 10
	s_wait_dscnt 0x6
	s_wait_alu 0xfffe
	v_add_co_u32 v8, vcc_lo, v0, s9
	s_wait_alu 0xfffd
	v_add_co_ci_u32_e64 v9, null, 0, v1, vcc_lo
	s_wait_dscnt 0x5
	global_store_b8 v[8:9], v7, off
	s_or_b32 exec_lo, exec_lo, s8
	s_and_saveexec_b32 s8, s3
	s_cbranch_execz .LBB105_88
.LBB105_106:
	s_mul_i32 s9, s14, 0x600
	s_wait_dscnt 0x5
	s_wait_alu 0xfffe
	v_add_co_u32 v7, vcc_lo, v0, s9
	s_wait_alu 0xfffd
	v_add_co_ci_u32_e64 v8, null, 0, v1, vcc_lo
	s_wait_dscnt 0x4
	global_store_b8 v[7:8], v6, off
	s_or_b32 exec_lo, exec_lo, s8
	s_and_saveexec_b32 s8, s4
	s_cbranch_execz .LBB105_89
.LBB105_107:
	s_lshl_b32 s9, s14, 11
	s_wait_dscnt 0x4
	s_wait_alu 0xfffe
	v_add_co_u32 v6, vcc_lo, v0, s9
	s_wait_alu 0xfffd
	v_add_co_ci_u32_e64 v7, null, 0, v1, vcc_lo
	s_wait_dscnt 0x3
	global_store_b8 v[6:7], v5, off
	s_or_b32 exec_lo, exec_lo, s8
	s_and_saveexec_b32 s8, s5
	s_cbranch_execz .LBB105_90
.LBB105_108:
	s_mul_i32 s9, s14, 0xa00
	s_wait_dscnt 0x3
	s_wait_alu 0xfffe
	v_add_co_u32 v5, vcc_lo, v0, s9
	s_wait_alu 0xfffd
	v_add_co_ci_u32_e64 v6, null, 0, v1, vcc_lo
	s_wait_dscnt 0x2
	global_store_b8 v[5:6], v4, off
	s_or_b32 exec_lo, exec_lo, s8
	s_and_saveexec_b32 s8, s6
	s_cbranch_execz .LBB105_91
.LBB105_109:
	s_mul_i32 s9, s14, 0xc00
	s_wait_dscnt 0x2
	s_wait_alu 0xfffe
	v_add_co_u32 v4, vcc_lo, v0, s9
	s_wait_alu 0xfffd
	v_add_co_ci_u32_e64 v5, null, 0, v1, vcc_lo
	s_wait_dscnt 0x1
	global_store_b8 v[4:5], v3, off
	s_or_b32 exec_lo, exec_lo, s8
	s_and_saveexec_b32 s8, s7
	s_cbranch_execnz .LBB105_92
	s_branch .LBB105_93
.LBB105_110:
	ds_load_b64 v[16:17], v57
	s_wait_dscnt 0x0
	global_store_b64 v[2:3], v[16:17], off
	s_wait_alu 0xfffe
	s_or_b32 exec_lo, exec_lo, s8
	s_and_saveexec_b32 s0, s1
	s_cbranch_execz .LBB105_95
.LBB105_111:
	s_lshl_b32 s8, s16, 9
	s_mov_b32 s9, 0
	s_wait_alu 0xfffe
	s_lshl_b64 s[8:9], s[8:9], 3
	s_wait_alu 0xfffe
	v_add_co_u32 v16, vcc_lo, v2, s8
	s_wait_alu 0xfffd
	v_add_co_ci_u32_e64 v17, null, s9, v3, vcc_lo
	s_wait_dscnt 0x6
	global_store_b64 v[16:17], v[14:15], off
	s_or_b32 exec_lo, exec_lo, s0
	s_and_saveexec_b32 s0, s2
	s_cbranch_execz .LBB105_96
.LBB105_112:
	s_lshl_b32 s8, s16, 10
	s_mov_b32 s9, 0
	s_wait_alu 0xfffe
	s_lshl_b64 s[8:9], s[8:9], 3
	s_wait_dscnt 0x6
	s_wait_alu 0xfffe
	v_add_co_u32 v14, vcc_lo, v2, s8
	s_wait_alu 0xfffd
	v_add_co_ci_u32_e64 v15, null, s9, v3, vcc_lo
	s_wait_dscnt 0x5
	global_store_b64 v[14:15], v[12:13], off
	s_or_b32 exec_lo, exec_lo, s0
	s_and_saveexec_b32 s0, s3
	s_cbranch_execz .LBB105_97
.LBB105_113:
	s_mul_i32 s2, s16, 0x600
	s_mov_b32 s3, 0
	s_wait_alu 0xfffe
	s_lshl_b64 s[2:3], s[2:3], 3
	s_wait_dscnt 0x5
	s_wait_alu 0xfffe
	v_add_co_u32 v12, vcc_lo, v2, s2
	s_wait_alu 0xfffd
	v_add_co_ci_u32_e64 v13, null, s3, v3, vcc_lo
	s_wait_dscnt 0x4
	global_store_b64 v[12:13], v[10:11], off
	s_or_b32 exec_lo, exec_lo, s0
	s_and_saveexec_b32 s0, s4
	s_cbranch_execz .LBB105_98
.LBB105_114:
	s_lshl_b32 s2, s16, 11
	s_mov_b32 s3, 0
	s_wait_alu 0xfffe
	s_lshl_b64 s[2:3], s[2:3], 3
	s_wait_dscnt 0x4
	s_wait_alu 0xfffe
	v_add_co_u32 v10, vcc_lo, v2, s2
	s_wait_alu 0xfffd
	v_add_co_ci_u32_e64 v11, null, s3, v3, vcc_lo
	s_wait_dscnt 0x3
	global_store_b64 v[10:11], v[8:9], off
	s_or_b32 exec_lo, exec_lo, s0
	s_and_saveexec_b32 s0, s5
	s_cbranch_execz .LBB105_99
.LBB105_115:
	s_mul_i32 s2, s16, 0xa00
	s_mov_b32 s3, 0
	s_wait_alu 0xfffe
	s_lshl_b64 s[2:3], s[2:3], 3
	s_wait_dscnt 0x3
	s_wait_alu 0xfffe
	v_add_co_u32 v8, vcc_lo, v2, s2
	s_wait_alu 0xfffd
	v_add_co_ci_u32_e64 v9, null, s3, v3, vcc_lo
	s_wait_dscnt 0x2
	global_store_b64 v[8:9], v[6:7], off
	s_or_b32 exec_lo, exec_lo, s0
	s_and_saveexec_b32 s0, s6
	s_cbranch_execz .LBB105_100
.LBB105_116:
	s_mul_i32 s2, s16, 0xc00
	s_mov_b32 s3, 0
	s_wait_alu 0xfffe
	s_lshl_b64 s[2:3], s[2:3], 3
	s_wait_dscnt 0x2
	s_wait_alu 0xfffe
	v_add_co_u32 v6, vcc_lo, v2, s2
	s_wait_alu 0xfffd
	v_add_co_ci_u32_e64 v7, null, s3, v3, vcc_lo
	s_wait_dscnt 0x1
	global_store_b64 v[6:7], v[4:5], off
	s_or_b32 exec_lo, exec_lo, s0
	s_and_saveexec_b32 s0, s7
	s_cbranch_execnz .LBB105_101
	s_branch .LBB105_102
	.section	.rodata,"a",@progbits
	.p2align	6, 0x0
	.amdhsa_kernel _ZN2at6native18radixSortKVInPlaceILi2ELin1ELi512ELi8EaljEEvNS_4cuda6detail10TensorInfoIT3_T5_EES6_S6_S6_NS4_IT4_S6_EES6_b
		.amdhsa_group_segment_fixed_size 33792
		.amdhsa_private_segment_fixed_size 0
		.amdhsa_kernarg_size 712
		.amdhsa_user_sgpr_count 2
		.amdhsa_user_sgpr_dispatch_ptr 0
		.amdhsa_user_sgpr_queue_ptr 0
		.amdhsa_user_sgpr_kernarg_segment_ptr 1
		.amdhsa_user_sgpr_dispatch_id 0
		.amdhsa_user_sgpr_private_segment_size 0
		.amdhsa_wavefront_size32 1
		.amdhsa_uses_dynamic_stack 0
		.amdhsa_enable_private_segment 0
		.amdhsa_system_sgpr_workgroup_id_x 1
		.amdhsa_system_sgpr_workgroup_id_y 1
		.amdhsa_system_sgpr_workgroup_id_z 1
		.amdhsa_system_sgpr_workgroup_info 0
		.amdhsa_system_vgpr_workitem_id 2
		.amdhsa_next_free_vgpr 114
		.amdhsa_next_free_sgpr 24
		.amdhsa_reserve_vcc 1
		.amdhsa_float_round_mode_32 0
		.amdhsa_float_round_mode_16_64 0
		.amdhsa_float_denorm_mode_32 3
		.amdhsa_float_denorm_mode_16_64 3
		.amdhsa_fp16_overflow 0
		.amdhsa_workgroup_processor_mode 1
		.amdhsa_memory_ordered 1
		.amdhsa_forward_progress 1
		.amdhsa_inst_pref_size 107
		.amdhsa_round_robin_scheduling 0
		.amdhsa_exception_fp_ieee_invalid_op 0
		.amdhsa_exception_fp_denorm_src 0
		.amdhsa_exception_fp_ieee_div_zero 0
		.amdhsa_exception_fp_ieee_overflow 0
		.amdhsa_exception_fp_ieee_underflow 0
		.amdhsa_exception_fp_ieee_inexact 0
		.amdhsa_exception_int_div_zero 0
	.end_amdhsa_kernel
	.section	.text._ZN2at6native18radixSortKVInPlaceILi2ELin1ELi512ELi8EaljEEvNS_4cuda6detail10TensorInfoIT3_T5_EES6_S6_S6_NS4_IT4_S6_EES6_b,"axG",@progbits,_ZN2at6native18radixSortKVInPlaceILi2ELin1ELi512ELi8EaljEEvNS_4cuda6detail10TensorInfoIT3_T5_EES6_S6_S6_NS4_IT4_S6_EES6_b,comdat
.Lfunc_end105:
	.size	_ZN2at6native18radixSortKVInPlaceILi2ELin1ELi512ELi8EaljEEvNS_4cuda6detail10TensorInfoIT3_T5_EES6_S6_S6_NS4_IT4_S6_EES6_b, .Lfunc_end105-_ZN2at6native18radixSortKVInPlaceILi2ELin1ELi512ELi8EaljEEvNS_4cuda6detail10TensorInfoIT3_T5_EES6_S6_S6_NS4_IT4_S6_EES6_b
                                        ; -- End function
	.set _ZN2at6native18radixSortKVInPlaceILi2ELin1ELi512ELi8EaljEEvNS_4cuda6detail10TensorInfoIT3_T5_EES6_S6_S6_NS4_IT4_S6_EES6_b.num_vgpr, 114
	.set _ZN2at6native18radixSortKVInPlaceILi2ELin1ELi512ELi8EaljEEvNS_4cuda6detail10TensorInfoIT3_T5_EES6_S6_S6_NS4_IT4_S6_EES6_b.num_agpr, 0
	.set _ZN2at6native18radixSortKVInPlaceILi2ELin1ELi512ELi8EaljEEvNS_4cuda6detail10TensorInfoIT3_T5_EES6_S6_S6_NS4_IT4_S6_EES6_b.numbered_sgpr, 24
	.set _ZN2at6native18radixSortKVInPlaceILi2ELin1ELi512ELi8EaljEEvNS_4cuda6detail10TensorInfoIT3_T5_EES6_S6_S6_NS4_IT4_S6_EES6_b.num_named_barrier, 0
	.set _ZN2at6native18radixSortKVInPlaceILi2ELin1ELi512ELi8EaljEEvNS_4cuda6detail10TensorInfoIT3_T5_EES6_S6_S6_NS4_IT4_S6_EES6_b.private_seg_size, 0
	.set _ZN2at6native18radixSortKVInPlaceILi2ELin1ELi512ELi8EaljEEvNS_4cuda6detail10TensorInfoIT3_T5_EES6_S6_S6_NS4_IT4_S6_EES6_b.uses_vcc, 1
	.set _ZN2at6native18radixSortKVInPlaceILi2ELin1ELi512ELi8EaljEEvNS_4cuda6detail10TensorInfoIT3_T5_EES6_S6_S6_NS4_IT4_S6_EES6_b.uses_flat_scratch, 0
	.set _ZN2at6native18radixSortKVInPlaceILi2ELin1ELi512ELi8EaljEEvNS_4cuda6detail10TensorInfoIT3_T5_EES6_S6_S6_NS4_IT4_S6_EES6_b.has_dyn_sized_stack, 0
	.set _ZN2at6native18radixSortKVInPlaceILi2ELin1ELi512ELi8EaljEEvNS_4cuda6detail10TensorInfoIT3_T5_EES6_S6_S6_NS4_IT4_S6_EES6_b.has_recursion, 0
	.set _ZN2at6native18radixSortKVInPlaceILi2ELin1ELi512ELi8EaljEEvNS_4cuda6detail10TensorInfoIT3_T5_EES6_S6_S6_NS4_IT4_S6_EES6_b.has_indirect_call, 0
	.section	.AMDGPU.csdata,"",@progbits
; Kernel info:
; codeLenInByte = 13696
; TotalNumSgprs: 26
; NumVgprs: 114
; ScratchSize: 0
; MemoryBound: 0
; FloatMode: 240
; IeeeMode: 1
; LDSByteSize: 33792 bytes/workgroup (compile time only)
; SGPRBlocks: 0
; VGPRBlocks: 14
; NumSGPRsForWavesPerEU: 26
; NumVGPRsForWavesPerEU: 114
; Occupancy: 12
; WaveLimiterHint : 1
; COMPUTE_PGM_RSRC2:SCRATCH_EN: 0
; COMPUTE_PGM_RSRC2:USER_SGPR: 2
; COMPUTE_PGM_RSRC2:TRAP_HANDLER: 0
; COMPUTE_PGM_RSRC2:TGID_X_EN: 1
; COMPUTE_PGM_RSRC2:TGID_Y_EN: 1
; COMPUTE_PGM_RSRC2:TGID_Z_EN: 1
; COMPUTE_PGM_RSRC2:TIDIG_COMP_CNT: 2
	.section	.text._ZN2at6native18radixSortKVInPlaceILi2ELin1ELi256ELi8EaljEEvNS_4cuda6detail10TensorInfoIT3_T5_EES6_S6_S6_NS4_IT4_S6_EES6_b,"axG",@progbits,_ZN2at6native18radixSortKVInPlaceILi2ELin1ELi256ELi8EaljEEvNS_4cuda6detail10TensorInfoIT3_T5_EES6_S6_S6_NS4_IT4_S6_EES6_b,comdat
	.protected	_ZN2at6native18radixSortKVInPlaceILi2ELin1ELi256ELi8EaljEEvNS_4cuda6detail10TensorInfoIT3_T5_EES6_S6_S6_NS4_IT4_S6_EES6_b ; -- Begin function _ZN2at6native18radixSortKVInPlaceILi2ELin1ELi256ELi8EaljEEvNS_4cuda6detail10TensorInfoIT3_T5_EES6_S6_S6_NS4_IT4_S6_EES6_b
	.globl	_ZN2at6native18radixSortKVInPlaceILi2ELin1ELi256ELi8EaljEEvNS_4cuda6detail10TensorInfoIT3_T5_EES6_S6_S6_NS4_IT4_S6_EES6_b
	.p2align	8
	.type	_ZN2at6native18radixSortKVInPlaceILi2ELin1ELi256ELi8EaljEEvNS_4cuda6detail10TensorInfoIT3_T5_EES6_S6_S6_NS4_IT4_S6_EES6_b,@function
_ZN2at6native18radixSortKVInPlaceILi2ELin1ELi256ELi8EaljEEvNS_4cuda6detail10TensorInfoIT3_T5_EES6_S6_S6_NS4_IT4_S6_EES6_b: ; @_ZN2at6native18radixSortKVInPlaceILi2ELin1ELi256ELi8EaljEEvNS_4cuda6detail10TensorInfoIT3_T5_EES6_S6_S6_NS4_IT4_S6_EES6_b
; %bb.0:
	s_clause 0x1
	s_load_b64 s[2:3], s[0:1], 0x1c8
	s_load_b96 s[12:14], s[0:1], 0xd8
	s_lshr_b32 s4, ttmp7, 16
	s_wait_kmcnt 0x0
	s_mul_i32 s3, s3, s4
	s_and_b32 s4, ttmp7, 0xffff
	s_delay_alu instid0(SALU_CYCLE_1) | instskip(NEXT) | instid1(SALU_CYCLE_1)
	s_add_co_i32 s3, s3, s4
	s_mul_i32 s2, s3, s2
	s_delay_alu instid0(SALU_CYCLE_1) | instskip(NEXT) | instid1(SALU_CYCLE_1)
	s_add_co_i32 s2, s2, ttmp9
	s_cmp_ge_u32 s2, s12
	s_cbranch_scc1 .LBB106_102
; %bb.1:
	s_clause 0x2
	s_load_b32 s15, s[0:1], 0xc
	s_load_b64 s[4:5], s[0:1], 0x6c
	s_load_b32 s16, s[0:1], 0x1b8
	s_add_nc_u64 s[10:11], s[0:1], 0xe8
	s_mov_b32 s12, s2
	s_wait_kmcnt 0x0
	s_cvt_f32_u32 s3, s15
	s_delay_alu instid0(SALU_CYCLE_3) | instskip(NEXT) | instid1(TRANS32_DEP_1)
	v_rcp_iflag_f32_e32 v1, s3
	v_readfirstlane_b32 s3, v1
	s_mul_f32 s3, s3, 0x4f7ffffe
	s_wait_alu 0xfffe
	s_delay_alu instid0(SALU_CYCLE_2) | instskip(SKIP_2) | instid1(SALU_CYCLE_1)
	s_cvt_u32_f32 s6, s3
	s_sub_co_i32 s3, 0, s15
	s_wait_alu 0xfffe
	s_mul_i32 s7, s3, s6
	s_mov_b32 s3, 0
	s_mul_hi_u32 s8, s6, s7
	s_wait_alu 0xfffe
	s_mov_b32 s7, s3
	s_add_co_i32 s6, s6, s8
	s_cmp_lt_i32 s16, 2
	s_mov_b32 s9, s3
	s_cbranch_scc1 .LBB106_4
; %bb.2:
	s_add_co_i32 s8, s16, -1
	s_mov_b32 s9, 0
	s_mov_b32 s12, s2
	s_lshl_b64 s[18:19], s[8:9], 2
	s_add_co_i32 s8, s16, 1
	s_add_nc_u64 s[18:19], s[10:11], s[18:19]
	s_delay_alu instid0(SALU_CYCLE_1)
	s_add_nc_u64 s[16:17], s[18:19], 8
.LBB106_3:                              ; =>This Inner Loop Header: Depth=1
	s_clause 0x1
	s_load_b32 s18, s[16:17], 0x0
	s_load_b32 s19, s[16:17], 0x64
	s_mov_b32 s22, s12
	s_add_nc_u64 s[16:17], s[16:17], -4
	s_wait_kmcnt 0x0
	s_cvt_f32_u32 s20, s18
	s_sub_co_i32 s21, 0, s18
	s_wait_alu 0xfffe
	s_delay_alu instid0(SALU_CYCLE_1) | instskip(NEXT) | instid1(TRANS32_DEP_1)
	v_rcp_iflag_f32_e32 v1, s20
	v_readfirstlane_b32 s20, v1
	s_mul_f32 s20, s20, 0x4f7ffffe
	s_wait_alu 0xfffe
	s_delay_alu instid0(SALU_CYCLE_2) | instskip(SKIP_1) | instid1(SALU_CYCLE_2)
	s_cvt_u32_f32 s20, s20
	s_wait_alu 0xfffe
	s_mul_i32 s21, s21, s20
	s_wait_alu 0xfffe
	s_mul_hi_u32 s21, s20, s21
	s_wait_alu 0xfffe
	s_add_co_i32 s20, s20, s21
	s_wait_alu 0xfffe
	s_mul_hi_u32 s12, s12, s20
	s_delay_alu instid0(SALU_CYCLE_1)
	s_mul_i32 s20, s12, s18
	s_add_co_i32 s21, s12, 1
	s_wait_alu 0xfffe
	s_sub_co_i32 s20, s22, s20
	s_wait_alu 0xfffe
	s_sub_co_i32 s23, s20, s18
	s_cmp_ge_u32 s20, s18
	s_cselect_b32 s12, s21, s12
	s_cselect_b32 s20, s23, s20
	s_add_co_i32 s21, s12, 1
	s_wait_alu 0xfffe
	s_cmp_ge_u32 s20, s18
	s_cselect_b32 s12, s21, s12
	s_add_co_i32 s8, s8, -1
	s_mul_i32 s18, s12, s18
	s_delay_alu instid0(SALU_CYCLE_1) | instskip(NEXT) | instid1(SALU_CYCLE_1)
	s_sub_co_i32 s18, s22, s18
	s_mul_i32 s18, s19, s18
	s_delay_alu instid0(SALU_CYCLE_1)
	s_add_co_i32 s9, s18, s9
	s_cmp_gt_u32 s8, 2
	s_cbranch_scc1 .LBB106_3
.LBB106_4:
	s_mul_u64 s[6:7], s[2:3], s[6:7]
	s_clause 0x1
	s_load_b64 s[18:19], s[0:1], 0x0
	s_load_b64 s[16:17], s[0:1], 0x1c0
	s_mul_i32 s3, s7, s15
	s_add_nc_u64 s[20:21], s[0:1], 0x1c8
	s_wait_alu 0xfffe
	s_sub_co_i32 s0, s2, s3
	s_add_co_i32 s1, s7, 1
	s_sub_co_i32 s3, s0, s15
	s_cmp_ge_u32 s0, s15
	s_cselect_b32 s1, s1, s7
	s_wait_alu 0xfffe
	s_cselect_b32 s0, s3, s0
	s_add_co_i32 s3, s1, 1
	s_cmp_ge_u32 s0, s15
	s_wait_alu 0xfffe
	s_cselect_b32 s0, s3, s1
	s_delay_alu instid0(SALU_CYCLE_1) | instskip(SKIP_4) | instid1(SALU_CYCLE_1)
	s_mul_i32 s1, s0, s15
	s_mul_i32 s0, s0, s4
	s_sub_co_i32 s1, s2, s1
	s_mov_b32 s2, 0xff80
	s_mul_i32 s1, s1, s5
	s_add_co_i32 s4, s0, s1
	s_wait_kmcnt 0x0
	s_bitcmp1_b32 s17, 0
	s_movk_i32 s0, 0x8000
	s_cselect_b32 s8, -1, 0
	s_movk_i32 s1, 0x80
	s_and_b32 s3, s8, exec_lo
	s_cselect_b32 s0, s0, 0x7f00
	s_cselect_b32 s1, s1, 0x7f
	s_wait_alu 0xfffe
	s_cselect_b32 s5, s2, 0x7f
	s_or_b32 s0, s1, s0
	v_mov_b32_e32 v3, s5
	s_and_b32 s1, s0, 0xffff
	s_lshl_b32 s0, s0, 16
	s_mov_b32 s5, 0
	s_or_b32 s2, s1, s0
	s_wait_alu 0xfffe
	s_add_nc_u64 s[18:19], s[18:19], s[4:5]
	s_mov_b32 s3, s2
	v_dual_mov_b32 v1, s2 :: v_dual_and_b32 v44, 0x3ff, v0
	s_wait_alu 0xfffe
	v_mov_b32_e32 v2, s3
	s_delay_alu instid0(VALU_DEP_2)
	v_mul_lo_u32 v47, s14, v44
	v_cmp_gt_u32_e64 s0, s13, v44
	s_and_saveexec_b32 s1, s0
	s_cbranch_execz .LBB106_6
; %bb.5:
	global_load_u8 v3, v47, s[18:19]
	v_mov_b32_e32 v2, s2
	s_wait_loadcnt 0x0
	v_perm_b32 v1, v3, s2, 0x3020104
.LBB106_6:
	s_or_b32 exec_lo, exec_lo, s1
	v_add_nc_u32_e32 v29, 0x100, v44
	s_delay_alu instid0(VALU_DEP_1)
	v_cmp_gt_u32_e64 s1, s13, v29
	s_and_saveexec_b32 s2, s1
	s_cbranch_execz .LBB106_8
; %bb.7:
	v_mul_lo_u32 v4, s14, v29
	global_load_u8 v4, v4, s[18:19]
	s_wait_loadcnt 0x0
	v_perm_b32 v1, v1, v4, 0x7060004
.LBB106_8:
	s_wait_alu 0xfffe
	s_or_b32 exec_lo, exec_lo, s2
	v_add_nc_u32_e32 v28, 0x200, v44
	s_delay_alu instid0(VALU_DEP_1)
	v_cmp_gt_u32_e64 s2, s13, v28
	s_and_saveexec_b32 s3, s2
	s_cbranch_execz .LBB106_10
; %bb.9:
	v_mul_lo_u32 v4, s14, v28
	global_load_u8 v4, v4, s[18:19]
	s_wait_loadcnt 0x0
	v_perm_b32 v4, v4, v1, 0xc0c0304
	s_delay_alu instid0(VALU_DEP_1) | instskip(NEXT) | instid1(VALU_DEP_1)
	v_lshlrev_b32_e32 v4, 16, v4
	v_and_or_b32 v1, 0xffff, v1, v4
.LBB106_10:
	s_wait_alu 0xfffe
	s_or_b32 exec_lo, exec_lo, s3
	v_add_nc_u32_e32 v26, 0x300, v44
	s_delay_alu instid0(VALU_DEP_1)
	v_cmp_gt_u32_e64 s3, s13, v26
	s_and_saveexec_b32 s4, s3
	s_cbranch_execz .LBB106_12
; %bb.11:
	v_mul_lo_u32 v4, s14, v26
	global_load_u8 v4, v4, s[18:19]
	s_wait_loadcnt 0x0
	v_perm_b32 v4, v1, v4, 0xc0c0006
	s_delay_alu instid0(VALU_DEP_1) | instskip(NEXT) | instid1(VALU_DEP_1)
	v_lshlrev_b32_e32 v4, 16, v4
	v_and_or_b32 v1, 0xffff, v1, v4
.LBB106_12:
	s_wait_alu 0xfffe
	s_or_b32 exec_lo, exec_lo, s4
	v_or_b32_e32 v22, 0x400, v44
	s_delay_alu instid0(VALU_DEP_1)
	v_cmp_gt_u32_e64 s4, s13, v22
	s_and_saveexec_b32 s5, s4
	s_cbranch_execz .LBB106_14
; %bb.13:
	v_mul_lo_u32 v4, s14, v22
	global_load_u8 v4, v4, s[18:19]
	s_wait_loadcnt 0x0
	v_perm_b32 v2, v4, v2, 0x3020104
.LBB106_14:
	s_wait_alu 0xfffe
	s_or_b32 exec_lo, exec_lo, s5
	v_add_nc_u32_e32 v19, 0x500, v44
	s_delay_alu instid0(VALU_DEP_1)
	v_cmp_gt_u32_e64 s5, s13, v19
	s_and_saveexec_b32 s6, s5
	s_cbranch_execz .LBB106_16
; %bb.15:
	v_mul_lo_u32 v4, s14, v19
	global_load_u8 v4, v4, s[18:19]
	s_wait_loadcnt 0x0
	v_perm_b32 v2, v2, v4, 0x7060004
.LBB106_16:
	s_or_b32 exec_lo, exec_lo, s6
	v_add_nc_u32_e32 v16, 0x600, v44
	s_delay_alu instid0(VALU_DEP_1)
	v_cmp_gt_u32_e64 s6, s13, v16
	s_and_saveexec_b32 s7, s6
	s_cbranch_execz .LBB106_18
; %bb.17:
	v_mul_lo_u32 v4, s14, v16
	global_load_u8 v4, v4, s[18:19]
	s_wait_loadcnt 0x0
	v_perm_b32 v2, v2, v4, 0x7000504
.LBB106_18:
	s_or_b32 exec_lo, exec_lo, s7
	s_clause 0x1
	s_load_b32 s15, s[10:11], 0x6c
	s_load_b64 s[10:11], s[10:11], 0x0
	v_add_nc_u32_e32 v15, 0x700, v44
	s_delay_alu instid0(VALU_DEP_1)
	v_cmp_gt_u32_e64 s7, s13, v15
	s_and_saveexec_b32 s13, s7
	s_cbranch_execz .LBB106_20
; %bb.19:
	v_mul_lo_u32 v4, s14, v15
	global_load_u8 v4, v4, s[18:19]
	s_wait_loadcnt 0x0
	v_perm_b32 v2, v2, v4, 0x60504
.LBB106_20:
	s_wait_alu 0xfffe
	s_or_b32 exec_lo, exec_lo, s13
	v_lshrrev_b32_e32 v65, 5, v44
	v_lshrrev_b32_e32 v17, 5, v29
	;; [unrolled: 1-line block ×5, first 2 shown]
	s_delay_alu instid0(VALU_DEP_4) | instskip(SKIP_4) | instid1(VALU_DEP_4)
	v_dual_mov_b32 v42, 0 :: v_dual_and_b32 v5, 60, v17
	v_and_b32_e32 v4, 28, v65
	v_and_b32_e32 v7, 60, v20
	v_lshrrev_b32_e32 v21, 5, v26
	v_lshrrev_b32_e32 v27, 2, v44
	v_dual_mov_b32 v43, v42 :: v_dual_add_nc_u32 v48, v4, v44
	v_dual_mov_b32 v11, v42 :: v_dual_and_b32 v4, 60, v18
	v_mov_b32_e32 v12, v42
	v_add_nc_u32_e32 v52, v7, v44
	v_and_b32_e32 v7, 0x7c, v24
	s_delay_alu instid0(VALU_DEP_4)
	v_add_nc_u32_e32 v50, v4, v44
	v_and_b32_e32 v4, 60, v21
	v_lshrrev_b32_e32 v23, 5, v19
	v_lshrrev_b32_e32 v25, 5, v15
	v_dual_mov_b32 v13, 0 :: v_dual_add_nc_u32 v54, v7, v44
	v_lshlrev_b32_e32 v60, 3, v44
	v_and_b32_e32 v7, 0xfc, v27
	v_add_nc_u32_e32 v51, v4, v44
	v_and_b32_e32 v4, 0x7c, v23
	v_and_b32_e32 v9, 0x7c, v25
	v_lshrrev_b32_e32 v6, 8, v1
	v_add_nc_u32_e32 v56, v7, v60
	v_dual_mov_b32 v10, v42 :: v_dual_add_nc_u32 v49, v5, v44
	v_lshrrev_b32_e32 v5, 24, v1
	v_lshrrev_b32_e32 v8, 8, v2
	v_dual_mov_b32 v14, 0 :: v_dual_add_nc_u32 v53, v4, v44
	v_lshrrev_b32_e32 v4, 24, v2
	v_add_nc_u32_e32 v55, v9, v44
	v_mov_b32_e32 v9, v42
	v_mov_b32_e32 v7, v42
	ds_store_b8 v48, v3
	ds_store_b8 v49, v6 offset:256
	ds_store_b8_d16_hi v50, v1 offset:512
	ds_store_b8 v51, v5 offset:768
	ds_store_b8 v52, v2 offset:1024
	;; [unrolled: 1-line block ×3, first 2 shown]
	ds_store_b8_d16_hi v54, v2 offset:1536
	ds_store_b8 v55, v4 offset:1792
	s_wait_dscnt 0x0
	s_barrier_signal -1
	s_barrier_wait -1
	global_inv scope:SCOPE_SE
	ds_load_2addr_b32 v[45:46], v56 offset1:1
	s_wait_kmcnt 0x0
	s_mul_i32 s12, s15, s12
	v_mul_lo_u32 v41, s16, v44
	s_mov_b32 s13, 0
	s_wait_alu 0xfffe
	s_add_co_i32 s12, s12, s9
	v_dual_mov_b32 v1, v42 :: v_dual_mov_b32 v2, v42
	v_dual_mov_b32 v3, v42 :: v_dual_mov_b32 v4, v42
	;; [unrolled: 1-line block ×3, first 2 shown]
	v_mov_b32_e32 v8, v42
	s_wait_alu 0xfffe
	s_lshl_b64 s[12:13], s[12:13], 3
	s_wait_loadcnt_dscnt 0x0
	s_wait_alu 0xfffe
	s_add_nc_u64 s[12:13], s[10:11], s[12:13]
	s_barrier_signal -1
	s_barrier_wait -1
	global_inv scope:SCOPE_SE
	s_and_saveexec_b32 s9, s0
	s_cbranch_execnz .LBB106_53
; %bb.21:
	s_or_b32 exec_lo, exec_lo, s9
	s_and_saveexec_b32 s9, s1
	s_cbranch_execnz .LBB106_54
.LBB106_22:
	s_or_b32 exec_lo, exec_lo, s9
	s_and_saveexec_b32 s9, s2
	s_cbranch_execnz .LBB106_55
.LBB106_23:
	s_or_b32 exec_lo, exec_lo, s9
	s_and_saveexec_b32 s9, s3
	s_cbranch_execnz .LBB106_56
.LBB106_24:
	s_or_b32 exec_lo, exec_lo, s9
	s_and_saveexec_b32 s9, s4
	s_cbranch_execnz .LBB106_57
.LBB106_25:
	s_or_b32 exec_lo, exec_lo, s9
	s_and_saveexec_b32 s9, s5
	s_cbranch_execnz .LBB106_58
.LBB106_26:
	s_or_b32 exec_lo, exec_lo, s9
	s_and_saveexec_b32 s9, s6
	s_cbranch_execnz .LBB106_59
.LBB106_27:
	s_or_b32 exec_lo, exec_lo, s9
	s_xor_b32 s9, s8, -1
	s_and_saveexec_b32 s8, s7
	s_cbranch_execz .LBB106_29
.LBB106_28:
	v_mul_lo_u32 v7, s16, v15
	v_mov_b32_e32 v8, 0
	s_delay_alu instid0(VALU_DEP_1) | instskip(SKIP_1) | instid1(VALU_DEP_1)
	v_lshlrev_b64_e32 v[7:8], 3, v[7:8]
	s_wait_alu 0xfffe
	v_add_co_u32 v7, vcc_lo, s12, v7
	s_wait_alu 0xfffd
	s_delay_alu instid0(VALU_DEP_2)
	v_add_co_ci_u32_e64 v8, null, s13, v8, vcc_lo
	global_load_b64 v[7:8], v[7:8], off
.LBB106_29:
	s_or_b32 exec_lo, exec_lo, s8
	v_lshl_add_u32 v57, v65, 3, v60
	v_lshl_add_u32 v58, v17, 3, v60
	;; [unrolled: 1-line block ×5, first 2 shown]
	s_wait_loadcnt 0x0
	ds_store_b64 v57, v[13:14]
	ds_store_b64 v58, v[42:43] offset:2048
	ds_store_b64 v59, v[9:10] offset:4096
	;; [unrolled: 1-line block ×3, first 2 shown]
	v_lshlrev_b32_e32 v9, 3, v60
	v_lshl_add_u32 v42, v20, 3, v60
	v_lshl_add_u32 v43, v23, 3, v60
	;; [unrolled: 1-line block ×3, first 2 shown]
	ds_store_b64 v42, v[1:2] offset:8192
	ds_store_b64 v43, v[3:4] offset:10240
	;; [unrolled: 1-line block ×4, first 2 shown]
	v_lshl_add_u32 v64, v27, 3, v9
	s_wait_dscnt 0x0
	s_barrier_signal -1
	s_barrier_wait -1
	global_inv scope:SCOPE_SE
	ds_load_2addr_b64 v[13:16], v64 offset1:1
	ds_load_2addr_b64 v[9:12], v64 offset0:2 offset1:3
	ds_load_2addr_b64 v[5:8], v64 offset0:4 offset1:5
	;; [unrolled: 1-line block ×3, first 2 shown]
	v_mbcnt_lo_u32_b32 v67, -1, 0
	v_and_b32_e32 v68, 0x3e0, v44
	v_lshrrev_b32_e32 v74, 24, v46
	v_lshrrev_b32_e32 v75, 16, v46
	;; [unrolled: 1-line block ×3, first 2 shown]
	v_and_or_b32 v73, 0x1f00, v60, v67
	v_or_b32_e32 v17, v67, v68
	v_lshrrev_b32_e32 v77, 24, v45
	v_lshrrev_b32_e32 v78, 16, v45
	;; [unrolled: 1-line block ×3, first 2 shown]
	v_bfe_u32 v69, v0, 10, 10
	v_lshlrev_b32_e32 v72, 3, v17
	v_bfe_u32 v70, v0, 20, 10
	v_mad_u32_u24 v71, v73, 7, v73
	v_lshlrev_b32_e32 v66, 2, v60
	s_mov_b32 s8, 0
	s_and_b32 vcc_lo, exec_lo, s9
	s_mov_b32 s9, -1
	s_wait_loadcnt_dscnt 0x0
	s_barrier_signal -1
	s_barrier_wait -1
	global_inv scope:SCOPE_SE
	s_wait_alu 0xfffe
	s_cbranch_vccz .LBB106_60
; %bb.30:
	v_xor_b32_e32 v0, 0x80, v45
	v_xor_b32_e32 v17, 0x80, v79
	;; [unrolled: 1-line block ×8, first 2 shown]
	s_getpc_b64 s[10:11]
	s_sext_i32_i16 s11, s11
	s_add_co_u32 s10, s10, _ZN7rocprim17ROCPRIM_400000_NS16block_radix_sortIaLj256ELj8ElLj1ELj1ELj0ELNS0_26block_radix_rank_algorithmE1ELNS0_18block_padding_hintE2ELNS0_4arch9wavefront6targetE0EE19radix_bits_per_passE@rel32@lo+8
	s_add_co_ci_u32 s11, s11, _ZN7rocprim17ROCPRIM_400000_NS16block_radix_sortIaLj256ELj8ElLj1ELj1ELj0ELNS0_26block_radix_rank_algorithmE1ELNS0_18block_padding_hintE2ELNS0_4arch9wavefront6targetE0EE19radix_bits_per_passE@rel32@hi+16
	v_lshlrev_b16 v17, 8, v17
	v_lshlrev_b16 v19, 8, v19
	v_and_b32_e32 v20, 0xff, v20
	v_lshlrev_b16 v21, 8, v21
	v_and_b32_e32 v22, 0xff, v22
	v_lshlrev_b16 v23, 8, v23
	s_load_b32 s9, s[10:11], 0x0
	s_mov_b32 s11, s8
	v_and_b32_e32 v0, 0xff, v0
	v_and_b32_e32 v18, 0xff, v18
	s_delay_alu instid0(VALU_DEP_2) | instskip(NEXT) | instid1(VALU_DEP_2)
	v_or_b32_e32 v0, v0, v17
	v_or_b32_e32 v17, v18, v19
	v_or_b32_e32 v18, v20, v21
	v_or_b32_e32 v19, v22, v23
	s_delay_alu instid0(VALU_DEP_4) | instskip(NEXT) | instid1(VALU_DEP_4)
	v_and_b32_e32 v0, 0xffff, v0
	v_lshlrev_b32_e32 v17, 16, v17
	s_delay_alu instid0(VALU_DEP_4) | instskip(NEXT) | instid1(VALU_DEP_4)
	v_and_b32_e32 v18, 0xffff, v18
	v_lshlrev_b32_e32 v19, 16, v19
	s_delay_alu instid0(VALU_DEP_3) | instskip(NEXT) | instid1(VALU_DEP_2)
	v_or_b32_e32 v17, v0, v17
	v_or_b32_e32 v18, v18, v19
	s_wait_kmcnt 0x0
	s_min_u32 s9, s9, 8
	s_delay_alu instid0(SALU_CYCLE_1)
	s_lshl_b32 s9, -1, s9
	ds_store_b64 v72, v[17:18]
	; wave barrier
	ds_load_u8 v0, v73
	ds_load_u8 v80, v73 offset:32
	ds_load_u8 v81, v73 offset:64
	;; [unrolled: 1-line block ×7, first 2 shown]
	s_not_b32 s15, s9
	v_lshlrev_b32_e32 v17, 3, v72
	s_wait_loadcnt_dscnt 0x0
	s_barrier_signal -1
	s_barrier_wait -1
	global_inv scope:SCOPE_SE
	ds_store_b128 v17, v[13:16]
	ds_store_b128 v17, v[9:12] offset:16
	ds_store_b128 v17, v[5:8] offset:32
	;; [unrolled: 1-line block ×3, first 2 shown]
	; wave barrier
	ds_load_2addr_b64 v[21:24], v71 offset1:32
	ds_load_2addr_b64 v[17:20], v71 offset0:64 offset1:96
	ds_load_2addr_b64 v[29:32], v71 offset0:192 offset1:224
	s_wait_alu 0xfffe
	v_and_b32_e32 v39, s15, v0
	s_delay_alu instid0(VALU_DEP_1) | instskip(SKIP_3) | instid1(VALU_DEP_4)
	v_and_b32_e32 v25, 1, v39
	v_lshlrev_b32_e32 v35, 30, v39
	v_lshlrev_b32_e32 v36, 29, v39
	;; [unrolled: 1-line block ×3, first 2 shown]
	v_add_co_u32 v33, s9, v25, -1
	s_delay_alu instid0(VALU_DEP_1)
	v_cndmask_b32_e64 v34, 0, 1, s9
	ds_load_2addr_b64 v[25:28], v71 offset0:128 offset1:160
	s_wait_loadcnt_dscnt 0x0
	s_barrier_signal -1
	s_barrier_wait -1
	v_cmp_ne_u32_e32 vcc_lo, 0, v34
	v_not_b32_e32 v34, v35
	global_inv scope:SCOPE_SE
	s_load_b32 s9, s[20:21], 0xc
	v_xor_b32_e32 v33, vcc_lo, v33
	v_cmp_gt_i32_e32 vcc_lo, 0, v35
	v_ashrrev_i32_e32 v34, 31, v34
	v_not_b32_e32 v35, v36
	s_delay_alu instid0(VALU_DEP_4) | instskip(SKIP_1) | instid1(VALU_DEP_3)
	v_and_b32_e32 v33, exec_lo, v33
	s_wait_alu 0xfffd
	v_xor_b32_e32 v34, vcc_lo, v34
	v_cmp_gt_i32_e32 vcc_lo, 0, v36
	v_ashrrev_i32_e32 v35, 31, v35
	v_not_b32_e32 v36, v37
	s_delay_alu instid0(VALU_DEP_4)
	v_and_b32_e32 v33, v33, v34
	v_lshlrev_b32_e32 v34, 27, v39
	s_wait_alu 0xfffd
	v_xor_b32_e32 v35, vcc_lo, v35
	v_cmp_gt_i32_e32 vcc_lo, 0, v37
	v_ashrrev_i32_e32 v36, 31, v36
	v_not_b32_e32 v37, v34
	s_delay_alu instid0(VALU_DEP_4)
	v_and_b32_e32 v33, v33, v35
	v_lshlrev_b32_e32 v35, 26, v39
	s_wait_alu 0xfffd
	v_xor_b32_e32 v36, vcc_lo, v36
	v_cmp_gt_i32_e32 vcc_lo, 0, v34
	v_ashrrev_i32_e32 v34, 31, v37
	s_wait_kmcnt 0x0
	s_lshr_b32 s10, s9, 16
	v_not_b32_e32 v37, v35
	v_and_b32_e32 v33, v33, v36
	v_lshlrev_b32_e32 v36, 25, v39
	s_wait_alu 0xfffd
	v_xor_b32_e32 v34, vcc_lo, v34
	v_cmp_gt_i32_e32 vcc_lo, 0, v35
	v_ashrrev_i32_e32 v35, 31, v37
	v_mad_u32_u24 v38, v70, s10, v69
	v_not_b32_e32 v37, v36
	v_and_b32_e32 v33, v33, v34
	v_lshlrev_b32_e32 v34, 24, v39
	s_wait_alu 0xfffd
	v_xor_b32_e32 v35, vcc_lo, v35
	v_cmp_gt_i32_e32 vcc_lo, 0, v36
	v_ashrrev_i32_e32 v36, 31, v37
	s_and_b32 s9, s9, 0xffff
	v_not_b32_e32 v37, v34
	v_and_b32_e32 v35, v33, v35
	s_mov_b32 s10, s8
	s_wait_alu 0xfffd
	v_xor_b32_e32 v36, vcc_lo, v36
	v_cmp_gt_i32_e32 vcc_lo, 0, v34
	v_ashrrev_i32_e32 v37, 31, v37
	s_wait_alu 0xfffe
	v_mad_co_u64_u32 v[33:34], null, v38, s9, v[44:45]
	v_and_b32_e32 v34, v35, v36
	s_mov_b32 s9, s8
	s_wait_alu 0xfffd
	v_xor_b32_e32 v40, vcc_lo, v37
	v_dual_mov_b32 v38, s11 :: v_dual_mov_b32 v37, s10
	s_wait_alu 0xfffe
	v_dual_mov_b32 v36, s9 :: v_dual_mov_b32 v35, s8
	s_delay_alu instid0(VALU_DEP_3)
	v_and_b32_e32 v34, v34, v40
	v_and_b32_e32 v39, 0xff, v39
	v_lshrrev_b32_e32 v33, 3, v33
	ds_store_b128 v66, v[35:38] offset:32
	ds_store_b128 v66, v[35:38] offset:48
	v_mbcnt_lo_u32_b32 v87, v34, 0
	v_lshlrev_b32_e32 v35, 5, v39
	v_and_b32_e32 v33, 0x1ffffffc, v33
	v_cmp_ne_u32_e64 s8, 0, v34
	s_wait_loadcnt_dscnt 0x0
	v_cmp_eq_u32_e32 vcc_lo, 0, v87
	s_barrier_signal -1
	v_add_nc_u32_e32 v88, v33, v35
	s_barrier_wait -1
	global_inv scope:SCOPE_SE
	s_and_b32 s9, s8, vcc_lo
	; wave barrier
	s_wait_alu 0xfffe
	s_and_saveexec_b32 s8, s9
; %bb.31:
	v_bcnt_u32_b32 v34, v34, 0
	ds_store_b32 v88, v34 offset:32
; %bb.32:
	s_wait_alu 0xfffe
	s_or_b32 exec_lo, exec_lo, s8
	v_and_b32_e32 v34, s15, v80
	; wave barrier
	s_delay_alu instid0(VALU_DEP_1)
	v_and_b32_e32 v36, 1, v34
	v_lshlrev_b32_e32 v37, 30, v34
	v_lshlrev_b32_e32 v38, 29, v34
	;; [unrolled: 1-line block ×4, first 2 shown]
	v_add_co_u32 v36, s8, v36, -1
	s_wait_alu 0xf1ff
	v_cndmask_b32_e64 v40, 0, 1, s8
	v_not_b32_e32 v92, v37
	v_cmp_gt_i32_e64 s8, 0, v37
	v_not_b32_e32 v37, v38
	v_lshlrev_b32_e32 v90, 26, v34
	v_cmp_ne_u32_e32 vcc_lo, 0, v40
	v_ashrrev_i32_e32 v40, 31, v92
	v_lshlrev_b32_e32 v91, 25, v34
	v_ashrrev_i32_e32 v37, 31, v37
	v_and_b32_e32 v35, 0xff, v34
	s_wait_alu 0xfffd
	v_xor_b32_e32 v36, vcc_lo, v36
	v_cmp_gt_i32_e32 vcc_lo, 0, v38
	v_not_b32_e32 v38, v39
	s_wait_alu 0xf1ff
	v_xor_b32_e32 v40, s8, v40
	v_cmp_gt_i32_e64 s8, 0, v39
	v_and_b32_e32 v36, exec_lo, v36
	v_not_b32_e32 v39, v89
	v_ashrrev_i32_e32 v38, 31, v38
	s_wait_alu 0xfffd
	v_xor_b32_e32 v37, vcc_lo, v37
	v_cmp_gt_i32_e32 vcc_lo, 0, v89
	v_and_b32_e32 v36, v36, v40
	v_not_b32_e32 v40, v90
	v_ashrrev_i32_e32 v39, 31, v39
	s_wait_alu 0xf1ff
	v_xor_b32_e32 v38, s8, v38
	v_lshlrev_b32_e32 v34, 24, v34
	v_and_b32_e32 v36, v36, v37
	v_cmp_gt_i32_e64 s8, 0, v90
	v_not_b32_e32 v37, v91
	v_ashrrev_i32_e32 v40, 31, v40
	s_wait_alu 0xfffd
	v_xor_b32_e32 v39, vcc_lo, v39
	v_and_b32_e32 v36, v36, v38
	v_cmp_gt_i32_e32 vcc_lo, 0, v91
	v_not_b32_e32 v38, v34
	v_ashrrev_i32_e32 v37, 31, v37
	s_wait_alu 0xf1ff
	v_xor_b32_e32 v40, s8, v40
	v_and_b32_e32 v36, v36, v39
	v_lshlrev_b32_e32 v35, 5, v35
	v_cmp_gt_i32_e64 s8, 0, v34
	v_ashrrev_i32_e32 v34, 31, v38
	s_wait_alu 0xfffd
	v_xor_b32_e32 v37, vcc_lo, v37
	v_and_b32_e32 v36, v36, v40
	v_add_nc_u32_e32 v91, v33, v35
	s_wait_alu 0xf1ff
	v_xor_b32_e32 v34, s8, v34
	s_delay_alu instid0(VALU_DEP_3) | instskip(SKIP_2) | instid1(VALU_DEP_1)
	v_and_b32_e32 v35, v36, v37
	ds_load_b32 v89, v91 offset:32
	; wave barrier
	v_and_b32_e32 v34, v35, v34
	v_mbcnt_lo_u32_b32 v90, v34, 0
	v_cmp_ne_u32_e64 s8, 0, v34
	s_delay_alu instid0(VALU_DEP_2)
	v_cmp_eq_u32_e32 vcc_lo, 0, v90
	s_and_b32 s9, s8, vcc_lo
	s_wait_alu 0xfffe
	s_and_saveexec_b32 s8, s9
	s_cbranch_execz .LBB106_34
; %bb.33:
	s_wait_dscnt 0x0
	v_bcnt_u32_b32 v34, v34, v89
	ds_store_b32 v91, v34 offset:32
.LBB106_34:
	s_wait_alu 0xfffe
	s_or_b32 exec_lo, exec_lo, s8
	v_and_b32_e32 v34, s15, v81
	; wave barrier
	s_delay_alu instid0(VALU_DEP_1)
	v_and_b32_e32 v36, 1, v34
	v_lshlrev_b32_e32 v37, 30, v34
	v_lshlrev_b32_e32 v38, 29, v34
	;; [unrolled: 1-line block ×4, first 2 shown]
	v_add_co_u32 v36, s8, v36, -1
	s_wait_alu 0xf1ff
	v_cndmask_b32_e64 v40, 0, 1, s8
	v_not_b32_e32 v95, v37
	v_cmp_gt_i32_e64 s8, 0, v37
	v_not_b32_e32 v37, v38
	v_lshlrev_b32_e32 v93, 26, v34
	v_cmp_ne_u32_e32 vcc_lo, 0, v40
	v_ashrrev_i32_e32 v40, 31, v95
	v_lshlrev_b32_e32 v94, 25, v34
	v_ashrrev_i32_e32 v37, 31, v37
	v_and_b32_e32 v35, 0xff, v34
	s_wait_alu 0xfffd
	v_xor_b32_e32 v36, vcc_lo, v36
	v_cmp_gt_i32_e32 vcc_lo, 0, v38
	v_not_b32_e32 v38, v39
	s_wait_alu 0xf1ff
	v_xor_b32_e32 v40, s8, v40
	v_cmp_gt_i32_e64 s8, 0, v39
	v_and_b32_e32 v36, exec_lo, v36
	v_not_b32_e32 v39, v92
	v_ashrrev_i32_e32 v38, 31, v38
	s_wait_alu 0xfffd
	v_xor_b32_e32 v37, vcc_lo, v37
	v_cmp_gt_i32_e32 vcc_lo, 0, v92
	v_and_b32_e32 v36, v36, v40
	v_not_b32_e32 v40, v93
	v_ashrrev_i32_e32 v39, 31, v39
	s_wait_alu 0xf1ff
	v_xor_b32_e32 v38, s8, v38
	v_lshlrev_b32_e32 v34, 24, v34
	v_and_b32_e32 v36, v36, v37
	v_cmp_gt_i32_e64 s8, 0, v93
	v_not_b32_e32 v37, v94
	v_ashrrev_i32_e32 v40, 31, v40
	s_wait_alu 0xfffd
	v_xor_b32_e32 v39, vcc_lo, v39
	v_and_b32_e32 v36, v36, v38
	v_cmp_gt_i32_e32 vcc_lo, 0, v94
	v_not_b32_e32 v38, v34
	v_ashrrev_i32_e32 v37, 31, v37
	s_wait_alu 0xf1ff
	v_xor_b32_e32 v40, s8, v40
	v_and_b32_e32 v36, v36, v39
	v_lshlrev_b32_e32 v35, 5, v35
	v_cmp_gt_i32_e64 s8, 0, v34
	v_ashrrev_i32_e32 v34, 31, v38
	s_wait_alu 0xfffd
	v_xor_b32_e32 v37, vcc_lo, v37
	v_and_b32_e32 v36, v36, v40
	v_add_nc_u32_e32 v94, v33, v35
	s_wait_alu 0xf1ff
	v_xor_b32_e32 v34, s8, v34
	s_delay_alu instid0(VALU_DEP_3) | instskip(SKIP_2) | instid1(VALU_DEP_1)
	v_and_b32_e32 v35, v36, v37
	ds_load_b32 v92, v94 offset:32
	; wave barrier
	v_and_b32_e32 v34, v35, v34
	v_mbcnt_lo_u32_b32 v93, v34, 0
	v_cmp_ne_u32_e64 s8, 0, v34
	s_delay_alu instid0(VALU_DEP_2)
	v_cmp_eq_u32_e32 vcc_lo, 0, v93
	s_and_b32 s9, s8, vcc_lo
	s_wait_alu 0xfffe
	s_and_saveexec_b32 s8, s9
	s_cbranch_execz .LBB106_36
; %bb.35:
	s_wait_dscnt 0x0
	v_bcnt_u32_b32 v34, v34, v92
	ds_store_b32 v94, v34 offset:32
.LBB106_36:
	s_wait_alu 0xfffe
	s_or_b32 exec_lo, exec_lo, s8
	v_and_b32_e32 v34, s15, v82
	; wave barrier
	s_delay_alu instid0(VALU_DEP_1)
	v_and_b32_e32 v36, 1, v34
	v_lshlrev_b32_e32 v37, 30, v34
	v_lshlrev_b32_e32 v38, 29, v34
	;; [unrolled: 1-line block ×4, first 2 shown]
	v_add_co_u32 v36, s8, v36, -1
	s_wait_alu 0xf1ff
	v_cndmask_b32_e64 v40, 0, 1, s8
	v_not_b32_e32 v98, v37
	v_cmp_gt_i32_e64 s8, 0, v37
	v_not_b32_e32 v37, v38
	v_lshlrev_b32_e32 v96, 26, v34
	v_cmp_ne_u32_e32 vcc_lo, 0, v40
	v_ashrrev_i32_e32 v40, 31, v98
	v_lshlrev_b32_e32 v97, 25, v34
	v_ashrrev_i32_e32 v37, 31, v37
	v_and_b32_e32 v35, 0xff, v34
	s_wait_alu 0xfffd
	v_xor_b32_e32 v36, vcc_lo, v36
	v_cmp_gt_i32_e32 vcc_lo, 0, v38
	v_not_b32_e32 v38, v39
	s_wait_alu 0xf1ff
	v_xor_b32_e32 v40, s8, v40
	v_cmp_gt_i32_e64 s8, 0, v39
	v_and_b32_e32 v36, exec_lo, v36
	v_not_b32_e32 v39, v95
	v_ashrrev_i32_e32 v38, 31, v38
	s_wait_alu 0xfffd
	v_xor_b32_e32 v37, vcc_lo, v37
	v_cmp_gt_i32_e32 vcc_lo, 0, v95
	v_and_b32_e32 v36, v36, v40
	v_not_b32_e32 v40, v96
	v_ashrrev_i32_e32 v39, 31, v39
	s_wait_alu 0xf1ff
	v_xor_b32_e32 v38, s8, v38
	v_lshlrev_b32_e32 v34, 24, v34
	v_and_b32_e32 v36, v36, v37
	v_cmp_gt_i32_e64 s8, 0, v96
	v_not_b32_e32 v37, v97
	v_ashrrev_i32_e32 v40, 31, v40
	s_wait_alu 0xfffd
	v_xor_b32_e32 v39, vcc_lo, v39
	v_and_b32_e32 v36, v36, v38
	v_cmp_gt_i32_e32 vcc_lo, 0, v97
	v_not_b32_e32 v38, v34
	v_ashrrev_i32_e32 v37, 31, v37
	s_wait_alu 0xf1ff
	v_xor_b32_e32 v40, s8, v40
	v_and_b32_e32 v36, v36, v39
	v_lshlrev_b32_e32 v35, 5, v35
	v_cmp_gt_i32_e64 s8, 0, v34
	v_ashrrev_i32_e32 v34, 31, v38
	s_wait_alu 0xfffd
	v_xor_b32_e32 v37, vcc_lo, v37
	v_and_b32_e32 v36, v36, v40
	v_add_nc_u32_e32 v97, v33, v35
	s_wait_alu 0xf1ff
	v_xor_b32_e32 v34, s8, v34
	s_delay_alu instid0(VALU_DEP_3) | instskip(SKIP_2) | instid1(VALU_DEP_1)
	v_and_b32_e32 v35, v36, v37
	ds_load_b32 v95, v97 offset:32
	; wave barrier
	v_and_b32_e32 v34, v35, v34
	v_mbcnt_lo_u32_b32 v96, v34, 0
	v_cmp_ne_u32_e64 s8, 0, v34
	s_delay_alu instid0(VALU_DEP_2)
	v_cmp_eq_u32_e32 vcc_lo, 0, v96
	s_and_b32 s9, s8, vcc_lo
	s_wait_alu 0xfffe
	s_and_saveexec_b32 s8, s9
	s_cbranch_execz .LBB106_38
; %bb.37:
	s_wait_dscnt 0x0
	v_bcnt_u32_b32 v34, v34, v95
	ds_store_b32 v97, v34 offset:32
.LBB106_38:
	s_wait_alu 0xfffe
	s_or_b32 exec_lo, exec_lo, s8
	v_and_b32_e32 v34, s15, v83
	; wave barrier
	s_delay_alu instid0(VALU_DEP_1)
	v_and_b32_e32 v36, 1, v34
	v_lshlrev_b32_e32 v37, 30, v34
	v_lshlrev_b32_e32 v38, 29, v34
	;; [unrolled: 1-line block ×4, first 2 shown]
	v_add_co_u32 v36, s8, v36, -1
	s_wait_alu 0xf1ff
	v_cndmask_b32_e64 v40, 0, 1, s8
	v_not_b32_e32 v101, v37
	v_cmp_gt_i32_e64 s8, 0, v37
	v_not_b32_e32 v37, v38
	v_lshlrev_b32_e32 v99, 26, v34
	v_cmp_ne_u32_e32 vcc_lo, 0, v40
	v_ashrrev_i32_e32 v40, 31, v101
	v_lshlrev_b32_e32 v100, 25, v34
	v_ashrrev_i32_e32 v37, 31, v37
	v_and_b32_e32 v35, 0xff, v34
	s_wait_alu 0xfffd
	v_xor_b32_e32 v36, vcc_lo, v36
	v_cmp_gt_i32_e32 vcc_lo, 0, v38
	v_not_b32_e32 v38, v39
	s_wait_alu 0xf1ff
	v_xor_b32_e32 v40, s8, v40
	v_cmp_gt_i32_e64 s8, 0, v39
	v_and_b32_e32 v36, exec_lo, v36
	v_not_b32_e32 v39, v98
	v_ashrrev_i32_e32 v38, 31, v38
	s_wait_alu 0xfffd
	v_xor_b32_e32 v37, vcc_lo, v37
	v_cmp_gt_i32_e32 vcc_lo, 0, v98
	v_and_b32_e32 v36, v36, v40
	v_not_b32_e32 v40, v99
	v_ashrrev_i32_e32 v39, 31, v39
	s_wait_alu 0xf1ff
	v_xor_b32_e32 v38, s8, v38
	v_lshlrev_b32_e32 v34, 24, v34
	v_and_b32_e32 v36, v36, v37
	v_cmp_gt_i32_e64 s8, 0, v99
	v_not_b32_e32 v37, v100
	v_ashrrev_i32_e32 v40, 31, v40
	s_wait_alu 0xfffd
	v_xor_b32_e32 v39, vcc_lo, v39
	v_and_b32_e32 v36, v36, v38
	v_cmp_gt_i32_e32 vcc_lo, 0, v100
	v_not_b32_e32 v38, v34
	v_ashrrev_i32_e32 v37, 31, v37
	s_wait_alu 0xf1ff
	v_xor_b32_e32 v40, s8, v40
	v_and_b32_e32 v36, v36, v39
	v_lshlrev_b32_e32 v35, 5, v35
	v_cmp_gt_i32_e64 s8, 0, v34
	v_ashrrev_i32_e32 v34, 31, v38
	s_wait_alu 0xfffd
	v_xor_b32_e32 v37, vcc_lo, v37
	v_and_b32_e32 v36, v36, v40
	v_add_nc_u32_e32 v100, v33, v35
	s_wait_alu 0xf1ff
	v_xor_b32_e32 v34, s8, v34
	s_delay_alu instid0(VALU_DEP_3) | instskip(SKIP_2) | instid1(VALU_DEP_1)
	v_and_b32_e32 v35, v36, v37
	ds_load_b32 v98, v100 offset:32
	; wave barrier
	v_and_b32_e32 v34, v35, v34
	v_mbcnt_lo_u32_b32 v99, v34, 0
	v_cmp_ne_u32_e64 s8, 0, v34
	s_delay_alu instid0(VALU_DEP_2)
	v_cmp_eq_u32_e32 vcc_lo, 0, v99
	s_and_b32 s9, s8, vcc_lo
	s_wait_alu 0xfffe
	s_and_saveexec_b32 s8, s9
	s_cbranch_execz .LBB106_40
; %bb.39:
	s_wait_dscnt 0x0
	v_bcnt_u32_b32 v34, v34, v98
	ds_store_b32 v100, v34 offset:32
.LBB106_40:
	s_wait_alu 0xfffe
	s_or_b32 exec_lo, exec_lo, s8
	v_and_b32_e32 v34, s15, v84
	; wave barrier
	s_delay_alu instid0(VALU_DEP_1)
	v_and_b32_e32 v36, 1, v34
	v_lshlrev_b32_e32 v37, 30, v34
	v_lshlrev_b32_e32 v38, 29, v34
	;; [unrolled: 1-line block ×4, first 2 shown]
	v_add_co_u32 v36, s8, v36, -1
	s_wait_alu 0xf1ff
	v_cndmask_b32_e64 v40, 0, 1, s8
	v_not_b32_e32 v104, v37
	v_cmp_gt_i32_e64 s8, 0, v37
	v_not_b32_e32 v37, v38
	v_lshlrev_b32_e32 v102, 26, v34
	v_cmp_ne_u32_e32 vcc_lo, 0, v40
	v_ashrrev_i32_e32 v40, 31, v104
	v_lshlrev_b32_e32 v103, 25, v34
	v_ashrrev_i32_e32 v37, 31, v37
	v_and_b32_e32 v35, 0xff, v34
	s_wait_alu 0xfffd
	v_xor_b32_e32 v36, vcc_lo, v36
	v_cmp_gt_i32_e32 vcc_lo, 0, v38
	v_not_b32_e32 v38, v39
	s_wait_alu 0xf1ff
	v_xor_b32_e32 v40, s8, v40
	v_cmp_gt_i32_e64 s8, 0, v39
	v_and_b32_e32 v36, exec_lo, v36
	v_not_b32_e32 v39, v101
	v_ashrrev_i32_e32 v38, 31, v38
	s_wait_alu 0xfffd
	v_xor_b32_e32 v37, vcc_lo, v37
	v_cmp_gt_i32_e32 vcc_lo, 0, v101
	v_and_b32_e32 v36, v36, v40
	v_not_b32_e32 v40, v102
	v_ashrrev_i32_e32 v39, 31, v39
	s_wait_alu 0xf1ff
	v_xor_b32_e32 v38, s8, v38
	v_lshlrev_b32_e32 v34, 24, v34
	v_and_b32_e32 v36, v36, v37
	v_cmp_gt_i32_e64 s8, 0, v102
	v_not_b32_e32 v37, v103
	v_ashrrev_i32_e32 v40, 31, v40
	s_wait_alu 0xfffd
	v_xor_b32_e32 v39, vcc_lo, v39
	v_and_b32_e32 v36, v36, v38
	v_cmp_gt_i32_e32 vcc_lo, 0, v103
	v_not_b32_e32 v38, v34
	v_ashrrev_i32_e32 v37, 31, v37
	s_wait_alu 0xf1ff
	v_xor_b32_e32 v40, s8, v40
	v_and_b32_e32 v36, v36, v39
	v_lshlrev_b32_e32 v35, 5, v35
	v_cmp_gt_i32_e64 s8, 0, v34
	v_ashrrev_i32_e32 v34, 31, v38
	s_wait_alu 0xfffd
	v_xor_b32_e32 v37, vcc_lo, v37
	v_and_b32_e32 v36, v36, v40
	v_add_nc_u32_e32 v103, v33, v35
	s_wait_alu 0xf1ff
	v_xor_b32_e32 v34, s8, v34
	s_delay_alu instid0(VALU_DEP_3) | instskip(SKIP_2) | instid1(VALU_DEP_1)
	v_and_b32_e32 v35, v36, v37
	ds_load_b32 v101, v103 offset:32
	; wave barrier
	v_and_b32_e32 v34, v35, v34
	v_mbcnt_lo_u32_b32 v102, v34, 0
	v_cmp_ne_u32_e64 s8, 0, v34
	s_delay_alu instid0(VALU_DEP_2)
	v_cmp_eq_u32_e32 vcc_lo, 0, v102
	s_and_b32 s9, s8, vcc_lo
	s_wait_alu 0xfffe
	s_and_saveexec_b32 s8, s9
	s_cbranch_execz .LBB106_42
; %bb.41:
	s_wait_dscnt 0x0
	v_bcnt_u32_b32 v34, v34, v101
	ds_store_b32 v103, v34 offset:32
.LBB106_42:
	s_wait_alu 0xfffe
	s_or_b32 exec_lo, exec_lo, s8
	v_and_b32_e32 v34, s15, v85
	; wave barrier
	s_delay_alu instid0(VALU_DEP_1)
	v_and_b32_e32 v36, 1, v34
	v_lshlrev_b32_e32 v37, 30, v34
	v_lshlrev_b32_e32 v38, 29, v34
	;; [unrolled: 1-line block ×4, first 2 shown]
	v_add_co_u32 v36, s8, v36, -1
	s_wait_alu 0xf1ff
	v_cndmask_b32_e64 v40, 0, 1, s8
	v_not_b32_e32 v107, v37
	v_cmp_gt_i32_e64 s8, 0, v37
	v_not_b32_e32 v37, v38
	v_lshlrev_b32_e32 v105, 26, v34
	v_cmp_ne_u32_e32 vcc_lo, 0, v40
	v_ashrrev_i32_e32 v40, 31, v107
	v_lshlrev_b32_e32 v106, 25, v34
	v_ashrrev_i32_e32 v37, 31, v37
	v_and_b32_e32 v35, 0xff, v34
	s_wait_alu 0xfffd
	v_xor_b32_e32 v36, vcc_lo, v36
	v_cmp_gt_i32_e32 vcc_lo, 0, v38
	v_not_b32_e32 v38, v39
	s_wait_alu 0xf1ff
	v_xor_b32_e32 v40, s8, v40
	v_cmp_gt_i32_e64 s8, 0, v39
	v_and_b32_e32 v36, exec_lo, v36
	v_not_b32_e32 v39, v104
	v_ashrrev_i32_e32 v38, 31, v38
	s_wait_alu 0xfffd
	v_xor_b32_e32 v37, vcc_lo, v37
	v_cmp_gt_i32_e32 vcc_lo, 0, v104
	v_and_b32_e32 v36, v36, v40
	v_not_b32_e32 v40, v105
	v_ashrrev_i32_e32 v39, 31, v39
	s_wait_alu 0xf1ff
	v_xor_b32_e32 v38, s8, v38
	v_lshlrev_b32_e32 v34, 24, v34
	v_and_b32_e32 v36, v36, v37
	v_cmp_gt_i32_e64 s8, 0, v105
	v_not_b32_e32 v37, v106
	v_ashrrev_i32_e32 v40, 31, v40
	s_wait_alu 0xfffd
	v_xor_b32_e32 v39, vcc_lo, v39
	v_and_b32_e32 v36, v36, v38
	v_cmp_gt_i32_e32 vcc_lo, 0, v106
	v_not_b32_e32 v38, v34
	v_ashrrev_i32_e32 v37, 31, v37
	s_wait_alu 0xf1ff
	v_xor_b32_e32 v40, s8, v40
	v_and_b32_e32 v36, v36, v39
	v_lshlrev_b32_e32 v35, 5, v35
	v_cmp_gt_i32_e64 s8, 0, v34
	v_ashrrev_i32_e32 v34, 31, v38
	s_wait_alu 0xfffd
	v_xor_b32_e32 v37, vcc_lo, v37
	v_and_b32_e32 v36, v36, v40
	v_add_nc_u32_e32 v106, v33, v35
	s_wait_alu 0xf1ff
	v_xor_b32_e32 v34, s8, v34
	s_delay_alu instid0(VALU_DEP_3) | instskip(SKIP_2) | instid1(VALU_DEP_1)
	v_and_b32_e32 v35, v36, v37
	ds_load_b32 v104, v106 offset:32
	; wave barrier
	v_and_b32_e32 v34, v35, v34
	v_mbcnt_lo_u32_b32 v105, v34, 0
	v_cmp_ne_u32_e64 s8, 0, v34
	s_delay_alu instid0(VALU_DEP_2)
	v_cmp_eq_u32_e32 vcc_lo, 0, v105
	s_and_b32 s9, s8, vcc_lo
	s_wait_alu 0xfffe
	s_and_saveexec_b32 s8, s9
	s_cbranch_execz .LBB106_44
; %bb.43:
	s_wait_dscnt 0x0
	v_bcnt_u32_b32 v34, v34, v104
	ds_store_b32 v106, v34 offset:32
.LBB106_44:
	s_wait_alu 0xfffe
	s_or_b32 exec_lo, exec_lo, s8
	v_and_b32_e32 v34, s15, v86
	; wave barrier
	s_delay_alu instid0(VALU_DEP_1)
	v_and_b32_e32 v36, 1, v34
	v_lshlrev_b32_e32 v37, 30, v34
	v_lshlrev_b32_e32 v38, 29, v34
	;; [unrolled: 1-line block ×4, first 2 shown]
	v_add_co_u32 v36, s8, v36, -1
	s_wait_alu 0xf1ff
	v_cndmask_b32_e64 v40, 0, 1, s8
	v_not_b32_e32 v110, v37
	v_cmp_gt_i32_e64 s8, 0, v37
	v_not_b32_e32 v37, v38
	v_lshlrev_b32_e32 v108, 26, v34
	v_cmp_ne_u32_e32 vcc_lo, 0, v40
	v_ashrrev_i32_e32 v40, 31, v110
	v_lshlrev_b32_e32 v109, 25, v34
	v_ashrrev_i32_e32 v37, 31, v37
	v_and_b32_e32 v35, 0xff, v34
	s_wait_alu 0xfffd
	v_xor_b32_e32 v36, vcc_lo, v36
	v_cmp_gt_i32_e32 vcc_lo, 0, v38
	v_not_b32_e32 v38, v39
	s_wait_alu 0xf1ff
	v_xor_b32_e32 v40, s8, v40
	v_cmp_gt_i32_e64 s8, 0, v39
	v_and_b32_e32 v36, exec_lo, v36
	v_not_b32_e32 v39, v107
	v_ashrrev_i32_e32 v38, 31, v38
	s_wait_alu 0xfffd
	v_xor_b32_e32 v37, vcc_lo, v37
	v_cmp_gt_i32_e32 vcc_lo, 0, v107
	v_and_b32_e32 v36, v36, v40
	v_not_b32_e32 v40, v108
	v_ashrrev_i32_e32 v39, 31, v39
	s_wait_alu 0xf1ff
	v_xor_b32_e32 v38, s8, v38
	v_lshlrev_b32_e32 v34, 24, v34
	v_and_b32_e32 v36, v36, v37
	v_cmp_gt_i32_e64 s8, 0, v108
	v_not_b32_e32 v37, v109
	v_ashrrev_i32_e32 v40, 31, v40
	s_wait_alu 0xfffd
	v_xor_b32_e32 v39, vcc_lo, v39
	v_and_b32_e32 v36, v36, v38
	v_cmp_gt_i32_e32 vcc_lo, 0, v109
	v_not_b32_e32 v38, v34
	v_ashrrev_i32_e32 v37, 31, v37
	s_wait_alu 0xf1ff
	v_xor_b32_e32 v40, s8, v40
	v_and_b32_e32 v36, v36, v39
	v_lshlrev_b32_e32 v35, 5, v35
	v_cmp_gt_i32_e64 s8, 0, v34
	v_ashrrev_i32_e32 v34, 31, v38
	s_wait_alu 0xfffd
	v_xor_b32_e32 v37, vcc_lo, v37
	v_and_b32_e32 v36, v36, v40
	v_add_nc_u32_e32 v109, v33, v35
	s_wait_alu 0xf1ff
	v_xor_b32_e32 v33, s8, v34
	s_delay_alu instid0(VALU_DEP_3) | instskip(SKIP_2) | instid1(VALU_DEP_1)
	v_and_b32_e32 v34, v36, v37
	ds_load_b32 v107, v109 offset:32
	; wave barrier
	v_and_b32_e32 v33, v34, v33
	v_mbcnt_lo_u32_b32 v108, v33, 0
	v_cmp_ne_u32_e64 s8, 0, v33
	s_delay_alu instid0(VALU_DEP_2)
	v_cmp_eq_u32_e32 vcc_lo, 0, v108
	s_and_b32 s9, s8, vcc_lo
	s_wait_alu 0xfffe
	s_and_saveexec_b32 s8, s9
	s_cbranch_execz .LBB106_46
; %bb.45:
	s_wait_dscnt 0x0
	v_bcnt_u32_b32 v33, v33, v107
	ds_store_b32 v109, v33 offset:32
.LBB106_46:
	s_wait_alu 0xfffe
	s_or_b32 exec_lo, exec_lo, s8
	; wave barrier
	s_wait_loadcnt_dscnt 0x0
	s_barrier_signal -1
	s_barrier_wait -1
	global_inv scope:SCOPE_SE
	ds_load_b128 v[37:40], v66 offset:32
	ds_load_b128 v[33:36], v66 offset:48
	v_min_u32_e32 v112, 0xe0, v68
	s_mov_b32 s8, exec_lo
	s_wait_dscnt 0x1
	v_add_nc_u32_e32 v110, v38, v37
	s_delay_alu instid0(VALU_DEP_1) | instskip(SKIP_1) | instid1(VALU_DEP_1)
	v_add3_u32 v110, v110, v39, v40
	s_wait_dscnt 0x0
	v_add3_u32 v110, v110, v33, v34
	s_delay_alu instid0(VALU_DEP_1) | instskip(SKIP_1) | instid1(VALU_DEP_2)
	v_add3_u32 v36, v110, v35, v36
	v_and_b32_e32 v110, 15, v67
	v_mov_b32_dpp v111, v36 row_shr:1 row_mask:0xf bank_mask:0xf
	s_delay_alu instid0(VALU_DEP_2) | instskip(SKIP_1) | instid1(VALU_DEP_2)
	v_cmp_ne_u32_e32 vcc_lo, 0, v110
	s_wait_alu 0xfffd
	v_cndmask_b32_e32 v111, 0, v111, vcc_lo
	v_cmp_lt_u32_e32 vcc_lo, 1, v110
	s_delay_alu instid0(VALU_DEP_2) | instskip(NEXT) | instid1(VALU_DEP_1)
	v_add_nc_u32_e32 v36, v111, v36
	v_mov_b32_dpp v111, v36 row_shr:2 row_mask:0xf bank_mask:0xf
	s_wait_alu 0xfffd
	s_delay_alu instid0(VALU_DEP_1) | instskip(SKIP_1) | instid1(VALU_DEP_2)
	v_cndmask_b32_e32 v111, 0, v111, vcc_lo
	v_cmp_lt_u32_e32 vcc_lo, 3, v110
	v_add_nc_u32_e32 v36, v36, v111
	s_delay_alu instid0(VALU_DEP_1) | instskip(SKIP_1) | instid1(VALU_DEP_1)
	v_mov_b32_dpp v111, v36 row_shr:4 row_mask:0xf bank_mask:0xf
	s_wait_alu 0xfffd
	v_cndmask_b32_e32 v111, 0, v111, vcc_lo
	v_cmp_lt_u32_e32 vcc_lo, 7, v110
	s_delay_alu instid0(VALU_DEP_2) | instskip(NEXT) | instid1(VALU_DEP_1)
	v_add_nc_u32_e32 v36, v36, v111
	v_mov_b32_dpp v111, v36 row_shr:8 row_mask:0xf bank_mask:0xf
	s_wait_alu 0xfffd
	s_delay_alu instid0(VALU_DEP_1) | instskip(SKIP_1) | instid1(VALU_DEP_2)
	v_cndmask_b32_e32 v110, 0, v111, vcc_lo
	v_bfe_i32 v111, v67, 4, 1
	v_add_nc_u32_e32 v36, v36, v110
	ds_swizzle_b32 v110, v36 offset:swizzle(BROADCAST,32,15)
	s_wait_dscnt 0x0
	v_and_b32_e32 v110, v111, v110
	v_or_b32_e32 v111, 31, v112
	s_delay_alu instid0(VALU_DEP_2) | instskip(NEXT) | instid1(VALU_DEP_2)
	v_add_nc_u32_e32 v36, v36, v110
	v_cmpx_eq_u32_e64 v44, v111
; %bb.47:
	v_lshlrev_b32_e32 v110, 2, v65
	ds_store_b32 v110, v36
; %bb.48:
	s_wait_alu 0xfffe
	s_or_b32 exec_lo, exec_lo, s8
	s_delay_alu instid0(SALU_CYCLE_1)
	s_mov_b32 s8, exec_lo
	s_wait_loadcnt_dscnt 0x0
	s_barrier_signal -1
	s_barrier_wait -1
	global_inv scope:SCOPE_SE
	v_cmpx_gt_u32_e32 8, v44
	s_cbranch_execz .LBB106_50
; %bb.49:
	v_and_b32_e32 v112, 7, v67
	s_delay_alu instid0(VALU_DEP_1)
	v_cmp_ne_u32_e32 vcc_lo, 0, v112
	v_lshlrev_b32_e32 v110, 2, v44
	ds_load_b32 v111, v110
	s_wait_dscnt 0x0
	v_mov_b32_dpp v113, v111 row_shr:1 row_mask:0xf bank_mask:0xf
	s_wait_alu 0xfffd
	s_delay_alu instid0(VALU_DEP_1) | instskip(SKIP_1) | instid1(VALU_DEP_2)
	v_cndmask_b32_e32 v113, 0, v113, vcc_lo
	v_cmp_lt_u32_e32 vcc_lo, 1, v112
	v_add_nc_u32_e32 v111, v113, v111
	s_delay_alu instid0(VALU_DEP_1) | instskip(SKIP_1) | instid1(VALU_DEP_1)
	v_mov_b32_dpp v113, v111 row_shr:2 row_mask:0xf bank_mask:0xf
	s_wait_alu 0xfffd
	v_cndmask_b32_e32 v113, 0, v113, vcc_lo
	v_cmp_lt_u32_e32 vcc_lo, 3, v112
	s_delay_alu instid0(VALU_DEP_2) | instskip(NEXT) | instid1(VALU_DEP_1)
	v_add_nc_u32_e32 v111, v111, v113
	v_mov_b32_dpp v113, v111 row_shr:4 row_mask:0xf bank_mask:0xf
	s_wait_alu 0xfffd
	s_delay_alu instid0(VALU_DEP_1) | instskip(NEXT) | instid1(VALU_DEP_1)
	v_cndmask_b32_e32 v112, 0, v113, vcc_lo
	v_add_nc_u32_e32 v111, v111, v112
	ds_store_b32 v110, v111
.LBB106_50:
	s_wait_alu 0xfffe
	s_or_b32 exec_lo, exec_lo, s8
	v_mov_b32_e32 v110, 0
	s_mov_b32 s8, exec_lo
	s_wait_loadcnt_dscnt 0x0
	s_barrier_signal -1
	s_barrier_wait -1
	global_inv scope:SCOPE_SE
	v_cmpx_lt_u32_e32 31, v44
; %bb.51:
	v_lshl_add_u32 v110, v65, 2, -4
	ds_load_b32 v110, v110
; %bb.52:
	s_wait_alu 0xfffe
	s_or_b32 exec_lo, exec_lo, s8
	v_sub_co_u32 v111, vcc_lo, v67, 1
	s_wait_dscnt 0x0
	v_add_nc_u32_e32 v36, v110, v36
	s_delay_alu instid0(VALU_DEP_2) | instskip(SKIP_1) | instid1(VALU_DEP_1)
	v_cmp_gt_i32_e64 s8, 0, v111
	s_wait_alu 0xf1ff
	v_cndmask_b32_e64 v111, v111, v67, s8
	s_delay_alu instid0(VALU_DEP_1)
	v_lshlrev_b32_e32 v111, 2, v111
	ds_bpermute_b32 v36, v111, v36
	s_wait_dscnt 0x0
	s_wait_alu 0xfffd
	v_cndmask_b32_e32 v36, v36, v110, vcc_lo
	v_cmp_ne_u32_e32 vcc_lo, 0, v44
	s_wait_alu 0xfffd
	s_delay_alu instid0(VALU_DEP_2) | instskip(NEXT) | instid1(VALU_DEP_1)
	v_cndmask_b32_e32 v36, 0, v36, vcc_lo
	v_add_nc_u32_e32 v37, v36, v37
	s_delay_alu instid0(VALU_DEP_1) | instskip(NEXT) | instid1(VALU_DEP_1)
	v_add_nc_u32_e32 v38, v37, v38
	v_add_nc_u32_e32 v39, v38, v39
	s_delay_alu instid0(VALU_DEP_1) | instskip(NEXT) | instid1(VALU_DEP_1)
	v_add_nc_u32_e32 v110, v39, v40
	;; [unrolled: 3-line block ×3, first 2 shown]
	v_add_nc_u32_e32 v113, v112, v35
	ds_store_b128 v66, v[36:39] offset:32
	ds_store_b128 v66, v[110:113] offset:48
	s_wait_loadcnt_dscnt 0x0
	s_barrier_signal -1
	s_barrier_wait -1
	global_inv scope:SCOPE_SE
	ds_load_b32 v33, v88 offset:32
	ds_load_b32 v34, v91 offset:32
	;; [unrolled: 1-line block ×8, first 2 shown]
	s_wait_loadcnt_dscnt 0x0
	s_barrier_signal -1
	s_barrier_wait -1
	global_inv scope:SCOPE_SE
	v_mad_u32_u24 v88, v44, 56, v60
	v_add_nc_u32_e32 v33, v33, v87
	v_add3_u32 v34, v90, v89, v34
	v_add3_u32 v35, v93, v92, v35
	;; [unrolled: 1-line block ×7, first 2 shown]
	ds_store_b8 v33, v0
	ds_store_b8 v34, v80
	;; [unrolled: 1-line block ×8, first 2 shown]
	s_wait_loadcnt_dscnt 0x0
	s_barrier_signal -1
	s_barrier_wait -1
	global_inv scope:SCOPE_SE
	v_lshlrev_b32_e32 v0, 3, v33
	v_lshlrev_b32_e32 v80, 3, v34
	ds_load_b64 v[33:34], v60
	v_lshlrev_b32_e32 v35, 3, v35
	v_lshlrev_b32_e32 v36, 3, v36
	;; [unrolled: 1-line block ×6, first 2 shown]
	s_wait_loadcnt_dscnt 0x0
	s_barrier_signal -1
	s_barrier_wait -1
	global_inv scope:SCOPE_SE
	ds_store_b64 v0, v[21:22]
	ds_store_b64 v80, v[23:24]
	;; [unrolled: 1-line block ×8, first 2 shown]
	s_wait_loadcnt_dscnt 0x0
	s_barrier_signal -1
	s_barrier_wait -1
	global_inv scope:SCOPE_SE
	ds_load_b128 v[21:24], v88
	ds_load_b128 v[17:20], v88 offset:16
	v_lshrrev_b32_e32 v0, 16, v33
	v_xor_b32_e32 v25, 0x80, v33
	v_lshrrev_b32_e32 v26, 16, v34
	v_and_b32_e32 v35, 0xffffff00, v34
	v_xor_b32_e32 v27, 0x80, v34
	v_and_b32_e32 v33, 0xffffff00, v33
	v_and_b32_e32 v34, 0xff, v25
	v_xor_b32_e32 v25, 0x80, v0
	v_xor_b32_e32 v28, 0x80, v26
	v_and_b32_e32 v0, 0xffffff00, v0
	v_and_b32_e32 v36, 0xff, v27
	;; [unrolled: 1-line block ×5, first 2 shown]
	ds_load_b128 v[29:32], v88 offset:32
	ds_load_b128 v[25:28], v88 offset:48
	v_or_b32_e32 v33, v34, v33
	v_or_b32_e32 v34, v36, v35
	v_or_b32_e32 v0, v38, v0
	v_or_b32_e32 v35, v39, v37
	s_delay_alu instid0(VALU_DEP_4) | instskip(NEXT) | instid1(VALU_DEP_4)
	v_add_nc_u16 v33, 0x8000, v33
	v_add_nc_u16 v34, 0x8000, v34
	s_delay_alu instid0(VALU_DEP_4) | instskip(NEXT) | instid1(VALU_DEP_4)
	v_add_nc_u16 v0, 0x8000, v0
	v_add_nc_u16 v35, 0x8000, v35
	s_delay_alu instid0(VALU_DEP_4) | instskip(NEXT) | instid1(VALU_DEP_4)
	v_and_b32_e32 v33, 0xffff, v33
	v_and_b32_e32 v34, 0xffff, v34
	s_delay_alu instid0(VALU_DEP_4) | instskip(NEXT) | instid1(VALU_DEP_4)
	v_lshlrev_b32_e32 v0, 16, v0
	v_lshlrev_b32_e32 v35, 16, v35
	s_delay_alu instid0(VALU_DEP_2) | instskip(NEXT) | instid1(VALU_DEP_2)
	v_or_b32_e32 v0, v33, v0
	v_or_b32_e32 v33, v34, v35
	s_branch .LBB106_84
.LBB106_53:
	v_lshlrev_b64_e32 v[1:2], 3, v[41:42]
	v_dual_mov_b32 v43, v42 :: v_dual_mov_b32 v10, v42
	v_dual_mov_b32 v9, v42 :: v_dual_mov_b32 v12, v42
	v_mov_b32_e32 v11, v42
	s_wait_alu 0xfffe
	s_delay_alu instid0(VALU_DEP_4) | instskip(NEXT) | instid1(VALU_DEP_1)
	v_add_co_u32 v1, vcc_lo, s12, v1
	v_add_co_ci_u32_e64 v2, null, s13, v2, vcc_lo
	v_dual_mov_b32 v3, v42 :: v_dual_mov_b32 v6, v42
	v_dual_mov_b32 v5, v42 :: v_dual_mov_b32 v8, v42
	global_load_b64 v[13:14], v[1:2], off
	v_dual_mov_b32 v1, v42 :: v_dual_mov_b32 v4, v42
	v_dual_mov_b32 v2, v42 :: v_dual_mov_b32 v7, v42
	s_or_b32 exec_lo, exec_lo, s9
	s_and_saveexec_b32 s9, s1
	s_cbranch_execz .LBB106_22
.LBB106_54:
	v_mul_lo_u32 v29, s16, v29
	v_mov_b32_e32 v30, 0
	s_delay_alu instid0(VALU_DEP_1) | instskip(SKIP_1) | instid1(VALU_DEP_1)
	v_lshlrev_b64_e32 v[29:30], 3, v[29:30]
	s_wait_alu 0xfffe
	v_add_co_u32 v29, vcc_lo, s12, v29
	s_wait_alu 0xfffd
	s_delay_alu instid0(VALU_DEP_2)
	v_add_co_ci_u32_e64 v30, null, s13, v30, vcc_lo
	global_load_b64 v[42:43], v[29:30], off
	s_or_b32 exec_lo, exec_lo, s9
	s_and_saveexec_b32 s9, s2
	s_cbranch_execz .LBB106_23
.LBB106_55:
	v_mul_lo_u32 v9, s16, v28
	v_mov_b32_e32 v10, 0
	s_delay_alu instid0(VALU_DEP_1) | instskip(SKIP_1) | instid1(VALU_DEP_1)
	v_lshlrev_b64_e32 v[9:10], 3, v[9:10]
	s_wait_alu 0xfffe
	v_add_co_u32 v9, vcc_lo, s12, v9
	s_wait_alu 0xfffd
	s_delay_alu instid0(VALU_DEP_2)
	v_add_co_ci_u32_e64 v10, null, s13, v10, vcc_lo
	global_load_b64 v[9:10], v[9:10], off
	s_or_b32 exec_lo, exec_lo, s9
	s_and_saveexec_b32 s9, s3
	s_cbranch_execz .LBB106_24
.LBB106_56:
	v_mul_lo_u32 v11, s16, v26
	v_mov_b32_e32 v12, 0
	s_delay_alu instid0(VALU_DEP_1) | instskip(SKIP_1) | instid1(VALU_DEP_1)
	v_lshlrev_b64_e32 v[11:12], 3, v[11:12]
	s_wait_alu 0xfffe
	v_add_co_u32 v11, vcc_lo, s12, v11
	s_wait_alu 0xfffd
	s_delay_alu instid0(VALU_DEP_2)
	v_add_co_ci_u32_e64 v12, null, s13, v12, vcc_lo
	global_load_b64 v[11:12], v[11:12], off
	s_or_b32 exec_lo, exec_lo, s9
	s_and_saveexec_b32 s9, s4
	s_cbranch_execz .LBB106_25
.LBB106_57:
	v_mul_lo_u32 v1, s16, v22
	v_mov_b32_e32 v2, 0
	s_delay_alu instid0(VALU_DEP_1) | instskip(SKIP_1) | instid1(VALU_DEP_1)
	v_lshlrev_b64_e32 v[1:2], 3, v[1:2]
	s_wait_alu 0xfffe
	v_add_co_u32 v1, vcc_lo, s12, v1
	s_wait_alu 0xfffd
	s_delay_alu instid0(VALU_DEP_2)
	v_add_co_ci_u32_e64 v2, null, s13, v2, vcc_lo
	global_load_b64 v[1:2], v[1:2], off
	s_or_b32 exec_lo, exec_lo, s9
	s_and_saveexec_b32 s9, s5
	s_cbranch_execz .LBB106_26
.LBB106_58:
	v_mul_lo_u32 v3, s16, v19
	v_mov_b32_e32 v4, 0
	s_delay_alu instid0(VALU_DEP_1) | instskip(SKIP_1) | instid1(VALU_DEP_1)
	v_lshlrev_b64_e32 v[3:4], 3, v[3:4]
	s_wait_alu 0xfffe
	v_add_co_u32 v3, vcc_lo, s12, v3
	s_wait_alu 0xfffd
	s_delay_alu instid0(VALU_DEP_2)
	v_add_co_ci_u32_e64 v4, null, s13, v4, vcc_lo
	global_load_b64 v[3:4], v[3:4], off
	s_or_b32 exec_lo, exec_lo, s9
	s_and_saveexec_b32 s9, s6
	s_cbranch_execz .LBB106_27
.LBB106_59:
	v_mul_lo_u32 v5, s16, v16
	v_mov_b32_e32 v6, 0
	s_delay_alu instid0(VALU_DEP_1) | instskip(SKIP_1) | instid1(VALU_DEP_1)
	v_lshlrev_b64_e32 v[5:6], 3, v[5:6]
	s_wait_alu 0xfffe
	v_add_co_u32 v5, vcc_lo, s12, v5
	s_wait_alu 0xfffd
	s_delay_alu instid0(VALU_DEP_2)
	v_add_co_ci_u32_e64 v6, null, s13, v6, vcc_lo
	global_load_b64 v[5:6], v[5:6], off
	s_or_b32 exec_lo, exec_lo, s9
	s_xor_b32 s9, s8, -1
	s_and_saveexec_b32 s8, s7
	s_cbranch_execnz .LBB106_28
	s_branch .LBB106_29
.LBB106_60:
                                        ; implicit-def: $vgpr27_vgpr28
                                        ; implicit-def: $vgpr31_vgpr32
                                        ; implicit-def: $vgpr19_vgpr20
                                        ; implicit-def: $vgpr23_vgpr24
                                        ; implicit-def: $vgpr33
                                        ; implicit-def: $vgpr0
	s_and_b32 vcc_lo, exec_lo, s9
	s_wait_alu 0xfffe
	s_cbranch_vccz .LBB106_84
; %bb.61:
	v_xor_b32_e32 v0, 0x7f, v45
	s_wait_dscnt 0x2
	v_xor_b32_e32 v17, 0x7f, v79
	v_xor_b32_e32 v18, 0x7f, v78
	;; [unrolled: 1-line block ×7, first 2 shown]
	v_and_b32_e32 v0, 0xff, v0
	v_lshlrev_b16 v17, 8, v17
	v_and_b32_e32 v18, 0xff, v18
	v_lshlrev_b16 v19, 8, v19
	;; [unrolled: 2-line block ×4, first 2 shown]
	v_or_b32_e32 v0, v0, v17
	v_or_b32_e32 v17, v18, v19
	;; [unrolled: 1-line block ×3, first 2 shown]
	s_getpc_b64 s[8:9]
	s_sext_i32_i16 s9, s9
	s_add_co_u32 s8, s8, _ZN7rocprim17ROCPRIM_400000_NS16block_radix_sortIaLj256ELj8ElLj1ELj1ELj0ELNS0_26block_radix_rank_algorithmE1ELNS0_18block_padding_hintE2ELNS0_4arch9wavefront6targetE0EE19radix_bits_per_passE@rel32@lo+8
	s_add_co_ci_u32 s9, s9, _ZN7rocprim17ROCPRIM_400000_NS16block_radix_sortIaLj256ELj8ElLj1ELj1ELj0ELNS0_26block_radix_rank_algorithmE1ELNS0_18block_padding_hintE2ELNS0_4arch9wavefront6targetE0EE19radix_bits_per_passE@rel32@hi+16
	v_or_b32_e32 v19, v22, v23
	s_load_b32 s8, s[8:9], 0x0
	v_and_b32_e32 v0, 0xffff, v0
	v_lshlrev_b32_e32 v17, 16, v17
	v_and_b32_e32 v18, 0xffff, v18
	v_lshlrev_b32_e32 v19, 16, v19
	s_delay_alu instid0(VALU_DEP_3) | instskip(SKIP_1) | instid1(VALU_DEP_3)
	v_or_b32_e32 v17, v0, v17
	v_mad_u32_u24 v0, v72, 7, v72
	v_or_b32_e32 v18, v18, v19
	ds_store_b64 v72, v[17:18]
	; wave barrier
	ds_load_u8 v24, v73
	s_wait_dscnt 0x2
	ds_load_u8 v25, v73 offset:32
	ds_load_u8 v26, v73 offset:64
	;; [unrolled: 1-line block ×7, first 2 shown]
	s_wait_loadcnt_dscnt 0x0
	s_barrier_signal -1
	s_wait_kmcnt 0x0
	s_min_u32 s8, s8, 8
	s_barrier_wait -1
	s_lshl_b32 s8, -1, s8
	global_inv scope:SCOPE_SE
	s_not_b32 s9, s8
	ds_store_b128 v0, v[13:16]
	ds_store_b128 v0, v[9:12] offset:16
	ds_store_b128 v0, v[5:8] offset:32
	;; [unrolled: 1-line block ×3, first 2 shown]
	; wave barrier
	ds_load_2addr_b64 v[12:15], v71 offset1:32
	ds_load_2addr_b64 v[4:7], v71 offset0:64 offset1:96
	ds_load_2addr_b64 v[0:3], v71 offset0:128 offset1:160
	v_and_b32_e32 v22, s9, v24
	s_delay_alu instid0(VALU_DEP_1) | instskip(SKIP_3) | instid1(VALU_DEP_4)
	v_and_b32_e32 v8, 1, v22
	v_lshlrev_b32_e32 v18, 30, v22
	v_lshlrev_b32_e32 v19, 29, v22
	;; [unrolled: 1-line block ×3, first 2 shown]
	v_add_co_u32 v16, s8, v8, -1
	s_wait_alu 0xf1ff
	v_cndmask_b32_e64 v17, 0, 1, s8
	ds_load_2addr_b64 v[8:11], v71 offset0:192 offset1:224
	s_wait_loadcnt_dscnt 0x0
	s_barrier_signal -1
	s_barrier_wait -1
	v_cmp_ne_u32_e32 vcc_lo, 0, v17
	v_not_b32_e32 v17, v18
	global_inv scope:SCOPE_SE
	s_load_b32 s8, s[20:21], 0xc
	s_mov_b32 s20, 0
	v_xor_b32_e32 v16, vcc_lo, v16
	v_cmp_gt_i32_e32 vcc_lo, 0, v18
	v_ashrrev_i32_e32 v17, 31, v17
	v_not_b32_e32 v18, v19
	s_wait_alu 0xfffe
	s_mov_b32 s21, s20
	v_and_b32_e32 v16, exec_lo, v16
	s_mov_b32 s22, s20
	s_wait_alu 0xfffd
	v_xor_b32_e32 v17, vcc_lo, v17
	v_cmp_gt_i32_e32 vcc_lo, 0, v19
	v_ashrrev_i32_e32 v18, 31, v18
	v_not_b32_e32 v19, v20
	s_mov_b32 s23, s20
	v_and_b32_e32 v16, v16, v17
	v_lshlrev_b32_e32 v17, 27, v22
	s_wait_alu 0xfffd
	v_xor_b32_e32 v18, vcc_lo, v18
	v_cmp_gt_i32_e32 vcc_lo, 0, v20
	v_ashrrev_i32_e32 v19, 31, v19
	v_not_b32_e32 v20, v17
	s_delay_alu instid0(VALU_DEP_4)
	v_and_b32_e32 v16, v16, v18
	v_lshlrev_b32_e32 v18, 26, v22
	s_wait_alu 0xfffd
	v_xor_b32_e32 v19, vcc_lo, v19
	v_cmp_gt_i32_e32 vcc_lo, 0, v17
	v_ashrrev_i32_e32 v17, 31, v20
	s_wait_kmcnt 0x0
	s_lshr_b32 s10, s8, 16
	v_not_b32_e32 v20, v18
	v_and_b32_e32 v16, v16, v19
	v_lshlrev_b32_e32 v19, 25, v22
	s_wait_alu 0xfffd
	v_xor_b32_e32 v17, vcc_lo, v17
	v_cmp_gt_i32_e32 vcc_lo, 0, v18
	v_ashrrev_i32_e32 v18, 31, v20
	s_and_b32 s8, s8, 0xffff
	v_not_b32_e32 v20, v19
	v_and_b32_e32 v16, v16, v17
	v_lshlrev_b32_e32 v17, 24, v22
	s_wait_alu 0xfffd
	v_xor_b32_e32 v18, vcc_lo, v18
	v_cmp_gt_i32_e32 vcc_lo, 0, v19
	v_ashrrev_i32_e32 v19, 31, v20
	v_mad_u32_u24 v20, v70, s10, v69
	v_not_b32_e32 v21, v17
	v_and_b32_e32 v18, v16, v18
	v_and_b32_e32 v22, 0xff, v22
	s_wait_alu 0xfffd
	v_xor_b32_e32 v19, vcc_lo, v19
	v_cmp_gt_i32_e32 vcc_lo, 0, v17
	v_ashrrev_i32_e32 v21, 31, v21
	s_wait_alu 0xfffe
	v_mad_co_u64_u32 v[16:17], null, v20, s8, v[44:45]
	v_and_b32_e32 v17, v18, v19
	s_wait_alu 0xfffd
	v_xor_b32_e32 v23, vcc_lo, v21
	v_dual_mov_b32 v18, s20 :: v_dual_mov_b32 v19, s21
	v_dual_mov_b32 v20, s22 :: v_dual_mov_b32 v21, s23
	s_delay_alu instid0(VALU_DEP_3)
	v_and_b32_e32 v17, v17, v23
	v_lshrrev_b32_e32 v16, 3, v16
	ds_store_b128 v66, v[18:21] offset:32
	ds_store_b128 v66, v[18:21] offset:48
	v_mbcnt_lo_u32_b32 v32, v17, 0
	v_and_b32_e32 v16, 0x1ffffffc, v16
	v_lshlrev_b32_e32 v18, 5, v22
	v_cmp_ne_u32_e64 s8, 0, v17
	s_wait_loadcnt_dscnt 0x0
	v_cmp_eq_u32_e32 vcc_lo, 0, v32
	s_barrier_signal -1
	v_add_nc_u32_e32 v33, v16, v18
	s_barrier_wait -1
	global_inv scope:SCOPE_SE
	s_and_b32 s10, s8, vcc_lo
	; wave barrier
	s_wait_alu 0xfffe
	s_and_saveexec_b32 s8, s10
; %bb.62:
	v_bcnt_u32_b32 v17, v17, 0
	ds_store_b32 v33, v17 offset:32
; %bb.63:
	s_wait_alu 0xfffe
	s_or_b32 exec_lo, exec_lo, s8
	v_and_b32_e32 v17, s9, v25
	; wave barrier
	s_delay_alu instid0(VALU_DEP_1)
	v_and_b32_e32 v19, 1, v17
	v_lshlrev_b32_e32 v20, 30, v17
	v_lshlrev_b32_e32 v21, 29, v17
	;; [unrolled: 1-line block ×4, first 2 shown]
	v_add_co_u32 v19, s8, v19, -1
	s_wait_alu 0xf1ff
	v_cndmask_b32_e64 v23, 0, 1, s8
	v_not_b32_e32 v37, v20
	v_cmp_gt_i32_e64 s8, 0, v20
	v_not_b32_e32 v20, v21
	v_lshlrev_b32_e32 v35, 26, v17
	v_cmp_ne_u32_e32 vcc_lo, 0, v23
	v_ashrrev_i32_e32 v23, 31, v37
	v_lshlrev_b32_e32 v36, 25, v17
	v_ashrrev_i32_e32 v20, 31, v20
	v_and_b32_e32 v18, 0xff, v17
	s_wait_alu 0xfffd
	v_xor_b32_e32 v19, vcc_lo, v19
	v_cmp_gt_i32_e32 vcc_lo, 0, v21
	v_not_b32_e32 v21, v22
	s_wait_alu 0xf1ff
	v_xor_b32_e32 v23, s8, v23
	v_cmp_gt_i32_e64 s8, 0, v22
	v_and_b32_e32 v19, exec_lo, v19
	v_not_b32_e32 v22, v34
	v_ashrrev_i32_e32 v21, 31, v21
	s_wait_alu 0xfffd
	v_xor_b32_e32 v20, vcc_lo, v20
	v_cmp_gt_i32_e32 vcc_lo, 0, v34
	v_and_b32_e32 v19, v19, v23
	v_not_b32_e32 v23, v35
	v_ashrrev_i32_e32 v22, 31, v22
	s_wait_alu 0xf1ff
	v_xor_b32_e32 v21, s8, v21
	v_lshlrev_b32_e32 v17, 24, v17
	v_and_b32_e32 v19, v19, v20
	v_cmp_gt_i32_e64 s8, 0, v35
	v_not_b32_e32 v20, v36
	v_ashrrev_i32_e32 v23, 31, v23
	s_wait_alu 0xfffd
	v_xor_b32_e32 v22, vcc_lo, v22
	v_and_b32_e32 v19, v19, v21
	v_cmp_gt_i32_e32 vcc_lo, 0, v36
	v_not_b32_e32 v21, v17
	v_ashrrev_i32_e32 v20, 31, v20
	s_wait_alu 0xf1ff
	v_xor_b32_e32 v23, s8, v23
	v_and_b32_e32 v19, v19, v22
	v_lshlrev_b32_e32 v18, 5, v18
	v_cmp_gt_i32_e64 s8, 0, v17
	v_ashrrev_i32_e32 v17, 31, v21
	s_wait_alu 0xfffd
	v_xor_b32_e32 v20, vcc_lo, v20
	v_and_b32_e32 v19, v19, v23
	v_add_nc_u32_e32 v36, v16, v18
	s_wait_alu 0xf1ff
	v_xor_b32_e32 v17, s8, v17
	s_delay_alu instid0(VALU_DEP_3) | instskip(SKIP_2) | instid1(VALU_DEP_1)
	v_and_b32_e32 v18, v19, v20
	ds_load_b32 v34, v36 offset:32
	; wave barrier
	v_and_b32_e32 v17, v18, v17
	v_mbcnt_lo_u32_b32 v35, v17, 0
	v_cmp_ne_u32_e64 s8, 0, v17
	s_delay_alu instid0(VALU_DEP_2)
	v_cmp_eq_u32_e32 vcc_lo, 0, v35
	s_and_b32 s10, s8, vcc_lo
	s_wait_alu 0xfffe
	s_and_saveexec_b32 s8, s10
	s_cbranch_execz .LBB106_65
; %bb.64:
	s_wait_dscnt 0x0
	v_bcnt_u32_b32 v17, v17, v34
	ds_store_b32 v36, v17 offset:32
.LBB106_65:
	s_wait_alu 0xfffe
	s_or_b32 exec_lo, exec_lo, s8
	v_and_b32_e32 v17, s9, v26
	; wave barrier
	s_delay_alu instid0(VALU_DEP_1)
	v_and_b32_e32 v19, 1, v17
	v_lshlrev_b32_e32 v20, 30, v17
	v_lshlrev_b32_e32 v21, 29, v17
	;; [unrolled: 1-line block ×4, first 2 shown]
	v_add_co_u32 v19, s8, v19, -1
	s_wait_alu 0xf1ff
	v_cndmask_b32_e64 v23, 0, 1, s8
	v_not_b32_e32 v40, v20
	v_cmp_gt_i32_e64 s8, 0, v20
	v_not_b32_e32 v20, v21
	v_lshlrev_b32_e32 v38, 26, v17
	v_cmp_ne_u32_e32 vcc_lo, 0, v23
	v_ashrrev_i32_e32 v23, 31, v40
	v_lshlrev_b32_e32 v39, 25, v17
	v_ashrrev_i32_e32 v20, 31, v20
	v_and_b32_e32 v18, 0xff, v17
	s_wait_alu 0xfffd
	v_xor_b32_e32 v19, vcc_lo, v19
	v_cmp_gt_i32_e32 vcc_lo, 0, v21
	v_not_b32_e32 v21, v22
	s_wait_alu 0xf1ff
	v_xor_b32_e32 v23, s8, v23
	v_cmp_gt_i32_e64 s8, 0, v22
	v_and_b32_e32 v19, exec_lo, v19
	v_not_b32_e32 v22, v37
	v_ashrrev_i32_e32 v21, 31, v21
	s_wait_alu 0xfffd
	v_xor_b32_e32 v20, vcc_lo, v20
	v_cmp_gt_i32_e32 vcc_lo, 0, v37
	v_and_b32_e32 v19, v19, v23
	v_not_b32_e32 v23, v38
	v_ashrrev_i32_e32 v22, 31, v22
	s_wait_alu 0xf1ff
	v_xor_b32_e32 v21, s8, v21
	v_lshlrev_b32_e32 v17, 24, v17
	v_and_b32_e32 v19, v19, v20
	v_cmp_gt_i32_e64 s8, 0, v38
	v_not_b32_e32 v20, v39
	v_ashrrev_i32_e32 v23, 31, v23
	s_wait_alu 0xfffd
	v_xor_b32_e32 v22, vcc_lo, v22
	v_and_b32_e32 v19, v19, v21
	v_cmp_gt_i32_e32 vcc_lo, 0, v39
	v_not_b32_e32 v21, v17
	v_ashrrev_i32_e32 v20, 31, v20
	s_wait_alu 0xf1ff
	v_xor_b32_e32 v23, s8, v23
	v_and_b32_e32 v19, v19, v22
	v_lshlrev_b32_e32 v18, 5, v18
	v_cmp_gt_i32_e64 s8, 0, v17
	v_ashrrev_i32_e32 v17, 31, v21
	s_wait_alu 0xfffd
	v_xor_b32_e32 v20, vcc_lo, v20
	v_and_b32_e32 v19, v19, v23
	v_add_nc_u32_e32 v39, v16, v18
	s_wait_alu 0xf1ff
	v_xor_b32_e32 v17, s8, v17
	s_delay_alu instid0(VALU_DEP_3) | instskip(SKIP_2) | instid1(VALU_DEP_1)
	v_and_b32_e32 v18, v19, v20
	ds_load_b32 v37, v39 offset:32
	; wave barrier
	v_and_b32_e32 v17, v18, v17
	v_mbcnt_lo_u32_b32 v38, v17, 0
	v_cmp_ne_u32_e64 s8, 0, v17
	s_delay_alu instid0(VALU_DEP_2)
	v_cmp_eq_u32_e32 vcc_lo, 0, v38
	s_and_b32 s10, s8, vcc_lo
	s_wait_alu 0xfffe
	s_and_saveexec_b32 s8, s10
	s_cbranch_execz .LBB106_67
; %bb.66:
	s_wait_dscnt 0x0
	v_bcnt_u32_b32 v17, v17, v37
	ds_store_b32 v39, v17 offset:32
.LBB106_67:
	s_wait_alu 0xfffe
	s_or_b32 exec_lo, exec_lo, s8
	v_and_b32_e32 v17, s9, v27
	; wave barrier
	s_delay_alu instid0(VALU_DEP_1)
	v_and_b32_e32 v19, 1, v17
	v_lshlrev_b32_e32 v20, 30, v17
	v_lshlrev_b32_e32 v21, 29, v17
	;; [unrolled: 1-line block ×4, first 2 shown]
	v_add_co_u32 v19, s8, v19, -1
	s_wait_alu 0xf1ff
	v_cndmask_b32_e64 v23, 0, 1, s8
	v_not_b32_e32 v69, v20
	v_cmp_gt_i32_e64 s8, 0, v20
	v_not_b32_e32 v20, v21
	v_lshlrev_b32_e32 v45, 26, v17
	v_cmp_ne_u32_e32 vcc_lo, 0, v23
	v_ashrrev_i32_e32 v23, 31, v69
	v_lshlrev_b32_e32 v46, 25, v17
	v_ashrrev_i32_e32 v20, 31, v20
	v_and_b32_e32 v18, 0xff, v17
	s_wait_alu 0xfffd
	v_xor_b32_e32 v19, vcc_lo, v19
	v_cmp_gt_i32_e32 vcc_lo, 0, v21
	v_not_b32_e32 v21, v22
	s_wait_alu 0xf1ff
	v_xor_b32_e32 v23, s8, v23
	v_cmp_gt_i32_e64 s8, 0, v22
	v_and_b32_e32 v19, exec_lo, v19
	v_not_b32_e32 v22, v40
	v_ashrrev_i32_e32 v21, 31, v21
	s_wait_alu 0xfffd
	v_xor_b32_e32 v20, vcc_lo, v20
	v_cmp_gt_i32_e32 vcc_lo, 0, v40
	v_and_b32_e32 v19, v19, v23
	v_not_b32_e32 v23, v45
	v_ashrrev_i32_e32 v22, 31, v22
	s_wait_alu 0xf1ff
	v_xor_b32_e32 v21, s8, v21
	v_lshlrev_b32_e32 v17, 24, v17
	v_and_b32_e32 v19, v19, v20
	v_cmp_gt_i32_e64 s8, 0, v45
	v_not_b32_e32 v20, v46
	v_ashrrev_i32_e32 v23, 31, v23
	s_wait_alu 0xfffd
	v_xor_b32_e32 v22, vcc_lo, v22
	v_and_b32_e32 v19, v19, v21
	v_cmp_gt_i32_e32 vcc_lo, 0, v46
	v_not_b32_e32 v21, v17
	v_ashrrev_i32_e32 v20, 31, v20
	s_wait_alu 0xf1ff
	v_xor_b32_e32 v23, s8, v23
	v_and_b32_e32 v19, v19, v22
	v_lshlrev_b32_e32 v18, 5, v18
	v_cmp_gt_i32_e64 s8, 0, v17
	v_ashrrev_i32_e32 v17, 31, v21
	s_wait_alu 0xfffd
	v_xor_b32_e32 v20, vcc_lo, v20
	v_and_b32_e32 v19, v19, v23
	v_add_nc_u32_e32 v46, v16, v18
	s_wait_alu 0xf1ff
	v_xor_b32_e32 v17, s8, v17
	s_delay_alu instid0(VALU_DEP_3) | instskip(SKIP_2) | instid1(VALU_DEP_1)
	v_and_b32_e32 v18, v19, v20
	ds_load_b32 v40, v46 offset:32
	; wave barrier
	v_and_b32_e32 v17, v18, v17
	v_mbcnt_lo_u32_b32 v45, v17, 0
	v_cmp_ne_u32_e64 s8, 0, v17
	s_delay_alu instid0(VALU_DEP_2)
	v_cmp_eq_u32_e32 vcc_lo, 0, v45
	s_and_b32 s10, s8, vcc_lo
	s_wait_alu 0xfffe
	s_and_saveexec_b32 s8, s10
	s_cbranch_execz .LBB106_69
; %bb.68:
	s_wait_dscnt 0x0
	v_bcnt_u32_b32 v17, v17, v40
	ds_store_b32 v46, v17 offset:32
.LBB106_69:
	s_wait_alu 0xfffe
	s_or_b32 exec_lo, exec_lo, s8
	v_and_b32_e32 v17, s9, v28
	; wave barrier
	s_delay_alu instid0(VALU_DEP_1)
	v_and_b32_e32 v19, 1, v17
	v_lshlrev_b32_e32 v20, 30, v17
	v_lshlrev_b32_e32 v21, 29, v17
	;; [unrolled: 1-line block ×4, first 2 shown]
	v_add_co_u32 v19, s8, v19, -1
	s_wait_alu 0xf1ff
	v_cndmask_b32_e64 v23, 0, 1, s8
	v_not_b32_e32 v72, v20
	v_cmp_gt_i32_e64 s8, 0, v20
	v_not_b32_e32 v20, v21
	v_lshlrev_b32_e32 v70, 26, v17
	v_cmp_ne_u32_e32 vcc_lo, 0, v23
	v_ashrrev_i32_e32 v23, 31, v72
	v_lshlrev_b32_e32 v71, 25, v17
	v_ashrrev_i32_e32 v20, 31, v20
	v_and_b32_e32 v18, 0xff, v17
	s_wait_alu 0xfffd
	v_xor_b32_e32 v19, vcc_lo, v19
	v_cmp_gt_i32_e32 vcc_lo, 0, v21
	v_not_b32_e32 v21, v22
	s_wait_alu 0xf1ff
	v_xor_b32_e32 v23, s8, v23
	v_cmp_gt_i32_e64 s8, 0, v22
	v_and_b32_e32 v19, exec_lo, v19
	v_not_b32_e32 v22, v69
	v_ashrrev_i32_e32 v21, 31, v21
	s_wait_alu 0xfffd
	v_xor_b32_e32 v20, vcc_lo, v20
	v_cmp_gt_i32_e32 vcc_lo, 0, v69
	v_and_b32_e32 v19, v19, v23
	v_not_b32_e32 v23, v70
	v_ashrrev_i32_e32 v22, 31, v22
	s_wait_alu 0xf1ff
	v_xor_b32_e32 v21, s8, v21
	v_lshlrev_b32_e32 v17, 24, v17
	v_and_b32_e32 v19, v19, v20
	v_cmp_gt_i32_e64 s8, 0, v70
	v_not_b32_e32 v20, v71
	v_ashrrev_i32_e32 v23, 31, v23
	s_wait_alu 0xfffd
	v_xor_b32_e32 v22, vcc_lo, v22
	v_and_b32_e32 v19, v19, v21
	v_cmp_gt_i32_e32 vcc_lo, 0, v71
	v_not_b32_e32 v21, v17
	v_ashrrev_i32_e32 v20, 31, v20
	s_wait_alu 0xf1ff
	v_xor_b32_e32 v23, s8, v23
	v_and_b32_e32 v19, v19, v22
	v_lshlrev_b32_e32 v18, 5, v18
	v_cmp_gt_i32_e64 s8, 0, v17
	v_ashrrev_i32_e32 v17, 31, v21
	s_wait_alu 0xfffd
	v_xor_b32_e32 v20, vcc_lo, v20
	v_and_b32_e32 v19, v19, v23
	v_add_nc_u32_e32 v71, v16, v18
	s_wait_alu 0xf1ff
	v_xor_b32_e32 v17, s8, v17
	s_delay_alu instid0(VALU_DEP_3) | instskip(SKIP_2) | instid1(VALU_DEP_1)
	v_and_b32_e32 v18, v19, v20
	ds_load_b32 v69, v71 offset:32
	; wave barrier
	v_and_b32_e32 v17, v18, v17
	v_mbcnt_lo_u32_b32 v70, v17, 0
	v_cmp_ne_u32_e64 s8, 0, v17
	s_delay_alu instid0(VALU_DEP_2)
	v_cmp_eq_u32_e32 vcc_lo, 0, v70
	s_and_b32 s10, s8, vcc_lo
	s_wait_alu 0xfffe
	s_and_saveexec_b32 s8, s10
	s_cbranch_execz .LBB106_71
; %bb.70:
	s_wait_dscnt 0x0
	v_bcnt_u32_b32 v17, v17, v69
	ds_store_b32 v71, v17 offset:32
.LBB106_71:
	s_wait_alu 0xfffe
	s_or_b32 exec_lo, exec_lo, s8
	v_and_b32_e32 v17, s9, v29
	; wave barrier
	s_delay_alu instid0(VALU_DEP_1)
	v_and_b32_e32 v19, 1, v17
	v_lshlrev_b32_e32 v20, 30, v17
	v_lshlrev_b32_e32 v21, 29, v17
	;; [unrolled: 1-line block ×4, first 2 shown]
	v_add_co_u32 v19, s8, v19, -1
	s_wait_alu 0xf1ff
	v_cndmask_b32_e64 v23, 0, 1, s8
	v_not_b32_e32 v75, v20
	v_cmp_gt_i32_e64 s8, 0, v20
	v_not_b32_e32 v20, v21
	v_lshlrev_b32_e32 v73, 26, v17
	v_cmp_ne_u32_e32 vcc_lo, 0, v23
	v_ashrrev_i32_e32 v23, 31, v75
	v_lshlrev_b32_e32 v74, 25, v17
	v_ashrrev_i32_e32 v20, 31, v20
	v_and_b32_e32 v18, 0xff, v17
	s_wait_alu 0xfffd
	v_xor_b32_e32 v19, vcc_lo, v19
	v_cmp_gt_i32_e32 vcc_lo, 0, v21
	v_not_b32_e32 v21, v22
	s_wait_alu 0xf1ff
	v_xor_b32_e32 v23, s8, v23
	v_cmp_gt_i32_e64 s8, 0, v22
	v_and_b32_e32 v19, exec_lo, v19
	v_not_b32_e32 v22, v72
	v_ashrrev_i32_e32 v21, 31, v21
	s_wait_alu 0xfffd
	v_xor_b32_e32 v20, vcc_lo, v20
	v_cmp_gt_i32_e32 vcc_lo, 0, v72
	v_and_b32_e32 v19, v19, v23
	v_not_b32_e32 v23, v73
	v_ashrrev_i32_e32 v22, 31, v22
	s_wait_alu 0xf1ff
	v_xor_b32_e32 v21, s8, v21
	v_lshlrev_b32_e32 v17, 24, v17
	v_and_b32_e32 v19, v19, v20
	v_cmp_gt_i32_e64 s8, 0, v73
	v_not_b32_e32 v20, v74
	v_ashrrev_i32_e32 v23, 31, v23
	s_wait_alu 0xfffd
	v_xor_b32_e32 v22, vcc_lo, v22
	v_and_b32_e32 v19, v19, v21
	v_cmp_gt_i32_e32 vcc_lo, 0, v74
	v_not_b32_e32 v21, v17
	v_ashrrev_i32_e32 v20, 31, v20
	s_wait_alu 0xf1ff
	v_xor_b32_e32 v23, s8, v23
	v_and_b32_e32 v19, v19, v22
	v_lshlrev_b32_e32 v18, 5, v18
	v_cmp_gt_i32_e64 s8, 0, v17
	v_ashrrev_i32_e32 v17, 31, v21
	s_wait_alu 0xfffd
	v_xor_b32_e32 v20, vcc_lo, v20
	v_and_b32_e32 v19, v19, v23
	v_add_nc_u32_e32 v74, v16, v18
	s_wait_alu 0xf1ff
	v_xor_b32_e32 v17, s8, v17
	s_delay_alu instid0(VALU_DEP_3) | instskip(SKIP_2) | instid1(VALU_DEP_1)
	v_and_b32_e32 v18, v19, v20
	ds_load_b32 v72, v74 offset:32
	; wave barrier
	v_and_b32_e32 v17, v18, v17
	v_mbcnt_lo_u32_b32 v73, v17, 0
	v_cmp_ne_u32_e64 s8, 0, v17
	s_delay_alu instid0(VALU_DEP_2)
	v_cmp_eq_u32_e32 vcc_lo, 0, v73
	s_and_b32 s10, s8, vcc_lo
	s_wait_alu 0xfffe
	s_and_saveexec_b32 s8, s10
	s_cbranch_execz .LBB106_73
; %bb.72:
	s_wait_dscnt 0x0
	v_bcnt_u32_b32 v17, v17, v72
	ds_store_b32 v74, v17 offset:32
.LBB106_73:
	s_wait_alu 0xfffe
	s_or_b32 exec_lo, exec_lo, s8
	v_and_b32_e32 v17, s9, v30
	; wave barrier
	s_delay_alu instid0(VALU_DEP_1)
	v_and_b32_e32 v19, 1, v17
	v_lshlrev_b32_e32 v20, 30, v17
	v_lshlrev_b32_e32 v21, 29, v17
	;; [unrolled: 1-line block ×4, first 2 shown]
	v_add_co_u32 v19, s8, v19, -1
	s_wait_alu 0xf1ff
	v_cndmask_b32_e64 v23, 0, 1, s8
	v_not_b32_e32 v78, v20
	v_cmp_gt_i32_e64 s8, 0, v20
	v_not_b32_e32 v20, v21
	v_lshlrev_b32_e32 v76, 26, v17
	v_cmp_ne_u32_e32 vcc_lo, 0, v23
	v_ashrrev_i32_e32 v23, 31, v78
	v_lshlrev_b32_e32 v77, 25, v17
	v_ashrrev_i32_e32 v20, 31, v20
	v_and_b32_e32 v18, 0xff, v17
	s_wait_alu 0xfffd
	v_xor_b32_e32 v19, vcc_lo, v19
	v_cmp_gt_i32_e32 vcc_lo, 0, v21
	v_not_b32_e32 v21, v22
	s_wait_alu 0xf1ff
	v_xor_b32_e32 v23, s8, v23
	v_cmp_gt_i32_e64 s8, 0, v22
	v_and_b32_e32 v19, exec_lo, v19
	v_not_b32_e32 v22, v75
	v_ashrrev_i32_e32 v21, 31, v21
	s_wait_alu 0xfffd
	v_xor_b32_e32 v20, vcc_lo, v20
	v_cmp_gt_i32_e32 vcc_lo, 0, v75
	v_and_b32_e32 v19, v19, v23
	v_not_b32_e32 v23, v76
	v_ashrrev_i32_e32 v22, 31, v22
	s_wait_alu 0xf1ff
	v_xor_b32_e32 v21, s8, v21
	v_lshlrev_b32_e32 v17, 24, v17
	v_and_b32_e32 v19, v19, v20
	v_cmp_gt_i32_e64 s8, 0, v76
	v_not_b32_e32 v20, v77
	v_ashrrev_i32_e32 v23, 31, v23
	s_wait_alu 0xfffd
	v_xor_b32_e32 v22, vcc_lo, v22
	v_and_b32_e32 v19, v19, v21
	v_cmp_gt_i32_e32 vcc_lo, 0, v77
	v_not_b32_e32 v21, v17
	v_ashrrev_i32_e32 v20, 31, v20
	s_wait_alu 0xf1ff
	v_xor_b32_e32 v23, s8, v23
	v_and_b32_e32 v19, v19, v22
	v_lshlrev_b32_e32 v18, 5, v18
	v_cmp_gt_i32_e64 s8, 0, v17
	v_ashrrev_i32_e32 v17, 31, v21
	s_wait_alu 0xfffd
	v_xor_b32_e32 v20, vcc_lo, v20
	v_and_b32_e32 v19, v19, v23
	v_add_nc_u32_e32 v77, v16, v18
	s_wait_alu 0xf1ff
	v_xor_b32_e32 v17, s8, v17
	s_delay_alu instid0(VALU_DEP_3) | instskip(SKIP_2) | instid1(VALU_DEP_1)
	v_and_b32_e32 v18, v19, v20
	ds_load_b32 v75, v77 offset:32
	; wave barrier
	v_and_b32_e32 v17, v18, v17
	v_mbcnt_lo_u32_b32 v76, v17, 0
	v_cmp_ne_u32_e64 s8, 0, v17
	s_delay_alu instid0(VALU_DEP_2)
	v_cmp_eq_u32_e32 vcc_lo, 0, v76
	s_and_b32 s10, s8, vcc_lo
	s_wait_alu 0xfffe
	s_and_saveexec_b32 s8, s10
	s_cbranch_execz .LBB106_75
; %bb.74:
	s_wait_dscnt 0x0
	v_bcnt_u32_b32 v17, v17, v75
	ds_store_b32 v77, v17 offset:32
.LBB106_75:
	s_wait_alu 0xfffe
	s_or_b32 exec_lo, exec_lo, s8
	v_and_b32_e32 v17, s9, v31
	; wave barrier
	s_delay_alu instid0(VALU_DEP_1)
	v_and_b32_e32 v19, 1, v17
	v_lshlrev_b32_e32 v20, 30, v17
	v_lshlrev_b32_e32 v21, 29, v17
	;; [unrolled: 1-line block ×4, first 2 shown]
	v_add_co_u32 v19, s8, v19, -1
	s_wait_alu 0xf1ff
	v_cndmask_b32_e64 v23, 0, 1, s8
	v_not_b32_e32 v81, v20
	v_cmp_gt_i32_e64 s8, 0, v20
	v_not_b32_e32 v20, v21
	v_lshlrev_b32_e32 v79, 26, v17
	v_cmp_ne_u32_e32 vcc_lo, 0, v23
	v_ashrrev_i32_e32 v23, 31, v81
	v_lshlrev_b32_e32 v80, 25, v17
	v_ashrrev_i32_e32 v20, 31, v20
	v_and_b32_e32 v18, 0xff, v17
	s_wait_alu 0xfffd
	v_xor_b32_e32 v19, vcc_lo, v19
	v_cmp_gt_i32_e32 vcc_lo, 0, v21
	v_not_b32_e32 v21, v22
	s_wait_alu 0xf1ff
	v_xor_b32_e32 v23, s8, v23
	v_cmp_gt_i32_e64 s8, 0, v22
	v_and_b32_e32 v19, exec_lo, v19
	v_not_b32_e32 v22, v78
	v_ashrrev_i32_e32 v21, 31, v21
	s_wait_alu 0xfffd
	v_xor_b32_e32 v20, vcc_lo, v20
	v_cmp_gt_i32_e32 vcc_lo, 0, v78
	v_and_b32_e32 v19, v19, v23
	v_not_b32_e32 v23, v79
	v_ashrrev_i32_e32 v22, 31, v22
	s_wait_alu 0xf1ff
	v_xor_b32_e32 v21, s8, v21
	v_lshlrev_b32_e32 v17, 24, v17
	v_and_b32_e32 v19, v19, v20
	v_cmp_gt_i32_e64 s8, 0, v79
	v_not_b32_e32 v20, v80
	v_ashrrev_i32_e32 v23, 31, v23
	s_wait_alu 0xfffd
	v_xor_b32_e32 v22, vcc_lo, v22
	v_and_b32_e32 v19, v19, v21
	v_cmp_gt_i32_e32 vcc_lo, 0, v80
	v_not_b32_e32 v21, v17
	v_ashrrev_i32_e32 v20, 31, v20
	s_wait_alu 0xf1ff
	v_xor_b32_e32 v23, s8, v23
	v_and_b32_e32 v19, v19, v22
	v_lshlrev_b32_e32 v18, 5, v18
	v_cmp_gt_i32_e64 s8, 0, v17
	v_ashrrev_i32_e32 v17, 31, v21
	s_wait_alu 0xfffd
	v_xor_b32_e32 v20, vcc_lo, v20
	v_and_b32_e32 v19, v19, v23
	v_add_nc_u32_e32 v80, v16, v18
	s_wait_alu 0xf1ff
	v_xor_b32_e32 v16, s8, v17
	s_delay_alu instid0(VALU_DEP_3) | instskip(SKIP_2) | instid1(VALU_DEP_1)
	v_and_b32_e32 v17, v19, v20
	ds_load_b32 v78, v80 offset:32
	; wave barrier
	v_and_b32_e32 v16, v17, v16
	v_mbcnt_lo_u32_b32 v79, v16, 0
	v_cmp_ne_u32_e64 s8, 0, v16
	s_delay_alu instid0(VALU_DEP_2)
	v_cmp_eq_u32_e32 vcc_lo, 0, v79
	s_and_b32 s9, s8, vcc_lo
	s_wait_alu 0xfffe
	s_and_saveexec_b32 s8, s9
	s_cbranch_execz .LBB106_77
; %bb.76:
	s_wait_dscnt 0x0
	v_bcnt_u32_b32 v16, v16, v78
	ds_store_b32 v80, v16 offset:32
.LBB106_77:
	s_wait_alu 0xfffe
	s_or_b32 exec_lo, exec_lo, s8
	; wave barrier
	s_wait_loadcnt_dscnt 0x0
	s_barrier_signal -1
	s_barrier_wait -1
	global_inv scope:SCOPE_SE
	ds_load_b128 v[20:23], v66 offset:32
	ds_load_b128 v[16:19], v66 offset:48
	v_min_u32_e32 v68, 0xe0, v68
	s_mov_b32 s8, exec_lo
	s_delay_alu instid0(VALU_DEP_1) | instskip(SKIP_2) | instid1(VALU_DEP_1)
	v_or_b32_e32 v68, 31, v68
	s_wait_dscnt 0x1
	v_add_nc_u32_e32 v81, v21, v20
	v_add3_u32 v81, v81, v22, v23
	s_wait_dscnt 0x0
	s_delay_alu instid0(VALU_DEP_1) | instskip(NEXT) | instid1(VALU_DEP_1)
	v_add3_u32 v81, v81, v16, v17
	v_add3_u32 v19, v81, v18, v19
	v_and_b32_e32 v81, 15, v67
	s_delay_alu instid0(VALU_DEP_2) | instskip(NEXT) | instid1(VALU_DEP_2)
	v_mov_b32_dpp v82, v19 row_shr:1 row_mask:0xf bank_mask:0xf
	v_cmp_ne_u32_e32 vcc_lo, 0, v81
	s_wait_alu 0xfffd
	s_delay_alu instid0(VALU_DEP_2) | instskip(SKIP_1) | instid1(VALU_DEP_2)
	v_cndmask_b32_e32 v82, 0, v82, vcc_lo
	v_cmp_lt_u32_e32 vcc_lo, 1, v81
	v_add_nc_u32_e32 v19, v82, v19
	s_delay_alu instid0(VALU_DEP_1) | instskip(SKIP_1) | instid1(VALU_DEP_1)
	v_mov_b32_dpp v82, v19 row_shr:2 row_mask:0xf bank_mask:0xf
	s_wait_alu 0xfffd
	v_cndmask_b32_e32 v82, 0, v82, vcc_lo
	v_cmp_lt_u32_e32 vcc_lo, 3, v81
	s_delay_alu instid0(VALU_DEP_2) | instskip(NEXT) | instid1(VALU_DEP_1)
	v_add_nc_u32_e32 v19, v19, v82
	v_mov_b32_dpp v82, v19 row_shr:4 row_mask:0xf bank_mask:0xf
	s_wait_alu 0xfffd
	s_delay_alu instid0(VALU_DEP_1) | instskip(SKIP_1) | instid1(VALU_DEP_2)
	v_cndmask_b32_e32 v82, 0, v82, vcc_lo
	v_cmp_lt_u32_e32 vcc_lo, 7, v81
	v_add_nc_u32_e32 v19, v19, v82
	s_delay_alu instid0(VALU_DEP_1) | instskip(SKIP_1) | instid1(VALU_DEP_1)
	v_mov_b32_dpp v82, v19 row_shr:8 row_mask:0xf bank_mask:0xf
	s_wait_alu 0xfffd
	v_cndmask_b32_e32 v81, 0, v82, vcc_lo
	v_bfe_i32 v82, v67, 4, 1
	s_delay_alu instid0(VALU_DEP_2) | instskip(SKIP_3) | instid1(VALU_DEP_1)
	v_add_nc_u32_e32 v19, v19, v81
	ds_swizzle_b32 v81, v19 offset:swizzle(BROADCAST,32,15)
	s_wait_dscnt 0x0
	v_and_b32_e32 v81, v82, v81
	v_add_nc_u32_e32 v19, v19, v81
	v_cmpx_eq_u32_e64 v44, v68
; %bb.78:
	v_lshlrev_b32_e32 v68, 2, v65
	ds_store_b32 v68, v19
; %bb.79:
	s_wait_alu 0xfffe
	s_or_b32 exec_lo, exec_lo, s8
	s_delay_alu instid0(SALU_CYCLE_1)
	s_mov_b32 s8, exec_lo
	s_wait_loadcnt_dscnt 0x0
	s_barrier_signal -1
	s_barrier_wait -1
	global_inv scope:SCOPE_SE
	v_cmpx_gt_u32_e32 8, v44
	s_cbranch_execz .LBB106_81
; %bb.80:
	v_and_b32_e32 v82, 7, v67
	s_delay_alu instid0(VALU_DEP_1)
	v_cmp_ne_u32_e32 vcc_lo, 0, v82
	v_lshlrev_b32_e32 v68, 2, v44
	ds_load_b32 v81, v68
	s_wait_dscnt 0x0
	v_mov_b32_dpp v83, v81 row_shr:1 row_mask:0xf bank_mask:0xf
	s_wait_alu 0xfffd
	s_delay_alu instid0(VALU_DEP_1) | instskip(SKIP_1) | instid1(VALU_DEP_2)
	v_cndmask_b32_e32 v83, 0, v83, vcc_lo
	v_cmp_lt_u32_e32 vcc_lo, 1, v82
	v_add_nc_u32_e32 v81, v83, v81
	s_delay_alu instid0(VALU_DEP_1) | instskip(SKIP_1) | instid1(VALU_DEP_1)
	v_mov_b32_dpp v83, v81 row_shr:2 row_mask:0xf bank_mask:0xf
	s_wait_alu 0xfffd
	v_cndmask_b32_e32 v83, 0, v83, vcc_lo
	v_cmp_lt_u32_e32 vcc_lo, 3, v82
	s_delay_alu instid0(VALU_DEP_2) | instskip(NEXT) | instid1(VALU_DEP_1)
	v_add_nc_u32_e32 v81, v81, v83
	v_mov_b32_dpp v83, v81 row_shr:4 row_mask:0xf bank_mask:0xf
	s_wait_alu 0xfffd
	s_delay_alu instid0(VALU_DEP_1) | instskip(NEXT) | instid1(VALU_DEP_1)
	v_cndmask_b32_e32 v82, 0, v83, vcc_lo
	v_add_nc_u32_e32 v81, v81, v82
	ds_store_b32 v68, v81
.LBB106_81:
	s_wait_alu 0xfffe
	s_or_b32 exec_lo, exec_lo, s8
	v_mov_b32_e32 v68, 0
	s_mov_b32 s8, exec_lo
	s_wait_loadcnt_dscnt 0x0
	s_barrier_signal -1
	s_barrier_wait -1
	global_inv scope:SCOPE_SE
	v_cmpx_lt_u32_e32 31, v44
; %bb.82:
	v_lshl_add_u32 v65, v65, 2, -4
	ds_load_b32 v68, v65
; %bb.83:
	s_wait_alu 0xfffe
	s_or_b32 exec_lo, exec_lo, s8
	v_sub_co_u32 v65, vcc_lo, v67, 1
	s_wait_dscnt 0x0
	v_add_nc_u32_e32 v19, v68, v19
	s_delay_alu instid0(VALU_DEP_2) | instskip(SKIP_1) | instid1(VALU_DEP_1)
	v_cmp_gt_i32_e64 s8, 0, v65
	s_wait_alu 0xf1ff
	v_cndmask_b32_e64 v65, v65, v67, s8
	s_delay_alu instid0(VALU_DEP_1)
	v_lshlrev_b32_e32 v65, 2, v65
	ds_bpermute_b32 v19, v65, v19
	s_wait_dscnt 0x0
	s_wait_alu 0xfffd
	v_cndmask_b32_e32 v19, v19, v68, vcc_lo
	v_cmp_ne_u32_e32 vcc_lo, 0, v44
	s_wait_alu 0xfffd
	s_delay_alu instid0(VALU_DEP_2) | instskip(NEXT) | instid1(VALU_DEP_1)
	v_cndmask_b32_e32 v19, 0, v19, vcc_lo
	v_add_nc_u32_e32 v20, v19, v20
	s_delay_alu instid0(VALU_DEP_1) | instskip(NEXT) | instid1(VALU_DEP_1)
	v_add_nc_u32_e32 v21, v20, v21
	v_add_nc_u32_e32 v22, v21, v22
	s_delay_alu instid0(VALU_DEP_1) | instskip(NEXT) | instid1(VALU_DEP_1)
	v_add_nc_u32_e32 v81, v22, v23
	;; [unrolled: 3-line block ×3, first 2 shown]
	v_add_nc_u32_e32 v84, v83, v18
	ds_store_b128 v66, v[19:22] offset:32
	ds_store_b128 v66, v[81:84] offset:48
	s_wait_loadcnt_dscnt 0x0
	s_barrier_signal -1
	s_barrier_wait -1
	global_inv scope:SCOPE_SE
	ds_load_b32 v16, v33 offset:32
	ds_load_b32 v17, v36 offset:32
	;; [unrolled: 1-line block ×8, first 2 shown]
	s_wait_loadcnt_dscnt 0x0
	s_barrier_signal -1
	s_barrier_wait -1
	global_inv scope:SCOPE_SE
	v_mad_u32_u24 v36, v44, 56, v60
	v_add_nc_u32_e32 v16, v16, v32
	v_add3_u32 v17, v35, v34, v17
	v_add3_u32 v18, v38, v37, v18
	;; [unrolled: 1-line block ×7, first 2 shown]
	ds_store_b8 v16, v24
	ds_store_b8 v17, v25
	;; [unrolled: 1-line block ×8, first 2 shown]
	s_wait_loadcnt_dscnt 0x0
	s_barrier_signal -1
	s_barrier_wait -1
	global_inv scope:SCOPE_SE
	ds_load_b64 v[33:34], v60
	v_lshlrev_b32_e32 v16, 3, v16
	v_lshlrev_b32_e32 v17, 3, v17
	;; [unrolled: 1-line block ×8, first 2 shown]
	s_wait_loadcnt_dscnt 0x0
	s_barrier_signal -1
	s_barrier_wait -1
	global_inv scope:SCOPE_SE
	ds_store_b64 v16, v[12:13]
	ds_store_b64 v17, v[14:15]
	;; [unrolled: 1-line block ×8, first 2 shown]
	s_wait_loadcnt_dscnt 0x0
	s_barrier_signal -1
	s_barrier_wait -1
	global_inv scope:SCOPE_SE
	ds_load_b128 v[21:24], v36
	ds_load_b128 v[17:20], v36 offset:16
	ds_load_b128 v[29:32], v36 offset:32
	;; [unrolled: 1-line block ×3, first 2 shown]
	v_lshrrev_b32_e32 v0, 16, v33
	v_lshrrev_b32_e32 v3, 16, v34
	v_and_b32_e32 v1, 0xffffff00, v33
	v_xor_b32_e32 v2, 0x7f, v33
	v_and_b32_e32 v4, 0xffffff00, v34
	v_xor_b32_e32 v5, 0x7f, v34
	;; [unrolled: 2-line block ×4, first 2 shown]
	v_xor_b32_e32 v1, 0x7f00, v1
	v_and_b32_e32 v2, 0xff, v2
	v_xor_b32_e32 v4, 0x7f00, v4
	v_and_b32_e32 v5, 0xff, v5
	;; [unrolled: 2-line block ×4, first 2 shown]
	v_or_b32_e32 v1, v2, v1
	v_or_b32_e32 v2, v5, v4
	;; [unrolled: 1-line block ×3, first 2 shown]
	s_delay_alu instid0(VALU_DEP_4) | instskip(NEXT) | instid1(VALU_DEP_4)
	v_or_b32_e32 v3, v3, v7
	v_and_b32_e32 v1, 0xffff, v1
	s_delay_alu instid0(VALU_DEP_4) | instskip(NEXT) | instid1(VALU_DEP_4)
	v_and_b32_e32 v2, 0xffff, v2
	v_lshlrev_b32_e32 v0, 16, v0
	s_delay_alu instid0(VALU_DEP_4) | instskip(NEXT) | instid1(VALU_DEP_2)
	v_lshlrev_b32_e32 v3, 16, v3
	v_or_b32_e32 v0, v1, v0
	s_delay_alu instid0(VALU_DEP_2)
	v_or_b32_e32 v33, v2, v3
.LBB106_84:
	s_wait_loadcnt_dscnt 0x0
	s_barrier_signal -1
	s_barrier_wait -1
	global_inv scope:SCOPE_SE
	ds_store_2addr_b32 v56, v0, v33 offset1:1
	s_wait_loadcnt_dscnt 0x0
	s_barrier_signal -1
	s_barrier_wait -1
	global_inv scope:SCOPE_SE
	ds_load_u8 v8, v49 offset:256
	ds_load_u8 v7, v50 offset:512
	ds_load_u8 v6, v51 offset:768
	ds_load_u8 v5, v52 offset:1024
	ds_load_u8 v4, v53 offset:1280
	ds_load_u8 v3, v54 offset:1536
	ds_load_u8 v2, v55 offset:1792
	v_add_co_u32 v0, s8, s18, v47
	s_wait_alu 0xf1ff
	v_add_co_ci_u32_e64 v1, null, s19, 0, s8
	s_and_saveexec_b32 s8, s0
	s_cbranch_execnz .LBB106_103
; %bb.85:
	s_wait_alu 0xfffe
	s_or_b32 exec_lo, exec_lo, s8
	s_and_saveexec_b32 s8, s1
	s_cbranch_execnz .LBB106_104
.LBB106_86:
	s_wait_alu 0xfffe
	s_or_b32 exec_lo, exec_lo, s8
	s_and_saveexec_b32 s8, s2
	s_cbranch_execnz .LBB106_105
.LBB106_87:
	s_wait_alu 0xfffe
	s_or_b32 exec_lo, exec_lo, s8
	s_and_saveexec_b32 s8, s3
	s_cbranch_execnz .LBB106_106
.LBB106_88:
	s_wait_alu 0xfffe
	s_or_b32 exec_lo, exec_lo, s8
	s_and_saveexec_b32 s8, s4
	s_cbranch_execnz .LBB106_107
.LBB106_89:
	s_wait_alu 0xfffe
	s_or_b32 exec_lo, exec_lo, s8
	s_and_saveexec_b32 s8, s5
	s_cbranch_execnz .LBB106_108
.LBB106_90:
	s_wait_alu 0xfffe
	s_or_b32 exec_lo, exec_lo, s8
	s_and_saveexec_b32 s8, s6
	s_cbranch_execnz .LBB106_109
.LBB106_91:
	s_wait_alu 0xfffe
	s_or_b32 exec_lo, exec_lo, s8
	s_and_saveexec_b32 s8, s7
	s_cbranch_execz .LBB106_93
.LBB106_92:
	s_mul_i32 s9, s14, 0x700
	s_wait_alu 0xfffe
	v_add_co_u32 v0, vcc_lo, v0, s9
	s_wait_alu 0xfffd
	v_add_co_ci_u32_e64 v1, null, 0, v1, vcc_lo
	s_wait_dscnt 0x0
	global_store_b8 v[0:1], v2, off
.LBB106_93:
	s_wait_alu 0xfffe
	s_or_b32 exec_lo, exec_lo, s8
	s_wait_storecnt 0x0
	s_wait_loadcnt_dscnt 0x0
	s_barrier_signal -1
	s_barrier_wait -1
	global_inv scope:SCOPE_SE
	ds_store_2addr_b64 v64, v[21:22], v[23:24] offset1:1
	ds_store_2addr_b64 v64, v[17:18], v[19:20] offset0:2 offset1:3
	ds_store_2addr_b64 v64, v[29:30], v[31:32] offset0:4 offset1:5
	;; [unrolled: 1-line block ×3, first 2 shown]
	s_wait_loadcnt_dscnt 0x0
	s_barrier_signal -1
	s_barrier_wait -1
	global_inv scope:SCOPE_SE
	ds_load_b64 v[14:15], v58 offset:2048
	ds_load_b64 v[12:13], v59 offset:4096
	;; [unrolled: 1-line block ×7, first 2 shown]
	v_mov_b32_e32 v42, 0
	s_delay_alu instid0(VALU_DEP_1) | instskip(NEXT) | instid1(VALU_DEP_1)
	v_lshlrev_b64_e32 v[2:3], 3, v[41:42]
	v_add_co_u32 v2, vcc_lo, s12, v2
	s_wait_alu 0xfffd
	s_delay_alu instid0(VALU_DEP_2)
	v_add_co_ci_u32_e64 v3, null, s13, v3, vcc_lo
	s_and_saveexec_b32 s8, s0
	s_cbranch_execnz .LBB106_110
; %bb.94:
	s_wait_alu 0xfffe
	s_or_b32 exec_lo, exec_lo, s8
	s_and_saveexec_b32 s0, s1
	s_cbranch_execnz .LBB106_111
.LBB106_95:
	s_or_b32 exec_lo, exec_lo, s0
	s_and_saveexec_b32 s0, s2
	s_cbranch_execnz .LBB106_112
.LBB106_96:
	s_or_b32 exec_lo, exec_lo, s0
	s_and_saveexec_b32 s0, s3
	s_cbranch_execnz .LBB106_113
.LBB106_97:
	s_or_b32 exec_lo, exec_lo, s0
	s_and_saveexec_b32 s0, s4
	s_cbranch_execnz .LBB106_114
.LBB106_98:
	s_or_b32 exec_lo, exec_lo, s0
	s_and_saveexec_b32 s0, s5
	s_cbranch_execnz .LBB106_115
.LBB106_99:
	s_or_b32 exec_lo, exec_lo, s0
	s_and_saveexec_b32 s0, s6
	s_cbranch_execnz .LBB106_116
.LBB106_100:
	s_or_b32 exec_lo, exec_lo, s0
	s_and_saveexec_b32 s0, s7
	s_cbranch_execz .LBB106_102
.LBB106_101:
	s_mul_i32 s0, s16, 0x700
	s_mov_b32 s1, 0
	s_delay_alu instid0(SALU_CYCLE_1) | instskip(NEXT) | instid1(SALU_CYCLE_1)
	s_lshl_b64 s[0:1], s[0:1], 3
	v_add_co_u32 v2, vcc_lo, v2, s0
	s_wait_alu 0xfffd
	v_add_co_ci_u32_e64 v3, null, s1, v3, vcc_lo
	s_wait_dscnt 0x0
	global_store_b64 v[2:3], v[0:1], off
.LBB106_102:
	s_nop 0
	s_sendmsg sendmsg(MSG_DEALLOC_VGPRS)
	s_endpgm
.LBB106_103:
	ds_load_u8 v9, v48
	s_wait_dscnt 0x0
	global_store_b8 v[0:1], v9, off
	s_wait_alu 0xfffe
	s_or_b32 exec_lo, exec_lo, s8
	s_and_saveexec_b32 s8, s1
	s_cbranch_execz .LBB106_86
.LBB106_104:
	s_lshl_b32 s9, s14, 8
	s_wait_alu 0xfffe
	v_add_co_u32 v9, vcc_lo, v0, s9
	s_wait_alu 0xfffd
	v_add_co_ci_u32_e64 v10, null, 0, v1, vcc_lo
	s_wait_dscnt 0x6
	global_store_b8 v[9:10], v8, off
	s_or_b32 exec_lo, exec_lo, s8
	s_and_saveexec_b32 s8, s2
	s_cbranch_execz .LBB106_87
.LBB106_105:
	s_lshl_b32 s9, s14, 9
	s_wait_dscnt 0x6
	s_wait_alu 0xfffe
	v_add_co_u32 v8, vcc_lo, v0, s9
	s_wait_alu 0xfffd
	v_add_co_ci_u32_e64 v9, null, 0, v1, vcc_lo
	s_wait_dscnt 0x5
	global_store_b8 v[8:9], v7, off
	s_or_b32 exec_lo, exec_lo, s8
	s_and_saveexec_b32 s8, s3
	s_cbranch_execz .LBB106_88
.LBB106_106:
	s_mul_i32 s9, s14, 0x300
	s_wait_dscnt 0x5
	s_wait_alu 0xfffe
	v_add_co_u32 v7, vcc_lo, v0, s9
	s_wait_alu 0xfffd
	v_add_co_ci_u32_e64 v8, null, 0, v1, vcc_lo
	s_wait_dscnt 0x4
	global_store_b8 v[7:8], v6, off
	s_or_b32 exec_lo, exec_lo, s8
	s_and_saveexec_b32 s8, s4
	s_cbranch_execz .LBB106_89
.LBB106_107:
	s_lshl_b32 s9, s14, 10
	s_wait_dscnt 0x4
	s_wait_alu 0xfffe
	v_add_co_u32 v6, vcc_lo, v0, s9
	s_wait_alu 0xfffd
	v_add_co_ci_u32_e64 v7, null, 0, v1, vcc_lo
	s_wait_dscnt 0x3
	global_store_b8 v[6:7], v5, off
	s_or_b32 exec_lo, exec_lo, s8
	s_and_saveexec_b32 s8, s5
	s_cbranch_execz .LBB106_90
.LBB106_108:
	s_mul_i32 s9, s14, 0x500
	s_wait_dscnt 0x3
	s_wait_alu 0xfffe
	v_add_co_u32 v5, vcc_lo, v0, s9
	s_wait_alu 0xfffd
	v_add_co_ci_u32_e64 v6, null, 0, v1, vcc_lo
	s_wait_dscnt 0x2
	global_store_b8 v[5:6], v4, off
	s_or_b32 exec_lo, exec_lo, s8
	s_and_saveexec_b32 s8, s6
	s_cbranch_execz .LBB106_91
.LBB106_109:
	s_mul_i32 s9, s14, 0x600
	s_wait_dscnt 0x2
	s_wait_alu 0xfffe
	v_add_co_u32 v4, vcc_lo, v0, s9
	s_wait_alu 0xfffd
	v_add_co_ci_u32_e64 v5, null, 0, v1, vcc_lo
	s_wait_dscnt 0x1
	global_store_b8 v[4:5], v3, off
	s_or_b32 exec_lo, exec_lo, s8
	s_and_saveexec_b32 s8, s7
	s_cbranch_execnz .LBB106_92
	s_branch .LBB106_93
.LBB106_110:
	ds_load_b64 v[16:17], v57
	s_wait_dscnt 0x0
	global_store_b64 v[2:3], v[16:17], off
	s_wait_alu 0xfffe
	s_or_b32 exec_lo, exec_lo, s8
	s_and_saveexec_b32 s0, s1
	s_cbranch_execz .LBB106_95
.LBB106_111:
	s_lshl_b32 s8, s16, 8
	s_mov_b32 s9, 0
	s_wait_alu 0xfffe
	s_lshl_b64 s[8:9], s[8:9], 3
	s_wait_alu 0xfffe
	v_add_co_u32 v16, vcc_lo, v2, s8
	s_wait_alu 0xfffd
	v_add_co_ci_u32_e64 v17, null, s9, v3, vcc_lo
	s_wait_dscnt 0x6
	global_store_b64 v[16:17], v[14:15], off
	s_or_b32 exec_lo, exec_lo, s0
	s_and_saveexec_b32 s0, s2
	s_cbranch_execz .LBB106_96
.LBB106_112:
	s_lshl_b32 s8, s16, 9
	s_mov_b32 s9, 0
	s_wait_alu 0xfffe
	s_lshl_b64 s[8:9], s[8:9], 3
	s_wait_dscnt 0x6
	s_wait_alu 0xfffe
	v_add_co_u32 v14, vcc_lo, v2, s8
	s_wait_alu 0xfffd
	v_add_co_ci_u32_e64 v15, null, s9, v3, vcc_lo
	s_wait_dscnt 0x5
	global_store_b64 v[14:15], v[12:13], off
	s_or_b32 exec_lo, exec_lo, s0
	s_and_saveexec_b32 s0, s3
	s_cbranch_execz .LBB106_97
.LBB106_113:
	s_mul_i32 s2, s16, 0x300
	s_mov_b32 s3, 0
	s_wait_alu 0xfffe
	s_lshl_b64 s[2:3], s[2:3], 3
	s_wait_dscnt 0x5
	s_wait_alu 0xfffe
	v_add_co_u32 v12, vcc_lo, v2, s2
	s_wait_alu 0xfffd
	v_add_co_ci_u32_e64 v13, null, s3, v3, vcc_lo
	s_wait_dscnt 0x4
	global_store_b64 v[12:13], v[10:11], off
	s_or_b32 exec_lo, exec_lo, s0
	s_and_saveexec_b32 s0, s4
	s_cbranch_execz .LBB106_98
.LBB106_114:
	s_lshl_b32 s2, s16, 10
	s_mov_b32 s3, 0
	s_wait_alu 0xfffe
	s_lshl_b64 s[2:3], s[2:3], 3
	s_wait_dscnt 0x4
	s_wait_alu 0xfffe
	v_add_co_u32 v10, vcc_lo, v2, s2
	s_wait_alu 0xfffd
	v_add_co_ci_u32_e64 v11, null, s3, v3, vcc_lo
	s_wait_dscnt 0x3
	global_store_b64 v[10:11], v[8:9], off
	s_or_b32 exec_lo, exec_lo, s0
	s_and_saveexec_b32 s0, s5
	s_cbranch_execz .LBB106_99
.LBB106_115:
	s_mul_i32 s2, s16, 0x500
	s_mov_b32 s3, 0
	s_wait_alu 0xfffe
	s_lshl_b64 s[2:3], s[2:3], 3
	s_wait_dscnt 0x3
	s_wait_alu 0xfffe
	v_add_co_u32 v8, vcc_lo, v2, s2
	s_wait_alu 0xfffd
	v_add_co_ci_u32_e64 v9, null, s3, v3, vcc_lo
	s_wait_dscnt 0x2
	global_store_b64 v[8:9], v[6:7], off
	s_or_b32 exec_lo, exec_lo, s0
	s_and_saveexec_b32 s0, s6
	s_cbranch_execz .LBB106_100
.LBB106_116:
	s_mul_i32 s2, s16, 0x600
	s_mov_b32 s3, 0
	s_wait_alu 0xfffe
	s_lshl_b64 s[2:3], s[2:3], 3
	s_wait_dscnt 0x2
	s_wait_alu 0xfffe
	v_add_co_u32 v6, vcc_lo, v2, s2
	s_wait_alu 0xfffd
	v_add_co_ci_u32_e64 v7, null, s3, v3, vcc_lo
	s_wait_dscnt 0x1
	global_store_b64 v[6:7], v[4:5], off
	s_or_b32 exec_lo, exec_lo, s0
	s_and_saveexec_b32 s0, s7
	s_cbranch_execnz .LBB106_101
	s_branch .LBB106_102
	.section	.rodata,"a",@progbits
	.p2align	6, 0x0
	.amdhsa_kernel _ZN2at6native18radixSortKVInPlaceILi2ELin1ELi256ELi8EaljEEvNS_4cuda6detail10TensorInfoIT3_T5_EES6_S6_S6_NS4_IT4_S6_EES6_b
		.amdhsa_group_segment_fixed_size 16896
		.amdhsa_private_segment_fixed_size 0
		.amdhsa_kernarg_size 712
		.amdhsa_user_sgpr_count 2
		.amdhsa_user_sgpr_dispatch_ptr 0
		.amdhsa_user_sgpr_queue_ptr 0
		.amdhsa_user_sgpr_kernarg_segment_ptr 1
		.amdhsa_user_sgpr_dispatch_id 0
		.amdhsa_user_sgpr_private_segment_size 0
		.amdhsa_wavefront_size32 1
		.amdhsa_uses_dynamic_stack 0
		.amdhsa_enable_private_segment 0
		.amdhsa_system_sgpr_workgroup_id_x 1
		.amdhsa_system_sgpr_workgroup_id_y 1
		.amdhsa_system_sgpr_workgroup_id_z 1
		.amdhsa_system_sgpr_workgroup_info 0
		.amdhsa_system_vgpr_workitem_id 2
		.amdhsa_next_free_vgpr 114
		.amdhsa_next_free_sgpr 24
		.amdhsa_reserve_vcc 1
		.amdhsa_float_round_mode_32 0
		.amdhsa_float_round_mode_16_64 0
		.amdhsa_float_denorm_mode_32 3
		.amdhsa_float_denorm_mode_16_64 3
		.amdhsa_fp16_overflow 0
		.amdhsa_workgroup_processor_mode 1
		.amdhsa_memory_ordered 1
		.amdhsa_forward_progress 1
		.amdhsa_inst_pref_size 107
		.amdhsa_round_robin_scheduling 0
		.amdhsa_exception_fp_ieee_invalid_op 0
		.amdhsa_exception_fp_denorm_src 0
		.amdhsa_exception_fp_ieee_div_zero 0
		.amdhsa_exception_fp_ieee_overflow 0
		.amdhsa_exception_fp_ieee_underflow 0
		.amdhsa_exception_fp_ieee_inexact 0
		.amdhsa_exception_int_div_zero 0
	.end_amdhsa_kernel
	.section	.text._ZN2at6native18radixSortKVInPlaceILi2ELin1ELi256ELi8EaljEEvNS_4cuda6detail10TensorInfoIT3_T5_EES6_S6_S6_NS4_IT4_S6_EES6_b,"axG",@progbits,_ZN2at6native18radixSortKVInPlaceILi2ELin1ELi256ELi8EaljEEvNS_4cuda6detail10TensorInfoIT3_T5_EES6_S6_S6_NS4_IT4_S6_EES6_b,comdat
.Lfunc_end106:
	.size	_ZN2at6native18radixSortKVInPlaceILi2ELin1ELi256ELi8EaljEEvNS_4cuda6detail10TensorInfoIT3_T5_EES6_S6_S6_NS4_IT4_S6_EES6_b, .Lfunc_end106-_ZN2at6native18radixSortKVInPlaceILi2ELin1ELi256ELi8EaljEEvNS_4cuda6detail10TensorInfoIT3_T5_EES6_S6_S6_NS4_IT4_S6_EES6_b
                                        ; -- End function
	.set _ZN2at6native18radixSortKVInPlaceILi2ELin1ELi256ELi8EaljEEvNS_4cuda6detail10TensorInfoIT3_T5_EES6_S6_S6_NS4_IT4_S6_EES6_b.num_vgpr, 114
	.set _ZN2at6native18radixSortKVInPlaceILi2ELin1ELi256ELi8EaljEEvNS_4cuda6detail10TensorInfoIT3_T5_EES6_S6_S6_NS4_IT4_S6_EES6_b.num_agpr, 0
	.set _ZN2at6native18radixSortKVInPlaceILi2ELin1ELi256ELi8EaljEEvNS_4cuda6detail10TensorInfoIT3_T5_EES6_S6_S6_NS4_IT4_S6_EES6_b.numbered_sgpr, 24
	.set _ZN2at6native18radixSortKVInPlaceILi2ELin1ELi256ELi8EaljEEvNS_4cuda6detail10TensorInfoIT3_T5_EES6_S6_S6_NS4_IT4_S6_EES6_b.num_named_barrier, 0
	.set _ZN2at6native18radixSortKVInPlaceILi2ELin1ELi256ELi8EaljEEvNS_4cuda6detail10TensorInfoIT3_T5_EES6_S6_S6_NS4_IT4_S6_EES6_b.private_seg_size, 0
	.set _ZN2at6native18radixSortKVInPlaceILi2ELin1ELi256ELi8EaljEEvNS_4cuda6detail10TensorInfoIT3_T5_EES6_S6_S6_NS4_IT4_S6_EES6_b.uses_vcc, 1
	.set _ZN2at6native18radixSortKVInPlaceILi2ELin1ELi256ELi8EaljEEvNS_4cuda6detail10TensorInfoIT3_T5_EES6_S6_S6_NS4_IT4_S6_EES6_b.uses_flat_scratch, 0
	.set _ZN2at6native18radixSortKVInPlaceILi2ELin1ELi256ELi8EaljEEvNS_4cuda6detail10TensorInfoIT3_T5_EES6_S6_S6_NS4_IT4_S6_EES6_b.has_dyn_sized_stack, 0
	.set _ZN2at6native18radixSortKVInPlaceILi2ELin1ELi256ELi8EaljEEvNS_4cuda6detail10TensorInfoIT3_T5_EES6_S6_S6_NS4_IT4_S6_EES6_b.has_recursion, 0
	.set _ZN2at6native18radixSortKVInPlaceILi2ELin1ELi256ELi8EaljEEvNS_4cuda6detail10TensorInfoIT3_T5_EES6_S6_S6_NS4_IT4_S6_EES6_b.has_indirect_call, 0
	.section	.AMDGPU.csdata,"",@progbits
; Kernel info:
; codeLenInByte = 13632
; TotalNumSgprs: 26
; NumVgprs: 114
; ScratchSize: 0
; MemoryBound: 0
; FloatMode: 240
; IeeeMode: 1
; LDSByteSize: 16896 bytes/workgroup (compile time only)
; SGPRBlocks: 0
; VGPRBlocks: 14
; NumSGPRsForWavesPerEU: 26
; NumVGPRsForWavesPerEU: 114
; Occupancy: 12
; WaveLimiterHint : 1
; COMPUTE_PGM_RSRC2:SCRATCH_EN: 0
; COMPUTE_PGM_RSRC2:USER_SGPR: 2
; COMPUTE_PGM_RSRC2:TRAP_HANDLER: 0
; COMPUTE_PGM_RSRC2:TGID_X_EN: 1
; COMPUTE_PGM_RSRC2:TGID_Y_EN: 1
; COMPUTE_PGM_RSRC2:TGID_Z_EN: 1
; COMPUTE_PGM_RSRC2:TIDIG_COMP_CNT: 2
	.section	.text._ZN2at6native18radixSortKVInPlaceILi2ELin1ELi128ELi8EaljEEvNS_4cuda6detail10TensorInfoIT3_T5_EES6_S6_S6_NS4_IT4_S6_EES6_b,"axG",@progbits,_ZN2at6native18radixSortKVInPlaceILi2ELin1ELi128ELi8EaljEEvNS_4cuda6detail10TensorInfoIT3_T5_EES6_S6_S6_NS4_IT4_S6_EES6_b,comdat
	.protected	_ZN2at6native18radixSortKVInPlaceILi2ELin1ELi128ELi8EaljEEvNS_4cuda6detail10TensorInfoIT3_T5_EES6_S6_S6_NS4_IT4_S6_EES6_b ; -- Begin function _ZN2at6native18radixSortKVInPlaceILi2ELin1ELi128ELi8EaljEEvNS_4cuda6detail10TensorInfoIT3_T5_EES6_S6_S6_NS4_IT4_S6_EES6_b
	.globl	_ZN2at6native18radixSortKVInPlaceILi2ELin1ELi128ELi8EaljEEvNS_4cuda6detail10TensorInfoIT3_T5_EES6_S6_S6_NS4_IT4_S6_EES6_b
	.p2align	8
	.type	_ZN2at6native18radixSortKVInPlaceILi2ELin1ELi128ELi8EaljEEvNS_4cuda6detail10TensorInfoIT3_T5_EES6_S6_S6_NS4_IT4_S6_EES6_b,@function
_ZN2at6native18radixSortKVInPlaceILi2ELin1ELi128ELi8EaljEEvNS_4cuda6detail10TensorInfoIT3_T5_EES6_S6_S6_NS4_IT4_S6_EES6_b: ; @_ZN2at6native18radixSortKVInPlaceILi2ELin1ELi128ELi8EaljEEvNS_4cuda6detail10TensorInfoIT3_T5_EES6_S6_S6_NS4_IT4_S6_EES6_b
; %bb.0:
	s_clause 0x1
	s_load_b64 s[2:3], s[0:1], 0x1c8
	s_load_b96 s[12:14], s[0:1], 0xd8
	s_lshr_b32 s4, ttmp7, 16
	s_wait_kmcnt 0x0
	s_mul_i32 s3, s3, s4
	s_and_b32 s4, ttmp7, 0xffff
	s_delay_alu instid0(SALU_CYCLE_1) | instskip(NEXT) | instid1(SALU_CYCLE_1)
	s_add_co_i32 s3, s3, s4
	s_mul_i32 s2, s3, s2
	s_delay_alu instid0(SALU_CYCLE_1) | instskip(NEXT) | instid1(SALU_CYCLE_1)
	s_add_co_i32 s2, s2, ttmp9
	s_cmp_ge_u32 s2, s12
	s_cbranch_scc1 .LBB107_102
; %bb.1:
	s_clause 0x2
	s_load_b32 s15, s[0:1], 0xc
	s_load_b64 s[4:5], s[0:1], 0x6c
	s_load_b32 s16, s[0:1], 0x1b8
	s_add_nc_u64 s[10:11], s[0:1], 0xe8
	s_mov_b32 s12, s2
	s_wait_kmcnt 0x0
	s_cvt_f32_u32 s3, s15
	s_delay_alu instid0(SALU_CYCLE_3) | instskip(NEXT) | instid1(TRANS32_DEP_1)
	v_rcp_iflag_f32_e32 v1, s3
	v_readfirstlane_b32 s3, v1
	s_mul_f32 s3, s3, 0x4f7ffffe
	s_wait_alu 0xfffe
	s_delay_alu instid0(SALU_CYCLE_2) | instskip(SKIP_2) | instid1(SALU_CYCLE_1)
	s_cvt_u32_f32 s6, s3
	s_sub_co_i32 s3, 0, s15
	s_wait_alu 0xfffe
	s_mul_i32 s7, s3, s6
	s_mov_b32 s3, 0
	s_mul_hi_u32 s8, s6, s7
	s_wait_alu 0xfffe
	s_mov_b32 s7, s3
	s_add_co_i32 s6, s6, s8
	s_cmp_lt_i32 s16, 2
	s_mov_b32 s9, s3
	s_cbranch_scc1 .LBB107_4
; %bb.2:
	s_add_co_i32 s8, s16, -1
	s_mov_b32 s9, 0
	s_mov_b32 s12, s2
	s_lshl_b64 s[18:19], s[8:9], 2
	s_add_co_i32 s8, s16, 1
	s_add_nc_u64 s[18:19], s[10:11], s[18:19]
	s_delay_alu instid0(SALU_CYCLE_1)
	s_add_nc_u64 s[16:17], s[18:19], 8
.LBB107_3:                              ; =>This Inner Loop Header: Depth=1
	s_clause 0x1
	s_load_b32 s18, s[16:17], 0x0
	s_load_b32 s19, s[16:17], 0x64
	s_mov_b32 s22, s12
	s_add_nc_u64 s[16:17], s[16:17], -4
	s_wait_kmcnt 0x0
	s_cvt_f32_u32 s20, s18
	s_sub_co_i32 s21, 0, s18
	s_wait_alu 0xfffe
	s_delay_alu instid0(SALU_CYCLE_1) | instskip(NEXT) | instid1(TRANS32_DEP_1)
	v_rcp_iflag_f32_e32 v1, s20
	v_readfirstlane_b32 s20, v1
	s_mul_f32 s20, s20, 0x4f7ffffe
	s_wait_alu 0xfffe
	s_delay_alu instid0(SALU_CYCLE_2) | instskip(SKIP_1) | instid1(SALU_CYCLE_2)
	s_cvt_u32_f32 s20, s20
	s_wait_alu 0xfffe
	s_mul_i32 s21, s21, s20
	s_wait_alu 0xfffe
	s_mul_hi_u32 s21, s20, s21
	s_wait_alu 0xfffe
	s_add_co_i32 s20, s20, s21
	s_wait_alu 0xfffe
	s_mul_hi_u32 s12, s12, s20
	s_delay_alu instid0(SALU_CYCLE_1)
	s_mul_i32 s20, s12, s18
	s_add_co_i32 s21, s12, 1
	s_wait_alu 0xfffe
	s_sub_co_i32 s20, s22, s20
	s_wait_alu 0xfffe
	s_sub_co_i32 s23, s20, s18
	s_cmp_ge_u32 s20, s18
	s_cselect_b32 s12, s21, s12
	s_cselect_b32 s20, s23, s20
	s_add_co_i32 s21, s12, 1
	s_wait_alu 0xfffe
	s_cmp_ge_u32 s20, s18
	s_cselect_b32 s12, s21, s12
	s_add_co_i32 s8, s8, -1
	s_mul_i32 s18, s12, s18
	s_delay_alu instid0(SALU_CYCLE_1) | instskip(NEXT) | instid1(SALU_CYCLE_1)
	s_sub_co_i32 s18, s22, s18
	s_mul_i32 s18, s19, s18
	s_delay_alu instid0(SALU_CYCLE_1)
	s_add_co_i32 s9, s18, s9
	s_cmp_gt_u32 s8, 2
	s_cbranch_scc1 .LBB107_3
.LBB107_4:
	s_mul_u64 s[6:7], s[2:3], s[6:7]
	s_clause 0x1
	s_load_b64 s[18:19], s[0:1], 0x0
	s_load_b64 s[16:17], s[0:1], 0x1c0
	s_mul_i32 s3, s7, s15
	s_add_nc_u64 s[20:21], s[0:1], 0x1c8
	s_wait_alu 0xfffe
	s_sub_co_i32 s0, s2, s3
	s_add_co_i32 s1, s7, 1
	s_sub_co_i32 s3, s0, s15
	s_cmp_ge_u32 s0, s15
	s_cselect_b32 s1, s1, s7
	s_wait_alu 0xfffe
	s_cselect_b32 s0, s3, s0
	s_add_co_i32 s3, s1, 1
	s_cmp_ge_u32 s0, s15
	s_wait_alu 0xfffe
	s_cselect_b32 s0, s3, s1
	s_delay_alu instid0(SALU_CYCLE_1) | instskip(SKIP_4) | instid1(SALU_CYCLE_1)
	s_mul_i32 s1, s0, s15
	s_mul_i32 s0, s0, s4
	s_sub_co_i32 s1, s2, s1
	s_mov_b32 s2, 0xff80
	s_mul_i32 s1, s1, s5
	s_add_co_i32 s4, s0, s1
	s_wait_kmcnt 0x0
	s_bitcmp1_b32 s17, 0
	s_movk_i32 s0, 0x8000
	s_cselect_b32 s8, -1, 0
	s_movk_i32 s1, 0x80
	s_and_b32 s3, s8, exec_lo
	s_cselect_b32 s0, s0, 0x7f00
	s_cselect_b32 s1, s1, 0x7f
	s_wait_alu 0xfffe
	s_cselect_b32 s5, s2, 0x7f
	s_or_b32 s0, s1, s0
	v_mov_b32_e32 v3, s5
	s_and_b32 s1, s0, 0xffff
	s_lshl_b32 s0, s0, 16
	s_mov_b32 s5, 0
	s_or_b32 s2, s1, s0
	s_wait_alu 0xfffe
	s_add_nc_u64 s[18:19], s[18:19], s[4:5]
	s_mov_b32 s3, s2
	v_dual_mov_b32 v1, s2 :: v_dual_and_b32 v44, 0x3ff, v0
	s_wait_alu 0xfffe
	v_mov_b32_e32 v2, s3
	s_delay_alu instid0(VALU_DEP_2)
	v_mul_lo_u32 v47, s14, v44
	v_cmp_gt_u32_e64 s0, s13, v44
	s_and_saveexec_b32 s1, s0
	s_cbranch_execz .LBB107_6
; %bb.5:
	global_load_u8 v3, v47, s[18:19]
	v_mov_b32_e32 v2, s2
	s_wait_loadcnt 0x0
	v_perm_b32 v1, v3, s2, 0x3020104
.LBB107_6:
	s_or_b32 exec_lo, exec_lo, s1
	v_add_nc_u32_e32 v29, 0x80, v44
	s_delay_alu instid0(VALU_DEP_1)
	v_cmp_gt_u32_e64 s1, s13, v29
	s_and_saveexec_b32 s2, s1
	s_cbranch_execz .LBB107_8
; %bb.7:
	v_mul_lo_u32 v4, s14, v29
	global_load_u8 v4, v4, s[18:19]
	s_wait_loadcnt 0x0
	v_perm_b32 v1, v1, v4, 0x7060004
.LBB107_8:
	s_wait_alu 0xfffe
	s_or_b32 exec_lo, exec_lo, s2
	v_add_nc_u32_e32 v28, 0x100, v44
	s_delay_alu instid0(VALU_DEP_1)
	v_cmp_gt_u32_e64 s2, s13, v28
	s_and_saveexec_b32 s3, s2
	s_cbranch_execz .LBB107_10
; %bb.9:
	v_mul_lo_u32 v4, s14, v28
	global_load_u8 v4, v4, s[18:19]
	s_wait_loadcnt 0x0
	v_perm_b32 v4, v4, v1, 0xc0c0304
	s_delay_alu instid0(VALU_DEP_1) | instskip(NEXT) | instid1(VALU_DEP_1)
	v_lshlrev_b32_e32 v4, 16, v4
	v_and_or_b32 v1, 0xffff, v1, v4
.LBB107_10:
	s_wait_alu 0xfffe
	s_or_b32 exec_lo, exec_lo, s3
	v_add_nc_u32_e32 v26, 0x180, v44
	s_delay_alu instid0(VALU_DEP_1)
	v_cmp_gt_u32_e64 s3, s13, v26
	s_and_saveexec_b32 s4, s3
	s_cbranch_execz .LBB107_12
; %bb.11:
	v_mul_lo_u32 v4, s14, v26
	global_load_u8 v4, v4, s[18:19]
	s_wait_loadcnt 0x0
	v_perm_b32 v4, v1, v4, 0xc0c0006
	s_delay_alu instid0(VALU_DEP_1) | instskip(NEXT) | instid1(VALU_DEP_1)
	v_lshlrev_b32_e32 v4, 16, v4
	v_and_or_b32 v1, 0xffff, v1, v4
.LBB107_12:
	s_wait_alu 0xfffe
	s_or_b32 exec_lo, exec_lo, s4
	v_add_nc_u32_e32 v22, 0x200, v44
	s_delay_alu instid0(VALU_DEP_1)
	v_cmp_gt_u32_e64 s4, s13, v22
	s_and_saveexec_b32 s5, s4
	s_cbranch_execz .LBB107_14
; %bb.13:
	v_mul_lo_u32 v4, s14, v22
	global_load_u8 v4, v4, s[18:19]
	s_wait_loadcnt 0x0
	v_perm_b32 v2, v4, v2, 0x3020104
.LBB107_14:
	s_wait_alu 0xfffe
	s_or_b32 exec_lo, exec_lo, s5
	v_add_nc_u32_e32 v19, 0x280, v44
	s_delay_alu instid0(VALU_DEP_1)
	v_cmp_gt_u32_e64 s5, s13, v19
	s_and_saveexec_b32 s6, s5
	s_cbranch_execz .LBB107_16
; %bb.15:
	v_mul_lo_u32 v4, s14, v19
	global_load_u8 v4, v4, s[18:19]
	s_wait_loadcnt 0x0
	v_perm_b32 v2, v2, v4, 0x7060004
.LBB107_16:
	s_or_b32 exec_lo, exec_lo, s6
	v_add_nc_u32_e32 v16, 0x300, v44
	s_delay_alu instid0(VALU_DEP_1)
	v_cmp_gt_u32_e64 s6, s13, v16
	s_and_saveexec_b32 s7, s6
	s_cbranch_execz .LBB107_18
; %bb.17:
	v_mul_lo_u32 v4, s14, v16
	global_load_u8 v4, v4, s[18:19]
	s_wait_loadcnt 0x0
	v_perm_b32 v2, v2, v4, 0x7000504
.LBB107_18:
	s_or_b32 exec_lo, exec_lo, s7
	s_clause 0x1
	s_load_b32 s15, s[10:11], 0x6c
	s_load_b64 s[10:11], s[10:11], 0x0
	v_add_nc_u32_e32 v15, 0x380, v44
	s_delay_alu instid0(VALU_DEP_1)
	v_cmp_gt_u32_e64 s7, s13, v15
	s_and_saveexec_b32 s13, s7
	s_cbranch_execz .LBB107_20
; %bb.19:
	v_mul_lo_u32 v4, s14, v15
	global_load_u8 v4, v4, s[18:19]
	s_wait_loadcnt 0x0
	v_perm_b32 v2, v2, v4, 0x60504
.LBB107_20:
	s_wait_alu 0xfffe
	s_or_b32 exec_lo, exec_lo, s13
	v_lshrrev_b32_e32 v65, 5, v44
	v_lshrrev_b32_e32 v17, 5, v29
	;; [unrolled: 1-line block ×5, first 2 shown]
	s_delay_alu instid0(VALU_DEP_4) | instskip(SKIP_4) | instid1(VALU_DEP_4)
	v_dual_mov_b32 v42, 0 :: v_dual_and_b32 v5, 60, v17
	v_and_b32_e32 v4, 28, v65
	v_and_b32_e32 v7, 60, v20
	v_lshrrev_b32_e32 v21, 5, v26
	v_lshrrev_b32_e32 v27, 2, v44
	v_dual_mov_b32 v43, v42 :: v_dual_add_nc_u32 v48, v4, v44
	v_dual_mov_b32 v11, v42 :: v_dual_and_b32 v4, 60, v18
	v_mov_b32_e32 v12, v42
	v_add_nc_u32_e32 v52, v7, v44
	v_and_b32_e32 v7, 60, v24
	s_delay_alu instid0(VALU_DEP_4)
	v_add_nc_u32_e32 v50, v4, v44
	v_and_b32_e32 v4, 60, v21
	v_lshrrev_b32_e32 v23, 5, v19
	v_lshrrev_b32_e32 v25, 5, v15
	v_dual_mov_b32 v13, 0 :: v_dual_add_nc_u32 v54, v7, v44
	v_lshlrev_b32_e32 v60, 3, v44
	v_and_b32_e32 v7, 0xfc, v27
	v_add_nc_u32_e32 v51, v4, v44
	v_and_b32_e32 v4, 60, v23
	v_and_b32_e32 v9, 60, v25
	v_lshrrev_b32_e32 v6, 8, v1
	v_add_nc_u32_e32 v56, v7, v60
	v_dual_mov_b32 v10, v42 :: v_dual_add_nc_u32 v49, v5, v44
	v_lshrrev_b32_e32 v5, 24, v1
	v_lshrrev_b32_e32 v8, 8, v2
	v_dual_mov_b32 v14, 0 :: v_dual_add_nc_u32 v53, v4, v44
	v_lshrrev_b32_e32 v4, 24, v2
	v_add_nc_u32_e32 v55, v9, v44
	v_mov_b32_e32 v9, v42
	v_mov_b32_e32 v7, v42
	ds_store_b8 v48, v3
	ds_store_b8 v49, v6 offset:128
	ds_store_b8_d16_hi v50, v1 offset:256
	ds_store_b8 v51, v5 offset:384
	ds_store_b8 v52, v2 offset:512
	;; [unrolled: 1-line block ×3, first 2 shown]
	ds_store_b8_d16_hi v54, v2 offset:768
	ds_store_b8 v55, v4 offset:896
	s_wait_dscnt 0x0
	s_barrier_signal -1
	s_barrier_wait -1
	global_inv scope:SCOPE_SE
	ds_load_2addr_b32 v[45:46], v56 offset1:1
	s_wait_kmcnt 0x0
	s_mul_i32 s12, s15, s12
	v_mul_lo_u32 v41, s16, v44
	s_mov_b32 s13, 0
	s_wait_alu 0xfffe
	s_add_co_i32 s12, s12, s9
	v_dual_mov_b32 v1, v42 :: v_dual_mov_b32 v2, v42
	v_dual_mov_b32 v3, v42 :: v_dual_mov_b32 v4, v42
	v_dual_mov_b32 v5, v42 :: v_dual_mov_b32 v6, v42
	v_mov_b32_e32 v8, v42
	s_wait_alu 0xfffe
	s_lshl_b64 s[12:13], s[12:13], 3
	s_wait_loadcnt_dscnt 0x0
	s_wait_alu 0xfffe
	s_add_nc_u64 s[12:13], s[10:11], s[12:13]
	s_barrier_signal -1
	s_barrier_wait -1
	global_inv scope:SCOPE_SE
	s_and_saveexec_b32 s9, s0
	s_cbranch_execnz .LBB107_53
; %bb.21:
	s_or_b32 exec_lo, exec_lo, s9
	s_and_saveexec_b32 s9, s1
	s_cbranch_execnz .LBB107_54
.LBB107_22:
	s_or_b32 exec_lo, exec_lo, s9
	s_and_saveexec_b32 s9, s2
	s_cbranch_execnz .LBB107_55
.LBB107_23:
	s_or_b32 exec_lo, exec_lo, s9
	s_and_saveexec_b32 s9, s3
	s_cbranch_execnz .LBB107_56
.LBB107_24:
	s_or_b32 exec_lo, exec_lo, s9
	s_and_saveexec_b32 s9, s4
	s_cbranch_execnz .LBB107_57
.LBB107_25:
	s_or_b32 exec_lo, exec_lo, s9
	s_and_saveexec_b32 s9, s5
	s_cbranch_execnz .LBB107_58
.LBB107_26:
	s_or_b32 exec_lo, exec_lo, s9
	s_and_saveexec_b32 s9, s6
	s_cbranch_execnz .LBB107_59
.LBB107_27:
	s_or_b32 exec_lo, exec_lo, s9
	s_xor_b32 s9, s8, -1
	s_and_saveexec_b32 s8, s7
	s_cbranch_execz .LBB107_29
.LBB107_28:
	v_mul_lo_u32 v7, s16, v15
	v_mov_b32_e32 v8, 0
	s_delay_alu instid0(VALU_DEP_1) | instskip(SKIP_1) | instid1(VALU_DEP_1)
	v_lshlrev_b64_e32 v[7:8], 3, v[7:8]
	s_wait_alu 0xfffe
	v_add_co_u32 v7, vcc_lo, s12, v7
	s_wait_alu 0xfffd
	s_delay_alu instid0(VALU_DEP_2)
	v_add_co_ci_u32_e64 v8, null, s13, v8, vcc_lo
	global_load_b64 v[7:8], v[7:8], off
.LBB107_29:
	s_or_b32 exec_lo, exec_lo, s8
	v_lshl_add_u32 v57, v65, 3, v60
	v_lshl_add_u32 v58, v17, 3, v60
	;; [unrolled: 1-line block ×5, first 2 shown]
	s_wait_loadcnt 0x0
	ds_store_b64 v57, v[13:14]
	ds_store_b64 v58, v[42:43] offset:1024
	ds_store_b64 v59, v[9:10] offset:2048
	;; [unrolled: 1-line block ×3, first 2 shown]
	v_lshlrev_b32_e32 v9, 3, v60
	v_lshl_add_u32 v42, v20, 3, v60
	v_lshl_add_u32 v43, v23, 3, v60
	;; [unrolled: 1-line block ×3, first 2 shown]
	ds_store_b64 v42, v[1:2] offset:4096
	ds_store_b64 v43, v[3:4] offset:5120
	;; [unrolled: 1-line block ×4, first 2 shown]
	v_lshl_add_u32 v64, v27, 3, v9
	s_wait_dscnt 0x0
	s_barrier_signal -1
	s_barrier_wait -1
	global_inv scope:SCOPE_SE
	ds_load_2addr_b64 v[13:16], v64 offset1:1
	ds_load_2addr_b64 v[9:12], v64 offset0:2 offset1:3
	ds_load_2addr_b64 v[5:8], v64 offset0:4 offset1:5
	;; [unrolled: 1-line block ×3, first 2 shown]
	v_mbcnt_lo_u32_b32 v67, -1, 0
	v_and_b32_e32 v68, 0x3e0, v44
	v_lshrrev_b32_e32 v74, 24, v46
	v_lshrrev_b32_e32 v75, 16, v46
	;; [unrolled: 1-line block ×3, first 2 shown]
	v_and_or_b32 v73, 0x1f00, v60, v67
	v_or_b32_e32 v17, v67, v68
	v_lshrrev_b32_e32 v77, 24, v45
	v_lshrrev_b32_e32 v78, 16, v45
	;; [unrolled: 1-line block ×3, first 2 shown]
	v_bfe_u32 v69, v0, 10, 10
	v_lshlrev_b32_e32 v72, 3, v17
	v_bfe_u32 v70, v0, 20, 10
	v_mad_u32_u24 v71, v73, 7, v73
	v_lshlrev_b32_e32 v66, 2, v60
	s_mov_b32 s8, 0
	s_and_b32 vcc_lo, exec_lo, s9
	s_mov_b32 s9, -1
	s_wait_loadcnt_dscnt 0x0
	s_barrier_signal -1
	s_barrier_wait -1
	global_inv scope:SCOPE_SE
	s_wait_alu 0xfffe
	s_cbranch_vccz .LBB107_60
; %bb.30:
	v_xor_b32_e32 v0, 0x80, v45
	v_xor_b32_e32 v17, 0x80, v79
	;; [unrolled: 1-line block ×8, first 2 shown]
	s_getpc_b64 s[10:11]
	s_sext_i32_i16 s11, s11
	s_add_co_u32 s10, s10, _ZN7rocprim17ROCPRIM_400000_NS16block_radix_sortIaLj128ELj8ElLj1ELj1ELj0ELNS0_26block_radix_rank_algorithmE1ELNS0_18block_padding_hintE2ELNS0_4arch9wavefront6targetE0EE19radix_bits_per_passE@rel32@lo+8
	s_add_co_ci_u32 s11, s11, _ZN7rocprim17ROCPRIM_400000_NS16block_radix_sortIaLj128ELj8ElLj1ELj1ELj0ELNS0_26block_radix_rank_algorithmE1ELNS0_18block_padding_hintE2ELNS0_4arch9wavefront6targetE0EE19radix_bits_per_passE@rel32@hi+16
	v_lshlrev_b16 v17, 8, v17
	v_lshlrev_b16 v19, 8, v19
	v_and_b32_e32 v20, 0xff, v20
	v_lshlrev_b16 v21, 8, v21
	v_and_b32_e32 v22, 0xff, v22
	v_lshlrev_b16 v23, 8, v23
	s_load_b32 s9, s[10:11], 0x0
	s_mov_b32 s11, s8
	v_and_b32_e32 v0, 0xff, v0
	v_and_b32_e32 v18, 0xff, v18
	s_delay_alu instid0(VALU_DEP_2) | instskip(NEXT) | instid1(VALU_DEP_2)
	v_or_b32_e32 v0, v0, v17
	v_or_b32_e32 v17, v18, v19
	;; [unrolled: 1-line block ×4, first 2 shown]
	s_delay_alu instid0(VALU_DEP_4) | instskip(NEXT) | instid1(VALU_DEP_4)
	v_and_b32_e32 v0, 0xffff, v0
	v_lshlrev_b32_e32 v17, 16, v17
	s_delay_alu instid0(VALU_DEP_4) | instskip(NEXT) | instid1(VALU_DEP_4)
	v_and_b32_e32 v18, 0xffff, v18
	v_lshlrev_b32_e32 v19, 16, v19
	s_delay_alu instid0(VALU_DEP_3) | instskip(NEXT) | instid1(VALU_DEP_2)
	v_or_b32_e32 v17, v0, v17
	v_or_b32_e32 v18, v18, v19
	s_wait_kmcnt 0x0
	s_min_u32 s9, s9, 8
	s_delay_alu instid0(SALU_CYCLE_1)
	s_lshl_b32 s9, -1, s9
	ds_store_b64 v72, v[17:18]
	; wave barrier
	ds_load_u8 v0, v73
	ds_load_u8 v80, v73 offset:32
	ds_load_u8 v81, v73 offset:64
	ds_load_u8 v82, v73 offset:96
	ds_load_u8 v83, v73 offset:128
	ds_load_u8 v84, v73 offset:160
	ds_load_u8 v85, v73 offset:192
	ds_load_u8 v86, v73 offset:224
	s_not_b32 s15, s9
	v_lshlrev_b32_e32 v17, 3, v72
	s_wait_loadcnt_dscnt 0x0
	s_barrier_signal -1
	s_barrier_wait -1
	global_inv scope:SCOPE_SE
	ds_store_b128 v17, v[13:16]
	ds_store_b128 v17, v[9:12] offset:16
	ds_store_b128 v17, v[5:8] offset:32
	;; [unrolled: 1-line block ×3, first 2 shown]
	; wave barrier
	ds_load_2addr_b64 v[21:24], v71 offset1:32
	ds_load_2addr_b64 v[17:20], v71 offset0:64 offset1:96
	ds_load_2addr_b64 v[29:32], v71 offset0:192 offset1:224
	s_wait_alu 0xfffe
	v_and_b32_e32 v39, s15, v0
	s_delay_alu instid0(VALU_DEP_1) | instskip(SKIP_3) | instid1(VALU_DEP_4)
	v_and_b32_e32 v25, 1, v39
	v_lshlrev_b32_e32 v35, 30, v39
	v_lshlrev_b32_e32 v36, 29, v39
	;; [unrolled: 1-line block ×3, first 2 shown]
	v_add_co_u32 v33, s9, v25, -1
	s_delay_alu instid0(VALU_DEP_1)
	v_cndmask_b32_e64 v34, 0, 1, s9
	ds_load_2addr_b64 v[25:28], v71 offset0:128 offset1:160
	s_wait_loadcnt_dscnt 0x0
	s_barrier_signal -1
	s_barrier_wait -1
	v_cmp_ne_u32_e32 vcc_lo, 0, v34
	v_not_b32_e32 v34, v35
	global_inv scope:SCOPE_SE
	s_load_b32 s9, s[20:21], 0xc
	v_xor_b32_e32 v33, vcc_lo, v33
	v_cmp_gt_i32_e32 vcc_lo, 0, v35
	v_ashrrev_i32_e32 v34, 31, v34
	v_not_b32_e32 v35, v36
	s_delay_alu instid0(VALU_DEP_4) | instskip(SKIP_1) | instid1(VALU_DEP_3)
	v_and_b32_e32 v33, exec_lo, v33
	s_wait_alu 0xfffd
	v_xor_b32_e32 v34, vcc_lo, v34
	v_cmp_gt_i32_e32 vcc_lo, 0, v36
	v_ashrrev_i32_e32 v35, 31, v35
	v_not_b32_e32 v36, v37
	s_delay_alu instid0(VALU_DEP_4)
	v_and_b32_e32 v33, v33, v34
	v_lshlrev_b32_e32 v34, 27, v39
	s_wait_alu 0xfffd
	v_xor_b32_e32 v35, vcc_lo, v35
	v_cmp_gt_i32_e32 vcc_lo, 0, v37
	v_ashrrev_i32_e32 v36, 31, v36
	v_not_b32_e32 v37, v34
	s_delay_alu instid0(VALU_DEP_4)
	v_and_b32_e32 v33, v33, v35
	v_lshlrev_b32_e32 v35, 26, v39
	s_wait_alu 0xfffd
	v_xor_b32_e32 v36, vcc_lo, v36
	v_cmp_gt_i32_e32 vcc_lo, 0, v34
	v_ashrrev_i32_e32 v34, 31, v37
	s_wait_kmcnt 0x0
	s_lshr_b32 s10, s9, 16
	v_not_b32_e32 v37, v35
	v_and_b32_e32 v33, v33, v36
	v_lshlrev_b32_e32 v36, 25, v39
	s_wait_alu 0xfffd
	v_xor_b32_e32 v34, vcc_lo, v34
	v_cmp_gt_i32_e32 vcc_lo, 0, v35
	v_ashrrev_i32_e32 v35, 31, v37
	v_mad_u32_u24 v38, v70, s10, v69
	v_not_b32_e32 v37, v36
	v_and_b32_e32 v33, v33, v34
	v_lshlrev_b32_e32 v34, 24, v39
	s_wait_alu 0xfffd
	v_xor_b32_e32 v35, vcc_lo, v35
	v_cmp_gt_i32_e32 vcc_lo, 0, v36
	v_ashrrev_i32_e32 v36, 31, v37
	s_and_b32 s9, s9, 0xffff
	v_not_b32_e32 v37, v34
	v_and_b32_e32 v35, v33, v35
	s_mov_b32 s10, s8
	s_wait_alu 0xfffd
	v_xor_b32_e32 v36, vcc_lo, v36
	v_cmp_gt_i32_e32 vcc_lo, 0, v34
	v_ashrrev_i32_e32 v37, 31, v37
	s_wait_alu 0xfffe
	v_mad_co_u64_u32 v[33:34], null, v38, s9, v[44:45]
	v_and_b32_e32 v34, v35, v36
	s_mov_b32 s9, s8
	s_wait_alu 0xfffd
	v_xor_b32_e32 v40, vcc_lo, v37
	v_dual_mov_b32 v38, s11 :: v_dual_mov_b32 v37, s10
	s_wait_alu 0xfffe
	v_dual_mov_b32 v36, s9 :: v_dual_mov_b32 v35, s8
	s_delay_alu instid0(VALU_DEP_3)
	v_and_b32_e32 v34, v34, v40
	v_and_b32_e32 v39, 0xff, v39
	v_lshrrev_b32_e32 v33, 3, v33
	ds_store_b128 v66, v[35:38] offset:16
	ds_store_b128 v66, v[35:38] offset:32
	v_mbcnt_lo_u32_b32 v87, v34, 0
	v_lshlrev_b32_e32 v35, 4, v39
	v_and_b32_e32 v33, 0x1ffffffc, v33
	v_cmp_ne_u32_e64 s8, 0, v34
	s_wait_loadcnt_dscnt 0x0
	v_cmp_eq_u32_e32 vcc_lo, 0, v87
	s_barrier_signal -1
	v_add_nc_u32_e32 v88, v33, v35
	s_barrier_wait -1
	global_inv scope:SCOPE_SE
	s_and_b32 s9, s8, vcc_lo
	; wave barrier
	s_wait_alu 0xfffe
	s_and_saveexec_b32 s8, s9
; %bb.31:
	v_bcnt_u32_b32 v34, v34, 0
	ds_store_b32 v88, v34 offset:16
; %bb.32:
	s_wait_alu 0xfffe
	s_or_b32 exec_lo, exec_lo, s8
	v_and_b32_e32 v34, s15, v80
	; wave barrier
	s_delay_alu instid0(VALU_DEP_1)
	v_and_b32_e32 v36, 1, v34
	v_lshlrev_b32_e32 v37, 30, v34
	v_lshlrev_b32_e32 v38, 29, v34
	;; [unrolled: 1-line block ×4, first 2 shown]
	v_add_co_u32 v36, s8, v36, -1
	s_wait_alu 0xf1ff
	v_cndmask_b32_e64 v40, 0, 1, s8
	v_not_b32_e32 v92, v37
	v_cmp_gt_i32_e64 s8, 0, v37
	v_not_b32_e32 v37, v38
	v_lshlrev_b32_e32 v90, 26, v34
	v_cmp_ne_u32_e32 vcc_lo, 0, v40
	v_ashrrev_i32_e32 v40, 31, v92
	v_lshlrev_b32_e32 v91, 25, v34
	v_ashrrev_i32_e32 v37, 31, v37
	v_and_b32_e32 v35, 0xff, v34
	s_wait_alu 0xfffd
	v_xor_b32_e32 v36, vcc_lo, v36
	v_cmp_gt_i32_e32 vcc_lo, 0, v38
	v_not_b32_e32 v38, v39
	s_wait_alu 0xf1ff
	v_xor_b32_e32 v40, s8, v40
	v_cmp_gt_i32_e64 s8, 0, v39
	v_and_b32_e32 v36, exec_lo, v36
	v_not_b32_e32 v39, v89
	v_ashrrev_i32_e32 v38, 31, v38
	s_wait_alu 0xfffd
	v_xor_b32_e32 v37, vcc_lo, v37
	v_cmp_gt_i32_e32 vcc_lo, 0, v89
	v_and_b32_e32 v36, v36, v40
	v_not_b32_e32 v40, v90
	v_ashrrev_i32_e32 v39, 31, v39
	s_wait_alu 0xf1ff
	v_xor_b32_e32 v38, s8, v38
	v_lshlrev_b32_e32 v34, 24, v34
	v_and_b32_e32 v36, v36, v37
	v_cmp_gt_i32_e64 s8, 0, v90
	v_not_b32_e32 v37, v91
	v_ashrrev_i32_e32 v40, 31, v40
	s_wait_alu 0xfffd
	v_xor_b32_e32 v39, vcc_lo, v39
	v_and_b32_e32 v36, v36, v38
	v_cmp_gt_i32_e32 vcc_lo, 0, v91
	v_not_b32_e32 v38, v34
	v_ashrrev_i32_e32 v37, 31, v37
	s_wait_alu 0xf1ff
	v_xor_b32_e32 v40, s8, v40
	v_and_b32_e32 v36, v36, v39
	v_lshlrev_b32_e32 v35, 4, v35
	v_cmp_gt_i32_e64 s8, 0, v34
	v_ashrrev_i32_e32 v34, 31, v38
	s_wait_alu 0xfffd
	v_xor_b32_e32 v37, vcc_lo, v37
	v_and_b32_e32 v36, v36, v40
	v_add_nc_u32_e32 v91, v33, v35
	s_wait_alu 0xf1ff
	v_xor_b32_e32 v34, s8, v34
	s_delay_alu instid0(VALU_DEP_3) | instskip(SKIP_2) | instid1(VALU_DEP_1)
	v_and_b32_e32 v35, v36, v37
	ds_load_b32 v89, v91 offset:16
	; wave barrier
	v_and_b32_e32 v34, v35, v34
	v_mbcnt_lo_u32_b32 v90, v34, 0
	v_cmp_ne_u32_e64 s8, 0, v34
	s_delay_alu instid0(VALU_DEP_2)
	v_cmp_eq_u32_e32 vcc_lo, 0, v90
	s_and_b32 s9, s8, vcc_lo
	s_wait_alu 0xfffe
	s_and_saveexec_b32 s8, s9
	s_cbranch_execz .LBB107_34
; %bb.33:
	s_wait_dscnt 0x0
	v_bcnt_u32_b32 v34, v34, v89
	ds_store_b32 v91, v34 offset:16
.LBB107_34:
	s_wait_alu 0xfffe
	s_or_b32 exec_lo, exec_lo, s8
	v_and_b32_e32 v34, s15, v81
	; wave barrier
	s_delay_alu instid0(VALU_DEP_1)
	v_and_b32_e32 v36, 1, v34
	v_lshlrev_b32_e32 v37, 30, v34
	v_lshlrev_b32_e32 v38, 29, v34
	;; [unrolled: 1-line block ×4, first 2 shown]
	v_add_co_u32 v36, s8, v36, -1
	s_wait_alu 0xf1ff
	v_cndmask_b32_e64 v40, 0, 1, s8
	v_not_b32_e32 v95, v37
	v_cmp_gt_i32_e64 s8, 0, v37
	v_not_b32_e32 v37, v38
	v_lshlrev_b32_e32 v93, 26, v34
	v_cmp_ne_u32_e32 vcc_lo, 0, v40
	v_ashrrev_i32_e32 v40, 31, v95
	v_lshlrev_b32_e32 v94, 25, v34
	v_ashrrev_i32_e32 v37, 31, v37
	v_and_b32_e32 v35, 0xff, v34
	s_wait_alu 0xfffd
	v_xor_b32_e32 v36, vcc_lo, v36
	v_cmp_gt_i32_e32 vcc_lo, 0, v38
	v_not_b32_e32 v38, v39
	s_wait_alu 0xf1ff
	v_xor_b32_e32 v40, s8, v40
	v_cmp_gt_i32_e64 s8, 0, v39
	v_and_b32_e32 v36, exec_lo, v36
	v_not_b32_e32 v39, v92
	v_ashrrev_i32_e32 v38, 31, v38
	s_wait_alu 0xfffd
	v_xor_b32_e32 v37, vcc_lo, v37
	v_cmp_gt_i32_e32 vcc_lo, 0, v92
	v_and_b32_e32 v36, v36, v40
	v_not_b32_e32 v40, v93
	v_ashrrev_i32_e32 v39, 31, v39
	s_wait_alu 0xf1ff
	v_xor_b32_e32 v38, s8, v38
	v_lshlrev_b32_e32 v34, 24, v34
	v_and_b32_e32 v36, v36, v37
	v_cmp_gt_i32_e64 s8, 0, v93
	v_not_b32_e32 v37, v94
	v_ashrrev_i32_e32 v40, 31, v40
	s_wait_alu 0xfffd
	v_xor_b32_e32 v39, vcc_lo, v39
	v_and_b32_e32 v36, v36, v38
	v_cmp_gt_i32_e32 vcc_lo, 0, v94
	v_not_b32_e32 v38, v34
	v_ashrrev_i32_e32 v37, 31, v37
	s_wait_alu 0xf1ff
	v_xor_b32_e32 v40, s8, v40
	v_and_b32_e32 v36, v36, v39
	v_lshlrev_b32_e32 v35, 4, v35
	v_cmp_gt_i32_e64 s8, 0, v34
	v_ashrrev_i32_e32 v34, 31, v38
	s_wait_alu 0xfffd
	v_xor_b32_e32 v37, vcc_lo, v37
	v_and_b32_e32 v36, v36, v40
	v_add_nc_u32_e32 v94, v33, v35
	s_wait_alu 0xf1ff
	v_xor_b32_e32 v34, s8, v34
	s_delay_alu instid0(VALU_DEP_3) | instskip(SKIP_2) | instid1(VALU_DEP_1)
	v_and_b32_e32 v35, v36, v37
	ds_load_b32 v92, v94 offset:16
	; wave barrier
	v_and_b32_e32 v34, v35, v34
	v_mbcnt_lo_u32_b32 v93, v34, 0
	v_cmp_ne_u32_e64 s8, 0, v34
	s_delay_alu instid0(VALU_DEP_2)
	v_cmp_eq_u32_e32 vcc_lo, 0, v93
	s_and_b32 s9, s8, vcc_lo
	s_wait_alu 0xfffe
	s_and_saveexec_b32 s8, s9
	s_cbranch_execz .LBB107_36
; %bb.35:
	s_wait_dscnt 0x0
	v_bcnt_u32_b32 v34, v34, v92
	ds_store_b32 v94, v34 offset:16
.LBB107_36:
	s_wait_alu 0xfffe
	s_or_b32 exec_lo, exec_lo, s8
	v_and_b32_e32 v34, s15, v82
	; wave barrier
	s_delay_alu instid0(VALU_DEP_1)
	v_and_b32_e32 v36, 1, v34
	v_lshlrev_b32_e32 v37, 30, v34
	v_lshlrev_b32_e32 v38, 29, v34
	;; [unrolled: 1-line block ×4, first 2 shown]
	v_add_co_u32 v36, s8, v36, -1
	s_wait_alu 0xf1ff
	v_cndmask_b32_e64 v40, 0, 1, s8
	v_not_b32_e32 v98, v37
	v_cmp_gt_i32_e64 s8, 0, v37
	v_not_b32_e32 v37, v38
	v_lshlrev_b32_e32 v96, 26, v34
	v_cmp_ne_u32_e32 vcc_lo, 0, v40
	v_ashrrev_i32_e32 v40, 31, v98
	v_lshlrev_b32_e32 v97, 25, v34
	v_ashrrev_i32_e32 v37, 31, v37
	v_and_b32_e32 v35, 0xff, v34
	s_wait_alu 0xfffd
	v_xor_b32_e32 v36, vcc_lo, v36
	v_cmp_gt_i32_e32 vcc_lo, 0, v38
	v_not_b32_e32 v38, v39
	s_wait_alu 0xf1ff
	v_xor_b32_e32 v40, s8, v40
	v_cmp_gt_i32_e64 s8, 0, v39
	v_and_b32_e32 v36, exec_lo, v36
	v_not_b32_e32 v39, v95
	v_ashrrev_i32_e32 v38, 31, v38
	s_wait_alu 0xfffd
	v_xor_b32_e32 v37, vcc_lo, v37
	v_cmp_gt_i32_e32 vcc_lo, 0, v95
	v_and_b32_e32 v36, v36, v40
	v_not_b32_e32 v40, v96
	v_ashrrev_i32_e32 v39, 31, v39
	s_wait_alu 0xf1ff
	v_xor_b32_e32 v38, s8, v38
	v_lshlrev_b32_e32 v34, 24, v34
	v_and_b32_e32 v36, v36, v37
	v_cmp_gt_i32_e64 s8, 0, v96
	v_not_b32_e32 v37, v97
	v_ashrrev_i32_e32 v40, 31, v40
	s_wait_alu 0xfffd
	v_xor_b32_e32 v39, vcc_lo, v39
	v_and_b32_e32 v36, v36, v38
	v_cmp_gt_i32_e32 vcc_lo, 0, v97
	v_not_b32_e32 v38, v34
	v_ashrrev_i32_e32 v37, 31, v37
	s_wait_alu 0xf1ff
	v_xor_b32_e32 v40, s8, v40
	v_and_b32_e32 v36, v36, v39
	v_lshlrev_b32_e32 v35, 4, v35
	v_cmp_gt_i32_e64 s8, 0, v34
	v_ashrrev_i32_e32 v34, 31, v38
	s_wait_alu 0xfffd
	v_xor_b32_e32 v37, vcc_lo, v37
	v_and_b32_e32 v36, v36, v40
	v_add_nc_u32_e32 v97, v33, v35
	s_wait_alu 0xf1ff
	v_xor_b32_e32 v34, s8, v34
	s_delay_alu instid0(VALU_DEP_3) | instskip(SKIP_2) | instid1(VALU_DEP_1)
	v_and_b32_e32 v35, v36, v37
	ds_load_b32 v95, v97 offset:16
	; wave barrier
	v_and_b32_e32 v34, v35, v34
	v_mbcnt_lo_u32_b32 v96, v34, 0
	v_cmp_ne_u32_e64 s8, 0, v34
	s_delay_alu instid0(VALU_DEP_2)
	v_cmp_eq_u32_e32 vcc_lo, 0, v96
	s_and_b32 s9, s8, vcc_lo
	s_wait_alu 0xfffe
	s_and_saveexec_b32 s8, s9
	s_cbranch_execz .LBB107_38
; %bb.37:
	s_wait_dscnt 0x0
	v_bcnt_u32_b32 v34, v34, v95
	ds_store_b32 v97, v34 offset:16
.LBB107_38:
	s_wait_alu 0xfffe
	s_or_b32 exec_lo, exec_lo, s8
	v_and_b32_e32 v34, s15, v83
	; wave barrier
	s_delay_alu instid0(VALU_DEP_1)
	v_and_b32_e32 v36, 1, v34
	v_lshlrev_b32_e32 v37, 30, v34
	v_lshlrev_b32_e32 v38, 29, v34
	;; [unrolled: 1-line block ×4, first 2 shown]
	v_add_co_u32 v36, s8, v36, -1
	s_wait_alu 0xf1ff
	v_cndmask_b32_e64 v40, 0, 1, s8
	v_not_b32_e32 v101, v37
	v_cmp_gt_i32_e64 s8, 0, v37
	v_not_b32_e32 v37, v38
	v_lshlrev_b32_e32 v99, 26, v34
	v_cmp_ne_u32_e32 vcc_lo, 0, v40
	v_ashrrev_i32_e32 v40, 31, v101
	v_lshlrev_b32_e32 v100, 25, v34
	v_ashrrev_i32_e32 v37, 31, v37
	v_and_b32_e32 v35, 0xff, v34
	s_wait_alu 0xfffd
	v_xor_b32_e32 v36, vcc_lo, v36
	v_cmp_gt_i32_e32 vcc_lo, 0, v38
	v_not_b32_e32 v38, v39
	s_wait_alu 0xf1ff
	v_xor_b32_e32 v40, s8, v40
	v_cmp_gt_i32_e64 s8, 0, v39
	v_and_b32_e32 v36, exec_lo, v36
	v_not_b32_e32 v39, v98
	v_ashrrev_i32_e32 v38, 31, v38
	s_wait_alu 0xfffd
	v_xor_b32_e32 v37, vcc_lo, v37
	v_cmp_gt_i32_e32 vcc_lo, 0, v98
	v_and_b32_e32 v36, v36, v40
	v_not_b32_e32 v40, v99
	v_ashrrev_i32_e32 v39, 31, v39
	s_wait_alu 0xf1ff
	v_xor_b32_e32 v38, s8, v38
	v_lshlrev_b32_e32 v34, 24, v34
	v_and_b32_e32 v36, v36, v37
	v_cmp_gt_i32_e64 s8, 0, v99
	v_not_b32_e32 v37, v100
	v_ashrrev_i32_e32 v40, 31, v40
	s_wait_alu 0xfffd
	v_xor_b32_e32 v39, vcc_lo, v39
	v_and_b32_e32 v36, v36, v38
	v_cmp_gt_i32_e32 vcc_lo, 0, v100
	v_not_b32_e32 v38, v34
	v_ashrrev_i32_e32 v37, 31, v37
	s_wait_alu 0xf1ff
	v_xor_b32_e32 v40, s8, v40
	v_and_b32_e32 v36, v36, v39
	v_lshlrev_b32_e32 v35, 4, v35
	v_cmp_gt_i32_e64 s8, 0, v34
	v_ashrrev_i32_e32 v34, 31, v38
	s_wait_alu 0xfffd
	v_xor_b32_e32 v37, vcc_lo, v37
	v_and_b32_e32 v36, v36, v40
	v_add_nc_u32_e32 v100, v33, v35
	s_wait_alu 0xf1ff
	v_xor_b32_e32 v34, s8, v34
	s_delay_alu instid0(VALU_DEP_3) | instskip(SKIP_2) | instid1(VALU_DEP_1)
	v_and_b32_e32 v35, v36, v37
	ds_load_b32 v98, v100 offset:16
	; wave barrier
	v_and_b32_e32 v34, v35, v34
	v_mbcnt_lo_u32_b32 v99, v34, 0
	v_cmp_ne_u32_e64 s8, 0, v34
	s_delay_alu instid0(VALU_DEP_2)
	v_cmp_eq_u32_e32 vcc_lo, 0, v99
	s_and_b32 s9, s8, vcc_lo
	s_wait_alu 0xfffe
	s_and_saveexec_b32 s8, s9
	s_cbranch_execz .LBB107_40
; %bb.39:
	s_wait_dscnt 0x0
	v_bcnt_u32_b32 v34, v34, v98
	ds_store_b32 v100, v34 offset:16
.LBB107_40:
	s_wait_alu 0xfffe
	s_or_b32 exec_lo, exec_lo, s8
	v_and_b32_e32 v34, s15, v84
	; wave barrier
	s_delay_alu instid0(VALU_DEP_1)
	v_and_b32_e32 v36, 1, v34
	v_lshlrev_b32_e32 v37, 30, v34
	v_lshlrev_b32_e32 v38, 29, v34
	v_lshlrev_b32_e32 v39, 28, v34
	v_lshlrev_b32_e32 v101, 27, v34
	v_add_co_u32 v36, s8, v36, -1
	s_wait_alu 0xf1ff
	v_cndmask_b32_e64 v40, 0, 1, s8
	v_not_b32_e32 v104, v37
	v_cmp_gt_i32_e64 s8, 0, v37
	v_not_b32_e32 v37, v38
	v_lshlrev_b32_e32 v102, 26, v34
	v_cmp_ne_u32_e32 vcc_lo, 0, v40
	v_ashrrev_i32_e32 v40, 31, v104
	v_lshlrev_b32_e32 v103, 25, v34
	v_ashrrev_i32_e32 v37, 31, v37
	v_and_b32_e32 v35, 0xff, v34
	s_wait_alu 0xfffd
	v_xor_b32_e32 v36, vcc_lo, v36
	v_cmp_gt_i32_e32 vcc_lo, 0, v38
	v_not_b32_e32 v38, v39
	s_wait_alu 0xf1ff
	v_xor_b32_e32 v40, s8, v40
	v_cmp_gt_i32_e64 s8, 0, v39
	v_and_b32_e32 v36, exec_lo, v36
	v_not_b32_e32 v39, v101
	v_ashrrev_i32_e32 v38, 31, v38
	s_wait_alu 0xfffd
	v_xor_b32_e32 v37, vcc_lo, v37
	v_cmp_gt_i32_e32 vcc_lo, 0, v101
	v_and_b32_e32 v36, v36, v40
	v_not_b32_e32 v40, v102
	v_ashrrev_i32_e32 v39, 31, v39
	s_wait_alu 0xf1ff
	v_xor_b32_e32 v38, s8, v38
	v_lshlrev_b32_e32 v34, 24, v34
	v_and_b32_e32 v36, v36, v37
	v_cmp_gt_i32_e64 s8, 0, v102
	v_not_b32_e32 v37, v103
	v_ashrrev_i32_e32 v40, 31, v40
	s_wait_alu 0xfffd
	v_xor_b32_e32 v39, vcc_lo, v39
	v_and_b32_e32 v36, v36, v38
	v_cmp_gt_i32_e32 vcc_lo, 0, v103
	v_not_b32_e32 v38, v34
	v_ashrrev_i32_e32 v37, 31, v37
	s_wait_alu 0xf1ff
	v_xor_b32_e32 v40, s8, v40
	v_and_b32_e32 v36, v36, v39
	v_lshlrev_b32_e32 v35, 4, v35
	v_cmp_gt_i32_e64 s8, 0, v34
	v_ashrrev_i32_e32 v34, 31, v38
	s_wait_alu 0xfffd
	v_xor_b32_e32 v37, vcc_lo, v37
	v_and_b32_e32 v36, v36, v40
	v_add_nc_u32_e32 v103, v33, v35
	s_wait_alu 0xf1ff
	v_xor_b32_e32 v34, s8, v34
	s_delay_alu instid0(VALU_DEP_3) | instskip(SKIP_2) | instid1(VALU_DEP_1)
	v_and_b32_e32 v35, v36, v37
	ds_load_b32 v101, v103 offset:16
	; wave barrier
	v_and_b32_e32 v34, v35, v34
	v_mbcnt_lo_u32_b32 v102, v34, 0
	v_cmp_ne_u32_e64 s8, 0, v34
	s_delay_alu instid0(VALU_DEP_2)
	v_cmp_eq_u32_e32 vcc_lo, 0, v102
	s_and_b32 s9, s8, vcc_lo
	s_wait_alu 0xfffe
	s_and_saveexec_b32 s8, s9
	s_cbranch_execz .LBB107_42
; %bb.41:
	s_wait_dscnt 0x0
	v_bcnt_u32_b32 v34, v34, v101
	ds_store_b32 v103, v34 offset:16
.LBB107_42:
	s_wait_alu 0xfffe
	s_or_b32 exec_lo, exec_lo, s8
	v_and_b32_e32 v34, s15, v85
	; wave barrier
	s_delay_alu instid0(VALU_DEP_1)
	v_and_b32_e32 v36, 1, v34
	v_lshlrev_b32_e32 v37, 30, v34
	v_lshlrev_b32_e32 v38, 29, v34
	;; [unrolled: 1-line block ×4, first 2 shown]
	v_add_co_u32 v36, s8, v36, -1
	s_wait_alu 0xf1ff
	v_cndmask_b32_e64 v40, 0, 1, s8
	v_not_b32_e32 v107, v37
	v_cmp_gt_i32_e64 s8, 0, v37
	v_not_b32_e32 v37, v38
	v_lshlrev_b32_e32 v105, 26, v34
	v_cmp_ne_u32_e32 vcc_lo, 0, v40
	v_ashrrev_i32_e32 v40, 31, v107
	v_lshlrev_b32_e32 v106, 25, v34
	v_ashrrev_i32_e32 v37, 31, v37
	v_and_b32_e32 v35, 0xff, v34
	s_wait_alu 0xfffd
	v_xor_b32_e32 v36, vcc_lo, v36
	v_cmp_gt_i32_e32 vcc_lo, 0, v38
	v_not_b32_e32 v38, v39
	s_wait_alu 0xf1ff
	v_xor_b32_e32 v40, s8, v40
	v_cmp_gt_i32_e64 s8, 0, v39
	v_and_b32_e32 v36, exec_lo, v36
	v_not_b32_e32 v39, v104
	v_ashrrev_i32_e32 v38, 31, v38
	s_wait_alu 0xfffd
	v_xor_b32_e32 v37, vcc_lo, v37
	v_cmp_gt_i32_e32 vcc_lo, 0, v104
	v_and_b32_e32 v36, v36, v40
	v_not_b32_e32 v40, v105
	v_ashrrev_i32_e32 v39, 31, v39
	s_wait_alu 0xf1ff
	v_xor_b32_e32 v38, s8, v38
	v_lshlrev_b32_e32 v34, 24, v34
	v_and_b32_e32 v36, v36, v37
	v_cmp_gt_i32_e64 s8, 0, v105
	v_not_b32_e32 v37, v106
	v_ashrrev_i32_e32 v40, 31, v40
	s_wait_alu 0xfffd
	v_xor_b32_e32 v39, vcc_lo, v39
	v_and_b32_e32 v36, v36, v38
	v_cmp_gt_i32_e32 vcc_lo, 0, v106
	v_not_b32_e32 v38, v34
	v_ashrrev_i32_e32 v37, 31, v37
	s_wait_alu 0xf1ff
	v_xor_b32_e32 v40, s8, v40
	v_and_b32_e32 v36, v36, v39
	v_lshlrev_b32_e32 v35, 4, v35
	v_cmp_gt_i32_e64 s8, 0, v34
	v_ashrrev_i32_e32 v34, 31, v38
	s_wait_alu 0xfffd
	v_xor_b32_e32 v37, vcc_lo, v37
	v_and_b32_e32 v36, v36, v40
	v_add_nc_u32_e32 v106, v33, v35
	s_wait_alu 0xf1ff
	v_xor_b32_e32 v34, s8, v34
	s_delay_alu instid0(VALU_DEP_3) | instskip(SKIP_2) | instid1(VALU_DEP_1)
	v_and_b32_e32 v35, v36, v37
	ds_load_b32 v104, v106 offset:16
	; wave barrier
	v_and_b32_e32 v34, v35, v34
	v_mbcnt_lo_u32_b32 v105, v34, 0
	v_cmp_ne_u32_e64 s8, 0, v34
	s_delay_alu instid0(VALU_DEP_2)
	v_cmp_eq_u32_e32 vcc_lo, 0, v105
	s_and_b32 s9, s8, vcc_lo
	s_wait_alu 0xfffe
	s_and_saveexec_b32 s8, s9
	s_cbranch_execz .LBB107_44
; %bb.43:
	s_wait_dscnt 0x0
	v_bcnt_u32_b32 v34, v34, v104
	ds_store_b32 v106, v34 offset:16
.LBB107_44:
	s_wait_alu 0xfffe
	s_or_b32 exec_lo, exec_lo, s8
	v_and_b32_e32 v34, s15, v86
	; wave barrier
	s_delay_alu instid0(VALU_DEP_1)
	v_and_b32_e32 v36, 1, v34
	v_lshlrev_b32_e32 v37, 30, v34
	v_lshlrev_b32_e32 v38, 29, v34
	;; [unrolled: 1-line block ×4, first 2 shown]
	v_add_co_u32 v36, s8, v36, -1
	s_wait_alu 0xf1ff
	v_cndmask_b32_e64 v40, 0, 1, s8
	v_not_b32_e32 v110, v37
	v_cmp_gt_i32_e64 s8, 0, v37
	v_not_b32_e32 v37, v38
	v_lshlrev_b32_e32 v108, 26, v34
	v_cmp_ne_u32_e32 vcc_lo, 0, v40
	v_ashrrev_i32_e32 v40, 31, v110
	v_lshlrev_b32_e32 v109, 25, v34
	v_ashrrev_i32_e32 v37, 31, v37
	v_and_b32_e32 v35, 0xff, v34
	s_wait_alu 0xfffd
	v_xor_b32_e32 v36, vcc_lo, v36
	v_cmp_gt_i32_e32 vcc_lo, 0, v38
	v_not_b32_e32 v38, v39
	s_wait_alu 0xf1ff
	v_xor_b32_e32 v40, s8, v40
	v_cmp_gt_i32_e64 s8, 0, v39
	v_and_b32_e32 v36, exec_lo, v36
	v_not_b32_e32 v39, v107
	v_ashrrev_i32_e32 v38, 31, v38
	s_wait_alu 0xfffd
	v_xor_b32_e32 v37, vcc_lo, v37
	v_cmp_gt_i32_e32 vcc_lo, 0, v107
	v_and_b32_e32 v36, v36, v40
	v_not_b32_e32 v40, v108
	v_ashrrev_i32_e32 v39, 31, v39
	s_wait_alu 0xf1ff
	v_xor_b32_e32 v38, s8, v38
	v_lshlrev_b32_e32 v34, 24, v34
	v_and_b32_e32 v36, v36, v37
	v_cmp_gt_i32_e64 s8, 0, v108
	v_not_b32_e32 v37, v109
	v_ashrrev_i32_e32 v40, 31, v40
	s_wait_alu 0xfffd
	v_xor_b32_e32 v39, vcc_lo, v39
	v_and_b32_e32 v36, v36, v38
	v_cmp_gt_i32_e32 vcc_lo, 0, v109
	v_not_b32_e32 v38, v34
	v_ashrrev_i32_e32 v37, 31, v37
	s_wait_alu 0xf1ff
	v_xor_b32_e32 v40, s8, v40
	v_and_b32_e32 v36, v36, v39
	v_lshlrev_b32_e32 v35, 4, v35
	v_cmp_gt_i32_e64 s8, 0, v34
	v_ashrrev_i32_e32 v34, 31, v38
	s_wait_alu 0xfffd
	v_xor_b32_e32 v37, vcc_lo, v37
	v_and_b32_e32 v36, v36, v40
	v_add_nc_u32_e32 v109, v33, v35
	s_wait_alu 0xf1ff
	v_xor_b32_e32 v33, s8, v34
	s_delay_alu instid0(VALU_DEP_3) | instskip(SKIP_2) | instid1(VALU_DEP_1)
	v_and_b32_e32 v34, v36, v37
	ds_load_b32 v107, v109 offset:16
	; wave barrier
	v_and_b32_e32 v33, v34, v33
	v_mbcnt_lo_u32_b32 v108, v33, 0
	v_cmp_ne_u32_e64 s8, 0, v33
	s_delay_alu instid0(VALU_DEP_2)
	v_cmp_eq_u32_e32 vcc_lo, 0, v108
	s_and_b32 s9, s8, vcc_lo
	s_wait_alu 0xfffe
	s_and_saveexec_b32 s8, s9
	s_cbranch_execz .LBB107_46
; %bb.45:
	s_wait_dscnt 0x0
	v_bcnt_u32_b32 v33, v33, v107
	ds_store_b32 v109, v33 offset:16
.LBB107_46:
	s_wait_alu 0xfffe
	s_or_b32 exec_lo, exec_lo, s8
	; wave barrier
	s_wait_loadcnt_dscnt 0x0
	s_barrier_signal -1
	s_barrier_wait -1
	global_inv scope:SCOPE_SE
	ds_load_b128 v[37:40], v66 offset:16
	ds_load_b128 v[33:36], v66 offset:32
	v_min_u32_e32 v112, 0x60, v68
	s_mov_b32 s8, exec_lo
	s_wait_dscnt 0x1
	v_add_nc_u32_e32 v110, v38, v37
	s_delay_alu instid0(VALU_DEP_1) | instskip(SKIP_1) | instid1(VALU_DEP_1)
	v_add3_u32 v110, v110, v39, v40
	s_wait_dscnt 0x0
	v_add3_u32 v110, v110, v33, v34
	s_delay_alu instid0(VALU_DEP_1) | instskip(SKIP_1) | instid1(VALU_DEP_2)
	v_add3_u32 v36, v110, v35, v36
	v_and_b32_e32 v110, 15, v67
	v_mov_b32_dpp v111, v36 row_shr:1 row_mask:0xf bank_mask:0xf
	s_delay_alu instid0(VALU_DEP_2) | instskip(SKIP_1) | instid1(VALU_DEP_2)
	v_cmp_ne_u32_e32 vcc_lo, 0, v110
	s_wait_alu 0xfffd
	v_cndmask_b32_e32 v111, 0, v111, vcc_lo
	v_cmp_lt_u32_e32 vcc_lo, 1, v110
	s_delay_alu instid0(VALU_DEP_2) | instskip(NEXT) | instid1(VALU_DEP_1)
	v_add_nc_u32_e32 v36, v111, v36
	v_mov_b32_dpp v111, v36 row_shr:2 row_mask:0xf bank_mask:0xf
	s_wait_alu 0xfffd
	s_delay_alu instid0(VALU_DEP_1) | instskip(SKIP_1) | instid1(VALU_DEP_2)
	v_cndmask_b32_e32 v111, 0, v111, vcc_lo
	v_cmp_lt_u32_e32 vcc_lo, 3, v110
	v_add_nc_u32_e32 v36, v36, v111
	s_delay_alu instid0(VALU_DEP_1) | instskip(SKIP_1) | instid1(VALU_DEP_1)
	v_mov_b32_dpp v111, v36 row_shr:4 row_mask:0xf bank_mask:0xf
	s_wait_alu 0xfffd
	v_cndmask_b32_e32 v111, 0, v111, vcc_lo
	v_cmp_lt_u32_e32 vcc_lo, 7, v110
	s_delay_alu instid0(VALU_DEP_2) | instskip(NEXT) | instid1(VALU_DEP_1)
	v_add_nc_u32_e32 v36, v36, v111
	v_mov_b32_dpp v111, v36 row_shr:8 row_mask:0xf bank_mask:0xf
	s_wait_alu 0xfffd
	s_delay_alu instid0(VALU_DEP_1) | instskip(SKIP_1) | instid1(VALU_DEP_2)
	v_cndmask_b32_e32 v110, 0, v111, vcc_lo
	v_bfe_i32 v111, v67, 4, 1
	v_add_nc_u32_e32 v36, v36, v110
	ds_swizzle_b32 v110, v36 offset:swizzle(BROADCAST,32,15)
	s_wait_dscnt 0x0
	v_and_b32_e32 v110, v111, v110
	v_or_b32_e32 v111, 31, v112
	s_delay_alu instid0(VALU_DEP_2) | instskip(NEXT) | instid1(VALU_DEP_2)
	v_add_nc_u32_e32 v36, v36, v110
	v_cmpx_eq_u32_e64 v44, v111
; %bb.47:
	v_lshlrev_b32_e32 v110, 2, v65
	ds_store_b32 v110, v36
; %bb.48:
	s_wait_alu 0xfffe
	s_or_b32 exec_lo, exec_lo, s8
	s_delay_alu instid0(SALU_CYCLE_1)
	s_mov_b32 s8, exec_lo
	s_wait_loadcnt_dscnt 0x0
	s_barrier_signal -1
	s_barrier_wait -1
	global_inv scope:SCOPE_SE
	v_cmpx_gt_u32_e32 4, v44
	s_cbranch_execz .LBB107_50
; %bb.49:
	v_and_b32_e32 v112, 3, v67
	s_delay_alu instid0(VALU_DEP_1)
	v_cmp_ne_u32_e32 vcc_lo, 0, v112
	v_lshlrev_b32_e32 v110, 2, v44
	ds_load_b32 v111, v110
	s_wait_dscnt 0x0
	v_mov_b32_dpp v113, v111 row_shr:1 row_mask:0xf bank_mask:0xf
	s_wait_alu 0xfffd
	s_delay_alu instid0(VALU_DEP_1) | instskip(SKIP_1) | instid1(VALU_DEP_2)
	v_cndmask_b32_e32 v113, 0, v113, vcc_lo
	v_cmp_lt_u32_e32 vcc_lo, 1, v112
	v_add_nc_u32_e32 v111, v113, v111
	s_delay_alu instid0(VALU_DEP_1) | instskip(SKIP_1) | instid1(VALU_DEP_1)
	v_mov_b32_dpp v113, v111 row_shr:2 row_mask:0xf bank_mask:0xf
	s_wait_alu 0xfffd
	v_cndmask_b32_e32 v112, 0, v113, vcc_lo
	s_delay_alu instid0(VALU_DEP_1)
	v_add_nc_u32_e32 v111, v111, v112
	ds_store_b32 v110, v111
.LBB107_50:
	s_wait_alu 0xfffe
	s_or_b32 exec_lo, exec_lo, s8
	v_mov_b32_e32 v110, 0
	s_mov_b32 s8, exec_lo
	s_wait_loadcnt_dscnt 0x0
	s_barrier_signal -1
	s_barrier_wait -1
	global_inv scope:SCOPE_SE
	v_cmpx_lt_u32_e32 31, v44
; %bb.51:
	v_lshl_add_u32 v110, v65, 2, -4
	ds_load_b32 v110, v110
; %bb.52:
	s_wait_alu 0xfffe
	s_or_b32 exec_lo, exec_lo, s8
	v_sub_co_u32 v111, vcc_lo, v67, 1
	s_wait_dscnt 0x0
	v_add_nc_u32_e32 v36, v110, v36
	s_delay_alu instid0(VALU_DEP_2) | instskip(SKIP_1) | instid1(VALU_DEP_1)
	v_cmp_gt_i32_e64 s8, 0, v111
	s_wait_alu 0xf1ff
	v_cndmask_b32_e64 v111, v111, v67, s8
	s_delay_alu instid0(VALU_DEP_1)
	v_lshlrev_b32_e32 v111, 2, v111
	ds_bpermute_b32 v36, v111, v36
	s_wait_dscnt 0x0
	s_wait_alu 0xfffd
	v_cndmask_b32_e32 v36, v36, v110, vcc_lo
	v_cmp_ne_u32_e32 vcc_lo, 0, v44
	s_wait_alu 0xfffd
	s_delay_alu instid0(VALU_DEP_2) | instskip(NEXT) | instid1(VALU_DEP_1)
	v_cndmask_b32_e32 v36, 0, v36, vcc_lo
	v_add_nc_u32_e32 v37, v36, v37
	s_delay_alu instid0(VALU_DEP_1) | instskip(NEXT) | instid1(VALU_DEP_1)
	v_add_nc_u32_e32 v38, v37, v38
	v_add_nc_u32_e32 v39, v38, v39
	s_delay_alu instid0(VALU_DEP_1) | instskip(NEXT) | instid1(VALU_DEP_1)
	v_add_nc_u32_e32 v110, v39, v40
	;; [unrolled: 3-line block ×3, first 2 shown]
	v_add_nc_u32_e32 v113, v112, v35
	ds_store_b128 v66, v[36:39] offset:16
	ds_store_b128 v66, v[110:113] offset:32
	s_wait_loadcnt_dscnt 0x0
	s_barrier_signal -1
	s_barrier_wait -1
	global_inv scope:SCOPE_SE
	ds_load_b32 v33, v88 offset:16
	ds_load_b32 v34, v91 offset:16
	;; [unrolled: 1-line block ×8, first 2 shown]
	s_wait_loadcnt_dscnt 0x0
	s_barrier_signal -1
	s_barrier_wait -1
	global_inv scope:SCOPE_SE
	v_mad_u32_u24 v88, v44, 56, v60
	v_add_nc_u32_e32 v33, v33, v87
	v_add3_u32 v34, v90, v89, v34
	v_add3_u32 v35, v93, v92, v35
	;; [unrolled: 1-line block ×7, first 2 shown]
	ds_store_b8 v33, v0
	ds_store_b8 v34, v80
	;; [unrolled: 1-line block ×8, first 2 shown]
	s_wait_loadcnt_dscnt 0x0
	s_barrier_signal -1
	s_barrier_wait -1
	global_inv scope:SCOPE_SE
	v_lshlrev_b32_e32 v0, 3, v33
	v_lshlrev_b32_e32 v80, 3, v34
	ds_load_b64 v[33:34], v60
	v_lshlrev_b32_e32 v35, 3, v35
	v_lshlrev_b32_e32 v36, 3, v36
	;; [unrolled: 1-line block ×6, first 2 shown]
	s_wait_loadcnt_dscnt 0x0
	s_barrier_signal -1
	s_barrier_wait -1
	global_inv scope:SCOPE_SE
	ds_store_b64 v0, v[21:22]
	ds_store_b64 v80, v[23:24]
	ds_store_b64 v35, v[17:18]
	ds_store_b64 v36, v[19:20]
	ds_store_b64 v37, v[25:26]
	ds_store_b64 v38, v[27:28]
	ds_store_b64 v39, v[29:30]
	ds_store_b64 v40, v[31:32]
	s_wait_loadcnt_dscnt 0x0
	s_barrier_signal -1
	s_barrier_wait -1
	global_inv scope:SCOPE_SE
	ds_load_b128 v[21:24], v88
	ds_load_b128 v[17:20], v88 offset:16
	v_lshrrev_b32_e32 v0, 16, v33
	v_xor_b32_e32 v25, 0x80, v33
	v_lshrrev_b32_e32 v26, 16, v34
	v_and_b32_e32 v35, 0xffffff00, v34
	v_xor_b32_e32 v27, 0x80, v34
	v_and_b32_e32 v33, 0xffffff00, v33
	v_and_b32_e32 v34, 0xff, v25
	v_xor_b32_e32 v25, 0x80, v0
	v_xor_b32_e32 v28, 0x80, v26
	v_and_b32_e32 v0, 0xffffff00, v0
	v_and_b32_e32 v36, 0xff, v27
	;; [unrolled: 1-line block ×5, first 2 shown]
	ds_load_b128 v[29:32], v88 offset:32
	ds_load_b128 v[25:28], v88 offset:48
	v_or_b32_e32 v33, v34, v33
	v_or_b32_e32 v34, v36, v35
	;; [unrolled: 1-line block ×4, first 2 shown]
	s_delay_alu instid0(VALU_DEP_4) | instskip(NEXT) | instid1(VALU_DEP_4)
	v_add_nc_u16 v33, 0x8000, v33
	v_add_nc_u16 v34, 0x8000, v34
	s_delay_alu instid0(VALU_DEP_4) | instskip(NEXT) | instid1(VALU_DEP_4)
	v_add_nc_u16 v0, 0x8000, v0
	v_add_nc_u16 v35, 0x8000, v35
	s_delay_alu instid0(VALU_DEP_4) | instskip(NEXT) | instid1(VALU_DEP_4)
	v_and_b32_e32 v33, 0xffff, v33
	v_and_b32_e32 v34, 0xffff, v34
	s_delay_alu instid0(VALU_DEP_4) | instskip(NEXT) | instid1(VALU_DEP_4)
	v_lshlrev_b32_e32 v0, 16, v0
	v_lshlrev_b32_e32 v35, 16, v35
	s_delay_alu instid0(VALU_DEP_2) | instskip(NEXT) | instid1(VALU_DEP_2)
	v_or_b32_e32 v0, v33, v0
	v_or_b32_e32 v33, v34, v35
	s_branch .LBB107_84
.LBB107_53:
	v_lshlrev_b64_e32 v[1:2], 3, v[41:42]
	v_dual_mov_b32 v43, v42 :: v_dual_mov_b32 v10, v42
	v_dual_mov_b32 v9, v42 :: v_dual_mov_b32 v12, v42
	v_mov_b32_e32 v11, v42
	s_wait_alu 0xfffe
	s_delay_alu instid0(VALU_DEP_4) | instskip(NEXT) | instid1(VALU_DEP_1)
	v_add_co_u32 v1, vcc_lo, s12, v1
	v_add_co_ci_u32_e64 v2, null, s13, v2, vcc_lo
	v_dual_mov_b32 v3, v42 :: v_dual_mov_b32 v6, v42
	v_dual_mov_b32 v5, v42 :: v_dual_mov_b32 v8, v42
	global_load_b64 v[13:14], v[1:2], off
	v_dual_mov_b32 v1, v42 :: v_dual_mov_b32 v4, v42
	v_dual_mov_b32 v2, v42 :: v_dual_mov_b32 v7, v42
	s_or_b32 exec_lo, exec_lo, s9
	s_and_saveexec_b32 s9, s1
	s_cbranch_execz .LBB107_22
.LBB107_54:
	v_mul_lo_u32 v29, s16, v29
	v_mov_b32_e32 v30, 0
	s_delay_alu instid0(VALU_DEP_1) | instskip(SKIP_1) | instid1(VALU_DEP_1)
	v_lshlrev_b64_e32 v[29:30], 3, v[29:30]
	s_wait_alu 0xfffe
	v_add_co_u32 v29, vcc_lo, s12, v29
	s_wait_alu 0xfffd
	s_delay_alu instid0(VALU_DEP_2)
	v_add_co_ci_u32_e64 v30, null, s13, v30, vcc_lo
	global_load_b64 v[42:43], v[29:30], off
	s_or_b32 exec_lo, exec_lo, s9
	s_and_saveexec_b32 s9, s2
	s_cbranch_execz .LBB107_23
.LBB107_55:
	v_mul_lo_u32 v9, s16, v28
	v_mov_b32_e32 v10, 0
	s_delay_alu instid0(VALU_DEP_1) | instskip(SKIP_1) | instid1(VALU_DEP_1)
	v_lshlrev_b64_e32 v[9:10], 3, v[9:10]
	s_wait_alu 0xfffe
	v_add_co_u32 v9, vcc_lo, s12, v9
	s_wait_alu 0xfffd
	s_delay_alu instid0(VALU_DEP_2)
	v_add_co_ci_u32_e64 v10, null, s13, v10, vcc_lo
	global_load_b64 v[9:10], v[9:10], off
	s_or_b32 exec_lo, exec_lo, s9
	s_and_saveexec_b32 s9, s3
	s_cbranch_execz .LBB107_24
.LBB107_56:
	v_mul_lo_u32 v11, s16, v26
	v_mov_b32_e32 v12, 0
	s_delay_alu instid0(VALU_DEP_1) | instskip(SKIP_1) | instid1(VALU_DEP_1)
	v_lshlrev_b64_e32 v[11:12], 3, v[11:12]
	s_wait_alu 0xfffe
	v_add_co_u32 v11, vcc_lo, s12, v11
	s_wait_alu 0xfffd
	s_delay_alu instid0(VALU_DEP_2)
	v_add_co_ci_u32_e64 v12, null, s13, v12, vcc_lo
	global_load_b64 v[11:12], v[11:12], off
	s_or_b32 exec_lo, exec_lo, s9
	s_and_saveexec_b32 s9, s4
	s_cbranch_execz .LBB107_25
.LBB107_57:
	v_mul_lo_u32 v1, s16, v22
	v_mov_b32_e32 v2, 0
	s_delay_alu instid0(VALU_DEP_1) | instskip(SKIP_1) | instid1(VALU_DEP_1)
	v_lshlrev_b64_e32 v[1:2], 3, v[1:2]
	s_wait_alu 0xfffe
	v_add_co_u32 v1, vcc_lo, s12, v1
	s_wait_alu 0xfffd
	s_delay_alu instid0(VALU_DEP_2)
	v_add_co_ci_u32_e64 v2, null, s13, v2, vcc_lo
	global_load_b64 v[1:2], v[1:2], off
	s_or_b32 exec_lo, exec_lo, s9
	s_and_saveexec_b32 s9, s5
	s_cbranch_execz .LBB107_26
.LBB107_58:
	v_mul_lo_u32 v3, s16, v19
	v_mov_b32_e32 v4, 0
	s_delay_alu instid0(VALU_DEP_1) | instskip(SKIP_1) | instid1(VALU_DEP_1)
	v_lshlrev_b64_e32 v[3:4], 3, v[3:4]
	s_wait_alu 0xfffe
	v_add_co_u32 v3, vcc_lo, s12, v3
	s_wait_alu 0xfffd
	s_delay_alu instid0(VALU_DEP_2)
	v_add_co_ci_u32_e64 v4, null, s13, v4, vcc_lo
	global_load_b64 v[3:4], v[3:4], off
	s_or_b32 exec_lo, exec_lo, s9
	s_and_saveexec_b32 s9, s6
	s_cbranch_execz .LBB107_27
.LBB107_59:
	v_mul_lo_u32 v5, s16, v16
	v_mov_b32_e32 v6, 0
	s_delay_alu instid0(VALU_DEP_1) | instskip(SKIP_1) | instid1(VALU_DEP_1)
	v_lshlrev_b64_e32 v[5:6], 3, v[5:6]
	s_wait_alu 0xfffe
	v_add_co_u32 v5, vcc_lo, s12, v5
	s_wait_alu 0xfffd
	s_delay_alu instid0(VALU_DEP_2)
	v_add_co_ci_u32_e64 v6, null, s13, v6, vcc_lo
	global_load_b64 v[5:6], v[5:6], off
	s_or_b32 exec_lo, exec_lo, s9
	s_xor_b32 s9, s8, -1
	s_and_saveexec_b32 s8, s7
	s_cbranch_execnz .LBB107_28
	s_branch .LBB107_29
.LBB107_60:
                                        ; implicit-def: $vgpr27_vgpr28
                                        ; implicit-def: $vgpr31_vgpr32
                                        ; implicit-def: $vgpr19_vgpr20
                                        ; implicit-def: $vgpr23_vgpr24
                                        ; implicit-def: $vgpr33
                                        ; implicit-def: $vgpr0
	s_and_b32 vcc_lo, exec_lo, s9
	s_wait_alu 0xfffe
	s_cbranch_vccz .LBB107_84
; %bb.61:
	v_xor_b32_e32 v0, 0x7f, v45
	s_wait_dscnt 0x2
	v_xor_b32_e32 v17, 0x7f, v79
	v_xor_b32_e32 v18, 0x7f, v78
	;; [unrolled: 1-line block ×7, first 2 shown]
	v_and_b32_e32 v0, 0xff, v0
	v_lshlrev_b16 v17, 8, v17
	v_and_b32_e32 v18, 0xff, v18
	v_lshlrev_b16 v19, 8, v19
	;; [unrolled: 2-line block ×4, first 2 shown]
	v_or_b32_e32 v0, v0, v17
	v_or_b32_e32 v17, v18, v19
	;; [unrolled: 1-line block ×3, first 2 shown]
	s_getpc_b64 s[8:9]
	s_sext_i32_i16 s9, s9
	s_add_co_u32 s8, s8, _ZN7rocprim17ROCPRIM_400000_NS16block_radix_sortIaLj128ELj8ElLj1ELj1ELj0ELNS0_26block_radix_rank_algorithmE1ELNS0_18block_padding_hintE2ELNS0_4arch9wavefront6targetE0EE19radix_bits_per_passE@rel32@lo+8
	s_add_co_ci_u32 s9, s9, _ZN7rocprim17ROCPRIM_400000_NS16block_radix_sortIaLj128ELj8ElLj1ELj1ELj0ELNS0_26block_radix_rank_algorithmE1ELNS0_18block_padding_hintE2ELNS0_4arch9wavefront6targetE0EE19radix_bits_per_passE@rel32@hi+16
	v_or_b32_e32 v19, v22, v23
	s_load_b32 s8, s[8:9], 0x0
	v_and_b32_e32 v0, 0xffff, v0
	v_lshlrev_b32_e32 v17, 16, v17
	v_and_b32_e32 v18, 0xffff, v18
	v_lshlrev_b32_e32 v19, 16, v19
	s_delay_alu instid0(VALU_DEP_3) | instskip(SKIP_1) | instid1(VALU_DEP_3)
	v_or_b32_e32 v17, v0, v17
	v_mad_u32_u24 v0, v72, 7, v72
	v_or_b32_e32 v18, v18, v19
	ds_store_b64 v72, v[17:18]
	; wave barrier
	ds_load_u8 v24, v73
	s_wait_dscnt 0x2
	ds_load_u8 v25, v73 offset:32
	ds_load_u8 v26, v73 offset:64
	;; [unrolled: 1-line block ×7, first 2 shown]
	s_wait_loadcnt_dscnt 0x0
	s_barrier_signal -1
	s_wait_kmcnt 0x0
	s_min_u32 s8, s8, 8
	s_barrier_wait -1
	s_lshl_b32 s8, -1, s8
	global_inv scope:SCOPE_SE
	s_not_b32 s9, s8
	ds_store_b128 v0, v[13:16]
	ds_store_b128 v0, v[9:12] offset:16
	ds_store_b128 v0, v[5:8] offset:32
	ds_store_b128 v0, v[1:4] offset:48
	; wave barrier
	ds_load_2addr_b64 v[12:15], v71 offset1:32
	ds_load_2addr_b64 v[4:7], v71 offset0:64 offset1:96
	ds_load_2addr_b64 v[0:3], v71 offset0:128 offset1:160
	v_and_b32_e32 v22, s9, v24
	s_delay_alu instid0(VALU_DEP_1) | instskip(SKIP_3) | instid1(VALU_DEP_4)
	v_and_b32_e32 v8, 1, v22
	v_lshlrev_b32_e32 v18, 30, v22
	v_lshlrev_b32_e32 v19, 29, v22
	;; [unrolled: 1-line block ×3, first 2 shown]
	v_add_co_u32 v16, s8, v8, -1
	s_wait_alu 0xf1ff
	v_cndmask_b32_e64 v17, 0, 1, s8
	ds_load_2addr_b64 v[8:11], v71 offset0:192 offset1:224
	s_wait_loadcnt_dscnt 0x0
	s_barrier_signal -1
	s_barrier_wait -1
	v_cmp_ne_u32_e32 vcc_lo, 0, v17
	v_not_b32_e32 v17, v18
	global_inv scope:SCOPE_SE
	s_load_b32 s8, s[20:21], 0xc
	s_mov_b32 s20, 0
	v_xor_b32_e32 v16, vcc_lo, v16
	v_cmp_gt_i32_e32 vcc_lo, 0, v18
	v_ashrrev_i32_e32 v17, 31, v17
	v_not_b32_e32 v18, v19
	s_wait_alu 0xfffe
	s_mov_b32 s21, s20
	v_and_b32_e32 v16, exec_lo, v16
	s_mov_b32 s22, s20
	s_wait_alu 0xfffd
	v_xor_b32_e32 v17, vcc_lo, v17
	v_cmp_gt_i32_e32 vcc_lo, 0, v19
	v_ashrrev_i32_e32 v18, 31, v18
	v_not_b32_e32 v19, v20
	s_mov_b32 s23, s20
	v_and_b32_e32 v16, v16, v17
	v_lshlrev_b32_e32 v17, 27, v22
	s_wait_alu 0xfffd
	v_xor_b32_e32 v18, vcc_lo, v18
	v_cmp_gt_i32_e32 vcc_lo, 0, v20
	v_ashrrev_i32_e32 v19, 31, v19
	v_not_b32_e32 v20, v17
	s_delay_alu instid0(VALU_DEP_4)
	v_and_b32_e32 v16, v16, v18
	v_lshlrev_b32_e32 v18, 26, v22
	s_wait_alu 0xfffd
	v_xor_b32_e32 v19, vcc_lo, v19
	v_cmp_gt_i32_e32 vcc_lo, 0, v17
	v_ashrrev_i32_e32 v17, 31, v20
	s_wait_kmcnt 0x0
	s_lshr_b32 s10, s8, 16
	v_not_b32_e32 v20, v18
	v_and_b32_e32 v16, v16, v19
	v_lshlrev_b32_e32 v19, 25, v22
	s_wait_alu 0xfffd
	v_xor_b32_e32 v17, vcc_lo, v17
	v_cmp_gt_i32_e32 vcc_lo, 0, v18
	v_ashrrev_i32_e32 v18, 31, v20
	s_and_b32 s8, s8, 0xffff
	v_not_b32_e32 v20, v19
	v_and_b32_e32 v16, v16, v17
	v_lshlrev_b32_e32 v17, 24, v22
	s_wait_alu 0xfffd
	v_xor_b32_e32 v18, vcc_lo, v18
	v_cmp_gt_i32_e32 vcc_lo, 0, v19
	v_ashrrev_i32_e32 v19, 31, v20
	v_mad_u32_u24 v20, v70, s10, v69
	v_not_b32_e32 v21, v17
	v_and_b32_e32 v18, v16, v18
	v_and_b32_e32 v22, 0xff, v22
	s_wait_alu 0xfffd
	v_xor_b32_e32 v19, vcc_lo, v19
	v_cmp_gt_i32_e32 vcc_lo, 0, v17
	v_ashrrev_i32_e32 v21, 31, v21
	s_wait_alu 0xfffe
	v_mad_co_u64_u32 v[16:17], null, v20, s8, v[44:45]
	v_and_b32_e32 v17, v18, v19
	s_wait_alu 0xfffd
	v_xor_b32_e32 v23, vcc_lo, v21
	v_dual_mov_b32 v18, s20 :: v_dual_mov_b32 v19, s21
	v_dual_mov_b32 v20, s22 :: v_dual_mov_b32 v21, s23
	s_delay_alu instid0(VALU_DEP_3)
	v_and_b32_e32 v17, v17, v23
	v_lshrrev_b32_e32 v16, 3, v16
	ds_store_b128 v66, v[18:21] offset:16
	ds_store_b128 v66, v[18:21] offset:32
	v_mbcnt_lo_u32_b32 v32, v17, 0
	v_and_b32_e32 v16, 0x1ffffffc, v16
	v_lshlrev_b32_e32 v18, 4, v22
	v_cmp_ne_u32_e64 s8, 0, v17
	s_wait_loadcnt_dscnt 0x0
	v_cmp_eq_u32_e32 vcc_lo, 0, v32
	s_barrier_signal -1
	v_add_nc_u32_e32 v33, v16, v18
	s_barrier_wait -1
	global_inv scope:SCOPE_SE
	s_and_b32 s10, s8, vcc_lo
	; wave barrier
	s_wait_alu 0xfffe
	s_and_saveexec_b32 s8, s10
; %bb.62:
	v_bcnt_u32_b32 v17, v17, 0
	ds_store_b32 v33, v17 offset:16
; %bb.63:
	s_wait_alu 0xfffe
	s_or_b32 exec_lo, exec_lo, s8
	v_and_b32_e32 v17, s9, v25
	; wave barrier
	s_delay_alu instid0(VALU_DEP_1)
	v_and_b32_e32 v19, 1, v17
	v_lshlrev_b32_e32 v20, 30, v17
	v_lshlrev_b32_e32 v21, 29, v17
	v_lshlrev_b32_e32 v22, 28, v17
	v_lshlrev_b32_e32 v34, 27, v17
	v_add_co_u32 v19, s8, v19, -1
	s_wait_alu 0xf1ff
	v_cndmask_b32_e64 v23, 0, 1, s8
	v_not_b32_e32 v37, v20
	v_cmp_gt_i32_e64 s8, 0, v20
	v_not_b32_e32 v20, v21
	v_lshlrev_b32_e32 v35, 26, v17
	v_cmp_ne_u32_e32 vcc_lo, 0, v23
	v_ashrrev_i32_e32 v23, 31, v37
	v_lshlrev_b32_e32 v36, 25, v17
	v_ashrrev_i32_e32 v20, 31, v20
	v_and_b32_e32 v18, 0xff, v17
	s_wait_alu 0xfffd
	v_xor_b32_e32 v19, vcc_lo, v19
	v_cmp_gt_i32_e32 vcc_lo, 0, v21
	v_not_b32_e32 v21, v22
	s_wait_alu 0xf1ff
	v_xor_b32_e32 v23, s8, v23
	v_cmp_gt_i32_e64 s8, 0, v22
	v_and_b32_e32 v19, exec_lo, v19
	v_not_b32_e32 v22, v34
	v_ashrrev_i32_e32 v21, 31, v21
	s_wait_alu 0xfffd
	v_xor_b32_e32 v20, vcc_lo, v20
	v_cmp_gt_i32_e32 vcc_lo, 0, v34
	v_and_b32_e32 v19, v19, v23
	v_not_b32_e32 v23, v35
	v_ashrrev_i32_e32 v22, 31, v22
	s_wait_alu 0xf1ff
	v_xor_b32_e32 v21, s8, v21
	v_lshlrev_b32_e32 v17, 24, v17
	v_and_b32_e32 v19, v19, v20
	v_cmp_gt_i32_e64 s8, 0, v35
	v_not_b32_e32 v20, v36
	v_ashrrev_i32_e32 v23, 31, v23
	s_wait_alu 0xfffd
	v_xor_b32_e32 v22, vcc_lo, v22
	v_and_b32_e32 v19, v19, v21
	v_cmp_gt_i32_e32 vcc_lo, 0, v36
	v_not_b32_e32 v21, v17
	v_ashrrev_i32_e32 v20, 31, v20
	s_wait_alu 0xf1ff
	v_xor_b32_e32 v23, s8, v23
	v_and_b32_e32 v19, v19, v22
	v_lshlrev_b32_e32 v18, 4, v18
	v_cmp_gt_i32_e64 s8, 0, v17
	v_ashrrev_i32_e32 v17, 31, v21
	s_wait_alu 0xfffd
	v_xor_b32_e32 v20, vcc_lo, v20
	v_and_b32_e32 v19, v19, v23
	v_add_nc_u32_e32 v36, v16, v18
	s_wait_alu 0xf1ff
	v_xor_b32_e32 v17, s8, v17
	s_delay_alu instid0(VALU_DEP_3) | instskip(SKIP_2) | instid1(VALU_DEP_1)
	v_and_b32_e32 v18, v19, v20
	ds_load_b32 v34, v36 offset:16
	; wave barrier
	v_and_b32_e32 v17, v18, v17
	v_mbcnt_lo_u32_b32 v35, v17, 0
	v_cmp_ne_u32_e64 s8, 0, v17
	s_delay_alu instid0(VALU_DEP_2)
	v_cmp_eq_u32_e32 vcc_lo, 0, v35
	s_and_b32 s10, s8, vcc_lo
	s_wait_alu 0xfffe
	s_and_saveexec_b32 s8, s10
	s_cbranch_execz .LBB107_65
; %bb.64:
	s_wait_dscnt 0x0
	v_bcnt_u32_b32 v17, v17, v34
	ds_store_b32 v36, v17 offset:16
.LBB107_65:
	s_wait_alu 0xfffe
	s_or_b32 exec_lo, exec_lo, s8
	v_and_b32_e32 v17, s9, v26
	; wave barrier
	s_delay_alu instid0(VALU_DEP_1)
	v_and_b32_e32 v19, 1, v17
	v_lshlrev_b32_e32 v20, 30, v17
	v_lshlrev_b32_e32 v21, 29, v17
	;; [unrolled: 1-line block ×4, first 2 shown]
	v_add_co_u32 v19, s8, v19, -1
	s_wait_alu 0xf1ff
	v_cndmask_b32_e64 v23, 0, 1, s8
	v_not_b32_e32 v40, v20
	v_cmp_gt_i32_e64 s8, 0, v20
	v_not_b32_e32 v20, v21
	v_lshlrev_b32_e32 v38, 26, v17
	v_cmp_ne_u32_e32 vcc_lo, 0, v23
	v_ashrrev_i32_e32 v23, 31, v40
	v_lshlrev_b32_e32 v39, 25, v17
	v_ashrrev_i32_e32 v20, 31, v20
	v_and_b32_e32 v18, 0xff, v17
	s_wait_alu 0xfffd
	v_xor_b32_e32 v19, vcc_lo, v19
	v_cmp_gt_i32_e32 vcc_lo, 0, v21
	v_not_b32_e32 v21, v22
	s_wait_alu 0xf1ff
	v_xor_b32_e32 v23, s8, v23
	v_cmp_gt_i32_e64 s8, 0, v22
	v_and_b32_e32 v19, exec_lo, v19
	v_not_b32_e32 v22, v37
	v_ashrrev_i32_e32 v21, 31, v21
	s_wait_alu 0xfffd
	v_xor_b32_e32 v20, vcc_lo, v20
	v_cmp_gt_i32_e32 vcc_lo, 0, v37
	v_and_b32_e32 v19, v19, v23
	v_not_b32_e32 v23, v38
	v_ashrrev_i32_e32 v22, 31, v22
	s_wait_alu 0xf1ff
	v_xor_b32_e32 v21, s8, v21
	v_lshlrev_b32_e32 v17, 24, v17
	v_and_b32_e32 v19, v19, v20
	v_cmp_gt_i32_e64 s8, 0, v38
	v_not_b32_e32 v20, v39
	v_ashrrev_i32_e32 v23, 31, v23
	s_wait_alu 0xfffd
	v_xor_b32_e32 v22, vcc_lo, v22
	v_and_b32_e32 v19, v19, v21
	v_cmp_gt_i32_e32 vcc_lo, 0, v39
	v_not_b32_e32 v21, v17
	v_ashrrev_i32_e32 v20, 31, v20
	s_wait_alu 0xf1ff
	v_xor_b32_e32 v23, s8, v23
	v_and_b32_e32 v19, v19, v22
	v_lshlrev_b32_e32 v18, 4, v18
	v_cmp_gt_i32_e64 s8, 0, v17
	v_ashrrev_i32_e32 v17, 31, v21
	s_wait_alu 0xfffd
	v_xor_b32_e32 v20, vcc_lo, v20
	v_and_b32_e32 v19, v19, v23
	v_add_nc_u32_e32 v39, v16, v18
	s_wait_alu 0xf1ff
	v_xor_b32_e32 v17, s8, v17
	s_delay_alu instid0(VALU_DEP_3) | instskip(SKIP_2) | instid1(VALU_DEP_1)
	v_and_b32_e32 v18, v19, v20
	ds_load_b32 v37, v39 offset:16
	; wave barrier
	v_and_b32_e32 v17, v18, v17
	v_mbcnt_lo_u32_b32 v38, v17, 0
	v_cmp_ne_u32_e64 s8, 0, v17
	s_delay_alu instid0(VALU_DEP_2)
	v_cmp_eq_u32_e32 vcc_lo, 0, v38
	s_and_b32 s10, s8, vcc_lo
	s_wait_alu 0xfffe
	s_and_saveexec_b32 s8, s10
	s_cbranch_execz .LBB107_67
; %bb.66:
	s_wait_dscnt 0x0
	v_bcnt_u32_b32 v17, v17, v37
	ds_store_b32 v39, v17 offset:16
.LBB107_67:
	s_wait_alu 0xfffe
	s_or_b32 exec_lo, exec_lo, s8
	v_and_b32_e32 v17, s9, v27
	; wave barrier
	s_delay_alu instid0(VALU_DEP_1)
	v_and_b32_e32 v19, 1, v17
	v_lshlrev_b32_e32 v20, 30, v17
	v_lshlrev_b32_e32 v21, 29, v17
	;; [unrolled: 1-line block ×4, first 2 shown]
	v_add_co_u32 v19, s8, v19, -1
	s_wait_alu 0xf1ff
	v_cndmask_b32_e64 v23, 0, 1, s8
	v_not_b32_e32 v69, v20
	v_cmp_gt_i32_e64 s8, 0, v20
	v_not_b32_e32 v20, v21
	v_lshlrev_b32_e32 v45, 26, v17
	v_cmp_ne_u32_e32 vcc_lo, 0, v23
	v_ashrrev_i32_e32 v23, 31, v69
	v_lshlrev_b32_e32 v46, 25, v17
	v_ashrrev_i32_e32 v20, 31, v20
	v_and_b32_e32 v18, 0xff, v17
	s_wait_alu 0xfffd
	v_xor_b32_e32 v19, vcc_lo, v19
	v_cmp_gt_i32_e32 vcc_lo, 0, v21
	v_not_b32_e32 v21, v22
	s_wait_alu 0xf1ff
	v_xor_b32_e32 v23, s8, v23
	v_cmp_gt_i32_e64 s8, 0, v22
	v_and_b32_e32 v19, exec_lo, v19
	v_not_b32_e32 v22, v40
	v_ashrrev_i32_e32 v21, 31, v21
	s_wait_alu 0xfffd
	v_xor_b32_e32 v20, vcc_lo, v20
	v_cmp_gt_i32_e32 vcc_lo, 0, v40
	v_and_b32_e32 v19, v19, v23
	v_not_b32_e32 v23, v45
	v_ashrrev_i32_e32 v22, 31, v22
	s_wait_alu 0xf1ff
	v_xor_b32_e32 v21, s8, v21
	v_lshlrev_b32_e32 v17, 24, v17
	v_and_b32_e32 v19, v19, v20
	v_cmp_gt_i32_e64 s8, 0, v45
	v_not_b32_e32 v20, v46
	v_ashrrev_i32_e32 v23, 31, v23
	s_wait_alu 0xfffd
	v_xor_b32_e32 v22, vcc_lo, v22
	v_and_b32_e32 v19, v19, v21
	v_cmp_gt_i32_e32 vcc_lo, 0, v46
	v_not_b32_e32 v21, v17
	v_ashrrev_i32_e32 v20, 31, v20
	s_wait_alu 0xf1ff
	v_xor_b32_e32 v23, s8, v23
	v_and_b32_e32 v19, v19, v22
	v_lshlrev_b32_e32 v18, 4, v18
	v_cmp_gt_i32_e64 s8, 0, v17
	v_ashrrev_i32_e32 v17, 31, v21
	s_wait_alu 0xfffd
	v_xor_b32_e32 v20, vcc_lo, v20
	v_and_b32_e32 v19, v19, v23
	v_add_nc_u32_e32 v46, v16, v18
	s_wait_alu 0xf1ff
	v_xor_b32_e32 v17, s8, v17
	s_delay_alu instid0(VALU_DEP_3) | instskip(SKIP_2) | instid1(VALU_DEP_1)
	v_and_b32_e32 v18, v19, v20
	ds_load_b32 v40, v46 offset:16
	; wave barrier
	v_and_b32_e32 v17, v18, v17
	v_mbcnt_lo_u32_b32 v45, v17, 0
	v_cmp_ne_u32_e64 s8, 0, v17
	s_delay_alu instid0(VALU_DEP_2)
	v_cmp_eq_u32_e32 vcc_lo, 0, v45
	s_and_b32 s10, s8, vcc_lo
	s_wait_alu 0xfffe
	s_and_saveexec_b32 s8, s10
	s_cbranch_execz .LBB107_69
; %bb.68:
	s_wait_dscnt 0x0
	v_bcnt_u32_b32 v17, v17, v40
	ds_store_b32 v46, v17 offset:16
.LBB107_69:
	s_wait_alu 0xfffe
	s_or_b32 exec_lo, exec_lo, s8
	v_and_b32_e32 v17, s9, v28
	; wave barrier
	s_delay_alu instid0(VALU_DEP_1)
	v_and_b32_e32 v19, 1, v17
	v_lshlrev_b32_e32 v20, 30, v17
	v_lshlrev_b32_e32 v21, 29, v17
	;; [unrolled: 1-line block ×4, first 2 shown]
	v_add_co_u32 v19, s8, v19, -1
	s_wait_alu 0xf1ff
	v_cndmask_b32_e64 v23, 0, 1, s8
	v_not_b32_e32 v72, v20
	v_cmp_gt_i32_e64 s8, 0, v20
	v_not_b32_e32 v20, v21
	v_lshlrev_b32_e32 v70, 26, v17
	v_cmp_ne_u32_e32 vcc_lo, 0, v23
	v_ashrrev_i32_e32 v23, 31, v72
	v_lshlrev_b32_e32 v71, 25, v17
	v_ashrrev_i32_e32 v20, 31, v20
	v_and_b32_e32 v18, 0xff, v17
	s_wait_alu 0xfffd
	v_xor_b32_e32 v19, vcc_lo, v19
	v_cmp_gt_i32_e32 vcc_lo, 0, v21
	v_not_b32_e32 v21, v22
	s_wait_alu 0xf1ff
	v_xor_b32_e32 v23, s8, v23
	v_cmp_gt_i32_e64 s8, 0, v22
	v_and_b32_e32 v19, exec_lo, v19
	v_not_b32_e32 v22, v69
	v_ashrrev_i32_e32 v21, 31, v21
	s_wait_alu 0xfffd
	v_xor_b32_e32 v20, vcc_lo, v20
	v_cmp_gt_i32_e32 vcc_lo, 0, v69
	v_and_b32_e32 v19, v19, v23
	v_not_b32_e32 v23, v70
	v_ashrrev_i32_e32 v22, 31, v22
	s_wait_alu 0xf1ff
	v_xor_b32_e32 v21, s8, v21
	v_lshlrev_b32_e32 v17, 24, v17
	v_and_b32_e32 v19, v19, v20
	v_cmp_gt_i32_e64 s8, 0, v70
	v_not_b32_e32 v20, v71
	v_ashrrev_i32_e32 v23, 31, v23
	s_wait_alu 0xfffd
	v_xor_b32_e32 v22, vcc_lo, v22
	v_and_b32_e32 v19, v19, v21
	v_cmp_gt_i32_e32 vcc_lo, 0, v71
	v_not_b32_e32 v21, v17
	v_ashrrev_i32_e32 v20, 31, v20
	s_wait_alu 0xf1ff
	v_xor_b32_e32 v23, s8, v23
	v_and_b32_e32 v19, v19, v22
	v_lshlrev_b32_e32 v18, 4, v18
	v_cmp_gt_i32_e64 s8, 0, v17
	v_ashrrev_i32_e32 v17, 31, v21
	s_wait_alu 0xfffd
	v_xor_b32_e32 v20, vcc_lo, v20
	v_and_b32_e32 v19, v19, v23
	v_add_nc_u32_e32 v71, v16, v18
	s_wait_alu 0xf1ff
	v_xor_b32_e32 v17, s8, v17
	s_delay_alu instid0(VALU_DEP_3) | instskip(SKIP_2) | instid1(VALU_DEP_1)
	v_and_b32_e32 v18, v19, v20
	ds_load_b32 v69, v71 offset:16
	; wave barrier
	v_and_b32_e32 v17, v18, v17
	v_mbcnt_lo_u32_b32 v70, v17, 0
	v_cmp_ne_u32_e64 s8, 0, v17
	s_delay_alu instid0(VALU_DEP_2)
	v_cmp_eq_u32_e32 vcc_lo, 0, v70
	s_and_b32 s10, s8, vcc_lo
	s_wait_alu 0xfffe
	s_and_saveexec_b32 s8, s10
	s_cbranch_execz .LBB107_71
; %bb.70:
	s_wait_dscnt 0x0
	v_bcnt_u32_b32 v17, v17, v69
	ds_store_b32 v71, v17 offset:16
.LBB107_71:
	s_wait_alu 0xfffe
	s_or_b32 exec_lo, exec_lo, s8
	v_and_b32_e32 v17, s9, v29
	; wave barrier
	s_delay_alu instid0(VALU_DEP_1)
	v_and_b32_e32 v19, 1, v17
	v_lshlrev_b32_e32 v20, 30, v17
	v_lshlrev_b32_e32 v21, 29, v17
	;; [unrolled: 1-line block ×4, first 2 shown]
	v_add_co_u32 v19, s8, v19, -1
	s_wait_alu 0xf1ff
	v_cndmask_b32_e64 v23, 0, 1, s8
	v_not_b32_e32 v75, v20
	v_cmp_gt_i32_e64 s8, 0, v20
	v_not_b32_e32 v20, v21
	v_lshlrev_b32_e32 v73, 26, v17
	v_cmp_ne_u32_e32 vcc_lo, 0, v23
	v_ashrrev_i32_e32 v23, 31, v75
	v_lshlrev_b32_e32 v74, 25, v17
	v_ashrrev_i32_e32 v20, 31, v20
	v_and_b32_e32 v18, 0xff, v17
	s_wait_alu 0xfffd
	v_xor_b32_e32 v19, vcc_lo, v19
	v_cmp_gt_i32_e32 vcc_lo, 0, v21
	v_not_b32_e32 v21, v22
	s_wait_alu 0xf1ff
	v_xor_b32_e32 v23, s8, v23
	v_cmp_gt_i32_e64 s8, 0, v22
	v_and_b32_e32 v19, exec_lo, v19
	v_not_b32_e32 v22, v72
	v_ashrrev_i32_e32 v21, 31, v21
	s_wait_alu 0xfffd
	v_xor_b32_e32 v20, vcc_lo, v20
	v_cmp_gt_i32_e32 vcc_lo, 0, v72
	v_and_b32_e32 v19, v19, v23
	v_not_b32_e32 v23, v73
	v_ashrrev_i32_e32 v22, 31, v22
	s_wait_alu 0xf1ff
	v_xor_b32_e32 v21, s8, v21
	v_lshlrev_b32_e32 v17, 24, v17
	v_and_b32_e32 v19, v19, v20
	v_cmp_gt_i32_e64 s8, 0, v73
	v_not_b32_e32 v20, v74
	v_ashrrev_i32_e32 v23, 31, v23
	s_wait_alu 0xfffd
	v_xor_b32_e32 v22, vcc_lo, v22
	v_and_b32_e32 v19, v19, v21
	v_cmp_gt_i32_e32 vcc_lo, 0, v74
	v_not_b32_e32 v21, v17
	v_ashrrev_i32_e32 v20, 31, v20
	s_wait_alu 0xf1ff
	v_xor_b32_e32 v23, s8, v23
	v_and_b32_e32 v19, v19, v22
	v_lshlrev_b32_e32 v18, 4, v18
	v_cmp_gt_i32_e64 s8, 0, v17
	v_ashrrev_i32_e32 v17, 31, v21
	s_wait_alu 0xfffd
	v_xor_b32_e32 v20, vcc_lo, v20
	v_and_b32_e32 v19, v19, v23
	v_add_nc_u32_e32 v74, v16, v18
	s_wait_alu 0xf1ff
	v_xor_b32_e32 v17, s8, v17
	s_delay_alu instid0(VALU_DEP_3) | instskip(SKIP_2) | instid1(VALU_DEP_1)
	v_and_b32_e32 v18, v19, v20
	ds_load_b32 v72, v74 offset:16
	; wave barrier
	v_and_b32_e32 v17, v18, v17
	v_mbcnt_lo_u32_b32 v73, v17, 0
	v_cmp_ne_u32_e64 s8, 0, v17
	s_delay_alu instid0(VALU_DEP_2)
	v_cmp_eq_u32_e32 vcc_lo, 0, v73
	s_and_b32 s10, s8, vcc_lo
	s_wait_alu 0xfffe
	s_and_saveexec_b32 s8, s10
	s_cbranch_execz .LBB107_73
; %bb.72:
	s_wait_dscnt 0x0
	v_bcnt_u32_b32 v17, v17, v72
	ds_store_b32 v74, v17 offset:16
.LBB107_73:
	s_wait_alu 0xfffe
	s_or_b32 exec_lo, exec_lo, s8
	v_and_b32_e32 v17, s9, v30
	; wave barrier
	s_delay_alu instid0(VALU_DEP_1)
	v_and_b32_e32 v19, 1, v17
	v_lshlrev_b32_e32 v20, 30, v17
	v_lshlrev_b32_e32 v21, 29, v17
	;; [unrolled: 1-line block ×4, first 2 shown]
	v_add_co_u32 v19, s8, v19, -1
	s_wait_alu 0xf1ff
	v_cndmask_b32_e64 v23, 0, 1, s8
	v_not_b32_e32 v78, v20
	v_cmp_gt_i32_e64 s8, 0, v20
	v_not_b32_e32 v20, v21
	v_lshlrev_b32_e32 v76, 26, v17
	v_cmp_ne_u32_e32 vcc_lo, 0, v23
	v_ashrrev_i32_e32 v23, 31, v78
	v_lshlrev_b32_e32 v77, 25, v17
	v_ashrrev_i32_e32 v20, 31, v20
	v_and_b32_e32 v18, 0xff, v17
	s_wait_alu 0xfffd
	v_xor_b32_e32 v19, vcc_lo, v19
	v_cmp_gt_i32_e32 vcc_lo, 0, v21
	v_not_b32_e32 v21, v22
	s_wait_alu 0xf1ff
	v_xor_b32_e32 v23, s8, v23
	v_cmp_gt_i32_e64 s8, 0, v22
	v_and_b32_e32 v19, exec_lo, v19
	v_not_b32_e32 v22, v75
	v_ashrrev_i32_e32 v21, 31, v21
	s_wait_alu 0xfffd
	v_xor_b32_e32 v20, vcc_lo, v20
	v_cmp_gt_i32_e32 vcc_lo, 0, v75
	v_and_b32_e32 v19, v19, v23
	v_not_b32_e32 v23, v76
	v_ashrrev_i32_e32 v22, 31, v22
	s_wait_alu 0xf1ff
	v_xor_b32_e32 v21, s8, v21
	v_lshlrev_b32_e32 v17, 24, v17
	v_and_b32_e32 v19, v19, v20
	v_cmp_gt_i32_e64 s8, 0, v76
	v_not_b32_e32 v20, v77
	v_ashrrev_i32_e32 v23, 31, v23
	s_wait_alu 0xfffd
	v_xor_b32_e32 v22, vcc_lo, v22
	v_and_b32_e32 v19, v19, v21
	v_cmp_gt_i32_e32 vcc_lo, 0, v77
	v_not_b32_e32 v21, v17
	v_ashrrev_i32_e32 v20, 31, v20
	s_wait_alu 0xf1ff
	v_xor_b32_e32 v23, s8, v23
	v_and_b32_e32 v19, v19, v22
	v_lshlrev_b32_e32 v18, 4, v18
	v_cmp_gt_i32_e64 s8, 0, v17
	v_ashrrev_i32_e32 v17, 31, v21
	s_wait_alu 0xfffd
	v_xor_b32_e32 v20, vcc_lo, v20
	v_and_b32_e32 v19, v19, v23
	v_add_nc_u32_e32 v77, v16, v18
	s_wait_alu 0xf1ff
	v_xor_b32_e32 v17, s8, v17
	s_delay_alu instid0(VALU_DEP_3) | instskip(SKIP_2) | instid1(VALU_DEP_1)
	v_and_b32_e32 v18, v19, v20
	ds_load_b32 v75, v77 offset:16
	; wave barrier
	v_and_b32_e32 v17, v18, v17
	v_mbcnt_lo_u32_b32 v76, v17, 0
	v_cmp_ne_u32_e64 s8, 0, v17
	s_delay_alu instid0(VALU_DEP_2)
	v_cmp_eq_u32_e32 vcc_lo, 0, v76
	s_and_b32 s10, s8, vcc_lo
	s_wait_alu 0xfffe
	s_and_saveexec_b32 s8, s10
	s_cbranch_execz .LBB107_75
; %bb.74:
	s_wait_dscnt 0x0
	v_bcnt_u32_b32 v17, v17, v75
	ds_store_b32 v77, v17 offset:16
.LBB107_75:
	s_wait_alu 0xfffe
	s_or_b32 exec_lo, exec_lo, s8
	v_and_b32_e32 v17, s9, v31
	; wave barrier
	s_delay_alu instid0(VALU_DEP_1)
	v_and_b32_e32 v19, 1, v17
	v_lshlrev_b32_e32 v20, 30, v17
	v_lshlrev_b32_e32 v21, 29, v17
	;; [unrolled: 1-line block ×4, first 2 shown]
	v_add_co_u32 v19, s8, v19, -1
	s_wait_alu 0xf1ff
	v_cndmask_b32_e64 v23, 0, 1, s8
	v_not_b32_e32 v81, v20
	v_cmp_gt_i32_e64 s8, 0, v20
	v_not_b32_e32 v20, v21
	v_lshlrev_b32_e32 v79, 26, v17
	v_cmp_ne_u32_e32 vcc_lo, 0, v23
	v_ashrrev_i32_e32 v23, 31, v81
	v_lshlrev_b32_e32 v80, 25, v17
	v_ashrrev_i32_e32 v20, 31, v20
	v_and_b32_e32 v18, 0xff, v17
	s_wait_alu 0xfffd
	v_xor_b32_e32 v19, vcc_lo, v19
	v_cmp_gt_i32_e32 vcc_lo, 0, v21
	v_not_b32_e32 v21, v22
	s_wait_alu 0xf1ff
	v_xor_b32_e32 v23, s8, v23
	v_cmp_gt_i32_e64 s8, 0, v22
	v_and_b32_e32 v19, exec_lo, v19
	v_not_b32_e32 v22, v78
	v_ashrrev_i32_e32 v21, 31, v21
	s_wait_alu 0xfffd
	v_xor_b32_e32 v20, vcc_lo, v20
	v_cmp_gt_i32_e32 vcc_lo, 0, v78
	v_and_b32_e32 v19, v19, v23
	v_not_b32_e32 v23, v79
	v_ashrrev_i32_e32 v22, 31, v22
	s_wait_alu 0xf1ff
	v_xor_b32_e32 v21, s8, v21
	v_lshlrev_b32_e32 v17, 24, v17
	v_and_b32_e32 v19, v19, v20
	v_cmp_gt_i32_e64 s8, 0, v79
	v_not_b32_e32 v20, v80
	v_ashrrev_i32_e32 v23, 31, v23
	s_wait_alu 0xfffd
	v_xor_b32_e32 v22, vcc_lo, v22
	v_and_b32_e32 v19, v19, v21
	v_cmp_gt_i32_e32 vcc_lo, 0, v80
	v_not_b32_e32 v21, v17
	v_ashrrev_i32_e32 v20, 31, v20
	s_wait_alu 0xf1ff
	v_xor_b32_e32 v23, s8, v23
	v_and_b32_e32 v19, v19, v22
	v_lshlrev_b32_e32 v18, 4, v18
	v_cmp_gt_i32_e64 s8, 0, v17
	v_ashrrev_i32_e32 v17, 31, v21
	s_wait_alu 0xfffd
	v_xor_b32_e32 v20, vcc_lo, v20
	v_and_b32_e32 v19, v19, v23
	v_add_nc_u32_e32 v80, v16, v18
	s_wait_alu 0xf1ff
	v_xor_b32_e32 v16, s8, v17
	s_delay_alu instid0(VALU_DEP_3) | instskip(SKIP_2) | instid1(VALU_DEP_1)
	v_and_b32_e32 v17, v19, v20
	ds_load_b32 v78, v80 offset:16
	; wave barrier
	v_and_b32_e32 v16, v17, v16
	v_mbcnt_lo_u32_b32 v79, v16, 0
	v_cmp_ne_u32_e64 s8, 0, v16
	s_delay_alu instid0(VALU_DEP_2)
	v_cmp_eq_u32_e32 vcc_lo, 0, v79
	s_and_b32 s9, s8, vcc_lo
	s_wait_alu 0xfffe
	s_and_saveexec_b32 s8, s9
	s_cbranch_execz .LBB107_77
; %bb.76:
	s_wait_dscnt 0x0
	v_bcnt_u32_b32 v16, v16, v78
	ds_store_b32 v80, v16 offset:16
.LBB107_77:
	s_wait_alu 0xfffe
	s_or_b32 exec_lo, exec_lo, s8
	; wave barrier
	s_wait_loadcnt_dscnt 0x0
	s_barrier_signal -1
	s_barrier_wait -1
	global_inv scope:SCOPE_SE
	ds_load_b128 v[20:23], v66 offset:16
	ds_load_b128 v[16:19], v66 offset:32
	v_min_u32_e32 v68, 0x60, v68
	s_mov_b32 s8, exec_lo
	s_delay_alu instid0(VALU_DEP_1) | instskip(SKIP_2) | instid1(VALU_DEP_1)
	v_or_b32_e32 v68, 31, v68
	s_wait_dscnt 0x1
	v_add_nc_u32_e32 v81, v21, v20
	v_add3_u32 v81, v81, v22, v23
	s_wait_dscnt 0x0
	s_delay_alu instid0(VALU_DEP_1) | instskip(NEXT) | instid1(VALU_DEP_1)
	v_add3_u32 v81, v81, v16, v17
	v_add3_u32 v19, v81, v18, v19
	v_and_b32_e32 v81, 15, v67
	s_delay_alu instid0(VALU_DEP_2) | instskip(NEXT) | instid1(VALU_DEP_2)
	v_mov_b32_dpp v82, v19 row_shr:1 row_mask:0xf bank_mask:0xf
	v_cmp_ne_u32_e32 vcc_lo, 0, v81
	s_wait_alu 0xfffd
	s_delay_alu instid0(VALU_DEP_2) | instskip(SKIP_1) | instid1(VALU_DEP_2)
	v_cndmask_b32_e32 v82, 0, v82, vcc_lo
	v_cmp_lt_u32_e32 vcc_lo, 1, v81
	v_add_nc_u32_e32 v19, v82, v19
	s_delay_alu instid0(VALU_DEP_1) | instskip(SKIP_1) | instid1(VALU_DEP_1)
	v_mov_b32_dpp v82, v19 row_shr:2 row_mask:0xf bank_mask:0xf
	s_wait_alu 0xfffd
	v_cndmask_b32_e32 v82, 0, v82, vcc_lo
	v_cmp_lt_u32_e32 vcc_lo, 3, v81
	s_delay_alu instid0(VALU_DEP_2) | instskip(NEXT) | instid1(VALU_DEP_1)
	v_add_nc_u32_e32 v19, v19, v82
	v_mov_b32_dpp v82, v19 row_shr:4 row_mask:0xf bank_mask:0xf
	s_wait_alu 0xfffd
	s_delay_alu instid0(VALU_DEP_1) | instskip(SKIP_1) | instid1(VALU_DEP_2)
	v_cndmask_b32_e32 v82, 0, v82, vcc_lo
	v_cmp_lt_u32_e32 vcc_lo, 7, v81
	v_add_nc_u32_e32 v19, v19, v82
	s_delay_alu instid0(VALU_DEP_1) | instskip(SKIP_1) | instid1(VALU_DEP_1)
	v_mov_b32_dpp v82, v19 row_shr:8 row_mask:0xf bank_mask:0xf
	s_wait_alu 0xfffd
	v_cndmask_b32_e32 v81, 0, v82, vcc_lo
	v_bfe_i32 v82, v67, 4, 1
	s_delay_alu instid0(VALU_DEP_2) | instskip(SKIP_3) | instid1(VALU_DEP_1)
	v_add_nc_u32_e32 v19, v19, v81
	ds_swizzle_b32 v81, v19 offset:swizzle(BROADCAST,32,15)
	s_wait_dscnt 0x0
	v_and_b32_e32 v81, v82, v81
	v_add_nc_u32_e32 v19, v19, v81
	v_cmpx_eq_u32_e64 v44, v68
; %bb.78:
	v_lshlrev_b32_e32 v68, 2, v65
	ds_store_b32 v68, v19
; %bb.79:
	s_wait_alu 0xfffe
	s_or_b32 exec_lo, exec_lo, s8
	s_delay_alu instid0(SALU_CYCLE_1)
	s_mov_b32 s8, exec_lo
	s_wait_loadcnt_dscnt 0x0
	s_barrier_signal -1
	s_barrier_wait -1
	global_inv scope:SCOPE_SE
	v_cmpx_gt_u32_e32 4, v44
	s_cbranch_execz .LBB107_81
; %bb.80:
	v_and_b32_e32 v82, 3, v67
	s_delay_alu instid0(VALU_DEP_1)
	v_cmp_ne_u32_e32 vcc_lo, 0, v82
	v_lshlrev_b32_e32 v68, 2, v44
	ds_load_b32 v81, v68
	s_wait_dscnt 0x0
	v_mov_b32_dpp v83, v81 row_shr:1 row_mask:0xf bank_mask:0xf
	s_wait_alu 0xfffd
	s_delay_alu instid0(VALU_DEP_1) | instskip(SKIP_1) | instid1(VALU_DEP_2)
	v_cndmask_b32_e32 v83, 0, v83, vcc_lo
	v_cmp_lt_u32_e32 vcc_lo, 1, v82
	v_add_nc_u32_e32 v81, v83, v81
	s_delay_alu instid0(VALU_DEP_1) | instskip(SKIP_1) | instid1(VALU_DEP_1)
	v_mov_b32_dpp v83, v81 row_shr:2 row_mask:0xf bank_mask:0xf
	s_wait_alu 0xfffd
	v_cndmask_b32_e32 v82, 0, v83, vcc_lo
	s_delay_alu instid0(VALU_DEP_1)
	v_add_nc_u32_e32 v81, v81, v82
	ds_store_b32 v68, v81
.LBB107_81:
	s_wait_alu 0xfffe
	s_or_b32 exec_lo, exec_lo, s8
	v_mov_b32_e32 v68, 0
	s_mov_b32 s8, exec_lo
	s_wait_loadcnt_dscnt 0x0
	s_barrier_signal -1
	s_barrier_wait -1
	global_inv scope:SCOPE_SE
	v_cmpx_lt_u32_e32 31, v44
; %bb.82:
	v_lshl_add_u32 v65, v65, 2, -4
	ds_load_b32 v68, v65
; %bb.83:
	s_wait_alu 0xfffe
	s_or_b32 exec_lo, exec_lo, s8
	v_sub_co_u32 v65, vcc_lo, v67, 1
	s_wait_dscnt 0x0
	v_add_nc_u32_e32 v19, v68, v19
	s_delay_alu instid0(VALU_DEP_2) | instskip(SKIP_1) | instid1(VALU_DEP_1)
	v_cmp_gt_i32_e64 s8, 0, v65
	s_wait_alu 0xf1ff
	v_cndmask_b32_e64 v65, v65, v67, s8
	s_delay_alu instid0(VALU_DEP_1)
	v_lshlrev_b32_e32 v65, 2, v65
	ds_bpermute_b32 v19, v65, v19
	s_wait_dscnt 0x0
	s_wait_alu 0xfffd
	v_cndmask_b32_e32 v19, v19, v68, vcc_lo
	v_cmp_ne_u32_e32 vcc_lo, 0, v44
	s_wait_alu 0xfffd
	s_delay_alu instid0(VALU_DEP_2) | instskip(NEXT) | instid1(VALU_DEP_1)
	v_cndmask_b32_e32 v19, 0, v19, vcc_lo
	v_add_nc_u32_e32 v20, v19, v20
	s_delay_alu instid0(VALU_DEP_1) | instskip(NEXT) | instid1(VALU_DEP_1)
	v_add_nc_u32_e32 v21, v20, v21
	v_add_nc_u32_e32 v22, v21, v22
	s_delay_alu instid0(VALU_DEP_1) | instskip(NEXT) | instid1(VALU_DEP_1)
	v_add_nc_u32_e32 v81, v22, v23
	v_add_nc_u32_e32 v82, v81, v16
	s_delay_alu instid0(VALU_DEP_1) | instskip(NEXT) | instid1(VALU_DEP_1)
	v_add_nc_u32_e32 v83, v82, v17
	v_add_nc_u32_e32 v84, v83, v18
	ds_store_b128 v66, v[19:22] offset:16
	ds_store_b128 v66, v[81:84] offset:32
	s_wait_loadcnt_dscnt 0x0
	s_barrier_signal -1
	s_barrier_wait -1
	global_inv scope:SCOPE_SE
	ds_load_b32 v16, v33 offset:16
	ds_load_b32 v17, v36 offset:16
	;; [unrolled: 1-line block ×8, first 2 shown]
	s_wait_loadcnt_dscnt 0x0
	s_barrier_signal -1
	s_barrier_wait -1
	global_inv scope:SCOPE_SE
	v_mad_u32_u24 v36, v44, 56, v60
	v_add_nc_u32_e32 v16, v16, v32
	v_add3_u32 v17, v35, v34, v17
	v_add3_u32 v18, v38, v37, v18
	;; [unrolled: 1-line block ×7, first 2 shown]
	ds_store_b8 v16, v24
	ds_store_b8 v17, v25
	;; [unrolled: 1-line block ×8, first 2 shown]
	s_wait_loadcnt_dscnt 0x0
	s_barrier_signal -1
	s_barrier_wait -1
	global_inv scope:SCOPE_SE
	ds_load_b64 v[33:34], v60
	v_lshlrev_b32_e32 v16, 3, v16
	v_lshlrev_b32_e32 v17, 3, v17
	;; [unrolled: 1-line block ×8, first 2 shown]
	s_wait_loadcnt_dscnt 0x0
	s_barrier_signal -1
	s_barrier_wait -1
	global_inv scope:SCOPE_SE
	ds_store_b64 v16, v[12:13]
	ds_store_b64 v17, v[14:15]
	;; [unrolled: 1-line block ×8, first 2 shown]
	s_wait_loadcnt_dscnt 0x0
	s_barrier_signal -1
	s_barrier_wait -1
	global_inv scope:SCOPE_SE
	ds_load_b128 v[21:24], v36
	ds_load_b128 v[17:20], v36 offset:16
	ds_load_b128 v[29:32], v36 offset:32
	;; [unrolled: 1-line block ×3, first 2 shown]
	v_lshrrev_b32_e32 v0, 16, v33
	v_lshrrev_b32_e32 v3, 16, v34
	v_and_b32_e32 v1, 0xffffff00, v33
	v_xor_b32_e32 v2, 0x7f, v33
	v_and_b32_e32 v4, 0xffffff00, v34
	v_xor_b32_e32 v5, 0x7f, v34
	;; [unrolled: 2-line block ×4, first 2 shown]
	v_xor_b32_e32 v1, 0x7f00, v1
	v_and_b32_e32 v2, 0xff, v2
	v_xor_b32_e32 v4, 0x7f00, v4
	v_and_b32_e32 v5, 0xff, v5
	;; [unrolled: 2-line block ×4, first 2 shown]
	v_or_b32_e32 v1, v2, v1
	v_or_b32_e32 v2, v5, v4
	v_or_b32_e32 v0, v0, v6
	s_delay_alu instid0(VALU_DEP_4) | instskip(NEXT) | instid1(VALU_DEP_4)
	v_or_b32_e32 v3, v3, v7
	v_and_b32_e32 v1, 0xffff, v1
	s_delay_alu instid0(VALU_DEP_4) | instskip(NEXT) | instid1(VALU_DEP_4)
	v_and_b32_e32 v2, 0xffff, v2
	v_lshlrev_b32_e32 v0, 16, v0
	s_delay_alu instid0(VALU_DEP_4) | instskip(NEXT) | instid1(VALU_DEP_2)
	v_lshlrev_b32_e32 v3, 16, v3
	v_or_b32_e32 v0, v1, v0
	s_delay_alu instid0(VALU_DEP_2)
	v_or_b32_e32 v33, v2, v3
.LBB107_84:
	s_wait_loadcnt_dscnt 0x0
	s_barrier_signal -1
	s_barrier_wait -1
	global_inv scope:SCOPE_SE
	ds_store_2addr_b32 v56, v0, v33 offset1:1
	s_wait_loadcnt_dscnt 0x0
	s_barrier_signal -1
	s_barrier_wait -1
	global_inv scope:SCOPE_SE
	ds_load_u8 v8, v49 offset:128
	ds_load_u8 v7, v50 offset:256
	;; [unrolled: 1-line block ×7, first 2 shown]
	v_add_co_u32 v0, s8, s18, v47
	s_wait_alu 0xf1ff
	v_add_co_ci_u32_e64 v1, null, s19, 0, s8
	s_and_saveexec_b32 s8, s0
	s_cbranch_execnz .LBB107_103
; %bb.85:
	s_wait_alu 0xfffe
	s_or_b32 exec_lo, exec_lo, s8
	s_and_saveexec_b32 s8, s1
	s_cbranch_execnz .LBB107_104
.LBB107_86:
	s_wait_alu 0xfffe
	s_or_b32 exec_lo, exec_lo, s8
	s_and_saveexec_b32 s8, s2
	s_cbranch_execnz .LBB107_105
.LBB107_87:
	s_wait_alu 0xfffe
	s_or_b32 exec_lo, exec_lo, s8
	s_and_saveexec_b32 s8, s3
	s_cbranch_execnz .LBB107_106
.LBB107_88:
	s_wait_alu 0xfffe
	s_or_b32 exec_lo, exec_lo, s8
	s_and_saveexec_b32 s8, s4
	s_cbranch_execnz .LBB107_107
.LBB107_89:
	s_wait_alu 0xfffe
	s_or_b32 exec_lo, exec_lo, s8
	s_and_saveexec_b32 s8, s5
	s_cbranch_execnz .LBB107_108
.LBB107_90:
	s_wait_alu 0xfffe
	s_or_b32 exec_lo, exec_lo, s8
	s_and_saveexec_b32 s8, s6
	s_cbranch_execnz .LBB107_109
.LBB107_91:
	s_wait_alu 0xfffe
	s_or_b32 exec_lo, exec_lo, s8
	s_and_saveexec_b32 s8, s7
	s_cbranch_execz .LBB107_93
.LBB107_92:
	s_mul_i32 s9, s14, 0x380
	s_wait_alu 0xfffe
	v_add_co_u32 v0, vcc_lo, v0, s9
	s_wait_alu 0xfffd
	v_add_co_ci_u32_e64 v1, null, 0, v1, vcc_lo
	s_wait_dscnt 0x0
	global_store_b8 v[0:1], v2, off
.LBB107_93:
	s_wait_alu 0xfffe
	s_or_b32 exec_lo, exec_lo, s8
	s_wait_storecnt 0x0
	s_wait_loadcnt_dscnt 0x0
	s_barrier_signal -1
	s_barrier_wait -1
	global_inv scope:SCOPE_SE
	ds_store_2addr_b64 v64, v[21:22], v[23:24] offset1:1
	ds_store_2addr_b64 v64, v[17:18], v[19:20] offset0:2 offset1:3
	ds_store_2addr_b64 v64, v[29:30], v[31:32] offset0:4 offset1:5
	;; [unrolled: 1-line block ×3, first 2 shown]
	s_wait_loadcnt_dscnt 0x0
	s_barrier_signal -1
	s_barrier_wait -1
	global_inv scope:SCOPE_SE
	ds_load_b64 v[14:15], v58 offset:1024
	ds_load_b64 v[12:13], v59 offset:2048
	;; [unrolled: 1-line block ×7, first 2 shown]
	v_mov_b32_e32 v42, 0
	s_delay_alu instid0(VALU_DEP_1) | instskip(NEXT) | instid1(VALU_DEP_1)
	v_lshlrev_b64_e32 v[2:3], 3, v[41:42]
	v_add_co_u32 v2, vcc_lo, s12, v2
	s_wait_alu 0xfffd
	s_delay_alu instid0(VALU_DEP_2)
	v_add_co_ci_u32_e64 v3, null, s13, v3, vcc_lo
	s_and_saveexec_b32 s8, s0
	s_cbranch_execnz .LBB107_110
; %bb.94:
	s_wait_alu 0xfffe
	s_or_b32 exec_lo, exec_lo, s8
	s_and_saveexec_b32 s0, s1
	s_cbranch_execnz .LBB107_111
.LBB107_95:
	s_or_b32 exec_lo, exec_lo, s0
	s_and_saveexec_b32 s0, s2
	s_cbranch_execnz .LBB107_112
.LBB107_96:
	s_or_b32 exec_lo, exec_lo, s0
	s_and_saveexec_b32 s0, s3
	s_cbranch_execnz .LBB107_113
.LBB107_97:
	s_or_b32 exec_lo, exec_lo, s0
	s_and_saveexec_b32 s0, s4
	s_cbranch_execnz .LBB107_114
.LBB107_98:
	s_or_b32 exec_lo, exec_lo, s0
	s_and_saveexec_b32 s0, s5
	s_cbranch_execnz .LBB107_115
.LBB107_99:
	s_or_b32 exec_lo, exec_lo, s0
	s_and_saveexec_b32 s0, s6
	s_cbranch_execnz .LBB107_116
.LBB107_100:
	s_or_b32 exec_lo, exec_lo, s0
	s_and_saveexec_b32 s0, s7
	s_cbranch_execz .LBB107_102
.LBB107_101:
	s_mul_i32 s0, s16, 0x380
	s_mov_b32 s1, 0
	s_delay_alu instid0(SALU_CYCLE_1) | instskip(NEXT) | instid1(SALU_CYCLE_1)
	s_lshl_b64 s[0:1], s[0:1], 3
	v_add_co_u32 v2, vcc_lo, v2, s0
	s_wait_alu 0xfffd
	v_add_co_ci_u32_e64 v3, null, s1, v3, vcc_lo
	s_wait_dscnt 0x0
	global_store_b64 v[2:3], v[0:1], off
.LBB107_102:
	s_nop 0
	s_sendmsg sendmsg(MSG_DEALLOC_VGPRS)
	s_endpgm
.LBB107_103:
	ds_load_u8 v9, v48
	s_wait_dscnt 0x0
	global_store_b8 v[0:1], v9, off
	s_wait_alu 0xfffe
	s_or_b32 exec_lo, exec_lo, s8
	s_and_saveexec_b32 s8, s1
	s_cbranch_execz .LBB107_86
.LBB107_104:
	s_lshl_b32 s9, s14, 7
	s_wait_alu 0xfffe
	v_add_co_u32 v9, vcc_lo, v0, s9
	s_wait_alu 0xfffd
	v_add_co_ci_u32_e64 v10, null, 0, v1, vcc_lo
	s_wait_dscnt 0x6
	global_store_b8 v[9:10], v8, off
	s_or_b32 exec_lo, exec_lo, s8
	s_and_saveexec_b32 s8, s2
	s_cbranch_execz .LBB107_87
.LBB107_105:
	s_lshl_b32 s9, s14, 8
	s_wait_dscnt 0x6
	s_wait_alu 0xfffe
	v_add_co_u32 v8, vcc_lo, v0, s9
	s_wait_alu 0xfffd
	v_add_co_ci_u32_e64 v9, null, 0, v1, vcc_lo
	s_wait_dscnt 0x5
	global_store_b8 v[8:9], v7, off
	s_or_b32 exec_lo, exec_lo, s8
	s_and_saveexec_b32 s8, s3
	s_cbranch_execz .LBB107_88
.LBB107_106:
	s_mul_i32 s9, s14, 0x180
	s_wait_dscnt 0x5
	s_wait_alu 0xfffe
	v_add_co_u32 v7, vcc_lo, v0, s9
	s_wait_alu 0xfffd
	v_add_co_ci_u32_e64 v8, null, 0, v1, vcc_lo
	s_wait_dscnt 0x4
	global_store_b8 v[7:8], v6, off
	s_or_b32 exec_lo, exec_lo, s8
	s_and_saveexec_b32 s8, s4
	s_cbranch_execz .LBB107_89
.LBB107_107:
	s_lshl_b32 s9, s14, 9
	s_wait_dscnt 0x4
	s_wait_alu 0xfffe
	v_add_co_u32 v6, vcc_lo, v0, s9
	s_wait_alu 0xfffd
	v_add_co_ci_u32_e64 v7, null, 0, v1, vcc_lo
	s_wait_dscnt 0x3
	global_store_b8 v[6:7], v5, off
	s_or_b32 exec_lo, exec_lo, s8
	s_and_saveexec_b32 s8, s5
	s_cbranch_execz .LBB107_90
.LBB107_108:
	s_mul_i32 s9, s14, 0x280
	s_wait_dscnt 0x3
	s_wait_alu 0xfffe
	v_add_co_u32 v5, vcc_lo, v0, s9
	s_wait_alu 0xfffd
	v_add_co_ci_u32_e64 v6, null, 0, v1, vcc_lo
	s_wait_dscnt 0x2
	global_store_b8 v[5:6], v4, off
	s_or_b32 exec_lo, exec_lo, s8
	s_and_saveexec_b32 s8, s6
	s_cbranch_execz .LBB107_91
.LBB107_109:
	s_mul_i32 s9, s14, 0x300
	s_wait_dscnt 0x2
	s_wait_alu 0xfffe
	v_add_co_u32 v4, vcc_lo, v0, s9
	s_wait_alu 0xfffd
	v_add_co_ci_u32_e64 v5, null, 0, v1, vcc_lo
	s_wait_dscnt 0x1
	global_store_b8 v[4:5], v3, off
	s_or_b32 exec_lo, exec_lo, s8
	s_and_saveexec_b32 s8, s7
	s_cbranch_execnz .LBB107_92
	s_branch .LBB107_93
.LBB107_110:
	ds_load_b64 v[16:17], v57
	s_wait_dscnt 0x0
	global_store_b64 v[2:3], v[16:17], off
	s_wait_alu 0xfffe
	s_or_b32 exec_lo, exec_lo, s8
	s_and_saveexec_b32 s0, s1
	s_cbranch_execz .LBB107_95
.LBB107_111:
	s_lshl_b32 s8, s16, 7
	s_mov_b32 s9, 0
	s_wait_alu 0xfffe
	s_lshl_b64 s[8:9], s[8:9], 3
	s_wait_alu 0xfffe
	v_add_co_u32 v16, vcc_lo, v2, s8
	s_wait_alu 0xfffd
	v_add_co_ci_u32_e64 v17, null, s9, v3, vcc_lo
	s_wait_dscnt 0x6
	global_store_b64 v[16:17], v[14:15], off
	s_or_b32 exec_lo, exec_lo, s0
	s_and_saveexec_b32 s0, s2
	s_cbranch_execz .LBB107_96
.LBB107_112:
	s_lshl_b32 s8, s16, 8
	s_mov_b32 s9, 0
	s_wait_alu 0xfffe
	s_lshl_b64 s[8:9], s[8:9], 3
	s_wait_dscnt 0x6
	s_wait_alu 0xfffe
	v_add_co_u32 v14, vcc_lo, v2, s8
	s_wait_alu 0xfffd
	v_add_co_ci_u32_e64 v15, null, s9, v3, vcc_lo
	s_wait_dscnt 0x5
	global_store_b64 v[14:15], v[12:13], off
	s_or_b32 exec_lo, exec_lo, s0
	s_and_saveexec_b32 s0, s3
	s_cbranch_execz .LBB107_97
.LBB107_113:
	s_mul_i32 s2, s16, 0x180
	s_mov_b32 s3, 0
	s_wait_alu 0xfffe
	s_lshl_b64 s[2:3], s[2:3], 3
	s_wait_dscnt 0x5
	s_wait_alu 0xfffe
	v_add_co_u32 v12, vcc_lo, v2, s2
	s_wait_alu 0xfffd
	v_add_co_ci_u32_e64 v13, null, s3, v3, vcc_lo
	s_wait_dscnt 0x4
	global_store_b64 v[12:13], v[10:11], off
	s_or_b32 exec_lo, exec_lo, s0
	s_and_saveexec_b32 s0, s4
	s_cbranch_execz .LBB107_98
.LBB107_114:
	s_lshl_b32 s2, s16, 9
	s_mov_b32 s3, 0
	s_wait_alu 0xfffe
	s_lshl_b64 s[2:3], s[2:3], 3
	s_wait_dscnt 0x4
	s_wait_alu 0xfffe
	v_add_co_u32 v10, vcc_lo, v2, s2
	s_wait_alu 0xfffd
	v_add_co_ci_u32_e64 v11, null, s3, v3, vcc_lo
	s_wait_dscnt 0x3
	global_store_b64 v[10:11], v[8:9], off
	s_or_b32 exec_lo, exec_lo, s0
	s_and_saveexec_b32 s0, s5
	s_cbranch_execz .LBB107_99
.LBB107_115:
	s_mul_i32 s2, s16, 0x280
	s_mov_b32 s3, 0
	s_wait_alu 0xfffe
	s_lshl_b64 s[2:3], s[2:3], 3
	s_wait_dscnt 0x3
	s_wait_alu 0xfffe
	v_add_co_u32 v8, vcc_lo, v2, s2
	s_wait_alu 0xfffd
	v_add_co_ci_u32_e64 v9, null, s3, v3, vcc_lo
	s_wait_dscnt 0x2
	global_store_b64 v[8:9], v[6:7], off
	s_or_b32 exec_lo, exec_lo, s0
	s_and_saveexec_b32 s0, s6
	s_cbranch_execz .LBB107_100
.LBB107_116:
	s_mul_i32 s2, s16, 0x300
	s_mov_b32 s3, 0
	s_wait_alu 0xfffe
	s_lshl_b64 s[2:3], s[2:3], 3
	s_wait_dscnt 0x2
	s_wait_alu 0xfffe
	v_add_co_u32 v6, vcc_lo, v2, s2
	s_wait_alu 0xfffd
	v_add_co_ci_u32_e64 v7, null, s3, v3, vcc_lo
	s_wait_dscnt 0x1
	global_store_b64 v[6:7], v[4:5], off
	s_or_b32 exec_lo, exec_lo, s0
	s_and_saveexec_b32 s0, s7
	s_cbranch_execnz .LBB107_101
	s_branch .LBB107_102
	.section	.rodata,"a",@progbits
	.p2align	6, 0x0
	.amdhsa_kernel _ZN2at6native18radixSortKVInPlaceILi2ELin1ELi128ELi8EaljEEvNS_4cuda6detail10TensorInfoIT3_T5_EES6_S6_S6_NS4_IT4_S6_EES6_b
		.amdhsa_group_segment_fixed_size 8448
		.amdhsa_private_segment_fixed_size 0
		.amdhsa_kernarg_size 712
		.amdhsa_user_sgpr_count 2
		.amdhsa_user_sgpr_dispatch_ptr 0
		.amdhsa_user_sgpr_queue_ptr 0
		.amdhsa_user_sgpr_kernarg_segment_ptr 1
		.amdhsa_user_sgpr_dispatch_id 0
		.amdhsa_user_sgpr_private_segment_size 0
		.amdhsa_wavefront_size32 1
		.amdhsa_uses_dynamic_stack 0
		.amdhsa_enable_private_segment 0
		.amdhsa_system_sgpr_workgroup_id_x 1
		.amdhsa_system_sgpr_workgroup_id_y 1
		.amdhsa_system_sgpr_workgroup_id_z 1
		.amdhsa_system_sgpr_workgroup_info 0
		.amdhsa_system_vgpr_workitem_id 2
		.amdhsa_next_free_vgpr 114
		.amdhsa_next_free_sgpr 24
		.amdhsa_reserve_vcc 1
		.amdhsa_float_round_mode_32 0
		.amdhsa_float_round_mode_16_64 0
		.amdhsa_float_denorm_mode_32 3
		.amdhsa_float_denorm_mode_16_64 3
		.amdhsa_fp16_overflow 0
		.amdhsa_workgroup_processor_mode 1
		.amdhsa_memory_ordered 1
		.amdhsa_forward_progress 1
		.amdhsa_inst_pref_size 106
		.amdhsa_round_robin_scheduling 0
		.amdhsa_exception_fp_ieee_invalid_op 0
		.amdhsa_exception_fp_denorm_src 0
		.amdhsa_exception_fp_ieee_div_zero 0
		.amdhsa_exception_fp_ieee_overflow 0
		.amdhsa_exception_fp_ieee_underflow 0
		.amdhsa_exception_fp_ieee_inexact 0
		.amdhsa_exception_int_div_zero 0
	.end_amdhsa_kernel
	.section	.text._ZN2at6native18radixSortKVInPlaceILi2ELin1ELi128ELi8EaljEEvNS_4cuda6detail10TensorInfoIT3_T5_EES6_S6_S6_NS4_IT4_S6_EES6_b,"axG",@progbits,_ZN2at6native18radixSortKVInPlaceILi2ELin1ELi128ELi8EaljEEvNS_4cuda6detail10TensorInfoIT3_T5_EES6_S6_S6_NS4_IT4_S6_EES6_b,comdat
.Lfunc_end107:
	.size	_ZN2at6native18radixSortKVInPlaceILi2ELin1ELi128ELi8EaljEEvNS_4cuda6detail10TensorInfoIT3_T5_EES6_S6_S6_NS4_IT4_S6_EES6_b, .Lfunc_end107-_ZN2at6native18radixSortKVInPlaceILi2ELin1ELi128ELi8EaljEEvNS_4cuda6detail10TensorInfoIT3_T5_EES6_S6_S6_NS4_IT4_S6_EES6_b
                                        ; -- End function
	.set _ZN2at6native18radixSortKVInPlaceILi2ELin1ELi128ELi8EaljEEvNS_4cuda6detail10TensorInfoIT3_T5_EES6_S6_S6_NS4_IT4_S6_EES6_b.num_vgpr, 114
	.set _ZN2at6native18radixSortKVInPlaceILi2ELin1ELi128ELi8EaljEEvNS_4cuda6detail10TensorInfoIT3_T5_EES6_S6_S6_NS4_IT4_S6_EES6_b.num_agpr, 0
	.set _ZN2at6native18radixSortKVInPlaceILi2ELin1ELi128ELi8EaljEEvNS_4cuda6detail10TensorInfoIT3_T5_EES6_S6_S6_NS4_IT4_S6_EES6_b.numbered_sgpr, 24
	.set _ZN2at6native18radixSortKVInPlaceILi2ELin1ELi128ELi8EaljEEvNS_4cuda6detail10TensorInfoIT3_T5_EES6_S6_S6_NS4_IT4_S6_EES6_b.num_named_barrier, 0
	.set _ZN2at6native18radixSortKVInPlaceILi2ELin1ELi128ELi8EaljEEvNS_4cuda6detail10TensorInfoIT3_T5_EES6_S6_S6_NS4_IT4_S6_EES6_b.private_seg_size, 0
	.set _ZN2at6native18radixSortKVInPlaceILi2ELin1ELi128ELi8EaljEEvNS_4cuda6detail10TensorInfoIT3_T5_EES6_S6_S6_NS4_IT4_S6_EES6_b.uses_vcc, 1
	.set _ZN2at6native18radixSortKVInPlaceILi2ELin1ELi128ELi8EaljEEvNS_4cuda6detail10TensorInfoIT3_T5_EES6_S6_S6_NS4_IT4_S6_EES6_b.uses_flat_scratch, 0
	.set _ZN2at6native18radixSortKVInPlaceILi2ELin1ELi128ELi8EaljEEvNS_4cuda6detail10TensorInfoIT3_T5_EES6_S6_S6_NS4_IT4_S6_EES6_b.has_dyn_sized_stack, 0
	.set _ZN2at6native18radixSortKVInPlaceILi2ELin1ELi128ELi8EaljEEvNS_4cuda6detail10TensorInfoIT3_T5_EES6_S6_S6_NS4_IT4_S6_EES6_b.has_recursion, 0
	.set _ZN2at6native18radixSortKVInPlaceILi2ELin1ELi128ELi8EaljEEvNS_4cuda6detail10TensorInfoIT3_T5_EES6_S6_S6_NS4_IT4_S6_EES6_b.has_indirect_call, 0
	.section	.AMDGPU.csdata,"",@progbits
; Kernel info:
; codeLenInByte = 13564
; TotalNumSgprs: 26
; NumVgprs: 114
; ScratchSize: 0
; MemoryBound: 0
; FloatMode: 240
; IeeeMode: 1
; LDSByteSize: 8448 bytes/workgroup (compile time only)
; SGPRBlocks: 0
; VGPRBlocks: 14
; NumSGPRsForWavesPerEU: 26
; NumVGPRsForWavesPerEU: 114
; Occupancy: 12
; WaveLimiterHint : 1
; COMPUTE_PGM_RSRC2:SCRATCH_EN: 0
; COMPUTE_PGM_RSRC2:USER_SGPR: 2
; COMPUTE_PGM_RSRC2:TRAP_HANDLER: 0
; COMPUTE_PGM_RSRC2:TGID_X_EN: 1
; COMPUTE_PGM_RSRC2:TGID_Y_EN: 1
; COMPUTE_PGM_RSRC2:TGID_Z_EN: 1
; COMPUTE_PGM_RSRC2:TIDIG_COMP_CNT: 2
	.section	.text._ZN2at6native18radixSortKVInPlaceILi2ELin1ELi32ELi4EaljEEvNS_4cuda6detail10TensorInfoIT3_T5_EES6_S6_S6_NS4_IT4_S6_EES6_b,"axG",@progbits,_ZN2at6native18radixSortKVInPlaceILi2ELin1ELi32ELi4EaljEEvNS_4cuda6detail10TensorInfoIT3_T5_EES6_S6_S6_NS4_IT4_S6_EES6_b,comdat
	.protected	_ZN2at6native18radixSortKVInPlaceILi2ELin1ELi32ELi4EaljEEvNS_4cuda6detail10TensorInfoIT3_T5_EES6_S6_S6_NS4_IT4_S6_EES6_b ; -- Begin function _ZN2at6native18radixSortKVInPlaceILi2ELin1ELi32ELi4EaljEEvNS_4cuda6detail10TensorInfoIT3_T5_EES6_S6_S6_NS4_IT4_S6_EES6_b
	.globl	_ZN2at6native18radixSortKVInPlaceILi2ELin1ELi32ELi4EaljEEvNS_4cuda6detail10TensorInfoIT3_T5_EES6_S6_S6_NS4_IT4_S6_EES6_b
	.p2align	8
	.type	_ZN2at6native18radixSortKVInPlaceILi2ELin1ELi32ELi4EaljEEvNS_4cuda6detail10TensorInfoIT3_T5_EES6_S6_S6_NS4_IT4_S6_EES6_b,@function
_ZN2at6native18radixSortKVInPlaceILi2ELin1ELi32ELi4EaljEEvNS_4cuda6detail10TensorInfoIT3_T5_EES6_S6_S6_NS4_IT4_S6_EES6_b: ; @_ZN2at6native18radixSortKVInPlaceILi2ELin1ELi32ELi4EaljEEvNS_4cuda6detail10TensorInfoIT3_T5_EES6_S6_S6_NS4_IT4_S6_EES6_b
; %bb.0:
	s_clause 0x1
	s_load_b64 s[2:3], s[0:1], 0x1c8
	s_load_b96 s[8:10], s[0:1], 0xd8
	s_lshr_b32 s4, ttmp7, 16
	s_wait_kmcnt 0x0
	s_mul_i32 s3, s3, s4
	s_and_b32 s4, ttmp7, 0xffff
	s_delay_alu instid0(SALU_CYCLE_1) | instskip(NEXT) | instid1(SALU_CYCLE_1)
	s_add_co_i32 s3, s3, s4
	s_mul_i32 s2, s3, s2
	s_delay_alu instid0(SALU_CYCLE_1) | instskip(NEXT) | instid1(SALU_CYCLE_1)
	s_add_co_i32 s2, s2, ttmp9
	s_cmp_ge_u32 s2, s8
	s_cbranch_scc1 .LBB108_54
; %bb.1:
	s_clause 0x2
	s_load_b32 s8, s[0:1], 0xc
	s_load_b64 s[14:15], s[0:1], 0x6c
	s_load_b32 s11, s[0:1], 0x1b8
	s_add_nc_u64 s[6:7], s[0:1], 0xe8
	s_wait_kmcnt 0x0
	s_cvt_f32_u32 s3, s8
	s_delay_alu instid0(SALU_CYCLE_3) | instskip(NEXT) | instid1(TRANS32_DEP_1)
	v_rcp_iflag_f32_e32 v1, s3
	v_readfirstlane_b32 s3, v1
	s_mul_f32 s3, s3, 0x4f7ffffe
	s_wait_alu 0xfffe
	s_delay_alu instid0(SALU_CYCLE_2) | instskip(SKIP_2) | instid1(SALU_CYCLE_1)
	s_cvt_u32_f32 s4, s3
	s_sub_co_i32 s3, 0, s8
	s_wait_alu 0xfffe
	s_mul_i32 s5, s3, s4
	s_mov_b32 s3, 0
	s_mul_hi_u32 s5, s4, s5
	s_wait_alu 0xfffe
	s_mov_b32 s13, s3
	s_add_co_i32 s12, s4, s5
	s_cmp_lt_i32 s11, 2
	s_mov_b32 s4, s2
	s_mov_b32 s5, s3
	s_cbranch_scc1 .LBB108_4
; %bb.2:
	s_add_co_i32 s4, s11, -1
	s_mov_b32 s5, 0
	s_add_co_i32 s11, s11, 1
	s_lshl_b64 s[16:17], s[4:5], 2
	s_mov_b32 s4, s2
	s_add_nc_u64 s[16:17], s[6:7], s[16:17]
	s_delay_alu instid0(SALU_CYCLE_1)
	s_add_nc_u64 s[16:17], s[16:17], 8
.LBB108_3:                              ; =>This Inner Loop Header: Depth=1
	s_clause 0x1
	s_load_b32 s18, s[16:17], 0x0
	s_load_b32 s19, s[16:17], 0x64
	s_mov_b32 s22, s4
	s_add_nc_u64 s[16:17], s[16:17], -4
	s_wait_kmcnt 0x0
	s_cvt_f32_u32 s20, s18
	s_sub_co_i32 s21, 0, s18
	s_wait_alu 0xfffe
	s_delay_alu instid0(SALU_CYCLE_1) | instskip(NEXT) | instid1(TRANS32_DEP_1)
	v_rcp_iflag_f32_e32 v1, s20
	v_readfirstlane_b32 s20, v1
	s_mul_f32 s20, s20, 0x4f7ffffe
	s_wait_alu 0xfffe
	s_delay_alu instid0(SALU_CYCLE_2) | instskip(SKIP_1) | instid1(SALU_CYCLE_2)
	s_cvt_u32_f32 s20, s20
	s_wait_alu 0xfffe
	s_mul_i32 s21, s21, s20
	s_wait_alu 0xfffe
	s_mul_hi_u32 s21, s20, s21
	s_wait_alu 0xfffe
	s_add_co_i32 s20, s20, s21
	s_wait_alu 0xfffe
	s_mul_hi_u32 s4, s4, s20
	s_delay_alu instid0(SALU_CYCLE_1)
	s_mul_i32 s20, s4, s18
	s_add_co_i32 s21, s4, 1
	s_wait_alu 0xfffe
	s_sub_co_i32 s20, s22, s20
	s_wait_alu 0xfffe
	s_sub_co_i32 s23, s20, s18
	s_cmp_ge_u32 s20, s18
	s_cselect_b32 s4, s21, s4
	s_cselect_b32 s20, s23, s20
	s_add_co_i32 s21, s4, 1
	s_wait_alu 0xfffe
	s_cmp_ge_u32 s20, s18
	s_cselect_b32 s4, s21, s4
	s_add_co_i32 s11, s11, -1
	s_mul_i32 s18, s4, s18
	s_delay_alu instid0(SALU_CYCLE_1) | instskip(NEXT) | instid1(SALU_CYCLE_1)
	s_sub_co_i32 s18, s22, s18
	s_mul_i32 s18, s19, s18
	s_delay_alu instid0(SALU_CYCLE_1)
	s_add_co_i32 s5, s18, s5
	s_cmp_gt_u32 s11, 2
	s_cbranch_scc1 .LBB108_3
.LBB108_4:
	s_mul_u64 s[20:21], s[2:3], s[12:13]
	s_clause 0x1
	s_load_b64 s[16:17], s[0:1], 0x0
	s_load_b64 s[12:13], s[0:1], 0x1c0
	s_mul_i32 s3, s21, s8
	s_add_nc_u64 s[18:19], s[0:1], 0x1c8
	s_wait_alu 0xfffe
	s_sub_co_i32 s0, s2, s3
	s_add_co_i32 s1, s21, 1
	s_sub_co_i32 s3, s0, s8
	s_cmp_ge_u32 s0, s8
	s_movk_i32 s11, 0x8000
	s_cselect_b32 s1, s1, s21
	s_wait_alu 0xfffe
	s_cselect_b32 s0, s3, s0
	s_add_co_i32 s3, s1, 1
	s_cmp_ge_u32 s0, s8
	s_wait_alu 0xfffe
	s_cselect_b32 s0, s3, s1
	s_mov_b32 s3, 0xff80
	s_mul_i32 s1, s0, s8
	s_mul_i32 s0, s0, s14
	s_sub_co_i32 s1, s2, s1
	s_delay_alu instid0(SALU_CYCLE_1) | instskip(NEXT) | instid1(SALU_CYCLE_1)
	s_mul_i32 s1, s1, s15
	s_add_co_i32 s2, s0, s1
	s_wait_kmcnt 0x0
	s_bitcmp1_b32 s13, 0
	s_movk_i32 s0, 0x80
	s_cselect_b32 s8, -1, 0
	s_delay_alu instid0(SALU_CYCLE_1)
	s_and_b32 s1, s8, exec_lo
	s_cselect_b32 s1, s11, 0x7f00
	s_cselect_b32 s0, s0, 0x7f
	s_wait_alu 0xfffe
	s_cselect_b32 s3, s3, 0x7f
	s_wait_alu 0xfffe
	v_dual_mov_b32 v2, s3 :: v_dual_and_b32 v11, 0x3ff, v0
	s_or_b32 s0, s0, s1
	s_mov_b32 s3, 0
	s_and_b32 s1, s0, 0xffff
	s_lshl_b32 s0, s0, 16
	v_mul_lo_u32 v20, s10, v11
	s_or_b32 s1, s1, s0
	v_cmp_gt_u32_e64 s0, s9, v11
	v_mov_b32_e32 v1, s1
	s_wait_alu 0xfffe
	s_add_nc_u64 s[14:15], s[16:17], s[2:3]
	s_and_saveexec_b32 s2, s0
	s_cbranch_execz .LBB108_6
; %bb.5:
	global_load_u8 v2, v20, s[14:15]
	s_wait_loadcnt 0x0
	v_perm_b32 v1, v2, s1, 0x3020104
.LBB108_6:
	s_wait_alu 0xfffe
	s_or_b32 exec_lo, exec_lo, s2
	v_add_nc_u32_e32 v5, 32, v11
	s_delay_alu instid0(VALU_DEP_1)
	v_cmp_gt_u32_e64 s3, s9, v5
	s_and_saveexec_b32 s1, s3
	s_cbranch_execz .LBB108_8
; %bb.7:
	v_mul_lo_u32 v3, s10, v5
	global_load_u8 v3, v3, s[14:15]
	s_wait_loadcnt 0x0
	v_perm_b32 v1, v1, v3, 0x7060004
.LBB108_8:
	s_wait_alu 0xfffe
	s_or_b32 exec_lo, exec_lo, s1
	v_add_nc_u32_e32 v16, 64, v11
	s_delay_alu instid0(VALU_DEP_1)
	v_cmp_gt_u32_e64 s1, s9, v16
	s_and_saveexec_b32 s2, s1
	s_cbranch_execz .LBB108_10
; %bb.9:
	v_mul_lo_u32 v3, s10, v16
	global_load_u8 v3, v3, s[14:15]
	s_wait_loadcnt 0x0
	v_perm_b32 v1, v1, v3, 0x7000504
.LBB108_10:
	s_wait_alu 0xfffe
	s_or_b32 exec_lo, exec_lo, s2
	s_clause 0x1
	s_load_b32 s11, s[6:7], 0x6c
	s_load_b64 s[6:7], s[6:7], 0x0
	v_add_nc_u32_e32 v14, 0x60, v11
	s_delay_alu instid0(VALU_DEP_1)
	v_cmp_gt_u32_e64 s2, s9, v14
	s_and_saveexec_b32 s9, s2
	s_cbranch_execz .LBB108_12
; %bb.11:
	v_mul_lo_u32 v3, s10, v14
	global_load_u8 v3, v3, s[14:15]
	s_wait_loadcnt 0x0
	v_perm_b32 v1, v1, v3, 0x60504
.LBB108_12:
	s_wait_alu 0xfffe
	s_or_b32 exec_lo, exec_lo, s9
	v_lshrrev_b32_e32 v13, 5, v5
	v_lshrrev_b32_e32 v12, 5, v11
	;; [unrolled: 1-line block ×5, first 2 shown]
	v_and_b32_e32 v6, 60, v13
	v_and_b32_e32 v4, 28, v12
	;; [unrolled: 1-line block ×3, first 2 shown]
	v_lshlrev_b32_e32 v31, 2, v11
	v_lshrrev_b32_e32 v3, 8, v1
	v_add_nc_u32_e32 v22, v6, v11
	v_and_b32_e32 v6, 0x7c, v18
	v_add_nc_u32_e32 v21, v4, v11
	v_and_b32_e32 v4, 60, v17
	v_add_nc_u32_e32 v23, v7, v11
	v_lshrrev_b32_e32 v7, 24, v1
	v_add_nc_u32_e32 v25, v6, v31
	ds_store_b8 v21, v2
	ds_store_b8 v22, v3 offset:32
	v_add_nc_u32_e32 v24, v4, v11
	ds_store_b8_d16_hi v23, v1 offset:64
	ds_store_b8 v24, v7 offset:96
	s_wait_dscnt 0x0
	; wave barrier
	global_inv scope:SCOPE_SE
	ds_load_b32 v36, v25
	s_wait_kmcnt 0x0
	s_mul_i32 s4, s11, s4
	v_mul_lo_u32 v9, s12, v11
	s_add_co_i32 s4, s4, s5
	s_mov_b32 s5, 0
	v_mov_b32_e32 v1, 0
	v_dual_mov_b32 v3, 0 :: v_dual_mov_b32 v2, 0
	v_mov_b32_e32 v4, 0
	s_lshl_b64 s[4:5], s[4:5], 3
	s_wait_loadcnt_dscnt 0x0
	s_add_nc_u64 s[16:17], s[6:7], s[4:5]
	; wave barrier
	global_inv scope:SCOPE_SE
	s_and_saveexec_b32 s4, s0
	s_cbranch_execz .LBB108_14
; %bb.13:
	v_mov_b32_e32 v10, 0
	s_delay_alu instid0(VALU_DEP_1) | instskip(NEXT) | instid1(VALU_DEP_1)
	v_lshlrev_b64_e32 v[3:4], 3, v[9:10]
	v_add_co_u32 v3, vcc_lo, s16, v3
	s_delay_alu instid0(VALU_DEP_1)
	v_add_co_ci_u32_e64 v4, null, s17, v4, vcc_lo
	global_load_b64 v[3:4], v[3:4], off
.LBB108_14:
	s_or_b32 exec_lo, exec_lo, s4
	s_and_saveexec_b32 s4, s3
	s_cbranch_execz .LBB108_16
; %bb.15:
	v_mul_lo_u32 v1, s12, v5
	v_mov_b32_e32 v2, 0
	s_delay_alu instid0(VALU_DEP_1) | instskip(NEXT) | instid1(VALU_DEP_1)
	v_lshlrev_b64_e32 v[1:2], 3, v[1:2]
	v_add_co_u32 v1, vcc_lo, s16, v1
	s_wait_alu 0xfffd
	s_delay_alu instid0(VALU_DEP_2)
	v_add_co_ci_u32_e64 v2, null, s17, v2, vcc_lo
	global_load_b64 v[1:2], v[1:2], off
.LBB108_16:
	s_or_b32 exec_lo, exec_lo, s4
	v_mov_b32_e32 v5, 0
	v_dual_mov_b32 v6, 0 :: v_dual_mov_b32 v7, 0
	v_mov_b32_e32 v8, 0
	s_and_saveexec_b32 s4, s1
	s_cbranch_execz .LBB108_18
; %bb.17:
	v_mul_lo_u32 v7, s12, v16
	v_mov_b32_e32 v8, 0
	s_delay_alu instid0(VALU_DEP_1) | instskip(NEXT) | instid1(VALU_DEP_1)
	v_lshlrev_b64_e32 v[7:8], 3, v[7:8]
	v_add_co_u32 v7, vcc_lo, s16, v7
	s_wait_alu 0xfffd
	s_delay_alu instid0(VALU_DEP_2)
	v_add_co_ci_u32_e64 v8, null, s17, v8, vcc_lo
	global_load_b64 v[7:8], v[7:8], off
.LBB108_18:
	s_or_b32 exec_lo, exec_lo, s4
	s_xor_b32 s7, s8, -1
	s_and_saveexec_b32 s4, s2
	s_cbranch_execz .LBB108_20
; %bb.19:
	v_mul_lo_u32 v5, s12, v14
	v_mov_b32_e32 v6, 0
	s_delay_alu instid0(VALU_DEP_1) | instskip(NEXT) | instid1(VALU_DEP_1)
	v_lshlrev_b64_e32 v[5:6], 3, v[5:6]
	v_add_co_u32 v5, vcc_lo, s16, v5
	s_wait_alu 0xfffd
	s_delay_alu instid0(VALU_DEP_2)
	v_add_co_ci_u32_e64 v6, null, s17, v6, vcc_lo
	global_load_b64 v[5:6], v[5:6], off
.LBB108_20:
	s_or_b32 exec_lo, exec_lo, s4
	v_lshlrev_b32_e32 v14, 3, v11
	v_lshlrev_b32_e32 v10, 3, v31
	v_mbcnt_lo_u32_b32 v32, -1, 0
	v_lshrrev_b32_e32 v38, 24, v36
	v_lshrrev_b32_e32 v39, 16, v36
	v_lshl_add_u32 v26, v12, 3, v14
	v_lshl_add_u32 v30, v18, 3, v10
	;; [unrolled: 1-line block ×5, first 2 shown]
	s_wait_loadcnt 0x0
	ds_store_b64 v26, v[3:4]
	ds_store_b64 v27, v[1:2] offset:256
	ds_store_b64 v28, v[7:8] offset:512
	;; [unrolled: 1-line block ×3, first 2 shown]
	s_wait_dscnt 0x0
	; wave barrier
	global_inv scope:SCOPE_SE
	ds_load_2addr_b64 v[5:8], v30 offset1:1
	ds_load_2addr_b64 v[1:4], v30 offset0:2 offset1:3
	v_and_b32_e32 v37, 3, v32
	v_lshrrev_b32_e32 v40, 8, v36
	v_and_b32_e32 v34, 28, v32
	s_and_b32 vcc_lo, exec_lo, s7
	v_bfe_u32 v35, v0, 10, 10
	v_cmp_eq_u32_e64 s6, 0, v37
	v_cmp_eq_u32_e64 s5, 1, v37
	;; [unrolled: 1-line block ×3, first 2 shown]
	v_bfe_u32 v0, v0, 20, 10
	v_cmp_eq_u32_e64 s7, 3, v37
	v_lshlrev_b32_e32 v33, 5, v11
	s_mov_b32 s8, -1
	; wave barrier
	s_wait_loadcnt_dscnt 0x0
	global_inv scope:SCOPE_SE
                                        ; implicit-def: $vgpr12
	s_wait_alu 0xfffe
	s_cbranch_vccz .LBB108_32
; %bb.21:
	v_xor_b32_e32 v12, 0x80, v36
	v_xor_b32_e32 v13, 0x80, v40
	;; [unrolled: 1-line block ×4, first 2 shown]
	s_getpc_b64 s[8:9]
	s_wait_alu 0xfffe
	s_sext_i32_i16 s9, s9
	s_add_co_u32 s8, s8, _ZN7rocprim17ROCPRIM_400000_NS16block_radix_sortIaLj32ELj4ElLj1ELj1ELj0ELNS0_26block_radix_rank_algorithmE1ELNS0_18block_padding_hintE2ELNS0_4arch9wavefront6targetE0EE19radix_bits_per_passE@rel32@lo+12
	s_wait_alu 0xfffe
	s_add_co_ci_u32 s9, s9, _ZN7rocprim17ROCPRIM_400000_NS16block_radix_sortIaLj32ELj4ElLj1ELj1ELj0ELNS0_26block_radix_rank_algorithmE1ELNS0_18block_padding_hintE2ELNS0_4arch9wavefront6targetE0EE19radix_bits_per_passE@rel32@hi+24
	v_and_b32_e32 v12, 0xff, v12
	v_and_b32_e32 v13, 0xff, v13
	;; [unrolled: 1-line block ×4, first 2 shown]
	s_load_b32 s8, s[8:9], 0x0
	ds_bpermute_b32 v15, v34, v12
	ds_bpermute_b32 v16, v34, v13
	;; [unrolled: 1-line block ×4, first 2 shown]
	ds_bpermute_b32 v41, v34, v12 offset:32
	; wave barrier
	s_wait_loadcnt_dscnt 0x0
	global_inv scope:SCOPE_SE
	s_load_b32 s11, s[18:19], 0xc
	ds_bpermute_b32 v48, v34, v5
	ds_bpermute_b32 v49, v34, v6
	;; [unrolled: 1-line block ×7, first 2 shown]
	ds_bpermute_b32 v45, v34, v5 offset:32
	ds_bpermute_b32 v65, v34, v6 offset:32
	;; [unrolled: 1-line block ×4, first 2 shown]
	s_wait_kmcnt 0x0
	s_min_u32 s8, s8, 8
	v_and_b32_e32 v15, 0xff, v15
	v_and_b32_e32 v16, 0xff, v16
	;; [unrolled: 1-line block ×3, first 2 shown]
	s_wait_alu 0xfffe
	s_lshl_b32 s8, -1, s8
	ds_bpermute_b32 v53, v34, v1 offset:32
	v_cndmask_b32_e64 v15, 0, v15, s6
	s_wait_alu 0xfffe
	s_not_b32 s9, s8
	s_lshr_b32 s8, s11, 16
	s_and_b32 s11, s11, 0xffff
	ds_bpermute_b32 v55, v34, v2 offset:32
	v_cndmask_b32_e64 v15, v15, v16, s5
	ds_bpermute_b32 v51, v34, v3 offset:32
	ds_bpermute_b32 v56, v34, v4 offset:32
	;; [unrolled: 1-line block ×4, first 2 shown]
	v_cndmask_b32_e64 v15, v15, v18, s4
	v_lshlrev_b16 v18, 8, v41
	ds_bpermute_b32 v41, v34, v3
	ds_bpermute_b32 v60, v34, v7 offset:64
	ds_bpermute_b32 v63, v34, v8 offset:64
	v_perm_b32 v16, v19, v15, 0x3020104
	ds_bpermute_b32 v57, v34, v1 offset:64
	ds_bpermute_b32 v61, v34, v2 offset:64
	;; [unrolled: 1-line block ×4, first 2 shown]
	v_cndmask_b32_e64 v15, v15, v16, s7
	ds_bpermute_b32 v16, v34, v13 offset:32
	ds_bpermute_b32 v66, v34, v5 offset:96
	;; [unrolled: 1-line block ×4, first 2 shown]
	v_and_b32_e32 v19, 0xff, v15
	ds_bpermute_b32 v73, v34, v8 offset:96
	ds_bpermute_b32 v72, v34, v2 offset:96
	v_or_b32_e32 v18, v19, v18
	ds_bpermute_b32 v19, v34, v14 offset:32
	v_and_b32_e32 v18, 0xffff, v18
	s_delay_alu instid0(VALU_DEP_1) | instskip(SKIP_2) | instid1(VALU_DEP_2)
	v_cndmask_b32_e64 v15, v15, v18, s6
	s_wait_dscnt 0x6
	v_lshlrev_b16 v16, 8, v16
	v_and_b32_e32 v18, 0xff, v15
	s_delay_alu instid0(VALU_DEP_1) | instskip(NEXT) | instid1(VALU_DEP_1)
	v_or_b32_e32 v16, v18, v16
	v_and_b32_e32 v16, 0xffff, v16
	s_delay_alu instid0(VALU_DEP_1) | instskip(NEXT) | instid1(VALU_DEP_1)
	v_and_or_b32 v16, 0xffff0000, v15, v16
	v_cndmask_b32_e64 v15, v15, v16, s5
	s_wait_dscnt 0x0
	v_lshlrev_b16 v16, 8, v19
	ds_bpermute_b32 v19, v34, v17 offset:32
	v_and_b32_e32 v18, 0xff, v15
	s_delay_alu instid0(VALU_DEP_1) | instskip(NEXT) | instid1(VALU_DEP_1)
	v_or_b32_e32 v16, v18, v16
	v_and_b32_e32 v16, 0xffff, v16
	s_delay_alu instid0(VALU_DEP_1) | instskip(NEXT) | instid1(VALU_DEP_1)
	v_and_or_b32 v16, 0xffff0000, v15, v16
	v_cndmask_b32_e64 v15, v15, v16, s4
	s_wait_dscnt 0x0
	v_lshlrev_b16 v16, 8, v19
	ds_bpermute_b32 v19, v34, v12 offset:64
	ds_bpermute_b32 v12, v34, v12 offset:96
	v_and_b32_e32 v18, 0xff, v15
	s_delay_alu instid0(VALU_DEP_1) | instskip(NEXT) | instid1(VALU_DEP_1)
	v_or_b32_e32 v16, v18, v16
	v_and_b32_e32 v16, 0xffff, v16
	s_delay_alu instid0(VALU_DEP_1) | instskip(SKIP_2) | instid1(VALU_DEP_2)
	v_and_or_b32 v16, 0xffff0000, v15, v16
	s_wait_dscnt 0x0
	v_lshlrev_b16 v12, 8, v12
	v_cndmask_b32_e64 v15, v15, v16, s7
	ds_bpermute_b32 v16, v34, v13 offset:64
	ds_bpermute_b32 v13, v34, v13 offset:96
	v_perm_b32 v18, v19, v15, 0xc0c0304
	s_delay_alu instid0(VALU_DEP_1) | instskip(NEXT) | instid1(VALU_DEP_1)
	v_lshlrev_b32_e32 v18, 16, v18
	v_and_or_b32 v18, 0xffff, v15, v18
	s_delay_alu instid0(VALU_DEP_1)
	v_cndmask_b32_e64 v15, v15, v18, s6
	ds_bpermute_b32 v18, v34, v14 offset:64
	s_wait_dscnt 0x1
	v_lshlrev_b16 v13, 8, v13
	ds_bpermute_b32 v14, v34, v14 offset:96
	v_perm_b32 v16, v16, v15, 0xc0c0304
	s_delay_alu instid0(VALU_DEP_1) | instskip(NEXT) | instid1(VALU_DEP_1)
	v_lshlrev_b32_e32 v16, 16, v16
	v_and_or_b32 v16, 0xffff, v15, v16
	s_delay_alu instid0(VALU_DEP_1) | instskip(SKIP_4) | instid1(VALU_DEP_1)
	v_cndmask_b32_e64 v15, v15, v16, s5
	ds_bpermute_b32 v16, v34, v17 offset:64
	s_wait_dscnt 0x1
	v_lshlrev_b16 v14, 8, v14
	v_perm_b32 v18, v18, v15, 0xc0c0304
	v_lshlrev_b32_e32 v18, 16, v18
	s_delay_alu instid0(VALU_DEP_1) | instskip(NEXT) | instid1(VALU_DEP_1)
	v_and_or_b32 v18, 0xffff, v15, v18
	v_cndmask_b32_e64 v15, v15, v18, s4
	s_wait_dscnt 0x0
	s_delay_alu instid0(VALU_DEP_1) | instskip(NEXT) | instid1(VALU_DEP_1)
	v_perm_b32 v16, v16, v15, 0xc0c0304
	v_lshlrev_b32_e32 v16, 16, v16
	s_delay_alu instid0(VALU_DEP_1) | instskip(NEXT) | instid1(VALU_DEP_1)
	v_and_or_b32 v16, 0xffff, v15, v16
	v_cndmask_b32_e64 v15, v15, v16, s7
	s_delay_alu instid0(VALU_DEP_1) | instskip(NEXT) | instid1(VALU_DEP_1)
	v_lshrrev_b32_e32 v16, 16, v15
	v_and_b32_e32 v16, 0xff, v16
	s_delay_alu instid0(VALU_DEP_1) | instskip(NEXT) | instid1(VALU_DEP_1)
	v_or_b32_e32 v12, v16, v12
	v_lshlrev_b32_e32 v12, 16, v12
	s_delay_alu instid0(VALU_DEP_1) | instskip(NEXT) | instid1(VALU_DEP_1)
	v_and_or_b32 v12, 0xffff, v15, v12
	v_cndmask_b32_e64 v12, v15, v12, s6
	s_delay_alu instid0(VALU_DEP_1) | instskip(NEXT) | instid1(VALU_DEP_1)
	v_lshrrev_b32_e32 v15, 16, v12
	v_and_b32_e32 v15, 0xff, v15
	s_delay_alu instid0(VALU_DEP_1) | instskip(NEXT) | instid1(VALU_DEP_1)
	v_or_b32_e32 v13, v15, v13
	v_lshlrev_b32_e32 v13, 16, v13
	s_delay_alu instid0(VALU_DEP_1) | instskip(NEXT) | instid1(VALU_DEP_1)
	v_and_or_b32 v13, 0xffff, v12, v13
	v_cndmask_b32_e64 v12, v12, v13, s5
	s_delay_alu instid0(VALU_DEP_1) | instskip(NEXT) | instid1(VALU_DEP_1)
	v_lshrrev_b32_e32 v13, 16, v12
	v_and_b32_e32 v13, 0xff, v13
	s_delay_alu instid0(VALU_DEP_1) | instskip(SKIP_2) | instid1(VALU_DEP_1)
	v_or_b32_e32 v13, v13, v14
	ds_bpermute_b32 v14, v34, v17 offset:96
	v_lshlrev_b32_e32 v13, 16, v13
	v_and_or_b32 v13, 0xffff, v12, v13
	s_delay_alu instid0(VALU_DEP_1) | instskip(NEXT) | instid1(VALU_DEP_1)
	v_cndmask_b32_e64 v12, v12, v13, s4
	v_lshrrev_b32_e32 v13, 16, v12
	s_wait_dscnt 0x0
	v_lshlrev_b16 v14, 8, v14
	s_delay_alu instid0(VALU_DEP_2) | instskip(NEXT) | instid1(VALU_DEP_1)
	v_and_b32_e32 v13, 0xff, v13
	v_or_b32_e32 v13, v13, v14
	s_delay_alu instid0(VALU_DEP_1) | instskip(NEXT) | instid1(VALU_DEP_1)
	v_lshlrev_b32_e32 v13, 16, v13
	v_and_or_b32 v13, 0xffff, v12, v13
	s_delay_alu instid0(VALU_DEP_1) | instskip(SKIP_2) | instid1(VALU_DEP_2)
	v_cndmask_b32_e64 v68, v12, v13, s7
	s_wait_alu 0xfffe
	v_mad_u32_u24 v12, v0, s8, v35
	v_and_b32_e32 v14, s9, v68
	s_delay_alu instid0(VALU_DEP_1)
	v_and_b32_e32 v13, 1, v14
	v_lshlrev_b32_e32 v15, 30, v14
	v_lshlrev_b32_e32 v16, 29, v14
	;; [unrolled: 1-line block ×4, first 2 shown]
	v_add_co_u32 v13, s8, v13, -1
	s_wait_alu 0xf1ff
	v_cndmask_b32_e64 v18, 0, 1, s8
	v_not_b32_e32 v71, v15
	v_cmp_gt_i32_e64 s8, 0, v15
	v_not_b32_e32 v15, v16
	v_lshlrev_b32_e32 v69, 26, v14
	v_cmp_ne_u32_e32 vcc_lo, 0, v18
	v_ashrrev_i32_e32 v71, 31, v71
	v_lshlrev_b32_e32 v70, 25, v14
	v_ashrrev_i32_e32 v15, 31, v15
	v_lshlrev_b32_e32 v18, 24, v14
	s_wait_alu 0xfffd
	v_xor_b32_e32 v13, vcc_lo, v13
	v_cmp_gt_i32_e32 vcc_lo, 0, v16
	v_not_b32_e32 v16, v17
	s_wait_alu 0xf1ff
	v_xor_b32_e32 v71, s8, v71
	v_cmp_gt_i32_e64 s8, 0, v17
	v_and_b32_e32 v13, exec_lo, v13
	v_not_b32_e32 v17, v19
	v_ashrrev_i32_e32 v16, 31, v16
	s_wait_alu 0xfffd
	v_xor_b32_e32 v15, vcc_lo, v15
	v_cmp_gt_i32_e32 vcc_lo, 0, v19
	v_and_b32_e32 v13, v13, v71
	v_not_b32_e32 v19, v69
	v_ashrrev_i32_e32 v17, 31, v17
	s_wait_alu 0xf1ff
	v_xor_b32_e32 v16, s8, v16
	v_cmp_gt_i32_e64 s8, 0, v69
	v_and_b32_e32 v13, v13, v15
	v_not_b32_e32 v15, v70
	v_ashrrev_i32_e32 v19, 31, v19
	s_wait_alu 0xfffd
	v_xor_b32_e32 v17, vcc_lo, v17
	v_cmp_gt_i32_e32 vcc_lo, 0, v70
	v_and_b32_e32 v13, v13, v16
	v_not_b32_e32 v16, v18
	v_ashrrev_i32_e32 v15, 31, v15
	s_wait_alu 0xf1ff
	v_xor_b32_e32 v19, s8, v19
	v_cmp_gt_i32_e64 s8, 0, v18
	v_and_b32_e32 v17, v13, v17
	v_mad_co_u64_u32 v[12:13], null, v12, s11, v[11:12]
	v_ashrrev_i32_e32 v13, 31, v16
	s_wait_alu 0xfffd
	v_xor_b32_e32 v15, vcc_lo, v15
	v_and_b32_e32 v16, v17, v19
	ds_bpermute_b32 v70, v34, v1 offset:96
	ds_bpermute_b32 v69, v34, v3 offset:96
	s_wait_alu 0xf1ff
	v_xor_b32_e32 v13, s8, v13
	ds_bpermute_b32 v71, v34, v4 offset:96
	v_and_b32_e32 v15, v16, v15
	v_lshrrev_b32_e32 v12, 3, v12
	v_and_b32_e32 v14, 0xff, v14
	s_delay_alu instid0(VALU_DEP_3) | instskip(NEXT) | instid1(VALU_DEP_3)
	v_and_b32_e32 v13, v15, v13
	v_dual_mov_b32 v15, 0 :: v_dual_and_b32 v12, 0x1ffffffc, v12
	ds_store_2addr_b32 v33, v15, v15 offset0:1 offset1:2
	ds_store_2addr_b32 v33, v15, v15 offset0:3 offset1:4
	;; [unrolled: 1-line block ×4, first 2 shown]
	v_mbcnt_lo_u32_b32 v74, v13, 0
	v_cmp_ne_u32_e64 s8, 0, v13
	v_lshl_add_u32 v76, v14, 2, v12
	; wave barrier
	s_wait_loadcnt_dscnt 0x0
	global_inv scope:SCOPE_SE
	v_cmp_eq_u32_e32 vcc_lo, 0, v74
	; wave barrier
	s_and_b32 s11, s8, vcc_lo
	s_wait_alu 0xfffe
	s_and_saveexec_b32 s8, s11
; %bb.22:
	v_bcnt_u32_b32 v13, v13, 0
	ds_store_b32 v76, v13 offset:4
; %bb.23:
	s_wait_alu 0xfffe
	s_or_b32 exec_lo, exec_lo, s8
	v_lshrrev_b32_e32 v75, 8, v68
	; wave barrier
	s_delay_alu instid0(VALU_DEP_1) | instskip(NEXT) | instid1(VALU_DEP_1)
	v_and_b32_e32 v13, s9, v75
	v_and_b32_e32 v14, 1, v13
	v_lshlrev_b32_e32 v15, 30, v13
	v_lshlrev_b32_e32 v16, 29, v13
	;; [unrolled: 1-line block ×4, first 2 shown]
	v_add_co_u32 v14, s8, v14, -1
	s_wait_alu 0xf1ff
	v_cndmask_b32_e64 v18, 0, 1, s8
	v_not_b32_e32 v79, v15
	v_cmp_gt_i32_e64 s8, 0, v15
	v_not_b32_e32 v15, v16
	v_lshlrev_b32_e32 v77, 26, v13
	v_cmp_ne_u32_e32 vcc_lo, 0, v18
	v_ashrrev_i32_e32 v79, 31, v79
	v_lshlrev_b32_e32 v78, 25, v13
	v_ashrrev_i32_e32 v15, 31, v15
	v_lshlrev_b32_e32 v18, 24, v13
	s_wait_alu 0xfffd
	v_xor_b32_e32 v14, vcc_lo, v14
	v_cmp_gt_i32_e32 vcc_lo, 0, v16
	v_not_b32_e32 v16, v17
	s_wait_alu 0xf1ff
	v_xor_b32_e32 v79, s8, v79
	v_cmp_gt_i32_e64 s8, 0, v17
	v_and_b32_e32 v14, exec_lo, v14
	v_not_b32_e32 v17, v19
	v_ashrrev_i32_e32 v16, 31, v16
	s_wait_alu 0xfffd
	v_xor_b32_e32 v15, vcc_lo, v15
	v_cmp_gt_i32_e32 vcc_lo, 0, v19
	v_and_b32_e32 v14, v14, v79
	v_not_b32_e32 v19, v77
	v_ashrrev_i32_e32 v17, 31, v17
	s_wait_alu 0xf1ff
	v_xor_b32_e32 v16, s8, v16
	v_cmp_gt_i32_e64 s8, 0, v77
	v_and_b32_e32 v14, v14, v15
	v_not_b32_e32 v15, v78
	v_ashrrev_i32_e32 v19, 31, v19
	s_wait_alu 0xfffd
	v_xor_b32_e32 v17, vcc_lo, v17
	v_cmp_gt_i32_e32 vcc_lo, 0, v78
	v_and_b32_e32 v14, v14, v16
	v_not_b32_e32 v16, v18
	v_ashrrev_i32_e32 v15, 31, v15
	s_wait_alu 0xf1ff
	v_xor_b32_e32 v19, s8, v19
	v_and_b32_e32 v13, 0xff, v13
	v_and_b32_e32 v14, v14, v17
	v_cmp_gt_i32_e64 s8, 0, v18
	v_ashrrev_i32_e32 v16, 31, v16
	s_wait_alu 0xfffd
	v_xor_b32_e32 v15, vcc_lo, v15
	v_lshl_add_u32 v79, v13, 2, v12
	v_and_b32_e32 v14, v14, v19
	s_wait_alu 0xf1ff
	v_xor_b32_e32 v13, s8, v16
	ds_load_b32 v77, v79 offset:4
	v_and_b32_e32 v14, v14, v15
	; wave barrier
	s_delay_alu instid0(VALU_DEP_1) | instskip(NEXT) | instid1(VALU_DEP_1)
	v_and_b32_e32 v13, v14, v13
	v_mbcnt_lo_u32_b32 v78, v13, 0
	v_cmp_ne_u32_e64 s8, 0, v13
	s_delay_alu instid0(VALU_DEP_2)
	v_cmp_eq_u32_e32 vcc_lo, 0, v78
	s_and_b32 s11, s8, vcc_lo
	s_wait_alu 0xfffe
	s_and_saveexec_b32 s8, s11
	s_cbranch_execz .LBB108_25
; %bb.24:
	s_wait_dscnt 0x0
	v_bcnt_u32_b32 v13, v13, v77
	ds_store_b32 v79, v13 offset:4
.LBB108_25:
	s_wait_alu 0xfffe
	s_or_b32 exec_lo, exec_lo, s8
	v_lshrrev_b32_e32 v80, 16, v68
	; wave barrier
	s_delay_alu instid0(VALU_DEP_1) | instskip(NEXT) | instid1(VALU_DEP_1)
	v_and_b32_e32 v13, s9, v80
	v_and_b32_e32 v14, 1, v13
	v_lshlrev_b32_e32 v15, 30, v13
	v_lshlrev_b32_e32 v16, 29, v13
	v_lshlrev_b32_e32 v17, 28, v13
	v_lshlrev_b32_e32 v19, 27, v13
	v_add_co_u32 v14, s8, v14, -1
	s_wait_alu 0xf1ff
	v_cndmask_b32_e64 v18, 0, 1, s8
	v_not_b32_e32 v83, v15
	v_cmp_gt_i32_e64 s8, 0, v15
	v_not_b32_e32 v15, v16
	v_lshlrev_b32_e32 v81, 26, v13
	v_cmp_ne_u32_e32 vcc_lo, 0, v18
	v_ashrrev_i32_e32 v83, 31, v83
	v_lshlrev_b32_e32 v82, 25, v13
	v_ashrrev_i32_e32 v15, 31, v15
	v_lshlrev_b32_e32 v18, 24, v13
	s_wait_alu 0xfffd
	v_xor_b32_e32 v14, vcc_lo, v14
	v_cmp_gt_i32_e32 vcc_lo, 0, v16
	v_not_b32_e32 v16, v17
	s_wait_alu 0xf1ff
	v_xor_b32_e32 v83, s8, v83
	v_cmp_gt_i32_e64 s8, 0, v17
	v_and_b32_e32 v14, exec_lo, v14
	v_not_b32_e32 v17, v19
	v_ashrrev_i32_e32 v16, 31, v16
	s_wait_alu 0xfffd
	v_xor_b32_e32 v15, vcc_lo, v15
	v_cmp_gt_i32_e32 vcc_lo, 0, v19
	v_and_b32_e32 v14, v14, v83
	v_not_b32_e32 v19, v81
	v_ashrrev_i32_e32 v17, 31, v17
	s_wait_alu 0xf1ff
	v_xor_b32_e32 v16, s8, v16
	v_cmp_gt_i32_e64 s8, 0, v81
	v_and_b32_e32 v14, v14, v15
	v_not_b32_e32 v15, v82
	v_ashrrev_i32_e32 v19, 31, v19
	s_wait_alu 0xfffd
	v_xor_b32_e32 v17, vcc_lo, v17
	v_cmp_gt_i32_e32 vcc_lo, 0, v82
	v_and_b32_e32 v14, v14, v16
	v_not_b32_e32 v16, v18
	v_ashrrev_i32_e32 v15, 31, v15
	s_wait_alu 0xf1ff
	v_xor_b32_e32 v19, s8, v19
	v_and_b32_e32 v13, 0xff, v13
	v_and_b32_e32 v14, v14, v17
	v_cmp_gt_i32_e64 s8, 0, v18
	v_ashrrev_i32_e32 v16, 31, v16
	s_wait_alu 0xfffd
	v_xor_b32_e32 v15, vcc_lo, v15
	v_lshl_add_u32 v83, v13, 2, v12
	v_and_b32_e32 v14, v14, v19
	s_wait_alu 0xf1ff
	v_xor_b32_e32 v13, s8, v16
	ds_load_b32 v81, v83 offset:4
	v_and_b32_e32 v14, v14, v15
	; wave barrier
	s_delay_alu instid0(VALU_DEP_1) | instskip(NEXT) | instid1(VALU_DEP_1)
	v_and_b32_e32 v13, v14, v13
	v_mbcnt_lo_u32_b32 v82, v13, 0
	v_cmp_ne_u32_e64 s8, 0, v13
	s_delay_alu instid0(VALU_DEP_2)
	v_cmp_eq_u32_e32 vcc_lo, 0, v82
	s_and_b32 s11, s8, vcc_lo
	s_wait_alu 0xfffe
	s_and_saveexec_b32 s8, s11
	s_cbranch_execz .LBB108_27
; %bb.26:
	s_wait_dscnt 0x0
	v_bcnt_u32_b32 v13, v13, v81
	ds_store_b32 v83, v13 offset:4
.LBB108_27:
	s_wait_alu 0xfffe
	s_or_b32 exec_lo, exec_lo, s8
	v_lshrrev_b32_e32 v84, 24, v68
	; wave barrier
	s_delay_alu instid0(VALU_DEP_1) | instskip(NEXT) | instid1(VALU_DEP_1)
	v_and_b32_e32 v13, s9, v84
	v_and_b32_e32 v14, 1, v13
	v_lshlrev_b32_e32 v15, 30, v13
	v_lshlrev_b32_e32 v16, 29, v13
	;; [unrolled: 1-line block ×4, first 2 shown]
	v_add_co_u32 v14, s8, v14, -1
	s_wait_alu 0xf1ff
	v_cndmask_b32_e64 v18, 0, 1, s8
	v_not_b32_e32 v87, v15
	v_cmp_gt_i32_e64 s8, 0, v15
	v_not_b32_e32 v15, v16
	v_lshlrev_b32_e32 v85, 26, v13
	v_cmp_ne_u32_e32 vcc_lo, 0, v18
	v_ashrrev_i32_e32 v87, 31, v87
	v_lshlrev_b32_e32 v86, 25, v13
	v_ashrrev_i32_e32 v15, 31, v15
	v_lshlrev_b32_e32 v18, 24, v13
	s_wait_alu 0xfffd
	v_xor_b32_e32 v14, vcc_lo, v14
	v_cmp_gt_i32_e32 vcc_lo, 0, v16
	v_not_b32_e32 v16, v17
	s_wait_alu 0xf1ff
	v_xor_b32_e32 v87, s8, v87
	v_cmp_gt_i32_e64 s8, 0, v17
	v_and_b32_e32 v14, exec_lo, v14
	v_not_b32_e32 v17, v19
	v_ashrrev_i32_e32 v16, 31, v16
	s_wait_alu 0xfffd
	v_xor_b32_e32 v15, vcc_lo, v15
	v_cmp_gt_i32_e32 vcc_lo, 0, v19
	v_and_b32_e32 v14, v14, v87
	v_not_b32_e32 v19, v85
	v_ashrrev_i32_e32 v17, 31, v17
	s_wait_alu 0xf1ff
	v_xor_b32_e32 v16, s8, v16
	v_cmp_gt_i32_e64 s8, 0, v85
	v_and_b32_e32 v14, v14, v15
	v_not_b32_e32 v15, v86
	v_ashrrev_i32_e32 v19, 31, v19
	s_wait_alu 0xfffd
	v_xor_b32_e32 v17, vcc_lo, v17
	v_cmp_gt_i32_e32 vcc_lo, 0, v86
	v_and_b32_e32 v14, v14, v16
	v_not_b32_e32 v16, v18
	v_ashrrev_i32_e32 v15, 31, v15
	s_wait_alu 0xf1ff
	v_xor_b32_e32 v19, s8, v19
	v_cmp_gt_i32_e64 s8, 0, v18
	v_and_b32_e32 v14, v14, v17
	v_ashrrev_i32_e32 v16, 31, v16
	s_wait_alu 0xfffd
	v_xor_b32_e32 v15, vcc_lo, v15
	v_lshl_add_u32 v87, v13, 2, v12
	v_and_b32_e32 v14, v14, v19
	s_wait_alu 0xf1ff
	v_xor_b32_e32 v12, s8, v16
	ds_load_b32 v85, v87 offset:4
	v_and_b32_e32 v13, v14, v15
	; wave barrier
	s_delay_alu instid0(VALU_DEP_1) | instskip(NEXT) | instid1(VALU_DEP_1)
	v_and_b32_e32 v12, v13, v12
	v_mbcnt_lo_u32_b32 v86, v12, 0
	v_cmp_ne_u32_e64 s8, 0, v12
	s_delay_alu instid0(VALU_DEP_2)
	v_cmp_eq_u32_e32 vcc_lo, 0, v86
	s_and_b32 s9, s8, vcc_lo
	s_wait_alu 0xfffe
	s_and_saveexec_b32 s8, s9
	s_cbranch_execz .LBB108_29
; %bb.28:
	s_wait_dscnt 0x0
	v_bcnt_u32_b32 v12, v12, v85
	ds_store_b32 v87, v12 offset:4
.LBB108_29:
	s_wait_alu 0xfffe
	s_or_b32 exec_lo, exec_lo, s8
	; wave barrier
	; wave barrier
	s_wait_loadcnt_dscnt 0x0
	global_inv scope:SCOPE_SE
	ds_load_2addr_b32 v[18:19], v33 offset0:1 offset1:2
	ds_load_2addr_b32 v[16:17], v33 offset0:3 offset1:4
	;; [unrolled: 1-line block ×4, first 2 shown]
	s_mov_b32 s8, exec_lo
	s_wait_dscnt 0x3
	v_add_nc_u32_e32 v88, v19, v18
	s_wait_dscnt 0x2
	s_delay_alu instid0(VALU_DEP_1) | instskip(SKIP_1) | instid1(VALU_DEP_1)
	v_add3_u32 v88, v88, v16, v17
	s_wait_dscnt 0x1
	v_add3_u32 v88, v88, v14, v15
	s_wait_dscnt 0x0
	s_delay_alu instid0(VALU_DEP_1) | instskip(SKIP_1) | instid1(VALU_DEP_2)
	v_add3_u32 v13, v88, v12, v13
	v_and_b32_e32 v88, 15, v32
	v_mov_b32_dpp v89, v13 row_shr:1 row_mask:0xf bank_mask:0xf
	s_delay_alu instid0(VALU_DEP_2) | instskip(SKIP_1) | instid1(VALU_DEP_2)
	v_cmp_ne_u32_e32 vcc_lo, 0, v88
	s_wait_alu 0xfffd
	v_cndmask_b32_e32 v89, 0, v89, vcc_lo
	v_cmp_lt_u32_e32 vcc_lo, 1, v88
	s_delay_alu instid0(VALU_DEP_2) | instskip(NEXT) | instid1(VALU_DEP_1)
	v_add_nc_u32_e32 v13, v89, v13
	v_mov_b32_dpp v89, v13 row_shr:2 row_mask:0xf bank_mask:0xf
	s_wait_alu 0xfffd
	s_delay_alu instid0(VALU_DEP_1) | instskip(SKIP_1) | instid1(VALU_DEP_2)
	v_cndmask_b32_e32 v89, 0, v89, vcc_lo
	v_cmp_lt_u32_e32 vcc_lo, 3, v88
	v_add_nc_u32_e32 v13, v13, v89
	s_delay_alu instid0(VALU_DEP_1) | instskip(SKIP_1) | instid1(VALU_DEP_1)
	v_mov_b32_dpp v89, v13 row_shr:4 row_mask:0xf bank_mask:0xf
	s_wait_alu 0xfffd
	v_cndmask_b32_e32 v89, 0, v89, vcc_lo
	v_cmp_lt_u32_e32 vcc_lo, 7, v88
	s_delay_alu instid0(VALU_DEP_2) | instskip(NEXT) | instid1(VALU_DEP_1)
	v_add_nc_u32_e32 v13, v13, v89
	v_mov_b32_dpp v89, v13 row_shr:8 row_mask:0xf bank_mask:0xf
	s_wait_alu 0xfffd
	s_delay_alu instid0(VALU_DEP_1) | instskip(SKIP_1) | instid1(VALU_DEP_2)
	v_cndmask_b32_e32 v88, 0, v89, vcc_lo
	v_bfe_i32 v89, v32, 4, 1
	v_add_nc_u32_e32 v13, v13, v88
	ds_swizzle_b32 v88, v13 offset:swizzle(BROADCAST,32,15)
	s_wait_dscnt 0x0
	v_and_b32_e32 v88, v89, v88
	s_delay_alu instid0(VALU_DEP_1)
	v_add_nc_u32_e32 v13, v13, v88
	v_cmpx_eq_u32_e32 31, v11
; %bb.30:
	v_mov_b32_e32 v88, 0
	ds_store_b32 v88, v13
; %bb.31:
	s_wait_alu 0xfffe
	s_or_b32 exec_lo, exec_lo, s8
	v_sub_co_u32 v88, s8, v32, 1
	; wave barrier
	s_wait_loadcnt_dscnt 0x0
	global_inv scope:SCOPE_SE
	v_cmp_gt_i32_e32 vcc_lo, 0, v88
	s_wait_alu 0xfffd
	v_cndmask_b32_e32 v88, v88, v32, vcc_lo
	v_cmp_eq_u32_e32 vcc_lo, 0, v11
	s_delay_alu instid0(VALU_DEP_2)
	v_lshlrev_b32_e32 v88, 2, v88
	s_or_b32 s8, vcc_lo, s8
	ds_bpermute_b32 v13, v88, v13
	s_wait_dscnt 0x0
	s_wait_alu 0xfffe
	v_cndmask_b32_e64 v13, v13, 0, s8
	s_mov_b32 s8, 0
	s_delay_alu instid0(VALU_DEP_1) | instskip(NEXT) | instid1(VALU_DEP_1)
	v_add_nc_u32_e32 v18, v13, v18
	v_add_nc_u32_e32 v19, v18, v19
	s_delay_alu instid0(VALU_DEP_1) | instskip(NEXT) | instid1(VALU_DEP_1)
	v_add_nc_u32_e32 v16, v19, v16
	v_add_nc_u32_e32 v17, v16, v17
	;; [unrolled: 3-line block ×3, first 2 shown]
	s_delay_alu instid0(VALU_DEP_1)
	v_add_nc_u32_e32 v12, v15, v12
	ds_store_2addr_b32 v33, v13, v18 offset0:1 offset1:2
	ds_store_2addr_b32 v33, v19, v16 offset0:3 offset1:4
	;; [unrolled: 1-line block ×4, first 2 shown]
	; wave barrier
	s_wait_loadcnt_dscnt 0x0
	global_inv scope:SCOPE_SE
	ds_load_b32 v12, v76 offset:4
	ds_load_b32 v13, v79 offset:4
	;; [unrolled: 1-line block ×4, first 2 shown]
	v_cndmask_b32_e64 v17, 0, v48, s6
	v_cndmask_b32_e64 v16, 0, v49, s6
	; wave barrier
	s_wait_loadcnt_dscnt 0x0
	global_inv scope:SCOPE_SE
	v_cndmask_b32_e64 v18, 0, v65, s6
	v_cndmask_b32_e64 v17, v17, v47, s5
	;; [unrolled: 1-line block ×3, first 2 shown]
	v_add_nc_u32_e32 v47, v12, v74
	v_add3_u32 v48, v78, v77, v13
	v_add3_u32 v49, v82, v81, v14
	v_add3_u32 v50, v86, v85, v15
	ds_store_b8 v47, v68
	ds_store_b8 v48, v75
	ds_store_b8 v49, v80
	ds_store_b8 v50, v84
	; wave barrier
	s_wait_loadcnt_dscnt 0x0
	global_inv scope:SCOPE_SE
	ds_load_b32 v19, v31
	v_cndmask_b32_e64 v12, 0, v45, s6
	v_cndmask_b32_e64 v13, v16, v44, s4
	;; [unrolled: 1-line block ×19, first 2 shown]
	s_wait_dscnt 0x0
	v_lshrrev_b32_e32 v42, 16, v19
	v_xor_b32_e32 v16, 0x80, v19
	v_and_b32_e32 v19, 0xffffff00, v19
	v_cndmask_b32_e64 v41, v41, v73, s5
	v_cndmask_b32_e64 v43, v43, v70, s4
	v_xor_b32_e32 v44, 0x80, v42
	v_and_b32_e32 v45, 0xff, v16
	v_and_b32_e32 v42, 0xffffff00, v42
	v_cndmask_b32_e64 v41, v41, v72, s4
	v_cndmask_b32_e64 v16, v18, v46, s7
	v_and_b32_e32 v44, 0xff, v44
	v_or_b32_e32 v45, v45, v19
	v_cndmask_b32_e64 v18, v43, v69, s7
	v_cndmask_b32_e64 v15, v15, v55, s4
	;; [unrolled: 1-line block ×3, first 2 shown]
	v_or_b32_e32 v42, v44, v42
	v_add_nc_u16 v43, 0x8000, v45
	v_lshlrev_b32_e32 v41, 3, v47
	v_cndmask_b32_e64 v15, v15, v56, s7
	v_lshlrev_b32_e32 v44, 3, v48
	v_add_nc_u16 v42, 0x8000, v42
	v_and_b32_e32 v43, 0xffff, v43
	v_lshlrev_b32_e32 v45, 3, v49
	s_wait_loadcnt 0x0
	; wave barrier
	global_inv scope:SCOPE_SE
	v_lshlrev_b32_e32 v42, 16, v42
	ds_store_b64 v41, v[12:13]
	ds_store_b64 v44, v[14:15]
	v_lshlrev_b32_e32 v46, 3, v50
	ds_store_b64 v45, v[16:17]
	ds_store_b64 v46, v[18:19]
	v_or_b32_e32 v12, v43, v42
	; wave barrier
	s_wait_loadcnt_dscnt 0x0
	global_inv scope:SCOPE_SE
.LBB108_32:
	s_wait_alu 0xfffe
	s_and_b32 vcc_lo, exec_lo, s8
	s_wait_alu 0xfffe
	s_cbranch_vccz .LBB108_44
; %bb.33:
	v_xor_b32_e32 v12, 0x7f, v36
	v_xor_b32_e32 v13, 0x7f, v40
	;; [unrolled: 1-line block ×3, first 2 shown]
	v_cmp_eq_u32_e32 vcc_lo, 3, v37
	v_xor_b32_e32 v17, 0x7f, v38
	v_and_b32_e32 v12, 0xff, v12
	v_and_b32_e32 v13, 0xff, v13
	;; [unrolled: 1-line block ×3, first 2 shown]
	s_getpc_b64 s[8:9]
	s_wait_alu 0xfffe
	s_sext_i32_i16 s9, s9
	s_add_co_u32 s8, s8, _ZN7rocprim17ROCPRIM_400000_NS16block_radix_sortIaLj32ELj4ElLj1ELj1ELj0ELNS0_26block_radix_rank_algorithmE1ELNS0_18block_padding_hintE2ELNS0_4arch9wavefront6targetE0EE19radix_bits_per_passE@rel32@lo+12
	s_wait_alu 0xfffe
	s_add_co_ci_u32 s9, s9, _ZN7rocprim17ROCPRIM_400000_NS16block_radix_sortIaLj32ELj4ElLj1ELj1ELj0ELNS0_26block_radix_rank_algorithmE1ELNS0_18block_padding_hintE2ELNS0_4arch9wavefront6targetE0EE19radix_bits_per_passE@rel32@hi+24
	v_and_b32_e32 v17, 0xffff, v17
	ds_bpermute_b32 v15, v34, v12
	ds_bpermute_b32 v16, v34, v13
	;; [unrolled: 1-line block ×3, first 2 shown]
	ds_bpermute_b32 v36, v34, v12 offset:32
	ds_bpermute_b32 v19, v34, v17
	s_load_b32 s7, s[8:9], 0x0
	; wave barrier
	s_wait_loadcnt_dscnt 0x0
	global_inv scope:SCOPE_SE
	s_load_b32 s8, s[18:19], 0xc
	ds_bpermute_b32 v40, v34, v5 offset:32
	ds_bpermute_b32 v52, v34, v5 offset:64
	;; [unrolled: 1-line block ×3, first 2 shown]
	ds_bpermute_b32 v37, v34, v6
	ds_bpermute_b32 v49, v34, v6 offset:32
	ds_bpermute_b32 v53, v34, v6 offset:64
	;; [unrolled: 1-line block ×7, first 2 shown]
	v_and_b32_e32 v15, 0xff, v15
	v_and_b32_e32 v16, 0xff, v16
	;; [unrolled: 1-line block ×3, first 2 shown]
	ds_bpermute_b32 v43, v34, v8 offset:32
	ds_bpermute_b32 v39, v34, v2 offset:32
	v_cndmask_b32_e64 v15, 0, v15, s6
	s_wait_kmcnt 0x0
	s_min_u32 s7, s7, 8
	ds_bpermute_b32 v48, v34, v8 offset:64
	s_wait_alu 0xfffe
	s_lshl_b32 s7, -1, s7
	s_and_b32 s11, s8, 0xffff
	v_cndmask_b32_e64 v15, v15, v16, s5
	s_wait_alu 0xfffe
	s_not_b32 s9, s7
	s_lshr_b32 s7, s8, 16
	ds_bpermute_b32 v46, v34, v2 offset:64
	s_wait_alu 0xfffe
	v_mad_u32_u24 v0, v0, s7, v35
	v_cndmask_b32_e64 v15, v15, v18, s4
	v_lshlrev_b16 v18, 8, v36
	ds_bpermute_b32 v36, v34, v5
	ds_bpermute_b32 v44, v34, v4 offset:64
	v_perm_b32 v16, v19, v15, 0x3020104
	s_delay_alu instid0(VALU_DEP_1) | instskip(SKIP_2) | instid1(VALU_DEP_1)
	v_cndmask_b32_e32 v15, v15, v16, vcc_lo
	ds_bpermute_b32 v16, v34, v13 offset:32
	v_and_b32_e32 v19, 0xff, v15
	v_or_b32_e32 v18, v19, v18
	ds_bpermute_b32 v19, v34, v14 offset:32
	v_and_b32_e32 v18, 0xffff, v18
	s_delay_alu instid0(VALU_DEP_1) | instskip(SKIP_2) | instid1(VALU_DEP_2)
	v_cndmask_b32_e64 v15, v15, v18, s6
	s_wait_dscnt 0x1
	v_lshlrev_b16 v16, 8, v16
	v_and_b32_e32 v18, 0xff, v15
	s_delay_alu instid0(VALU_DEP_1) | instskip(NEXT) | instid1(VALU_DEP_1)
	v_or_b32_e32 v16, v18, v16
	v_and_b32_e32 v16, 0xffff, v16
	s_delay_alu instid0(VALU_DEP_1) | instskip(NEXT) | instid1(VALU_DEP_1)
	v_and_or_b32 v16, 0xffff0000, v15, v16
	v_cndmask_b32_e64 v15, v15, v16, s5
	s_wait_dscnt 0x0
	v_lshlrev_b16 v16, 8, v19
	ds_bpermute_b32 v19, v34, v17 offset:32
	v_and_b32_e32 v18, 0xff, v15
	s_delay_alu instid0(VALU_DEP_1) | instskip(NEXT) | instid1(VALU_DEP_1)
	v_or_b32_e32 v16, v18, v16
	v_and_b32_e32 v16, 0xffff, v16
	s_delay_alu instid0(VALU_DEP_1) | instskip(NEXT) | instid1(VALU_DEP_1)
	v_and_or_b32 v16, 0xffff0000, v15, v16
	v_cndmask_b32_e64 v15, v15, v16, s4
	s_wait_dscnt 0x0
	v_lshlrev_b16 v16, 8, v19
	ds_bpermute_b32 v19, v34, v12 offset:64
	ds_bpermute_b32 v12, v34, v12 offset:96
	v_and_b32_e32 v18, 0xff, v15
	s_delay_alu instid0(VALU_DEP_1) | instskip(NEXT) | instid1(VALU_DEP_1)
	v_or_b32_e32 v16, v18, v16
	v_and_b32_e32 v16, 0xffff, v16
	s_delay_alu instid0(VALU_DEP_1) | instskip(SKIP_2) | instid1(VALU_DEP_2)
	v_and_or_b32 v16, 0xffff0000, v15, v16
	s_wait_dscnt 0x0
	v_lshlrev_b16 v12, 8, v12
	v_cndmask_b32_e32 v15, v15, v16, vcc_lo
	ds_bpermute_b32 v16, v34, v13 offset:64
	ds_bpermute_b32 v13, v34, v13 offset:96
	v_perm_b32 v18, v19, v15, 0xc0c0304
	s_delay_alu instid0(VALU_DEP_1) | instskip(NEXT) | instid1(VALU_DEP_1)
	v_lshlrev_b32_e32 v18, 16, v18
	v_and_or_b32 v18, 0xffff, v15, v18
	s_delay_alu instid0(VALU_DEP_1)
	v_cndmask_b32_e64 v15, v15, v18, s6
	ds_bpermute_b32 v18, v34, v14 offset:64
	s_wait_dscnt 0x1
	v_lshlrev_b16 v13, 8, v13
	ds_bpermute_b32 v14, v34, v14 offset:96
	v_perm_b32 v16, v16, v15, 0xc0c0304
	s_delay_alu instid0(VALU_DEP_1) | instskip(NEXT) | instid1(VALU_DEP_1)
	v_lshlrev_b32_e32 v16, 16, v16
	v_and_or_b32 v16, 0xffff, v15, v16
	s_delay_alu instid0(VALU_DEP_1) | instskip(SKIP_4) | instid1(VALU_DEP_1)
	v_cndmask_b32_e64 v15, v15, v16, s5
	ds_bpermute_b32 v16, v34, v17 offset:64
	s_wait_dscnt 0x1
	v_lshlrev_b16 v14, 8, v14
	v_perm_b32 v18, v18, v15, 0xc0c0304
	v_lshlrev_b32_e32 v18, 16, v18
	s_delay_alu instid0(VALU_DEP_1) | instskip(NEXT) | instid1(VALU_DEP_1)
	v_and_or_b32 v18, 0xffff, v15, v18
	v_cndmask_b32_e64 v15, v15, v18, s4
	ds_bpermute_b32 v18, v34, v17 offset:96
	ds_bpermute_b32 v17, v34, v8
	s_wait_dscnt 0x2
	v_perm_b32 v16, v16, v15, 0xc0c0304
	s_delay_alu instid0(VALU_DEP_1) | instskip(NEXT) | instid1(VALU_DEP_1)
	v_lshlrev_b32_e32 v16, 16, v16
	v_and_or_b32 v16, 0xffff, v15, v16
	s_delay_alu instid0(VALU_DEP_1) | instskip(SKIP_2) | instid1(VALU_DEP_2)
	v_cndmask_b32_e32 v15, v15, v16, vcc_lo
	s_wait_dscnt 0x1
	v_lshlrev_b16 v18, 8, v18
	v_lshrrev_b32_e32 v16, 16, v15
	s_delay_alu instid0(VALU_DEP_1) | instskip(NEXT) | instid1(VALU_DEP_1)
	v_and_b32_e32 v16, 0xff, v16
	v_or_b32_e32 v12, v16, v12
	ds_bpermute_b32 v16, v34, v7
	v_lshlrev_b32_e32 v12, 16, v12
	s_delay_alu instid0(VALU_DEP_1) | instskip(NEXT) | instid1(VALU_DEP_1)
	v_and_or_b32 v12, 0xffff, v15, v12
	v_cndmask_b32_e64 v12, v15, v12, s6
	s_delay_alu instid0(VALU_DEP_1) | instskip(NEXT) | instid1(VALU_DEP_1)
	v_lshrrev_b32_e32 v15, 16, v12
	v_and_b32_e32 v15, 0xff, v15
	s_delay_alu instid0(VALU_DEP_1) | instskip(SKIP_2) | instid1(VALU_DEP_1)
	v_or_b32_e32 v13, v15, v13
	ds_bpermute_b32 v15, v34, v2
	v_lshlrev_b32_e32 v13, 16, v13
	v_and_or_b32 v13, 0xffff, v12, v13
	s_delay_alu instid0(VALU_DEP_1) | instskip(NEXT) | instid1(VALU_DEP_1)
	v_cndmask_b32_e64 v13, v12, v13, s5
	v_lshrrev_b32_e32 v12, 16, v13
	s_delay_alu instid0(VALU_DEP_1) | instskip(NEXT) | instid1(VALU_DEP_1)
	v_and_b32_e32 v12, 0xff, v12
	v_or_b32_e32 v12, v12, v14
	ds_bpermute_b32 v14, v34, v1
	v_lshlrev_b32_e32 v12, 16, v12
	s_delay_alu instid0(VALU_DEP_1) | instskip(SKIP_4) | instid1(VALU_DEP_1)
	v_and_or_b32 v19, 0xffff, v13, v12
	ds_bpermute_b32 v12, v34, v3
	v_cndmask_b32_e64 v50, v13, v19, s4
	ds_bpermute_b32 v13, v34, v4
	v_lshrrev_b32_e32 v19, 16, v50
	v_and_b32_e32 v41, 0xff, v19
	ds_bpermute_b32 v19, v34, v3 offset:32
	v_or_b32_e32 v18, v41, v18
	ds_bpermute_b32 v41, v34, v4 offset:32
	v_lshlrev_b32_e32 v18, 16, v18
	s_delay_alu instid0(VALU_DEP_1) | instskip(SKIP_4) | instid1(VALU_DEP_1)
	v_and_or_b32 v51, 0xffff, v50, v18
	ds_bpermute_b32 v18, v34, v3 offset:64
	v_cndmask_b32_e32 v50, v50, v51, vcc_lo
	ds_bpermute_b32 v51, v34, v7 offset:96
	v_and_b32_e32 v58, s9, v50
	v_and_b32_e32 v5, 1, v58
	v_lshlrev_b32_e32 v6, 30, v58
	v_lshlrev_b32_e32 v7, 29, v58
	;; [unrolled: 1-line block ×4, first 2 shown]
	v_add_co_u32 v5, s7, v5, -1
	s_wait_alu 0xf1ff
	v_cndmask_b32_e64 v56, 0, 1, s7
	v_not_b32_e32 v61, v6
	v_cmp_gt_i32_e64 s8, 0, v6
	v_not_b32_e32 v6, v7
	v_lshlrev_b32_e32 v59, 26, v58
	v_cmp_ne_u32_e64 s7, 0, v56
	v_ashrrev_i32_e32 v61, 31, v61
	v_lshlrev_b32_e32 v60, 25, v58
	v_ashrrev_i32_e32 v6, 31, v6
	v_lshlrev_b32_e32 v56, 24, v58
	s_wait_alu 0xf1ff
	v_xor_b32_e32 v5, s7, v5
	v_cmp_gt_i32_e64 s7, 0, v7
	v_not_b32_e32 v7, v35
	v_xor_b32_e32 v61, s8, v61
	v_cmp_gt_i32_e64 s8, 0, v35
	v_and_b32_e32 v5, exec_lo, v5
	v_not_b32_e32 v35, v57
	v_ashrrev_i32_e32 v7, 31, v7
	s_wait_alu 0xf1ff
	v_xor_b32_e32 v6, s7, v6
	v_cmp_gt_i32_e64 s7, 0, v57
	v_and_b32_e32 v5, v5, v61
	v_not_b32_e32 v57, v59
	v_ashrrev_i32_e32 v35, 31, v35
	v_xor_b32_e32 v7, s8, v7
	v_cmp_gt_i32_e64 s8, 0, v59
	v_and_b32_e32 v5, v5, v6
	v_not_b32_e32 v6, v60
	v_ashrrev_i32_e32 v57, 31, v57
	s_wait_alu 0xf1ff
	v_xor_b32_e32 v35, s7, v35
	v_cmp_gt_i32_e64 s7, 0, v60
	v_and_b32_e32 v5, v5, v7
	v_not_b32_e32 v7, v56
	v_ashrrev_i32_e32 v59, 31, v6
	v_xor_b32_e32 v57, s8, v57
	v_cmp_gt_i32_e64 s8, 0, v56
	v_and_b32_e32 v35, v5, v35
	s_wait_dscnt 0x5
	v_mad_co_u64_u32 v[5:6], null, v0, s11, v[11:12]
	v_ashrrev_i32_e32 v0, 31, v7
	s_wait_alu 0xf1ff
	v_xor_b32_e32 v6, s7, v59
	v_and_b32_e32 v7, v35, v57
	ds_bpermute_b32 v35, v34, v1 offset:96
	ds_bpermute_b32 v57, v34, v8 offset:96
	v_xor_b32_e32 v0, s8, v0
	ds_bpermute_b32 v56, v34, v2 offset:96
	v_and_b32_e32 v1, v7, v6
	ds_bpermute_b32 v8, v34, v3 offset:96
	ds_bpermute_b32 v34, v34, v4 offset:96
	v_lshrrev_b32_e32 v2, 3, v5
	v_mov_b32_e32 v3, 0
	v_and_b32_e32 v1, v1, v0
	ds_store_2addr_b32 v33, v3, v3 offset0:1 offset1:2
	ds_store_2addr_b32 v33, v3, v3 offset0:3 offset1:4
	;; [unrolled: 1-line block ×4, first 2 shown]
	v_and_b32_e32 v0, 0x1ffffffc, v2
	v_and_b32_e32 v2, 0xff, v58
	v_mbcnt_lo_u32_b32 v58, v1, 0
	v_cmp_ne_u32_e64 s8, 0, v1
	; wave barrier
	s_wait_loadcnt_dscnt 0x0
	global_inv scope:SCOPE_SE
	v_lshl_add_u32 v60, v2, 2, v0
	v_cmp_eq_u32_e64 s7, 0, v58
	; wave barrier
	s_and_b32 s8, s8, s7
	s_wait_alu 0xfffe
	s_and_saveexec_b32 s7, s8
; %bb.34:
	v_bcnt_u32_b32 v1, v1, 0
	ds_store_b32 v60, v1 offset:4
; %bb.35:
	s_wait_alu 0xfffe
	s_or_b32 exec_lo, exec_lo, s7
	v_lshrrev_b32_e32 v59, 8, v50
	; wave barrier
	s_delay_alu instid0(VALU_DEP_1) | instskip(NEXT) | instid1(VALU_DEP_1)
	v_and_b32_e32 v1, s9, v59
	v_and_b32_e32 v2, 1, v1
	v_lshlrev_b32_e32 v3, 30, v1
	v_lshlrev_b32_e32 v4, 29, v1
	;; [unrolled: 1-line block ×4, first 2 shown]
	v_add_co_u32 v2, s7, v2, -1
	s_wait_alu 0xf1ff
	v_cndmask_b32_e64 v6, 0, 1, s7
	v_not_b32_e32 v63, v3
	v_cmp_gt_i32_e64 s8, 0, v3
	v_not_b32_e32 v3, v4
	v_lshlrev_b32_e32 v61, 26, v1
	v_cmp_ne_u32_e64 s7, 0, v6
	v_ashrrev_i32_e32 v63, 31, v63
	v_lshlrev_b32_e32 v62, 25, v1
	v_ashrrev_i32_e32 v3, 31, v3
	v_lshlrev_b32_e32 v6, 24, v1
	s_wait_alu 0xf1ff
	v_xor_b32_e32 v2, s7, v2
	v_cmp_gt_i32_e64 s7, 0, v4
	v_not_b32_e32 v4, v5
	v_xor_b32_e32 v63, s8, v63
	v_cmp_gt_i32_e64 s8, 0, v5
	v_and_b32_e32 v2, exec_lo, v2
	v_not_b32_e32 v5, v7
	v_ashrrev_i32_e32 v4, 31, v4
	s_wait_alu 0xf1ff
	v_xor_b32_e32 v3, s7, v3
	v_cmp_gt_i32_e64 s7, 0, v7
	v_and_b32_e32 v2, v2, v63
	v_not_b32_e32 v7, v61
	v_ashrrev_i32_e32 v5, 31, v5
	v_xor_b32_e32 v4, s8, v4
	v_cmp_gt_i32_e64 s8, 0, v61
	v_and_b32_e32 v2, v2, v3
	v_not_b32_e32 v3, v62
	v_ashrrev_i32_e32 v7, 31, v7
	s_wait_alu 0xf1ff
	v_xor_b32_e32 v5, s7, v5
	v_cmp_gt_i32_e64 s7, 0, v62
	v_and_b32_e32 v2, v2, v4
	v_not_b32_e32 v4, v6
	v_ashrrev_i32_e32 v3, 31, v3
	v_xor_b32_e32 v7, s8, v7
	v_and_b32_e32 v1, 0xff, v1
	v_and_b32_e32 v2, v2, v5
	v_cmp_gt_i32_e64 s8, 0, v6
	v_ashrrev_i32_e32 v4, 31, v4
	s_wait_alu 0xf1ff
	v_xor_b32_e32 v3, s7, v3
	v_lshl_add_u32 v63, v1, 2, v0
	v_and_b32_e32 v2, v2, v7
	v_xor_b32_e32 v1, s8, v4
	ds_load_b32 v61, v63 offset:4
	v_and_b32_e32 v2, v2, v3
	; wave barrier
	s_delay_alu instid0(VALU_DEP_1) | instskip(NEXT) | instid1(VALU_DEP_1)
	v_and_b32_e32 v1, v2, v1
	v_mbcnt_lo_u32_b32 v62, v1, 0
	v_cmp_ne_u32_e64 s8, 0, v1
	s_delay_alu instid0(VALU_DEP_2)
	v_cmp_eq_u32_e64 s7, 0, v62
	s_and_b32 s8, s8, s7
	s_wait_alu 0xfffe
	s_and_saveexec_b32 s7, s8
	s_cbranch_execz .LBB108_37
; %bb.36:
	s_wait_dscnt 0x0
	v_bcnt_u32_b32 v1, v1, v61
	ds_store_b32 v63, v1 offset:4
.LBB108_37:
	s_wait_alu 0xfffe
	s_or_b32 exec_lo, exec_lo, s7
	v_lshrrev_b32_e32 v64, 16, v50
	; wave barrier
	s_delay_alu instid0(VALU_DEP_1) | instskip(NEXT) | instid1(VALU_DEP_1)
	v_and_b32_e32 v1, s9, v64
	v_and_b32_e32 v2, 1, v1
	v_lshlrev_b32_e32 v3, 30, v1
	v_lshlrev_b32_e32 v4, 29, v1
	;; [unrolled: 1-line block ×4, first 2 shown]
	v_add_co_u32 v2, s7, v2, -1
	s_wait_alu 0xf1ff
	v_cndmask_b32_e64 v6, 0, 1, s7
	v_not_b32_e32 v67, v3
	v_cmp_gt_i32_e64 s8, 0, v3
	v_not_b32_e32 v3, v4
	v_lshlrev_b32_e32 v65, 26, v1
	v_cmp_ne_u32_e64 s7, 0, v6
	v_ashrrev_i32_e32 v67, 31, v67
	v_lshlrev_b32_e32 v66, 25, v1
	v_ashrrev_i32_e32 v3, 31, v3
	v_lshlrev_b32_e32 v6, 24, v1
	s_wait_alu 0xf1ff
	v_xor_b32_e32 v2, s7, v2
	v_cmp_gt_i32_e64 s7, 0, v4
	v_not_b32_e32 v4, v5
	v_xor_b32_e32 v67, s8, v67
	v_cmp_gt_i32_e64 s8, 0, v5
	v_and_b32_e32 v2, exec_lo, v2
	v_not_b32_e32 v5, v7
	v_ashrrev_i32_e32 v4, 31, v4
	s_wait_alu 0xf1ff
	v_xor_b32_e32 v3, s7, v3
	v_cmp_gt_i32_e64 s7, 0, v7
	v_and_b32_e32 v2, v2, v67
	v_not_b32_e32 v7, v65
	v_ashrrev_i32_e32 v5, 31, v5
	v_xor_b32_e32 v4, s8, v4
	v_cmp_gt_i32_e64 s8, 0, v65
	v_and_b32_e32 v2, v2, v3
	v_not_b32_e32 v3, v66
	v_ashrrev_i32_e32 v7, 31, v7
	s_wait_alu 0xf1ff
	v_xor_b32_e32 v5, s7, v5
	v_cmp_gt_i32_e64 s7, 0, v66
	v_and_b32_e32 v2, v2, v4
	v_not_b32_e32 v4, v6
	v_ashrrev_i32_e32 v3, 31, v3
	v_xor_b32_e32 v7, s8, v7
	v_and_b32_e32 v1, 0xff, v1
	v_and_b32_e32 v2, v2, v5
	v_cmp_gt_i32_e64 s8, 0, v6
	v_ashrrev_i32_e32 v4, 31, v4
	s_wait_alu 0xf1ff
	v_xor_b32_e32 v3, s7, v3
	v_lshl_add_u32 v67, v1, 2, v0
	v_and_b32_e32 v2, v2, v7
	v_xor_b32_e32 v1, s8, v4
	ds_load_b32 v65, v67 offset:4
	v_and_b32_e32 v2, v2, v3
	; wave barrier
	s_delay_alu instid0(VALU_DEP_1) | instskip(NEXT) | instid1(VALU_DEP_1)
	v_and_b32_e32 v1, v2, v1
	v_mbcnt_lo_u32_b32 v66, v1, 0
	v_cmp_ne_u32_e64 s8, 0, v1
	s_delay_alu instid0(VALU_DEP_2)
	v_cmp_eq_u32_e64 s7, 0, v66
	s_and_b32 s8, s8, s7
	s_wait_alu 0xfffe
	s_and_saveexec_b32 s7, s8
	s_cbranch_execz .LBB108_39
; %bb.38:
	s_wait_dscnt 0x0
	v_bcnt_u32_b32 v1, v1, v65
	ds_store_b32 v67, v1 offset:4
.LBB108_39:
	s_wait_alu 0xfffe
	s_or_b32 exec_lo, exec_lo, s7
	v_lshrrev_b32_e32 v68, 24, v50
	; wave barrier
	s_delay_alu instid0(VALU_DEP_1) | instskip(NEXT) | instid1(VALU_DEP_1)
	v_and_b32_e32 v1, s9, v68
	v_and_b32_e32 v2, 1, v1
	v_lshlrev_b32_e32 v3, 30, v1
	v_lshlrev_b32_e32 v4, 29, v1
	;; [unrolled: 1-line block ×4, first 2 shown]
	v_add_co_u32 v2, s7, v2, -1
	s_wait_alu 0xf1ff
	v_cndmask_b32_e64 v6, 0, 1, s7
	v_not_b32_e32 v71, v3
	v_cmp_gt_i32_e64 s8, 0, v3
	v_not_b32_e32 v3, v4
	v_lshlrev_b32_e32 v69, 26, v1
	v_cmp_ne_u32_e64 s7, 0, v6
	v_ashrrev_i32_e32 v71, 31, v71
	v_lshlrev_b32_e32 v70, 25, v1
	v_ashrrev_i32_e32 v3, 31, v3
	v_lshlrev_b32_e32 v6, 24, v1
	s_wait_alu 0xf1ff
	v_xor_b32_e32 v2, s7, v2
	v_cmp_gt_i32_e64 s7, 0, v4
	v_not_b32_e32 v4, v5
	v_xor_b32_e32 v71, s8, v71
	v_cmp_gt_i32_e64 s8, 0, v5
	v_and_b32_e32 v2, exec_lo, v2
	v_not_b32_e32 v5, v7
	v_ashrrev_i32_e32 v4, 31, v4
	s_wait_alu 0xf1ff
	v_xor_b32_e32 v3, s7, v3
	v_cmp_gt_i32_e64 s7, 0, v7
	v_and_b32_e32 v2, v2, v71
	v_not_b32_e32 v7, v69
	v_ashrrev_i32_e32 v5, 31, v5
	v_xor_b32_e32 v4, s8, v4
	v_cmp_gt_i32_e64 s8, 0, v69
	v_and_b32_e32 v2, v2, v3
	v_not_b32_e32 v3, v70
	v_ashrrev_i32_e32 v7, 31, v7
	s_wait_alu 0xf1ff
	v_xor_b32_e32 v5, s7, v5
	v_cmp_gt_i32_e64 s7, 0, v70
	v_and_b32_e32 v2, v2, v4
	v_not_b32_e32 v4, v6
	v_ashrrev_i32_e32 v3, 31, v3
	v_xor_b32_e32 v7, s8, v7
	v_cmp_gt_i32_e64 s8, 0, v6
	v_and_b32_e32 v2, v2, v5
	v_ashrrev_i32_e32 v4, 31, v4
	s_wait_alu 0xf1ff
	v_xor_b32_e32 v3, s7, v3
	v_lshl_add_u32 v71, v1, 2, v0
	v_and_b32_e32 v2, v2, v7
	v_xor_b32_e32 v0, s8, v4
	ds_load_b32 v69, v71 offset:4
	v_and_b32_e32 v1, v2, v3
	; wave barrier
	s_delay_alu instid0(VALU_DEP_1) | instskip(NEXT) | instid1(VALU_DEP_1)
	v_and_b32_e32 v0, v1, v0
	v_mbcnt_lo_u32_b32 v70, v0, 0
	v_cmp_ne_u32_e64 s8, 0, v0
	s_delay_alu instid0(VALU_DEP_2)
	v_cmp_eq_u32_e64 s7, 0, v70
	s_and_b32 s8, s8, s7
	s_wait_alu 0xfffe
	s_and_saveexec_b32 s7, s8
	s_cbranch_execz .LBB108_41
; %bb.40:
	s_wait_dscnt 0x0
	v_bcnt_u32_b32 v0, v0, v69
	ds_store_b32 v71, v0 offset:4
.LBB108_41:
	s_wait_alu 0xfffe
	s_or_b32 exec_lo, exec_lo, s7
	; wave barrier
	; wave barrier
	s_wait_loadcnt_dscnt 0x0
	global_inv scope:SCOPE_SE
	ds_load_2addr_b32 v[6:7], v33 offset0:1 offset1:2
	ds_load_2addr_b32 v[4:5], v33 offset0:3 offset1:4
	;; [unrolled: 1-line block ×4, first 2 shown]
	s_mov_b32 s8, exec_lo
	s_wait_dscnt 0x3
	v_add_nc_u32_e32 v72, v7, v6
	s_wait_dscnt 0x2
	s_delay_alu instid0(VALU_DEP_1) | instskip(SKIP_1) | instid1(VALU_DEP_1)
	v_add3_u32 v72, v72, v4, v5
	s_wait_dscnt 0x1
	v_add3_u32 v72, v72, v2, v3
	s_wait_dscnt 0x0
	s_delay_alu instid0(VALU_DEP_1) | instskip(SKIP_1) | instid1(VALU_DEP_2)
	v_add3_u32 v1, v72, v0, v1
	v_and_b32_e32 v72, 15, v32
	v_mov_b32_dpp v73, v1 row_shr:1 row_mask:0xf bank_mask:0xf
	s_delay_alu instid0(VALU_DEP_2) | instskip(SKIP_1) | instid1(VALU_DEP_1)
	v_cmp_ne_u32_e64 s7, 0, v72
	s_wait_alu 0xf1ff
	v_cndmask_b32_e64 v73, 0, v73, s7
	v_cmp_lt_u32_e64 s7, 1, v72
	s_delay_alu instid0(VALU_DEP_2) | instskip(NEXT) | instid1(VALU_DEP_1)
	v_add_nc_u32_e32 v1, v73, v1
	v_mov_b32_dpp v73, v1 row_shr:2 row_mask:0xf bank_mask:0xf
	s_wait_alu 0xf1ff
	s_delay_alu instid0(VALU_DEP_1) | instskip(SKIP_1) | instid1(VALU_DEP_2)
	v_cndmask_b32_e64 v73, 0, v73, s7
	v_cmp_lt_u32_e64 s7, 3, v72
	v_add_nc_u32_e32 v1, v1, v73
	s_delay_alu instid0(VALU_DEP_1) | instskip(SKIP_1) | instid1(VALU_DEP_1)
	v_mov_b32_dpp v73, v1 row_shr:4 row_mask:0xf bank_mask:0xf
	s_wait_alu 0xf1ff
	v_cndmask_b32_e64 v73, 0, v73, s7
	v_cmp_lt_u32_e64 s7, 7, v72
	s_delay_alu instid0(VALU_DEP_2) | instskip(NEXT) | instid1(VALU_DEP_1)
	v_add_nc_u32_e32 v1, v1, v73
	v_mov_b32_dpp v73, v1 row_shr:8 row_mask:0xf bank_mask:0xf
	s_wait_alu 0xf1ff
	s_delay_alu instid0(VALU_DEP_1) | instskip(SKIP_1) | instid1(VALU_DEP_2)
	v_cndmask_b32_e64 v72, 0, v73, s7
	v_bfe_i32 v73, v32, 4, 1
	v_add_nc_u32_e32 v1, v1, v72
	ds_swizzle_b32 v72, v1 offset:swizzle(BROADCAST,32,15)
	s_wait_dscnt 0x0
	v_and_b32_e32 v72, v73, v72
	s_delay_alu instid0(VALU_DEP_1)
	v_add_nc_u32_e32 v1, v1, v72
	v_cmpx_eq_u32_e32 31, v11
; %bb.42:
	v_mov_b32_e32 v72, 0
	ds_store_b32 v72, v1
; %bb.43:
	s_wait_alu 0xfffe
	s_or_b32 exec_lo, exec_lo, s8
	v_sub_co_u32 v72, s8, v32, 1
	; wave barrier
	s_wait_loadcnt_dscnt 0x0
	global_inv scope:SCOPE_SE
	v_cmp_gt_i32_e64 s7, 0, v72
	s_wait_alu 0xf1ff
	s_delay_alu instid0(VALU_DEP_1) | instskip(SKIP_2) | instid1(VALU_DEP_3)
	v_cndmask_b32_e64 v32, v72, v32, s7
	v_cmp_eq_u32_e64 s7, 0, v11
	v_cndmask_b32_e64 v11, 0, v52, s6
	v_lshlrev_b32_e32 v32, 2, v32
	s_or_b32 s7, s7, s8
	ds_bpermute_b32 v1, v32, v1
	v_cndmask_b32_e64 v32, 0, v53, s6
	s_wait_dscnt 0x0
	s_wait_alu 0xfffe
	v_cndmask_b32_e64 v1, v1, 0, s7
	s_delay_alu instid0(VALU_DEP_1) | instskip(NEXT) | instid1(VALU_DEP_1)
	v_add_nc_u32_e32 v6, v1, v6
	v_add_nc_u32_e32 v7, v6, v7
	s_delay_alu instid0(VALU_DEP_1) | instskip(NEXT) | instid1(VALU_DEP_1)
	v_add_nc_u32_e32 v4, v7, v4
	v_add_nc_u32_e32 v5, v4, v5
	s_delay_alu instid0(VALU_DEP_1) | instskip(NEXT) | instid1(VALU_DEP_1)
	v_add_nc_u32_e32 v2, v5, v2
	v_add_nc_u32_e32 v3, v2, v3
	s_delay_alu instid0(VALU_DEP_1)
	v_add_nc_u32_e32 v0, v3, v0
	ds_store_2addr_b32 v33, v1, v6 offset0:1 offset1:2
	ds_store_2addr_b32 v33, v7, v4 offset0:3 offset1:4
	;; [unrolled: 1-line block ×4, first 2 shown]
	; wave barrier
	s_wait_loadcnt_dscnt 0x0
	global_inv scope:SCOPE_SE
	ds_load_b32 v0, v60 offset:4
	ds_load_b32 v1, v63 offset:4
	;; [unrolled: 1-line block ×4, first 2 shown]
	v_cndmask_b32_e64 v5, 0, v37, s6
	v_cndmask_b32_e64 v6, 0, v40, s6
	;; [unrolled: 1-line block ×3, first 2 shown]
	; wave barrier
	s_wait_loadcnt_dscnt 0x0
	global_inv scope:SCOPE_SE
	v_cndmask_b32_e64 v4, 0, v36, s6
	v_cndmask_b32_e64 v33, 0, v54, s6
	;; [unrolled: 1-line block ×3, first 2 shown]
	v_add_nc_u32_e32 v37, v0, v58
	v_add3_u32 v40, v62, v61, v1
	v_add3_u32 v49, v66, v65, v2
	;; [unrolled: 1-line block ×3, first 2 shown]
	ds_store_b8 v37, v50
	ds_store_b8 v40, v59
	;; [unrolled: 1-line block ×4, first 2 shown]
	; wave barrier
	s_wait_loadcnt_dscnt 0x0
	global_inv scope:SCOPE_SE
	ds_load_b32 v31, v31
	v_cndmask_b32_e64 v0, v5, v17, s5
	v_cndmask_b32_e64 v1, v4, v16, s5
	;; [unrolled: 1-line block ×13, first 2 shown]
	v_dual_cndmask_b32 v1, v0, v13 :: v_dual_cndmask_b32 v0, v11, v12
	v_cndmask_b32_e64 v4, v32, v48, s5
	s_delay_alu instid0(VALU_DEP_4)
	v_cndmask_b32_e32 v3, v2, v41, vcc_lo
	v_cndmask_b32_e32 v2, v14, v19, vcc_lo
	v_cndmask_b32_e64 v15, v5, v45, s4
	s_wait_dscnt 0x0
	v_lshrrev_b32_e32 v7, 16, v31
	v_and_b32_e32 v11, 0xffffff00, v31
	v_xor_b32_e32 v12, 0x7f, v31
	v_cndmask_b32_e64 v4, v4, v46, s4
	s_wait_loadcnt 0x0
	v_and_b32_e32 v13, 0xffffff00, v7
	v_xor_b32_e32 v7, 0x7f, v7
	v_and_b32_e32 v12, 0xff, v12
	v_dual_cndmask_b32 v5, v4, v44 :: v_dual_cndmask_b32 v4, v15, v18
	s_delay_alu instid0(VALU_DEP_4) | instskip(NEXT) | instid1(VALU_DEP_4)
	v_xor_b32_e32 v13, 0x7f00, v13
	v_dual_cndmask_b32 v7, v6, v34 :: v_dual_and_b32 v14, 0xff, v7
	v_cndmask_b32_e32 v6, v16, v8, vcc_lo
	v_xor_b32_e32 v11, 0x7f00, v11
	v_lshlrev_b32_e32 v8, 3, v37
	v_lshlrev_b32_e32 v15, 3, v52
	; wave barrier
	global_inv scope:SCOPE_SE
	v_or_b32_e32 v11, v12, v11
	v_or_b32_e32 v12, v14, v13
	v_lshlrev_b32_e32 v14, 3, v49
	v_lshlrev_b32_e32 v13, 3, v40
	ds_store_b64 v8, v[0:1]
	ds_store_b64 v13, v[2:3]
	v_and_b32_e32 v11, 0xffff, v11
	v_lshlrev_b32_e32 v12, 16, v12
	ds_store_b64 v14, v[4:5]
	ds_store_b64 v15, v[6:7]
	; wave barrier
	s_wait_loadcnt_dscnt 0x0
	global_inv scope:SCOPE_SE
	v_or_b32_e32 v12, v11, v12
.LBB108_44:
	ds_load_b128 v[0:3], v10
	ds_load_b128 v[4:7], v10 offset:16
	; wave barrier
	s_wait_loadcnt_dscnt 0x0
	global_inv scope:SCOPE_SE
	ds_store_b32 v25, v12
	; wave barrier
	s_wait_loadcnt_dscnt 0x0
	global_inv scope:SCOPE_SE
	ds_load_u8 v13, v22 offset:32
	ds_load_u8 v12, v23 offset:64
	;; [unrolled: 1-line block ×3, first 2 shown]
	v_add_co_u32 v10, s4, s14, v20
	s_wait_alu 0xf1ff
	v_add_co_ci_u32_e64 v11, null, s15, 0, s4
	s_and_saveexec_b32 s4, s0
	s_cbranch_execnz .LBB108_55
; %bb.45:
	s_wait_alu 0xfffe
	s_or_b32 exec_lo, exec_lo, s4
	s_and_saveexec_b32 s4, s3
	s_cbranch_execnz .LBB108_56
.LBB108_46:
	s_wait_alu 0xfffe
	s_or_b32 exec_lo, exec_lo, s4
	s_and_saveexec_b32 s4, s1
	s_cbranch_execnz .LBB108_57
.LBB108_47:
	s_wait_alu 0xfffe
	s_or_b32 exec_lo, exec_lo, s4
	s_and_saveexec_b32 s4, s2
	s_cbranch_execz .LBB108_49
.LBB108_48:
	s_mul_i32 s5, s10, 0x60
	s_wait_alu 0xfffe
	v_add_co_u32 v10, vcc_lo, v10, s5
	s_wait_alu 0xfffd
	v_add_co_ci_u32_e64 v11, null, 0, v11, vcc_lo
	s_wait_dscnt 0x0
	global_store_b8 v[10:11], v8, off
.LBB108_49:
	s_wait_alu 0xfffe
	s_or_b32 exec_lo, exec_lo, s4
	s_wait_storecnt 0x0
	; wave barrier
	s_wait_loadcnt_dscnt 0x0
	global_inv scope:SCOPE_SE
	ds_store_2addr_b64 v30, v[0:1], v[2:3] offset1:1
	ds_store_2addr_b64 v30, v[4:5], v[6:7] offset0:2 offset1:3
	; wave barrier
	s_wait_loadcnt_dscnt 0x0
	global_inv scope:SCOPE_SE
	ds_load_b64 v[6:7], v27 offset:256
	ds_load_b64 v[4:5], v28 offset:512
	;; [unrolled: 1-line block ×3, first 2 shown]
	v_mov_b32_e32 v10, 0
	s_delay_alu instid0(VALU_DEP_1) | instskip(NEXT) | instid1(VALU_DEP_1)
	v_lshlrev_b64_e32 v[2:3], 3, v[9:10]
	v_add_co_u32 v2, vcc_lo, s16, v2
	s_wait_alu 0xfffd
	s_delay_alu instid0(VALU_DEP_2)
	v_add_co_ci_u32_e64 v3, null, s17, v3, vcc_lo
	s_and_saveexec_b32 s4, s0
	s_cbranch_execnz .LBB108_58
; %bb.50:
	s_wait_alu 0xfffe
	s_or_b32 exec_lo, exec_lo, s4
	s_and_saveexec_b32 s0, s3
	s_cbranch_execnz .LBB108_59
.LBB108_51:
	s_wait_alu 0xfffe
	s_or_b32 exec_lo, exec_lo, s0
	s_and_saveexec_b32 s0, s1
	s_cbranch_execnz .LBB108_60
.LBB108_52:
	s_wait_alu 0xfffe
	s_or_b32 exec_lo, exec_lo, s0
	s_and_saveexec_b32 s0, s2
	s_cbranch_execz .LBB108_54
.LBB108_53:
	s_mul_i32 s0, s12, 0x60
	s_mov_b32 s1, 0
	s_wait_alu 0xfffe
	s_lshl_b64 s[0:1], s[0:1], 3
	s_wait_alu 0xfffe
	v_add_co_u32 v2, vcc_lo, v2, s0
	s_wait_alu 0xfffd
	v_add_co_ci_u32_e64 v3, null, s1, v3, vcc_lo
	s_wait_dscnt 0x0
	global_store_b64 v[2:3], v[0:1], off
.LBB108_54:
	s_endpgm
.LBB108_55:
	ds_load_u8 v14, v21
	s_wait_dscnt 0x0
	global_store_b8 v[10:11], v14, off
	s_wait_alu 0xfffe
	s_or_b32 exec_lo, exec_lo, s4
	s_and_saveexec_b32 s4, s3
	s_cbranch_execz .LBB108_46
.LBB108_56:
	s_lshl_b32 s5, s10, 5
	s_wait_alu 0xfffe
	v_add_co_u32 v14, vcc_lo, v10, s5
	s_wait_alu 0xfffd
	v_add_co_ci_u32_e64 v15, null, 0, v11, vcc_lo
	s_wait_dscnt 0x2
	global_store_b8 v[14:15], v13, off
	s_or_b32 exec_lo, exec_lo, s4
	s_and_saveexec_b32 s4, s1
	s_cbranch_execz .LBB108_47
.LBB108_57:
	s_lshl_b32 s5, s10, 6
	s_wait_dscnt 0x2
	s_wait_alu 0xfffe
	v_add_co_u32 v13, vcc_lo, v10, s5
	s_wait_alu 0xfffd
	v_add_co_ci_u32_e64 v14, null, 0, v11, vcc_lo
	s_wait_dscnt 0x1
	global_store_b8 v[13:14], v12, off
	s_or_b32 exec_lo, exec_lo, s4
	s_and_saveexec_b32 s4, s2
	s_cbranch_execnz .LBB108_48
	s_branch .LBB108_49
.LBB108_58:
	ds_load_b64 v[8:9], v26
	s_wait_dscnt 0x0
	global_store_b64 v[2:3], v[8:9], off
	s_wait_alu 0xfffe
	s_or_b32 exec_lo, exec_lo, s4
	s_and_saveexec_b32 s0, s3
	s_cbranch_execz .LBB108_51
.LBB108_59:
	s_lshl_b32 s4, s12, 5
	s_mov_b32 s5, 0
	s_wait_alu 0xfffe
	s_lshl_b64 s[4:5], s[4:5], 3
	s_wait_alu 0xfffe
	v_add_co_u32 v8, vcc_lo, v2, s4
	s_wait_alu 0xfffd
	v_add_co_ci_u32_e64 v9, null, s5, v3, vcc_lo
	s_wait_dscnt 0x2
	global_store_b64 v[8:9], v[6:7], off
	s_or_b32 exec_lo, exec_lo, s0
	s_and_saveexec_b32 s0, s1
	s_cbranch_execz .LBB108_52
.LBB108_60:
	s_lshl_b32 s4, s12, 6
	s_mov_b32 s5, 0
	s_wait_alu 0xfffe
	s_lshl_b64 s[4:5], s[4:5], 3
	s_wait_dscnt 0x2
	s_wait_alu 0xfffe
	v_add_co_u32 v6, vcc_lo, v2, s4
	s_wait_alu 0xfffd
	v_add_co_ci_u32_e64 v7, null, s5, v3, vcc_lo
	s_wait_dscnt 0x1
	global_store_b64 v[6:7], v[4:5], off
	s_or_b32 exec_lo, exec_lo, s0
	s_and_saveexec_b32 s0, s2
	s_cbranch_execnz .LBB108_53
	s_branch .LBB108_54
	.section	.rodata,"a",@progbits
	.p2align	6, 0x0
	.amdhsa_kernel _ZN2at6native18radixSortKVInPlaceILi2ELin1ELi32ELi4EaljEEvNS_4cuda6detail10TensorInfoIT3_T5_EES6_S6_S6_NS4_IT4_S6_EES6_b
		.amdhsa_group_segment_fixed_size 1056
		.amdhsa_private_segment_fixed_size 0
		.amdhsa_kernarg_size 712
		.amdhsa_user_sgpr_count 2
		.amdhsa_user_sgpr_dispatch_ptr 0
		.amdhsa_user_sgpr_queue_ptr 0
		.amdhsa_user_sgpr_kernarg_segment_ptr 1
		.amdhsa_user_sgpr_dispatch_id 0
		.amdhsa_user_sgpr_private_segment_size 0
		.amdhsa_wavefront_size32 1
		.amdhsa_uses_dynamic_stack 0
		.amdhsa_enable_private_segment 0
		.amdhsa_system_sgpr_workgroup_id_x 1
		.amdhsa_system_sgpr_workgroup_id_y 1
		.amdhsa_system_sgpr_workgroup_id_z 1
		.amdhsa_system_sgpr_workgroup_info 0
		.amdhsa_system_vgpr_workitem_id 2
		.amdhsa_next_free_vgpr 90
		.amdhsa_next_free_sgpr 24
		.amdhsa_reserve_vcc 1
		.amdhsa_float_round_mode_32 0
		.amdhsa_float_round_mode_16_64 0
		.amdhsa_float_denorm_mode_32 3
		.amdhsa_float_denorm_mode_16_64 3
		.amdhsa_fp16_overflow 0
		.amdhsa_workgroup_processor_mode 1
		.amdhsa_memory_ordered 1
		.amdhsa_forward_progress 1
		.amdhsa_inst_pref_size 79
		.amdhsa_round_robin_scheduling 0
		.amdhsa_exception_fp_ieee_invalid_op 0
		.amdhsa_exception_fp_denorm_src 0
		.amdhsa_exception_fp_ieee_div_zero 0
		.amdhsa_exception_fp_ieee_overflow 0
		.amdhsa_exception_fp_ieee_underflow 0
		.amdhsa_exception_fp_ieee_inexact 0
		.amdhsa_exception_int_div_zero 0
	.end_amdhsa_kernel
	.section	.text._ZN2at6native18radixSortKVInPlaceILi2ELin1ELi32ELi4EaljEEvNS_4cuda6detail10TensorInfoIT3_T5_EES6_S6_S6_NS4_IT4_S6_EES6_b,"axG",@progbits,_ZN2at6native18radixSortKVInPlaceILi2ELin1ELi32ELi4EaljEEvNS_4cuda6detail10TensorInfoIT3_T5_EES6_S6_S6_NS4_IT4_S6_EES6_b,comdat
.Lfunc_end108:
	.size	_ZN2at6native18radixSortKVInPlaceILi2ELin1ELi32ELi4EaljEEvNS_4cuda6detail10TensorInfoIT3_T5_EES6_S6_S6_NS4_IT4_S6_EES6_b, .Lfunc_end108-_ZN2at6native18radixSortKVInPlaceILi2ELin1ELi32ELi4EaljEEvNS_4cuda6detail10TensorInfoIT3_T5_EES6_S6_S6_NS4_IT4_S6_EES6_b
                                        ; -- End function
	.set _ZN2at6native18radixSortKVInPlaceILi2ELin1ELi32ELi4EaljEEvNS_4cuda6detail10TensorInfoIT3_T5_EES6_S6_S6_NS4_IT4_S6_EES6_b.num_vgpr, 90
	.set _ZN2at6native18radixSortKVInPlaceILi2ELin1ELi32ELi4EaljEEvNS_4cuda6detail10TensorInfoIT3_T5_EES6_S6_S6_NS4_IT4_S6_EES6_b.num_agpr, 0
	.set _ZN2at6native18radixSortKVInPlaceILi2ELin1ELi32ELi4EaljEEvNS_4cuda6detail10TensorInfoIT3_T5_EES6_S6_S6_NS4_IT4_S6_EES6_b.numbered_sgpr, 24
	.set _ZN2at6native18radixSortKVInPlaceILi2ELin1ELi32ELi4EaljEEvNS_4cuda6detail10TensorInfoIT3_T5_EES6_S6_S6_NS4_IT4_S6_EES6_b.num_named_barrier, 0
	.set _ZN2at6native18radixSortKVInPlaceILi2ELin1ELi32ELi4EaljEEvNS_4cuda6detail10TensorInfoIT3_T5_EES6_S6_S6_NS4_IT4_S6_EES6_b.private_seg_size, 0
	.set _ZN2at6native18radixSortKVInPlaceILi2ELin1ELi32ELi4EaljEEvNS_4cuda6detail10TensorInfoIT3_T5_EES6_S6_S6_NS4_IT4_S6_EES6_b.uses_vcc, 1
	.set _ZN2at6native18radixSortKVInPlaceILi2ELin1ELi32ELi4EaljEEvNS_4cuda6detail10TensorInfoIT3_T5_EES6_S6_S6_NS4_IT4_S6_EES6_b.uses_flat_scratch, 0
	.set _ZN2at6native18radixSortKVInPlaceILi2ELin1ELi32ELi4EaljEEvNS_4cuda6detail10TensorInfoIT3_T5_EES6_S6_S6_NS4_IT4_S6_EES6_b.has_dyn_sized_stack, 0
	.set _ZN2at6native18radixSortKVInPlaceILi2ELin1ELi32ELi4EaljEEvNS_4cuda6detail10TensorInfoIT3_T5_EES6_S6_S6_NS4_IT4_S6_EES6_b.has_recursion, 0
	.set _ZN2at6native18radixSortKVInPlaceILi2ELin1ELi32ELi4EaljEEvNS_4cuda6detail10TensorInfoIT3_T5_EES6_S6_S6_NS4_IT4_S6_EES6_b.has_indirect_call, 0
	.section	.AMDGPU.csdata,"",@progbits
; Kernel info:
; codeLenInByte = 10016
; TotalNumSgprs: 26
; NumVgprs: 90
; ScratchSize: 0
; MemoryBound: 0
; FloatMode: 240
; IeeeMode: 1
; LDSByteSize: 1056 bytes/workgroup (compile time only)
; SGPRBlocks: 0
; VGPRBlocks: 11
; NumSGPRsForWavesPerEU: 26
; NumVGPRsForWavesPerEU: 90
; Occupancy: 16
; WaveLimiterHint : 1
; COMPUTE_PGM_RSRC2:SCRATCH_EN: 0
; COMPUTE_PGM_RSRC2:USER_SGPR: 2
; COMPUTE_PGM_RSRC2:TRAP_HANDLER: 0
; COMPUTE_PGM_RSRC2:TGID_X_EN: 1
; COMPUTE_PGM_RSRC2:TGID_Y_EN: 1
; COMPUTE_PGM_RSRC2:TGID_Z_EN: 1
; COMPUTE_PGM_RSRC2:TIDIG_COMP_CNT: 2
	.section	.text._ZN2at6native18radixSortKVInPlaceILi2ELin1ELi16ELi2EaljEEvNS_4cuda6detail10TensorInfoIT3_T5_EES6_S6_S6_NS4_IT4_S6_EES6_b,"axG",@progbits,_ZN2at6native18radixSortKVInPlaceILi2ELin1ELi16ELi2EaljEEvNS_4cuda6detail10TensorInfoIT3_T5_EES6_S6_S6_NS4_IT4_S6_EES6_b,comdat
	.protected	_ZN2at6native18radixSortKVInPlaceILi2ELin1ELi16ELi2EaljEEvNS_4cuda6detail10TensorInfoIT3_T5_EES6_S6_S6_NS4_IT4_S6_EES6_b ; -- Begin function _ZN2at6native18radixSortKVInPlaceILi2ELin1ELi16ELi2EaljEEvNS_4cuda6detail10TensorInfoIT3_T5_EES6_S6_S6_NS4_IT4_S6_EES6_b
	.globl	_ZN2at6native18radixSortKVInPlaceILi2ELin1ELi16ELi2EaljEEvNS_4cuda6detail10TensorInfoIT3_T5_EES6_S6_S6_NS4_IT4_S6_EES6_b
	.p2align	8
	.type	_ZN2at6native18radixSortKVInPlaceILi2ELin1ELi16ELi2EaljEEvNS_4cuda6detail10TensorInfoIT3_T5_EES6_S6_S6_NS4_IT4_S6_EES6_b,@function
_ZN2at6native18radixSortKVInPlaceILi2ELin1ELi16ELi2EaljEEvNS_4cuda6detail10TensorInfoIT3_T5_EES6_S6_S6_NS4_IT4_S6_EES6_b: ; @_ZN2at6native18radixSortKVInPlaceILi2ELin1ELi16ELi2EaljEEvNS_4cuda6detail10TensorInfoIT3_T5_EES6_S6_S6_NS4_IT4_S6_EES6_b
; %bb.0:
	s_clause 0x1
	s_load_b64 s[2:3], s[0:1], 0x1c8
	s_load_b96 s[8:10], s[0:1], 0xd8
	s_lshr_b32 s4, ttmp7, 16
	s_wait_kmcnt 0x0
	s_mul_i32 s3, s3, s4
	s_and_b32 s4, ttmp7, 0xffff
	s_delay_alu instid0(SALU_CYCLE_1) | instskip(NEXT) | instid1(SALU_CYCLE_1)
	s_add_co_i32 s3, s3, s4
	s_mul_i32 s2, s3, s2
	s_delay_alu instid0(SALU_CYCLE_1) | instskip(NEXT) | instid1(SALU_CYCLE_1)
	s_add_co_i32 s6, s2, ttmp9
	s_cmp_ge_u32 s6, s8
	s_cbranch_scc1 .LBB109_68
; %bb.1:
	s_clause 0x2
	s_load_b32 s8, s[0:1], 0xc
	s_load_b64 s[14:15], s[0:1], 0x6c
	s_load_b32 s11, s[0:1], 0x1b8
	s_mov_b32 s7, 0
	s_add_nc_u64 s[4:5], s[0:1], 0xe8
	s_mov_b32 s13, s7
	s_wait_kmcnt 0x0
	s_cvt_f32_u32 s2, s8
	s_sub_co_i32 s3, 0, s8
	s_delay_alu instid0(SALU_CYCLE_2) | instskip(NEXT) | instid1(TRANS32_DEP_1)
	v_rcp_iflag_f32_e32 v1, s2
	v_readfirstlane_b32 s2, v1
	s_mul_f32 s2, s2, 0x4f7ffffe
	s_wait_alu 0xfffe
	s_delay_alu instid0(SALU_CYCLE_2) | instskip(SKIP_1) | instid1(SALU_CYCLE_2)
	s_cvt_u32_f32 s2, s2
	s_wait_alu 0xfffe
	s_mul_i32 s3, s3, s2
	s_wait_alu 0xfffe
	s_mul_hi_u32 s3, s2, s3
	s_wait_alu 0xfffe
	s_add_co_i32 s12, s2, s3
	s_cmp_lt_i32 s11, 2
	s_mov_b32 s2, s6
	s_mov_b32 s3, s7
	s_cbranch_scc1 .LBB109_4
; %bb.2:
	s_add_co_i32 s2, s11, -1
	s_mov_b32 s3, 0
	s_add_co_i32 s11, s11, 1
	s_wait_alu 0xfffe
	s_lshl_b64 s[16:17], s[2:3], 2
	s_mov_b32 s2, s6
	s_add_nc_u64 s[16:17], s[4:5], s[16:17]
	s_delay_alu instid0(SALU_CYCLE_1)
	s_add_nc_u64 s[16:17], s[16:17], 8
.LBB109_3:                              ; =>This Inner Loop Header: Depth=1
	s_clause 0x1
	s_load_b32 s18, s[16:17], 0x0
	s_load_b32 s19, s[16:17], 0x64
	s_mov_b32 s22, s2
	s_add_nc_u64 s[16:17], s[16:17], -4
	s_wait_kmcnt 0x0
	s_cvt_f32_u32 s20, s18
	s_sub_co_i32 s21, 0, s18
	s_wait_alu 0xfffe
	s_delay_alu instid0(SALU_CYCLE_1) | instskip(NEXT) | instid1(TRANS32_DEP_1)
	v_rcp_iflag_f32_e32 v1, s20
	v_readfirstlane_b32 s20, v1
	s_mul_f32 s20, s20, 0x4f7ffffe
	s_wait_alu 0xfffe
	s_delay_alu instid0(SALU_CYCLE_2) | instskip(SKIP_1) | instid1(SALU_CYCLE_2)
	s_cvt_u32_f32 s20, s20
	s_wait_alu 0xfffe
	s_mul_i32 s21, s21, s20
	s_wait_alu 0xfffe
	s_mul_hi_u32 s21, s20, s21
	s_wait_alu 0xfffe
	s_add_co_i32 s20, s20, s21
	s_wait_alu 0xfffe
	s_mul_hi_u32 s2, s2, s20
	s_wait_alu 0xfffe
	s_mul_i32 s20, s2, s18
	s_add_co_i32 s21, s2, 1
	s_wait_alu 0xfffe
	s_sub_co_i32 s20, s22, s20
	s_wait_alu 0xfffe
	s_sub_co_i32 s23, s20, s18
	s_cmp_ge_u32 s20, s18
	s_cselect_b32 s2, s21, s2
	s_cselect_b32 s20, s23, s20
	s_wait_alu 0xfffe
	s_add_co_i32 s21, s2, 1
	s_cmp_ge_u32 s20, s18
	s_wait_alu 0xfffe
	s_cselect_b32 s2, s21, s2
	s_add_co_i32 s11, s11, -1
	s_wait_alu 0xfffe
	s_mul_i32 s18, s2, s18
	s_delay_alu instid0(SALU_CYCLE_1) | instskip(NEXT) | instid1(SALU_CYCLE_1)
	s_sub_co_i32 s18, s22, s18
	s_mul_i32 s18, s19, s18
	s_delay_alu instid0(SALU_CYCLE_1)
	s_add_co_i32 s3, s18, s3
	s_cmp_gt_u32 s11, 2
	s_cbranch_scc1 .LBB109_3
.LBB109_4:
	s_mul_u64 s[18:19], s[6:7], s[12:13]
	s_clause 0x1
	s_load_b64 s[16:17], s[0:1], 0x0
	s_load_b64 s[12:13], s[0:1], 0x1c0
	s_mul_i32 s7, s19, s8
	s_add_co_i32 s1, s19, 1
	s_sub_co_i32 s0, s6, s7
	v_mul_lo_u32 v20, s10, v0
	s_sub_co_i32 s7, s0, s8
	s_cmp_ge_u32 s0, s8
	s_cselect_b32 s1, s1, s19
	s_cselect_b32 s0, s7, s0
	s_add_co_i32 s7, s1, 1
	s_cmp_ge_u32 s0, s8
	s_cselect_b32 s0, s7, s1
	s_mov_b32 s7, 0xff80
	s_mul_i32 s1, s0, s8
	s_mul_i32 s0, s0, s14
	s_sub_co_i32 s1, s6, s1
	s_delay_alu instid0(SALU_CYCLE_1)
	s_mul_i32 s1, s1, s15
	s_mov_b32 s15, 0
	s_add_co_i32 s14, s0, s1
	s_wait_kmcnt 0x0
	s_bitcmp1_b32 s13, 0
	s_movk_i32 s0, 0x8000
	s_cselect_b32 s6, -1, 0
	s_movk_i32 s1, 0x80
	s_and_b32 s8, s6, exec_lo
	s_cselect_b32 s0, s0, 0x7f00
	s_cselect_b32 s1, s1, 0x7f
	;; [unrolled: 1-line block ×3, first 2 shown]
	s_or_b32 s0, s1, s0
	s_add_nc_u64 s[14:15], s[16:17], s[14:15]
	s_and_b32 s1, s0, 0xffff
	v_cmp_gt_u32_e64 s0, s9, v0
	v_dual_mov_b32 v2, s1 :: v_dual_mov_b32 v1, s7
	s_and_saveexec_b32 s7, s0
	s_cbranch_execz .LBB109_6
; %bb.5:
	global_load_u8 v1, v20, s[14:15]
	s_wait_loadcnt 0x0
	v_perm_b32 v2, v1, s1, 0xc0c0104
.LBB109_6:
	s_wait_alu 0xfffe
	s_or_b32 exec_lo, exec_lo, s7
	s_clause 0x1
	s_load_b32 s7, s[4:5], 0x6c
	s_load_b64 s[4:5], s[4:5], 0x0
	v_or_b32_e32 v3, 16, v0
	s_delay_alu instid0(VALU_DEP_1)
	v_cmp_gt_u32_e64 s1, s9, v3
	s_and_saveexec_b32 s8, s1
	s_cbranch_execz .LBB109_8
; %bb.7:
	v_mul_lo_u32 v4, s10, v3
	global_load_u8 v4, v4, s[14:15]
	s_wait_loadcnt 0x0
	v_perm_b32 v2, v2, v4, 0xc0c0004
.LBB109_8:
	s_wait_alu 0xfffe
	s_or_b32 exec_lo, exec_lo, s8
	v_dual_mov_b32 v18, 0 :: v_dual_lshlrev_b32 v21, 1, v0
	s_delay_alu instid0(VALU_DEP_2)
	v_lshrrev_b16 v2, 8, v2
	s_wait_kmcnt 0x0
	s_mul_i32 s2, s7, s2
	ds_store_b8 v0, v1
	ds_store_b8 v0, v2 offset:16
	s_wait_dscnt 0x0
	; wave barrier
	global_inv scope:SCOPE_SE
	ds_load_u16 v26, v21
	v_mul_lo_u32 v17, s12, v0
	s_wait_alu 0xfffe
	s_add_co_i32 s2, s2, s3
	s_mov_b32 s3, 0
	v_mov_b32_e32 v1, 0
	v_dual_mov_b32 v2, 0 :: v_dual_mov_b32 v19, v18
	s_wait_alu 0xfffe
	s_lshl_b64 s[2:3], s[2:3], 3
	s_wait_loadcnt_dscnt 0x0
	s_wait_alu 0xfffe
	s_add_nc_u64 s[8:9], s[4:5], s[2:3]
	; wave barrier
	global_inv scope:SCOPE_SE
	s_and_saveexec_b32 s2, s0
	s_cbranch_execz .LBB109_10
; %bb.9:
	v_lshlrev_b64_e32 v[1:2], 3, v[17:18]
	v_mov_b32_e32 v19, v18
	s_wait_alu 0xfffe
	s_delay_alu instid0(VALU_DEP_2) | instskip(NEXT) | instid1(VALU_DEP_1)
	v_add_co_u32 v1, vcc_lo, s8, v1
	v_add_co_ci_u32_e64 v2, null, s9, v2, vcc_lo
	global_load_b64 v[1:2], v[1:2], off
.LBB109_10:
	s_wait_alu 0xfffe
	s_or_b32 exec_lo, exec_lo, s2
	s_xor_b32 s16, s6, -1
	s_and_saveexec_b32 s2, s1
	s_cbranch_execz .LBB109_12
; %bb.11:
	v_mul_lo_u32 v3, s12, v3
	v_mov_b32_e32 v4, 0
	s_delay_alu instid0(VALU_DEP_1) | instskip(NEXT) | instid1(VALU_DEP_1)
	v_lshlrev_b64_e32 v[3:4], 3, v[3:4]
	v_add_co_u32 v3, vcc_lo, s8, v3
	s_wait_alu 0xfffd
	s_delay_alu instid0(VALU_DEP_2)
	v_add_co_ci_u32_e64 v4, null, s9, v4, vcc_lo
	global_load_b64 v[18:19], v[3:4], off
.LBB109_12:
	s_wait_alu 0xfffe
	s_or_b32 exec_lo, exec_lo, s2
	v_mbcnt_lo_u32_b32 v5, -1, 0
	v_lshlrev_b32_e32 v23, 3, v21
	s_getpc_b64 s[2:3]
	s_wait_alu 0xfffe
	s_sext_i32_i16 s3, s3
	s_add_co_u32 s2, s2, _ZN7rocprim17ROCPRIM_400000_NS16block_radix_sortIaLj16ELj2ElLj1ELj1ELj0ELNS0_26block_radix_rank_algorithmE1ELNS0_18block_padding_hintE2ELNS0_4arch9wavefront6targetE0EE19radix_bits_per_passE@rel32@lo+12
	s_wait_alu 0xfffe
	s_add_co_ci_u32 s3, s3, _ZN7rocprim17ROCPRIM_400000_NS16block_radix_sortIaLj16ELj2ElLj1ELj1ELj0ELNS0_26block_radix_rank_algorithmE1ELNS0_18block_padding_hintE2ELNS0_4arch9wavefront6targetE0EE19radix_bits_per_passE@rel32@hi+24
	v_lshlrev_b32_e32 v24, 5, v0
	s_load_b32 s13, s[2:3], 0x0
	v_sub_co_u32 v7, s11, v5, 1
	v_and_b32_e32 v8, 16, v5
	v_and_b32_e32 v6, 15, v5
	v_lshrrev_b16 v27, 8, v26
	v_cmp_gt_u32_e64 s7, 0x80, v0
	v_cmp_eq_u32_e64 s2, 15, v0
	v_cmp_lt_i32_e32 vcc_lo, v7, v8
	v_lshlrev_b32_e32 v22, 3, v0
	v_cmp_eq_u32_e64 s5, 0, v6
	v_cmp_lt_u32_e64 s3, 1, v6
	v_cmp_lt_u32_e64 s6, 3, v6
	s_wait_alu 0xfffd
	v_cndmask_b32_e32 v5, v7, v5, vcc_lo
	s_wait_loadcnt 0x0
	ds_store_2addr_b64 v22, v[1:2], v[18:19] offset1:16
	s_wait_dscnt 0x0
	; wave barrier
	global_inv scope:SCOPE_SE
	ds_load_2addr_b64 v[1:4], v23 offset1:1
	v_mad_i32_i24 v19, 0xffffffe2, v0, v24
	v_cmp_lt_u32_e64 s4, 7, v6
	v_lshlrev_b32_e32 v25, 2, v5
	s_mov_b32 s17, -1
	s_and_b32 vcc_lo, exec_lo, s16
	v_mad_u32_u24 v18, v0, 14, v19
	s_wait_kmcnt 0x0
	s_min_u32 s16, s13, 8
	; wave barrier
	s_wait_loadcnt_dscnt 0x0
	global_inv scope:SCOPE_SE
	s_wait_alu 0xfffe
	s_cbranch_vccz .LBB109_36
; %bb.13:
	s_and_saveexec_b32 s17, s7
	s_cbranch_execz .LBB109_22
; %bb.14:
	v_dual_mov_b32 v6, 0 :: v_dual_lshlrev_b32 v5, 2, v0
	v_cmp_gt_u32_e32 vcc_lo, 0x70, v0
	ds_store_b32 v5, v6
	s_and_b32 exec_lo, exec_lo, vcc_lo
	s_cbranch_execz .LBB109_22
; %bb.15:
	v_cmp_gt_u32_e32 vcc_lo, 0x60, v0
	ds_store_b32 v5, v6 offset:64
	s_and_b32 exec_lo, exec_lo, vcc_lo
	s_cbranch_execz .LBB109_22
; %bb.16:
	v_mov_b32_e32 v6, 0
	v_cmp_gt_u32_e32 vcc_lo, 0x50, v0
	ds_store_b32 v5, v6 offset:128
	s_and_b32 exec_lo, exec_lo, vcc_lo
	s_cbranch_execz .LBB109_22
; %bb.17:
	v_cmp_gt_u32_e32 vcc_lo, 64, v0
	ds_store_b32 v5, v6 offset:192
	s_and_b32 exec_lo, exec_lo, vcc_lo
	s_cbranch_execz .LBB109_22
; %bb.18:
	v_mov_b32_e32 v6, 0
	v_cmp_gt_u32_e32 vcc_lo, 48, v0
	ds_store_b32 v5, v6 offset:256
	;; [unrolled: 11-line block ×3, first 2 shown]
	s_and_b32 exec_lo, exec_lo, vcc_lo
; %bb.21:
	ds_store_b32 v5, v6 offset:448
.LBB109_22:
	s_or_b32 exec_lo, exec_lo, s17
	v_xor_b32_e32 v13, 0xffffff80, v26
	s_lshl_b32 s17, -1, s16
	v_xor_b32_e32 v14, 0xffffff80, v27
	s_not_b32 s17, s17
	s_delay_alu instid0(VALU_DEP_2) | instid1(SALU_CYCLE_1)
	v_and_b32_e32 v5, s17, v13
	s_delay_alu instid0(VALU_DEP_1) | instskip(SKIP_1) | instid1(VALU_DEP_2)
	v_lshlrev_b32_e32 v6, 4, v5
	v_lshrrev_b32_e32 v5, 2, v5
	v_and_or_b32 v6, 0x70, v6, v0
	s_delay_alu instid0(VALU_DEP_2) | instskip(NEXT) | instid1(VALU_DEP_1)
	v_and_b32_e32 v5, 62, v5
	v_lshl_add_u32 v16, v6, 2, v5
	v_and_b32_e32 v5, s17, v14
	ds_load_u16 v15, v16
	v_lshlrev_b32_e32 v6, 4, v5
	v_lshrrev_b32_e32 v5, 2, v5
	s_delay_alu instid0(VALU_DEP_2) | instskip(NEXT) | instid1(VALU_DEP_2)
	v_and_or_b32 v6, 0x70, v6, v0
	v_and_b32_e32 v5, 62, v5
	s_delay_alu instid0(VALU_DEP_1)
	v_lshl_add_u32 v28, v6, 2, v5
	s_wait_dscnt 0x0
	v_add_nc_u16 v7, v15, 1
	ds_store_b16 v16, v7
	ds_load_u16 v30, v28
	s_wait_dscnt 0x0
	v_add_nc_u16 v5, v30, 1
	ds_store_b16 v28, v5
	; wave barrier
	s_wait_loadcnt_dscnt 0x0
	global_inv scope:SCOPE_SE
	ds_load_b128 v[9:12], v24
	ds_load_b128 v[5:8], v24 offset:16
	s_wait_dscnt 0x1
	v_add_nc_u32_e32 v29, v10, v9
	s_delay_alu instid0(VALU_DEP_1) | instskip(SKIP_1) | instid1(VALU_DEP_1)
	v_add3_u32 v29, v29, v11, v12
	s_wait_dscnt 0x0
	v_add3_u32 v29, v29, v5, v6
	s_delay_alu instid0(VALU_DEP_1) | instskip(NEXT) | instid1(VALU_DEP_1)
	v_add3_u32 v8, v29, v7, v8
	v_mov_b32_dpp v29, v8 row_shr:1 row_mask:0xf bank_mask:0xf
	s_delay_alu instid0(VALU_DEP_1) | instskip(NEXT) | instid1(VALU_DEP_1)
	v_cndmask_b32_e64 v29, v29, 0, s5
	v_add_nc_u32_e32 v8, v29, v8
	s_delay_alu instid0(VALU_DEP_1) | instskip(NEXT) | instid1(VALU_DEP_1)
	v_mov_b32_dpp v29, v8 row_shr:2 row_mask:0xf bank_mask:0xf
	v_cndmask_b32_e64 v29, 0, v29, s3
	s_delay_alu instid0(VALU_DEP_1) | instskip(NEXT) | instid1(VALU_DEP_1)
	v_add_nc_u32_e32 v8, v8, v29
	v_mov_b32_dpp v29, v8 row_shr:4 row_mask:0xf bank_mask:0xf
	s_delay_alu instid0(VALU_DEP_1) | instskip(NEXT) | instid1(VALU_DEP_1)
	v_cndmask_b32_e64 v29, 0, v29, s6
	v_add_nc_u32_e32 v8, v8, v29
	s_delay_alu instid0(VALU_DEP_1) | instskip(NEXT) | instid1(VALU_DEP_1)
	v_mov_b32_dpp v29, v8 row_shr:8 row_mask:0xf bank_mask:0xf
	v_cndmask_b32_e64 v29, 0, v29, s4
	s_delay_alu instid0(VALU_DEP_1)
	v_add_nc_u32_e32 v8, v8, v29
	s_and_saveexec_b32 s17, s2
; %bb.23:
	v_mov_b32_e32 v29, 0
	ds_store_b32 v29, v8 offset:512
; %bb.24:
	s_wait_alu 0xfffe
	s_or_b32 exec_lo, exec_lo, s17
	ds_bpermute_b32 v8, v25, v8
	v_mov_b32_e32 v29, 0
	; wave barrier
	s_wait_loadcnt_dscnt 0x0
	global_inv scope:SCOPE_SE
	ds_load_b32 v31, v29 offset:512
	v_cndmask_b32_e64 v8, v8, 0, s11
	s_wait_dscnt 0x0
	s_delay_alu instid0(VALU_DEP_1) | instskip(NEXT) | instid1(VALU_DEP_1)
	v_lshl_add_u32 v8, v31, 16, v8
	v_add_nc_u32_e32 v9, v8, v9
	s_delay_alu instid0(VALU_DEP_1) | instskip(NEXT) | instid1(VALU_DEP_1)
	v_add_nc_u32_e32 v10, v9, v10
	v_add_nc_u32_e32 v11, v10, v11
	s_delay_alu instid0(VALU_DEP_1) | instskip(NEXT) | instid1(VALU_DEP_1)
	v_add_nc_u32_e32 v31, v11, v12
	;; [unrolled: 3-line block ×3, first 2 shown]
	v_add_nc_u32_e32 v34, v33, v7
	v_and_b32_e32 v7, 0xffff, v15
	ds_store_b128 v24, v[8:11]
	ds_store_b128 v24, v[31:34] offset:16
	; wave barrier
	s_wait_loadcnt_dscnt 0x0
	global_inv scope:SCOPE_SE
	ds_load_u16 v5, v16
	ds_load_u16 v6, v28
	v_and_b32_e32 v8, 0xffff, v30
	; wave barrier
	s_wait_loadcnt_dscnt 0x0
	global_inv scope:SCOPE_SE
	v_add_nc_u32_e32 v5, v5, v7
	v_add_nc_u32_e32 v6, v6, v8
	ds_store_b8 v5, v13
	ds_store_b8 v6, v14
	v_lshlrev_b32_e32 v5, 3, v5
	v_lshlrev_b32_e32 v6, 3, v6
	; wave barrier
	s_wait_loadcnt_dscnt 0x0
	global_inv scope:SCOPE_SE
	ds_load_u16 v28, v19
	; wave barrier
	s_wait_loadcnt_dscnt 0x0
	global_inv scope:SCOPE_SE
	ds_store_b64 v5, v[1:2]
	ds_store_b64 v6, v[3:4]
	; wave barrier
	s_wait_loadcnt_dscnt 0x0
	global_inv scope:SCOPE_SE
	ds_load_b128 v[5:8], v18
	; wave barrier
	s_wait_loadcnt_dscnt 0x0
	global_inv scope:SCOPE_SE
	s_and_saveexec_b32 s17, s7
	s_cbranch_execz .LBB109_33
; %bb.25:
	v_lshlrev_b32_e32 v9, 2, v0
	v_cmp_gt_u32_e32 vcc_lo, 0x70, v0
	ds_store_b32 v9, v29
	s_and_b32 exec_lo, exec_lo, vcc_lo
	s_cbranch_execz .LBB109_33
; %bb.26:
	v_mov_b32_e32 v10, 0
	v_cmp_gt_u32_e32 vcc_lo, 0x60, v0
	ds_store_b32 v9, v10 offset:64
	s_and_b32 exec_lo, exec_lo, vcc_lo
	s_cbranch_execz .LBB109_33
; %bb.27:
	v_cmp_gt_u32_e32 vcc_lo, 0x50, v0
	ds_store_b32 v9, v10 offset:128
	s_and_b32 exec_lo, exec_lo, vcc_lo
	s_cbranch_execz .LBB109_33
; %bb.28:
	v_mov_b32_e32 v10, 0
	v_cmp_gt_u32_e32 vcc_lo, 64, v0
	ds_store_b32 v9, v10 offset:192
	s_and_b32 exec_lo, exec_lo, vcc_lo
	s_cbranch_execz .LBB109_33
; %bb.29:
	v_cmp_gt_u32_e32 vcc_lo, 48, v0
	ds_store_b32 v9, v10 offset:256
	;; [unrolled: 11-line block ×3, first 2 shown]
	s_and_b32 exec_lo, exec_lo, vcc_lo
; %bb.32:
	v_mov_b32_e32 v10, 0
	ds_store_b32 v9, v10 offset:448
.LBB109_33:
	s_wait_alu 0xfffe
	s_or_b32 exec_lo, exec_lo, s17
	v_lshrrev_b16 v9, 4, v28
	s_min_u32 s17, s13, 4
	s_wait_alu 0xfffe
	s_lshl_b32 s17, -1, s17
	s_wait_alu 0xfffe
	s_not_b32 s17, s17
	v_and_b32_e32 v9, 15, v9
	s_delay_alu instid0(VALU_DEP_1) | instskip(SKIP_1) | instid1(VALU_DEP_1)
	v_and_b32_e32 v9, 0xffff, v9
	s_wait_alu 0xfffe
	v_and_b32_e32 v9, s17, v9
	s_delay_alu instid0(VALU_DEP_1) | instskip(SKIP_1) | instid1(VALU_DEP_2)
	v_lshlrev_b32_e32 v10, 4, v9
	v_lshrrev_b32_e32 v9, 2, v9
	v_and_or_b32 v10, 0x70, v10, v0
	s_delay_alu instid0(VALU_DEP_2) | instskip(NEXT) | instid1(VALU_DEP_1)
	v_and_b32_e32 v9, 2, v9
	v_lshl_or_b32 v29, v10, 2, v9
	v_lshrrev_b16 v9, 12, v28
	ds_load_u16 v30, v29
	v_and_b32_e32 v9, 0xffff, v9
	s_delay_alu instid0(VALU_DEP_1) | instskip(SKIP_1) | instid1(VALU_DEP_1)
	v_and_b32_e32 v9, s17, v9
	s_mov_b32 s17, 0
	v_lshlrev_b32_e32 v10, 4, v9
	v_lshrrev_b32_e32 v9, 2, v9
	s_delay_alu instid0(VALU_DEP_2) | instskip(NEXT) | instid1(VALU_DEP_2)
	v_and_or_b32 v10, 0x70, v10, v0
	v_and_b32_e32 v9, 2, v9
	s_wait_dscnt 0x0
	v_add_nc_u16 v11, v30, 1
	s_delay_alu instid0(VALU_DEP_2)
	v_lshl_or_b32 v31, v10, 2, v9
	ds_store_b16 v29, v11
	ds_load_u16 v32, v31
	s_wait_dscnt 0x0
	v_add_nc_u16 v9, v32, 1
	ds_store_b16 v31, v9
	; wave barrier
	s_wait_loadcnt_dscnt 0x0
	global_inv scope:SCOPE_SE
	ds_load_b128 v[13:16], v24
	ds_load_b128 v[9:12], v24 offset:16
	s_wait_dscnt 0x1
	v_add_nc_u32_e32 v33, v14, v13
	s_delay_alu instid0(VALU_DEP_1) | instskip(SKIP_1) | instid1(VALU_DEP_1)
	v_add3_u32 v33, v33, v15, v16
	s_wait_dscnt 0x0
	v_add3_u32 v33, v33, v9, v10
	s_delay_alu instid0(VALU_DEP_1) | instskip(NEXT) | instid1(VALU_DEP_1)
	v_add3_u32 v12, v33, v11, v12
	v_mov_b32_dpp v33, v12 row_shr:1 row_mask:0xf bank_mask:0xf
	s_delay_alu instid0(VALU_DEP_1) | instskip(NEXT) | instid1(VALU_DEP_1)
	v_cndmask_b32_e64 v33, v33, 0, s5
	v_add_nc_u32_e32 v12, v33, v12
	s_delay_alu instid0(VALU_DEP_1) | instskip(NEXT) | instid1(VALU_DEP_1)
	v_mov_b32_dpp v33, v12 row_shr:2 row_mask:0xf bank_mask:0xf
	v_cndmask_b32_e64 v33, 0, v33, s3
	s_delay_alu instid0(VALU_DEP_1) | instskip(NEXT) | instid1(VALU_DEP_1)
	v_add_nc_u32_e32 v12, v12, v33
	v_mov_b32_dpp v33, v12 row_shr:4 row_mask:0xf bank_mask:0xf
	s_delay_alu instid0(VALU_DEP_1) | instskip(NEXT) | instid1(VALU_DEP_1)
	v_cndmask_b32_e64 v33, 0, v33, s6
	v_add_nc_u32_e32 v33, v12, v33
	s_delay_alu instid0(VALU_DEP_1) | instskip(NEXT) | instid1(VALU_DEP_1)
	v_mov_b32_dpp v12, v33 row_shr:8 row_mask:0xf bank_mask:0xf
	v_cndmask_b32_e64 v34, 0, v12, s4
	v_lshrrev_b16 v12, 8, v28
	s_delay_alu instid0(VALU_DEP_2)
	v_add_nc_u32_e32 v33, v33, v34
	s_and_saveexec_b32 s18, s2
; %bb.34:
	v_mov_b32_e32 v34, 0
	ds_store_b32 v34, v33 offset:512
; %bb.35:
	s_or_b32 exec_lo, exec_lo, s18
	ds_bpermute_b32 v33, v25, v33
	v_mov_b32_e32 v34, 0
	; wave barrier
	s_wait_loadcnt_dscnt 0x0
	global_inv scope:SCOPE_SE
	ds_load_b32 v34, v34 offset:512
	v_cndmask_b32_e64 v33, v33, 0, s11
	s_wait_dscnt 0x0
	s_delay_alu instid0(VALU_DEP_1) | instskip(NEXT) | instid1(VALU_DEP_1)
	v_lshl_add_u32 v33, v34, 16, v33
	v_add_nc_u32_e32 v34, v33, v13
	s_delay_alu instid0(VALU_DEP_1) | instskip(NEXT) | instid1(VALU_DEP_1)
	v_add_nc_u32_e32 v35, v34, v14
	v_add_nc_u32_e32 v36, v35, v15
	s_delay_alu instid0(VALU_DEP_1) | instskip(NEXT) | instid1(VALU_DEP_1)
	v_add_nc_u32_e32 v13, v36, v16
	;; [unrolled: 3-line block ×3, first 2 shown]
	v_add_nc_u32_e32 v16, v15, v11
	v_and_b32_e32 v11, 0xffff, v30
	ds_store_b128 v24, v[33:36]
	ds_store_b128 v24, v[13:16] offset:16
	; wave barrier
	s_wait_loadcnt_dscnt 0x0
	global_inv scope:SCOPE_SE
	ds_load_u16 v9, v29
	ds_load_u16 v10, v31
	v_and_b32_e32 v13, 0xffff, v32
	; wave barrier
	s_wait_loadcnt_dscnt 0x0
	global_inv scope:SCOPE_SE
	v_add_nc_u32_e32 v9, v9, v11
	v_add_nc_u32_e32 v10, v10, v13
	ds_store_b8 v9, v28
	ds_store_b8 v10, v12
	; wave barrier
	s_wait_loadcnt_dscnt 0x0
	global_inv scope:SCOPE_SE
	ds_load_u16 v11, v19
	v_lshlrev_b32_e32 v9, 3, v9
	v_lshlrev_b32_e32 v10, 3, v10
	; wave barrier
	s_wait_loadcnt_dscnt 0x0
	global_inv scope:SCOPE_SE
	ds_store_b64 v9, v[5:6]
	ds_store_b64 v10, v[7:8]
	; wave barrier
	s_wait_loadcnt_dscnt 0x0
	global_inv scope:SCOPE_SE
	ds_load_b128 v[5:8], v18
	v_xor_b32_e32 v9, 0x80, v11
	v_and_b32_e32 v10, 0xffffff00, v11
	s_delay_alu instid0(VALU_DEP_2) | instskip(NEXT) | instid1(VALU_DEP_1)
	v_and_b32_e32 v9, 0xff, v9
	v_or_b32_e32 v9, v9, v10
	s_delay_alu instid0(VALU_DEP_1) | instskip(NEXT) | instid1(VALU_DEP_1)
	v_add_nc_u16 v9, 0x8000, v9
	v_and_b32_e32 v9, 0xffff, v9
	s_wait_alu 0xfffe
	s_and_b32 vcc_lo, exec_lo, s17
	s_wait_alu 0xfffe
	s_cbranch_vccnz .LBB109_37
	s_branch .LBB109_60
.LBB109_36:
                                        ; implicit-def: $vgpr7_vgpr8
                                        ; implicit-def: $vgpr9
	s_and_b32 vcc_lo, exec_lo, s17
	s_wait_alu 0xfffe
	s_cbranch_vccz .LBB109_60
.LBB109_37:
	s_and_saveexec_b32 s17, s7
	s_cbranch_execz .LBB109_46
; %bb.38:
	s_wait_dscnt 0x0
	v_mad_i32_i24 v5, v0, -12, v18
	v_mov_b32_e32 v6, 0
	v_cmp_gt_u32_e32 vcc_lo, 0x70, v0
	ds_store_b32 v5, v6
	s_and_b32 exec_lo, exec_lo, vcc_lo
	s_cbranch_execz .LBB109_46
; %bb.39:
	v_mul_i32_i24_e32 v5, -12, v0
	v_cmp_gt_u32_e32 vcc_lo, 0x60, v0
	s_delay_alu instid0(VALU_DEP_2)
	v_add_nc_u32_e32 v5, v18, v5
	ds_store_b32 v5, v6 offset:64
	s_and_b32 exec_lo, exec_lo, vcc_lo
	s_cbranch_execz .LBB109_46
; %bb.40:
	v_mov_b32_e32 v6, 0
	v_cmp_gt_u32_e32 vcc_lo, 0x50, v0
	ds_store_b32 v5, v6 offset:128
	s_and_b32 exec_lo, exec_lo, vcc_lo
	s_cbranch_execz .LBB109_46
; %bb.41:
	v_cmp_gt_u32_e32 vcc_lo, 64, v0
	ds_store_b32 v5, v6 offset:192
	s_and_b32 exec_lo, exec_lo, vcc_lo
	s_cbranch_execz .LBB109_46
; %bb.42:
	v_mov_b32_e32 v6, 0
	v_cmp_gt_u32_e32 vcc_lo, 48, v0
	ds_store_b32 v5, v6 offset:256
	s_and_b32 exec_lo, exec_lo, vcc_lo
	s_cbranch_execz .LBB109_46
; %bb.43:
	v_cmp_gt_u32_e32 vcc_lo, 32, v0
	ds_store_b32 v5, v6 offset:320
	s_and_b32 exec_lo, exec_lo, vcc_lo
	s_cbranch_execz .LBB109_46
; %bb.44:
	v_mov_b32_e32 v6, 0
	v_cmp_gt_u32_e32 vcc_lo, 16, v0
	ds_store_b32 v5, v6 offset:384
	s_and_b32 exec_lo, exec_lo, vcc_lo
; %bb.45:
	ds_store_b32 v5, v6 offset:448
.LBB109_46:
	s_wait_alu 0xfffe
	s_or_b32 exec_lo, exec_lo, s17
	v_xor_b32_e32 v13, 0x7f, v26
	s_lshl_b32 s16, -1, s16
	v_xor_b32_e32 v14, 0x7f, v27
	s_wait_alu 0xfffe
	s_not_b32 s16, s16
	s_wait_dscnt 0x0
	s_wait_alu 0xfffe
	v_and_b32_e32 v5, s16, v13
	s_delay_alu instid0(VALU_DEP_1) | instskip(SKIP_1) | instid1(VALU_DEP_2)
	v_lshlrev_b32_e32 v6, 4, v5
	v_lshrrev_b32_e32 v5, 2, v5
	v_and_or_b32 v6, 0x70, v6, v0
	s_delay_alu instid0(VALU_DEP_2) | instskip(NEXT) | instid1(VALU_DEP_1)
	v_and_b32_e32 v5, 62, v5
	v_lshl_add_u32 v16, v6, 2, v5
	v_and_b32_e32 v5, 0xffff, v14
	ds_load_u16 v15, v16
	v_and_b32_e32 v5, s16, v5
	s_delay_alu instid0(VALU_DEP_1) | instskip(SKIP_1) | instid1(VALU_DEP_2)
	v_lshlrev_b32_e32 v6, 4, v5
	v_lshrrev_b32_e32 v5, 2, v5
	v_and_or_b32 v6, 0x70, v6, v0
	s_delay_alu instid0(VALU_DEP_2) | instskip(NEXT) | instid1(VALU_DEP_1)
	v_and_b32_e32 v5, 62, v5
	v_lshl_add_u32 v26, v6, 2, v5
	s_wait_dscnt 0x0
	v_add_nc_u16 v7, v15, 1
	ds_store_b16 v16, v7
	ds_load_u16 v27, v26
	s_wait_dscnt 0x0
	v_add_nc_u16 v5, v27, 1
	ds_store_b16 v26, v5
	; wave barrier
	s_wait_loadcnt_dscnt 0x0
	global_inv scope:SCOPE_SE
	ds_load_b128 v[9:12], v24
	ds_load_b128 v[5:8], v24 offset:16
	s_wait_dscnt 0x1
	v_add_nc_u32_e32 v28, v10, v9
	s_delay_alu instid0(VALU_DEP_1) | instskip(SKIP_1) | instid1(VALU_DEP_1)
	v_add3_u32 v28, v28, v11, v12
	s_wait_dscnt 0x0
	v_add3_u32 v28, v28, v5, v6
	s_delay_alu instid0(VALU_DEP_1) | instskip(NEXT) | instid1(VALU_DEP_1)
	v_add3_u32 v8, v28, v7, v8
	v_mov_b32_dpp v28, v8 row_shr:1 row_mask:0xf bank_mask:0xf
	s_delay_alu instid0(VALU_DEP_1) | instskip(NEXT) | instid1(VALU_DEP_1)
	v_cndmask_b32_e64 v28, v28, 0, s5
	v_add_nc_u32_e32 v8, v28, v8
	s_delay_alu instid0(VALU_DEP_1) | instskip(NEXT) | instid1(VALU_DEP_1)
	v_mov_b32_dpp v28, v8 row_shr:2 row_mask:0xf bank_mask:0xf
	v_cndmask_b32_e64 v28, 0, v28, s3
	s_delay_alu instid0(VALU_DEP_1) | instskip(NEXT) | instid1(VALU_DEP_1)
	v_add_nc_u32_e32 v8, v8, v28
	v_mov_b32_dpp v28, v8 row_shr:4 row_mask:0xf bank_mask:0xf
	s_delay_alu instid0(VALU_DEP_1) | instskip(NEXT) | instid1(VALU_DEP_1)
	v_cndmask_b32_e64 v28, 0, v28, s6
	v_add_nc_u32_e32 v8, v8, v28
	s_delay_alu instid0(VALU_DEP_1) | instskip(NEXT) | instid1(VALU_DEP_1)
	v_mov_b32_dpp v28, v8 row_shr:8 row_mask:0xf bank_mask:0xf
	v_cndmask_b32_e64 v28, 0, v28, s4
	s_delay_alu instid0(VALU_DEP_1)
	v_add_nc_u32_e32 v8, v8, v28
	s_and_saveexec_b32 s16, s2
; %bb.47:
	v_mov_b32_e32 v28, 0
	ds_store_b32 v28, v8 offset:512
; %bb.48:
	s_wait_alu 0xfffe
	s_or_b32 exec_lo, exec_lo, s16
	ds_bpermute_b32 v28, v25, v8
	v_mov_b32_e32 v8, 0
	; wave barrier
	s_wait_loadcnt_dscnt 0x0
	global_inv scope:SCOPE_SE
	ds_load_b32 v29, v8 offset:512
	v_cndmask_b32_e64 v28, v28, 0, s11
	s_wait_dscnt 0x0
	s_delay_alu instid0(VALU_DEP_1) | instskip(NEXT) | instid1(VALU_DEP_1)
	v_lshl_add_u32 v28, v29, 16, v28
	v_add_nc_u32_e32 v29, v28, v9
	s_delay_alu instid0(VALU_DEP_1) | instskip(NEXT) | instid1(VALU_DEP_1)
	v_add_nc_u32_e32 v30, v29, v10
	v_add_nc_u32_e32 v31, v30, v11
	s_delay_alu instid0(VALU_DEP_1) | instskip(NEXT) | instid1(VALU_DEP_1)
	v_add_nc_u32_e32 v9, v31, v12
	;; [unrolled: 3-line block ×3, first 2 shown]
	v_add_nc_u32_e32 v12, v11, v7
	v_and_b32_e32 v7, 0xffff, v15
	ds_store_b128 v24, v[28:31]
	ds_store_b128 v24, v[9:12] offset:16
	; wave barrier
	s_wait_loadcnt_dscnt 0x0
	global_inv scope:SCOPE_SE
	ds_load_u16 v5, v16
	ds_load_u16 v6, v26
	v_and_b32_e32 v9, 0xffff, v27
	; wave barrier
	s_wait_loadcnt_dscnt 0x0
	global_inv scope:SCOPE_SE
	v_add_nc_u32_e32 v5, v5, v7
	v_add_nc_u32_e32 v6, v6, v9
	ds_store_b8 v5, v13
	ds_store_b8 v6, v14
	v_lshlrev_b32_e32 v5, 3, v5
	v_lshlrev_b32_e32 v6, 3, v6
	; wave barrier
	s_wait_loadcnt_dscnt 0x0
	global_inv scope:SCOPE_SE
	ds_load_u16 v13, v19
	; wave barrier
	s_wait_loadcnt_dscnt 0x0
	global_inv scope:SCOPE_SE
	ds_store_b64 v5, v[1:2]
	ds_store_b64 v6, v[3:4]
	; wave barrier
	s_wait_loadcnt_dscnt 0x0
	global_inv scope:SCOPE_SE
	ds_load_b128 v[1:4], v18
	; wave barrier
	s_wait_loadcnt_dscnt 0x0
	global_inv scope:SCOPE_SE
	s_and_saveexec_b32 s16, s7
	s_cbranch_execz .LBB109_57
; %bb.49:
	v_lshlrev_b32_e32 v5, 2, v0
	v_cmp_gt_u32_e32 vcc_lo, 0x70, v0
	ds_store_b32 v5, v8
	s_and_b32 exec_lo, exec_lo, vcc_lo
	s_cbranch_execz .LBB109_57
; %bb.50:
	v_mov_b32_e32 v6, 0
	v_cmp_gt_u32_e32 vcc_lo, 0x60, v0
	ds_store_b32 v5, v6 offset:64
	s_and_b32 exec_lo, exec_lo, vcc_lo
	s_cbranch_execz .LBB109_57
; %bb.51:
	v_cmp_gt_u32_e32 vcc_lo, 0x50, v0
	ds_store_b32 v5, v6 offset:128
	s_and_b32 exec_lo, exec_lo, vcc_lo
	s_cbranch_execz .LBB109_57
; %bb.52:
	v_mov_b32_e32 v6, 0
	v_cmp_gt_u32_e32 vcc_lo, 64, v0
	ds_store_b32 v5, v6 offset:192
	s_and_b32 exec_lo, exec_lo, vcc_lo
	s_cbranch_execz .LBB109_57
; %bb.53:
	v_cmp_gt_u32_e32 vcc_lo, 48, v0
	ds_store_b32 v5, v6 offset:256
	s_and_b32 exec_lo, exec_lo, vcc_lo
	s_cbranch_execz .LBB109_57
; %bb.54:
	v_mov_b32_e32 v6, 0
	v_cmp_gt_u32_e32 vcc_lo, 32, v0
	ds_store_b32 v5, v6 offset:320
	s_and_b32 exec_lo, exec_lo, vcc_lo
	s_cbranch_execz .LBB109_57
; %bb.55:
	v_cmp_gt_u32_e32 vcc_lo, 16, v0
	ds_store_b32 v5, v6 offset:384
	s_and_b32 exec_lo, exec_lo, vcc_lo
; %bb.56:
	v_mov_b32_e32 v6, 0
	ds_store_b32 v5, v6 offset:448
.LBB109_57:
	s_wait_alu 0xfffe
	s_or_b32 exec_lo, exec_lo, s16
	v_lshrrev_b16 v5, 4, v13
	s_min_u32 s7, s13, 4
	s_wait_alu 0xfffe
	s_lshl_b32 s7, -1, s7
	s_wait_alu 0xfffe
	s_not_b32 s7, s7
	v_and_b32_e32 v5, 15, v5
	s_delay_alu instid0(VALU_DEP_1) | instskip(SKIP_1) | instid1(VALU_DEP_1)
	v_and_b32_e32 v5, 0xffff, v5
	s_wait_alu 0xfffe
	v_and_b32_e32 v5, s7, v5
	s_delay_alu instid0(VALU_DEP_1) | instskip(SKIP_1) | instid1(VALU_DEP_2)
	v_lshlrev_b32_e32 v6, 4, v5
	v_lshrrev_b32_e32 v5, 2, v5
	v_and_or_b32 v6, 0x70, v6, v0
	s_delay_alu instid0(VALU_DEP_2) | instskip(NEXT) | instid1(VALU_DEP_1)
	v_and_b32_e32 v5, 2, v5
	v_lshl_or_b32 v14, v6, 2, v5
	v_lshrrev_b16 v5, 12, v13
	ds_load_u16 v15, v14
	v_and_b32_e32 v5, 0xffff, v5
	s_delay_alu instid0(VALU_DEP_1) | instskip(NEXT) | instid1(VALU_DEP_1)
	v_and_b32_e32 v5, s7, v5
	v_lshlrev_b32_e32 v6, 4, v5
	v_lshrrev_b32_e32 v5, 2, v5
	s_delay_alu instid0(VALU_DEP_2) | instskip(NEXT) | instid1(VALU_DEP_2)
	v_and_or_b32 v6, 0x70, v6, v0
	v_and_b32_e32 v5, 2, v5
	s_wait_dscnt 0x0
	v_add_nc_u16 v7, v15, 1
	s_delay_alu instid0(VALU_DEP_2)
	v_lshl_or_b32 v16, v6, 2, v5
	ds_store_b16 v14, v7
	ds_load_u16 v26, v16
	s_wait_dscnt 0x0
	v_add_nc_u16 v5, v26, 1
	ds_store_b16 v16, v5
	; wave barrier
	s_wait_loadcnt_dscnt 0x0
	global_inv scope:SCOPE_SE
	ds_load_b128 v[9:12], v24
	ds_load_b128 v[5:8], v24 offset:16
	s_wait_dscnt 0x1
	v_add_nc_u32_e32 v27, v10, v9
	s_delay_alu instid0(VALU_DEP_1) | instskip(SKIP_1) | instid1(VALU_DEP_1)
	v_add3_u32 v27, v27, v11, v12
	s_wait_dscnt 0x0
	v_add3_u32 v27, v27, v5, v6
	s_delay_alu instid0(VALU_DEP_1) | instskip(NEXT) | instid1(VALU_DEP_1)
	v_add3_u32 v8, v27, v7, v8
	v_mov_b32_dpp v27, v8 row_shr:1 row_mask:0xf bank_mask:0xf
	s_delay_alu instid0(VALU_DEP_1) | instskip(NEXT) | instid1(VALU_DEP_1)
	v_cndmask_b32_e64 v27, v27, 0, s5
	v_add_nc_u32_e32 v8, v27, v8
	s_delay_alu instid0(VALU_DEP_1) | instskip(NEXT) | instid1(VALU_DEP_1)
	v_mov_b32_dpp v27, v8 row_shr:2 row_mask:0xf bank_mask:0xf
	v_cndmask_b32_e64 v27, 0, v27, s3
	s_delay_alu instid0(VALU_DEP_1) | instskip(NEXT) | instid1(VALU_DEP_1)
	v_add_nc_u32_e32 v8, v8, v27
	v_mov_b32_dpp v27, v8 row_shr:4 row_mask:0xf bank_mask:0xf
	s_delay_alu instid0(VALU_DEP_1) | instskip(NEXT) | instid1(VALU_DEP_1)
	v_cndmask_b32_e64 v27, 0, v27, s6
	v_add_nc_u32_e32 v27, v8, v27
	s_delay_alu instid0(VALU_DEP_1) | instskip(NEXT) | instid1(VALU_DEP_1)
	v_mov_b32_dpp v8, v27 row_shr:8 row_mask:0xf bank_mask:0xf
	v_cndmask_b32_e64 v28, 0, v8, s4
	v_lshrrev_b16 v8, 8, v13
	s_delay_alu instid0(VALU_DEP_2)
	v_add_nc_u32_e32 v27, v27, v28
	s_and_saveexec_b32 s3, s2
; %bb.58:
	v_mov_b32_e32 v28, 0
	ds_store_b32 v28, v27 offset:512
; %bb.59:
	s_wait_alu 0xfffe
	s_or_b32 exec_lo, exec_lo, s3
	ds_bpermute_b32 v25, v25, v27
	v_mov_b32_e32 v27, 0
	; wave barrier
	s_wait_loadcnt_dscnt 0x0
	global_inv scope:SCOPE_SE
	ds_load_b32 v27, v27 offset:512
	v_cndmask_b32_e64 v25, v25, 0, s11
	s_wait_dscnt 0x0
	s_delay_alu instid0(VALU_DEP_1) | instskip(NEXT) | instid1(VALU_DEP_1)
	v_lshl_add_u32 v27, v27, 16, v25
	v_add_nc_u32_e32 v28, v27, v9
	s_delay_alu instid0(VALU_DEP_1) | instskip(NEXT) | instid1(VALU_DEP_1)
	v_add_nc_u32_e32 v29, v28, v10
	v_add_nc_u32_e32 v30, v29, v11
	s_delay_alu instid0(VALU_DEP_1) | instskip(NEXT) | instid1(VALU_DEP_1)
	v_add_nc_u32_e32 v9, v30, v12
	;; [unrolled: 3-line block ×3, first 2 shown]
	v_add_nc_u32_e32 v12, v11, v7
	v_and_b32_e32 v7, 0xffff, v15
	ds_store_b128 v24, v[27:30]
	ds_store_b128 v24, v[9:12] offset:16
	; wave barrier
	s_wait_loadcnt_dscnt 0x0
	global_inv scope:SCOPE_SE
	ds_load_u16 v5, v14
	ds_load_u16 v6, v16
	v_and_b32_e32 v9, 0xffff, v26
	; wave barrier
	s_wait_loadcnt_dscnt 0x0
	global_inv scope:SCOPE_SE
	v_add_nc_u32_e32 v5, v5, v7
	v_add_nc_u32_e32 v6, v6, v9
	ds_store_b8 v5, v13
	ds_store_b8 v6, v8
	; wave barrier
	s_wait_loadcnt_dscnt 0x0
	global_inv scope:SCOPE_SE
	ds_load_u16 v9, v19
	v_lshlrev_b32_e32 v5, 3, v5
	v_lshlrev_b32_e32 v6, 3, v6
	; wave barrier
	s_wait_loadcnt_dscnt 0x0
	global_inv scope:SCOPE_SE
	ds_store_b64 v5, v[1:2]
	ds_store_b64 v6, v[3:4]
	; wave barrier
	s_wait_loadcnt_dscnt 0x0
	global_inv scope:SCOPE_SE
	ds_load_b128 v[5:8], v18
	v_and_b32_e32 v1, 0xffffff00, v9
	v_xor_b32_e32 v2, 0x7f, v9
	s_delay_alu instid0(VALU_DEP_2) | instskip(NEXT) | instid1(VALU_DEP_2)
	v_xor_b32_e32 v1, 0x7f00, v1
	v_and_b32_e32 v2, 0xff, v2
	s_delay_alu instid0(VALU_DEP_1) | instskip(NEXT) | instid1(VALU_DEP_1)
	v_or_b32_e32 v1, v2, v1
	v_and_b32_e32 v9, 0xffff, v1
.LBB109_60:
	; wave barrier
	s_wait_loadcnt_dscnt 0x0
	global_inv scope:SCOPE_SE
	ds_store_b16 v21, v9
	; wave barrier
	s_wait_loadcnt_dscnt 0x0
	global_inv scope:SCOPE_SE
	ds_load_u8 v3, v0 offset:16
	v_add_co_u32 v1, s2, s14, v20
	s_wait_alu 0xf1ff
	v_add_co_ci_u32_e64 v2, null, s15, 0, s2
	s_and_saveexec_b32 s2, s0
	s_cbranch_execz .LBB109_62
; %bb.61:
	ds_load_u8 v0, v0
	s_wait_dscnt 0x0
	global_store_b8 v[1:2], v0, off
.LBB109_62:
	s_wait_alu 0xfffe
	s_or_b32 exec_lo, exec_lo, s2
	s_and_saveexec_b32 s2, s1
	s_cbranch_execz .LBB109_64
; %bb.63:
	s_lshl_b32 s3, s10, 4
	s_wait_alu 0xfffe
	v_add_co_u32 v0, vcc_lo, v1, s3
	s_wait_alu 0xfffd
	v_add_co_ci_u32_e64 v1, null, 0, v2, vcc_lo
	s_wait_dscnt 0x0
	global_store_b8 v[0:1], v3, off
.LBB109_64:
	s_wait_alu 0xfffe
	s_or_b32 exec_lo, exec_lo, s2
	s_wait_storecnt 0x0
	; wave barrier
	s_wait_loadcnt_dscnt 0x0
	global_inv scope:SCOPE_SE
	ds_store_2addr_b64 v23, v[5:6], v[7:8] offset1:1
	; wave barrier
	s_wait_loadcnt_dscnt 0x0
	global_inv scope:SCOPE_SE
	ds_load_b64 v[0:1], v22 offset:128
	v_mov_b32_e32 v18, 0
	s_delay_alu instid0(VALU_DEP_1) | instskip(NEXT) | instid1(VALU_DEP_1)
	v_lshlrev_b64_e32 v[2:3], 3, v[17:18]
	v_add_co_u32 v2, vcc_lo, s8, v2
	s_wait_alu 0xfffd
	s_delay_alu instid0(VALU_DEP_2)
	v_add_co_ci_u32_e64 v3, null, s9, v3, vcc_lo
	s_and_saveexec_b32 s2, s0
	s_cbranch_execz .LBB109_66
; %bb.65:
	ds_load_b64 v[4:5], v22
	s_wait_dscnt 0x0
	global_store_b64 v[2:3], v[4:5], off
.LBB109_66:
	s_wait_alu 0xfffe
	s_or_b32 exec_lo, exec_lo, s2
	s_and_saveexec_b32 s0, s1
	s_cbranch_execz .LBB109_68
; %bb.67:
	s_lshl_b32 s0, s12, 4
	s_mov_b32 s1, 0
	s_wait_alu 0xfffe
	s_lshl_b64 s[0:1], s[0:1], 3
	s_wait_alu 0xfffe
	v_add_co_u32 v2, vcc_lo, v2, s0
	s_wait_alu 0xfffd
	v_add_co_ci_u32_e64 v3, null, s1, v3, vcc_lo
	s_wait_dscnt 0x0
	global_store_b64 v[2:3], v[0:1], off
.LBB109_68:
	s_endpgm
	.section	.rodata,"a",@progbits
	.p2align	6, 0x0
	.amdhsa_kernel _ZN2at6native18radixSortKVInPlaceILi2ELin1ELi16ELi2EaljEEvNS_4cuda6detail10TensorInfoIT3_T5_EES6_S6_S6_NS4_IT4_S6_EES6_b
		.amdhsa_group_segment_fixed_size 528
		.amdhsa_private_segment_fixed_size 0
		.amdhsa_kernarg_size 712
		.amdhsa_user_sgpr_count 2
		.amdhsa_user_sgpr_dispatch_ptr 0
		.amdhsa_user_sgpr_queue_ptr 0
		.amdhsa_user_sgpr_kernarg_segment_ptr 1
		.amdhsa_user_sgpr_dispatch_id 0
		.amdhsa_user_sgpr_private_segment_size 0
		.amdhsa_wavefront_size32 1
		.amdhsa_uses_dynamic_stack 0
		.amdhsa_enable_private_segment 0
		.amdhsa_system_sgpr_workgroup_id_x 1
		.amdhsa_system_sgpr_workgroup_id_y 1
		.amdhsa_system_sgpr_workgroup_id_z 1
		.amdhsa_system_sgpr_workgroup_info 0
		.amdhsa_system_vgpr_workitem_id 0
		.amdhsa_next_free_vgpr 37
		.amdhsa_next_free_sgpr 24
		.amdhsa_reserve_vcc 1
		.amdhsa_float_round_mode_32 0
		.amdhsa_float_round_mode_16_64 0
		.amdhsa_float_denorm_mode_32 3
		.amdhsa_float_denorm_mode_16_64 3
		.amdhsa_fp16_overflow 0
		.amdhsa_workgroup_processor_mode 1
		.amdhsa_memory_ordered 1
		.amdhsa_forward_progress 1
		.amdhsa_inst_pref_size 43
		.amdhsa_round_robin_scheduling 0
		.amdhsa_exception_fp_ieee_invalid_op 0
		.amdhsa_exception_fp_denorm_src 0
		.amdhsa_exception_fp_ieee_div_zero 0
		.amdhsa_exception_fp_ieee_overflow 0
		.amdhsa_exception_fp_ieee_underflow 0
		.amdhsa_exception_fp_ieee_inexact 0
		.amdhsa_exception_int_div_zero 0
	.end_amdhsa_kernel
	.section	.text._ZN2at6native18radixSortKVInPlaceILi2ELin1ELi16ELi2EaljEEvNS_4cuda6detail10TensorInfoIT3_T5_EES6_S6_S6_NS4_IT4_S6_EES6_b,"axG",@progbits,_ZN2at6native18radixSortKVInPlaceILi2ELin1ELi16ELi2EaljEEvNS_4cuda6detail10TensorInfoIT3_T5_EES6_S6_S6_NS4_IT4_S6_EES6_b,comdat
.Lfunc_end109:
	.size	_ZN2at6native18radixSortKVInPlaceILi2ELin1ELi16ELi2EaljEEvNS_4cuda6detail10TensorInfoIT3_T5_EES6_S6_S6_NS4_IT4_S6_EES6_b, .Lfunc_end109-_ZN2at6native18radixSortKVInPlaceILi2ELin1ELi16ELi2EaljEEvNS_4cuda6detail10TensorInfoIT3_T5_EES6_S6_S6_NS4_IT4_S6_EES6_b
                                        ; -- End function
	.set _ZN2at6native18radixSortKVInPlaceILi2ELin1ELi16ELi2EaljEEvNS_4cuda6detail10TensorInfoIT3_T5_EES6_S6_S6_NS4_IT4_S6_EES6_b.num_vgpr, 37
	.set _ZN2at6native18radixSortKVInPlaceILi2ELin1ELi16ELi2EaljEEvNS_4cuda6detail10TensorInfoIT3_T5_EES6_S6_S6_NS4_IT4_S6_EES6_b.num_agpr, 0
	.set _ZN2at6native18radixSortKVInPlaceILi2ELin1ELi16ELi2EaljEEvNS_4cuda6detail10TensorInfoIT3_T5_EES6_S6_S6_NS4_IT4_S6_EES6_b.numbered_sgpr, 24
	.set _ZN2at6native18radixSortKVInPlaceILi2ELin1ELi16ELi2EaljEEvNS_4cuda6detail10TensorInfoIT3_T5_EES6_S6_S6_NS4_IT4_S6_EES6_b.num_named_barrier, 0
	.set _ZN2at6native18radixSortKVInPlaceILi2ELin1ELi16ELi2EaljEEvNS_4cuda6detail10TensorInfoIT3_T5_EES6_S6_S6_NS4_IT4_S6_EES6_b.private_seg_size, 0
	.set _ZN2at6native18radixSortKVInPlaceILi2ELin1ELi16ELi2EaljEEvNS_4cuda6detail10TensorInfoIT3_T5_EES6_S6_S6_NS4_IT4_S6_EES6_b.uses_vcc, 1
	.set _ZN2at6native18radixSortKVInPlaceILi2ELin1ELi16ELi2EaljEEvNS_4cuda6detail10TensorInfoIT3_T5_EES6_S6_S6_NS4_IT4_S6_EES6_b.uses_flat_scratch, 0
	.set _ZN2at6native18radixSortKVInPlaceILi2ELin1ELi16ELi2EaljEEvNS_4cuda6detail10TensorInfoIT3_T5_EES6_S6_S6_NS4_IT4_S6_EES6_b.has_dyn_sized_stack, 0
	.set _ZN2at6native18radixSortKVInPlaceILi2ELin1ELi16ELi2EaljEEvNS_4cuda6detail10TensorInfoIT3_T5_EES6_S6_S6_NS4_IT4_S6_EES6_b.has_recursion, 0
	.set _ZN2at6native18radixSortKVInPlaceILi2ELin1ELi16ELi2EaljEEvNS_4cuda6detail10TensorInfoIT3_T5_EES6_S6_S6_NS4_IT4_S6_EES6_b.has_indirect_call, 0
	.section	.AMDGPU.csdata,"",@progbits
; Kernel info:
; codeLenInByte = 5380
; TotalNumSgprs: 26
; NumVgprs: 37
; ScratchSize: 0
; MemoryBound: 0
; FloatMode: 240
; IeeeMode: 1
; LDSByteSize: 528 bytes/workgroup (compile time only)
; SGPRBlocks: 0
; VGPRBlocks: 4
; NumSGPRsForWavesPerEU: 26
; NumVGPRsForWavesPerEU: 37
; Occupancy: 16
; WaveLimiterHint : 1
; COMPUTE_PGM_RSRC2:SCRATCH_EN: 0
; COMPUTE_PGM_RSRC2:USER_SGPR: 2
; COMPUTE_PGM_RSRC2:TRAP_HANDLER: 0
; COMPUTE_PGM_RSRC2:TGID_X_EN: 1
; COMPUTE_PGM_RSRC2:TGID_Y_EN: 1
; COMPUTE_PGM_RSRC2:TGID_Z_EN: 1
; COMPUTE_PGM_RSRC2:TIDIG_COMP_CNT: 0
	.section	.text._ZN2at6native18radixSortKVInPlaceILin1ELin1ELi512ELi8EaljEEvNS_4cuda6detail10TensorInfoIT3_T5_EES6_S6_S6_NS4_IT4_S6_EES6_b,"axG",@progbits,_ZN2at6native18radixSortKVInPlaceILin1ELin1ELi512ELi8EaljEEvNS_4cuda6detail10TensorInfoIT3_T5_EES6_S6_S6_NS4_IT4_S6_EES6_b,comdat
	.protected	_ZN2at6native18radixSortKVInPlaceILin1ELin1ELi512ELi8EaljEEvNS_4cuda6detail10TensorInfoIT3_T5_EES6_S6_S6_NS4_IT4_S6_EES6_b ; -- Begin function _ZN2at6native18radixSortKVInPlaceILin1ELin1ELi512ELi8EaljEEvNS_4cuda6detail10TensorInfoIT3_T5_EES6_S6_S6_NS4_IT4_S6_EES6_b
	.globl	_ZN2at6native18radixSortKVInPlaceILin1ELin1ELi512ELi8EaljEEvNS_4cuda6detail10TensorInfoIT3_T5_EES6_S6_S6_NS4_IT4_S6_EES6_b
	.p2align	8
	.type	_ZN2at6native18radixSortKVInPlaceILin1ELin1ELi512ELi8EaljEEvNS_4cuda6detail10TensorInfoIT3_T5_EES6_S6_S6_NS4_IT4_S6_EES6_b,@function
_ZN2at6native18radixSortKVInPlaceILin1ELin1ELi512ELi8EaljEEvNS_4cuda6detail10TensorInfoIT3_T5_EES6_S6_S6_NS4_IT4_S6_EES6_b: ; @_ZN2at6native18radixSortKVInPlaceILin1ELin1ELi512ELi8EaljEEvNS_4cuda6detail10TensorInfoIT3_T5_EES6_S6_S6_NS4_IT4_S6_EES6_b
; %bb.0:
	s_clause 0x1
	s_load_b64 s[2:3], s[0:1], 0x1c8
	s_load_b96 s[16:18], s[0:1], 0xd8
	s_lshr_b32 s4, ttmp7, 16
	s_wait_kmcnt 0x0
	s_mul_i32 s3, s3, s4
	s_and_b32 s4, ttmp7, 0xffff
	s_delay_alu instid0(SALU_CYCLE_1) | instskip(NEXT) | instid1(SALU_CYCLE_1)
	s_add_co_i32 s3, s3, s4
	s_mul_i32 s2, s3, s2
	s_delay_alu instid0(SALU_CYCLE_1) | instskip(NEXT) | instid1(SALU_CYCLE_1)
	s_add_co_i32 s13, s2, ttmp9
	s_cmp_ge_u32 s13, s16
	s_cbranch_scc1 .LBB110_105
; %bb.1:
	s_load_b32 s4, s[0:1], 0xd0
	s_mov_b32 s3, 0
	s_mov_b32 s2, s13
	s_wait_kmcnt 0x0
	s_cmp_lt_i32 s4, 2
	s_cbranch_scc1 .LBB110_4
; %bb.2:
	s_add_co_i32 s2, s4, -1
	s_delay_alu instid0(SALU_CYCLE_1)
	s_lshl_b64 s[6:7], s[2:3], 2
	s_mov_b32 s2, s13
	s_add_nc_u64 s[8:9], s[0:1], s[6:7]
	s_add_co_i32 s6, s4, 1
	s_add_nc_u64 s[4:5], s[8:9], 8
.LBB110_3:                              ; =>This Inner Loop Header: Depth=1
	s_clause 0x1
	s_load_b32 s7, s[4:5], 0x0
	s_load_b32 s8, s[4:5], 0x64
	s_mov_b32 s11, s2
	s_add_nc_u64 s[4:5], s[4:5], -4
	s_wait_kmcnt 0x0
	s_cvt_f32_u32 s9, s7
	s_sub_co_i32 s10, 0, s7
	s_wait_alu 0xfffe
	s_delay_alu instid0(SALU_CYCLE_1) | instskip(NEXT) | instid1(TRANS32_DEP_1)
	v_rcp_iflag_f32_e32 v1, s9
	v_readfirstlane_b32 s9, v1
	s_mul_f32 s9, s9, 0x4f7ffffe
	s_wait_alu 0xfffe
	s_delay_alu instid0(SALU_CYCLE_2) | instskip(SKIP_1) | instid1(SALU_CYCLE_2)
	s_cvt_u32_f32 s9, s9
	s_wait_alu 0xfffe
	s_mul_i32 s10, s10, s9
	s_delay_alu instid0(SALU_CYCLE_1) | instskip(NEXT) | instid1(SALU_CYCLE_1)
	s_mul_hi_u32 s10, s9, s10
	s_add_co_i32 s9, s9, s10
	s_wait_alu 0xfffe
	s_mul_hi_u32 s2, s2, s9
	s_delay_alu instid0(SALU_CYCLE_1)
	s_mul_i32 s9, s2, s7
	s_add_co_i32 s10, s2, 1
	s_wait_alu 0xfffe
	s_sub_co_i32 s9, s11, s9
	s_wait_alu 0xfffe
	s_sub_co_i32 s12, s9, s7
	s_cmp_ge_u32 s9, s7
	s_cselect_b32 s2, s10, s2
	s_cselect_b32 s9, s12, s9
	s_add_co_i32 s10, s2, 1
	s_wait_alu 0xfffe
	s_cmp_ge_u32 s9, s7
	s_cselect_b32 s2, s10, s2
	s_add_co_i32 s6, s6, -1
	s_mul_i32 s7, s2, s7
	s_delay_alu instid0(SALU_CYCLE_1) | instskip(NEXT) | instid1(SALU_CYCLE_1)
	s_sub_co_i32 s7, s11, s7
	s_mul_i32 s7, s8, s7
	s_delay_alu instid0(SALU_CYCLE_1)
	s_add_co_i32 s3, s7, s3
	s_cmp_gt_u32 s6, 2
	s_cbranch_scc1 .LBB110_3
.LBB110_4:
	s_load_b32 s4, s[0:1], 0x1b8
	s_add_nc_u64 s[24:25], s[0:1], 0x1c8
	s_mov_b32 s9, 0
	s_wait_kmcnt 0x0
	s_cmp_lt_i32 s4, 2
	s_cbranch_scc1 .LBB110_7
; %bb.5:
	s_add_co_i32 s8, s4, -1
	s_wait_alu 0xfffe
	s_lshl_b64 s[6:7], s[8:9], 2
	s_delay_alu instid0(SALU_CYCLE_1)
	s_add_nc_u64 s[10:11], s[0:1], s[6:7]
	s_add_co_i32 s6, s4, 1
	s_add_nc_u64 s[4:5], s[10:11], 0xf0
.LBB110_6:                              ; =>This Inner Loop Header: Depth=1
	s_clause 0x1
	s_load_b32 s7, s[4:5], 0x0
	s_load_b32 s8, s[4:5], 0x64
	s_mov_b32 s12, s13
	s_add_nc_u64 s[4:5], s[4:5], -4
	s_wait_kmcnt 0x0
	s_cvt_f32_u32 s10, s7
	s_sub_co_i32 s11, 0, s7
	s_wait_alu 0xfffe
	s_delay_alu instid0(SALU_CYCLE_1) | instskip(NEXT) | instid1(TRANS32_DEP_1)
	v_rcp_iflag_f32_e32 v1, s10
	v_readfirstlane_b32 s10, v1
	s_mul_f32 s10, s10, 0x4f7ffffe
	s_wait_alu 0xfffe
	s_delay_alu instid0(SALU_CYCLE_2) | instskip(SKIP_1) | instid1(SALU_CYCLE_2)
	s_cvt_u32_f32 s10, s10
	s_wait_alu 0xfffe
	s_mul_i32 s11, s11, s10
	s_wait_alu 0xfffe
	s_mul_hi_u32 s11, s10, s11
	s_wait_alu 0xfffe
	s_add_co_i32 s10, s10, s11
	s_wait_alu 0xfffe
	s_mul_hi_u32 s10, s13, s10
	s_wait_alu 0xfffe
	s_mul_i32 s11, s10, s7
	s_wait_alu 0xfffe
	s_sub_co_i32 s11, s13, s11
	s_add_co_i32 s13, s10, 1
	s_wait_alu 0xfffe
	s_sub_co_i32 s14, s11, s7
	s_cmp_ge_u32 s11, s7
	s_cselect_b32 s10, s13, s10
	s_cselect_b32 s11, s14, s11
	s_wait_alu 0xfffe
	s_add_co_i32 s13, s10, 1
	s_cmp_ge_u32 s11, s7
	s_cselect_b32 s13, s13, s10
	s_add_co_i32 s6, s6, -1
	s_mul_i32 s7, s13, s7
	s_delay_alu instid0(SALU_CYCLE_1) | instskip(NEXT) | instid1(SALU_CYCLE_1)
	s_sub_co_i32 s7, s12, s7
	s_mul_i32 s7, s8, s7
	s_delay_alu instid0(SALU_CYCLE_1)
	s_add_co_i32 s9, s7, s9
	s_cmp_gt_u32 s6, 2
	s_cbranch_scc1 .LBB110_6
.LBB110_7:
	s_clause 0x2
	s_load_b32 s4, s[0:1], 0x6c
	s_load_b64 s[20:21], s[0:1], 0x1c0
	s_load_b64 s[6:7], s[0:1], 0x0
	s_mov_b32 s11, 0
	s_wait_kmcnt 0x0
	s_mul_i32 s2, s4, s2
	s_mov_b32 s4, 0xff80
	s_add_co_i32 s10, s2, s3
	s_bitcmp1_b32 s21, 0
	s_movk_i32 s2, 0x8000
	s_cselect_b32 s12, -1, 0
	s_movk_i32 s3, 0x80
	s_and_b32 s5, s12, exec_lo
	s_cselect_b32 s2, s2, 0x7f00
	s_cselect_b32 s3, s3, 0x7f
	s_cselect_b32 s8, s4, 0x7f
	s_or_b32 s2, s3, s2
	s_wait_alu 0xfffe
	s_add_nc_u64 s[22:23], s[6:7], s[10:11]
	s_and_b32 s3, s2, 0xffff
	s_lshl_b32 s2, s2, 16
	v_mov_b32_e32 v3, s8
	s_or_b32 s4, s3, s2
	s_delay_alu instid0(SALU_CYCLE_1) | instskip(SKIP_2) | instid1(VALU_DEP_2)
	s_mov_b32 s5, s4
	v_dual_mov_b32 v1, s4 :: v_dual_and_b32 v44, 0x3ff, v0
	v_mov_b32_e32 v2, s5
	v_mul_lo_u32 v47, s18, v44
	v_cmp_gt_u32_e64 s2, s17, v44
	s_and_saveexec_b32 s3, s2
	s_cbranch_execz .LBB110_9
; %bb.8:
	global_load_u8 v3, v47, s[22:23]
	v_mov_b32_e32 v2, s4
	s_wait_loadcnt 0x0
	v_perm_b32 v1, v3, s4, 0x3020104
.LBB110_9:
	s_or_b32 exec_lo, exec_lo, s3
	v_add_nc_u32_e32 v29, 0x200, v44
	s_delay_alu instid0(VALU_DEP_1)
	v_cmp_gt_u32_e64 s3, s17, v29
	s_and_saveexec_b32 s4, s3
	s_cbranch_execz .LBB110_11
; %bb.10:
	v_mul_lo_u32 v4, s18, v29
	global_load_u8 v4, v4, s[22:23]
	s_wait_loadcnt 0x0
	v_perm_b32 v1, v1, v4, 0x7060004
.LBB110_11:
	s_wait_alu 0xfffe
	s_or_b32 exec_lo, exec_lo, s4
	v_or_b32_e32 v28, 0x400, v44
	s_delay_alu instid0(VALU_DEP_1)
	v_cmp_gt_u32_e64 s4, s17, v28
	s_and_saveexec_b32 s5, s4
	s_cbranch_execz .LBB110_13
; %bb.12:
	v_mul_lo_u32 v4, s18, v28
	global_load_u8 v4, v4, s[22:23]
	s_wait_loadcnt 0x0
	v_perm_b32 v4, v4, v1, 0xc0c0304
	s_delay_alu instid0(VALU_DEP_1) | instskip(NEXT) | instid1(VALU_DEP_1)
	v_lshlrev_b32_e32 v4, 16, v4
	v_and_or_b32 v1, 0xffff, v1, v4
.LBB110_13:
	s_wait_alu 0xfffe
	s_or_b32 exec_lo, exec_lo, s5
	v_add_nc_u32_e32 v26, 0x600, v44
	s_delay_alu instid0(VALU_DEP_1)
	v_cmp_gt_u32_e64 s5, s17, v26
	s_and_saveexec_b32 s6, s5
	s_cbranch_execz .LBB110_15
; %bb.14:
	v_mul_lo_u32 v4, s18, v26
	global_load_u8 v4, v4, s[22:23]
	s_wait_loadcnt 0x0
	v_perm_b32 v4, v1, v4, 0xc0c0006
	s_delay_alu instid0(VALU_DEP_1) | instskip(NEXT) | instid1(VALU_DEP_1)
	v_lshlrev_b32_e32 v4, 16, v4
	v_and_or_b32 v1, 0xffff, v1, v4
.LBB110_15:
	s_or_b32 exec_lo, exec_lo, s6
	v_or_b32_e32 v22, 0x800, v44
	s_delay_alu instid0(VALU_DEP_1)
	v_cmp_gt_u32_e64 s6, s17, v22
	s_and_saveexec_b32 s7, s6
	s_cbranch_execz .LBB110_17
; %bb.16:
	v_mul_lo_u32 v4, s18, v22
	global_load_u8 v4, v4, s[22:23]
	s_wait_loadcnt 0x0
	v_perm_b32 v2, v4, v2, 0x3020104
.LBB110_17:
	s_or_b32 exec_lo, exec_lo, s7
	v_add_nc_u32_e32 v19, 0xa00, v44
	s_delay_alu instid0(VALU_DEP_1)
	v_cmp_gt_u32_e64 s7, s17, v19
	s_and_saveexec_b32 s8, s7
	s_cbranch_execz .LBB110_19
; %bb.18:
	v_mul_lo_u32 v4, s18, v19
	global_load_u8 v4, v4, s[22:23]
	s_wait_loadcnt 0x0
	v_perm_b32 v2, v2, v4, 0x7060004
.LBB110_19:
	s_wait_alu 0xfffe
	s_or_b32 exec_lo, exec_lo, s8
	v_or_b32_e32 v16, 0xc00, v44
	s_delay_alu instid0(VALU_DEP_1)
	v_cmp_gt_u32_e64 s8, s17, v16
	s_and_saveexec_b32 s10, s8
	s_cbranch_execz .LBB110_21
; %bb.20:
	v_mul_lo_u32 v4, s18, v16
	global_load_u8 v4, v4, s[22:23]
	s_wait_loadcnt 0x0
	v_perm_b32 v2, v2, v4, 0x7000504
.LBB110_21:
	s_wait_alu 0xfffe
	s_or_b32 exec_lo, exec_lo, s10
	s_clause 0x1
	s_load_b32 s14, s[0:1], 0x154
	s_load_b64 s[10:11], s[0:1], 0xe8
	v_add_nc_u32_e32 v15, 0xe00, v44
	s_delay_alu instid0(VALU_DEP_1)
	v_cmp_gt_u32_e64 s0, s17, v15
	s_and_saveexec_b32 s1, s0
	s_cbranch_execz .LBB110_23
; %bb.22:
	v_mul_lo_u32 v4, s18, v15
	global_load_u8 v4, v4, s[22:23]
	s_wait_loadcnt 0x0
	v_perm_b32 v2, v2, v4, 0x60504
.LBB110_23:
	s_or_b32 exec_lo, exec_lo, s1
	v_lshrrev_b32_e32 v65, 5, v44
	v_lshrrev_b32_e32 v17, 5, v29
	;; [unrolled: 1-line block ×5, first 2 shown]
	s_delay_alu instid0(VALU_DEP_4) | instskip(SKIP_4) | instid1(VALU_DEP_4)
	v_dual_mov_b32 v42, 0 :: v_dual_and_b32 v5, 60, v17
	v_and_b32_e32 v4, 28, v65
	v_and_b32_e32 v7, 0x5c, v20
	v_lshrrev_b32_e32 v21, 5, v26
	v_lshrrev_b32_e32 v27, 2, v44
	v_dual_mov_b32 v43, v42 :: v_dual_add_nc_u32 v48, v4, v44
	v_dual_mov_b32 v11, v42 :: v_dual_and_b32 v4, 60, v18
	v_mov_b32_e32 v12, v42
	v_add_nc_u32_e32 v52, v7, v44
	v_and_b32_e32 v7, 0x7c, v24
	s_delay_alu instid0(VALU_DEP_4)
	v_add_nc_u32_e32 v50, v4, v44
	v_and_b32_e32 v4, 0x7c, v21
	v_lshrrev_b32_e32 v23, 5, v19
	v_lshrrev_b32_e32 v25, 5, v15
	v_dual_mov_b32 v13, 0 :: v_dual_add_nc_u32 v54, v7, v44
	v_lshlrev_b32_e32 v60, 3, v44
	v_and_b32_e32 v7, 0xfc, v27
	v_add_nc_u32_e32 v51, v4, v44
	v_and_b32_e32 v4, 0x7c, v23
	v_and_b32_e32 v9, 0xfc, v25
	v_lshrrev_b32_e32 v6, 8, v1
	v_add_nc_u32_e32 v56, v7, v60
	v_dual_mov_b32 v10, v42 :: v_dual_add_nc_u32 v49, v5, v44
	v_lshrrev_b32_e32 v5, 24, v1
	v_lshrrev_b32_e32 v8, 8, v2
	v_dual_mov_b32 v14, 0 :: v_dual_add_nc_u32 v53, v4, v44
	v_lshrrev_b32_e32 v4, 24, v2
	v_add_nc_u32_e32 v55, v9, v44
	v_mov_b32_e32 v9, v42
	v_mov_b32_e32 v7, v42
	ds_store_b8 v48, v3
	ds_store_b8 v49, v6 offset:512
	ds_store_b8_d16_hi v50, v1 offset:1024
	ds_store_b8 v51, v5 offset:1536
	ds_store_b8 v52, v2 offset:2048
	;; [unrolled: 1-line block ×3, first 2 shown]
	ds_store_b8_d16_hi v54, v2 offset:3072
	ds_store_b8 v55, v4 offset:3584
	s_wait_dscnt 0x0
	s_barrier_signal -1
	s_barrier_wait -1
	global_inv scope:SCOPE_SE
	ds_load_2addr_b32 v[45:46], v56 offset1:1
	s_wait_kmcnt 0x0
	s_mul_i32 s1, s14, s13
	v_mul_lo_u32 v41, s20, v44
	s_mov_b32 s15, 0
	s_add_co_i32 s14, s1, s9
	v_dual_mov_b32 v1, v42 :: v_dual_mov_b32 v2, v42
	v_dual_mov_b32 v3, v42 :: v_dual_mov_b32 v4, v42
	;; [unrolled: 1-line block ×3, first 2 shown]
	v_mov_b32_e32 v8, v42
	s_lshl_b64 s[14:15], s[14:15], 3
	s_wait_loadcnt_dscnt 0x0
	s_add_nc_u64 s[16:17], s[10:11], s[14:15]
	s_barrier_signal -1
	s_barrier_wait -1
	global_inv scope:SCOPE_SE
	s_and_saveexec_b32 s1, s2
	s_cbranch_execnz .LBB110_56
; %bb.24:
	s_or_b32 exec_lo, exec_lo, s1
	s_and_saveexec_b32 s1, s3
	s_cbranch_execnz .LBB110_57
.LBB110_25:
	s_or_b32 exec_lo, exec_lo, s1
	s_and_saveexec_b32 s1, s4
	s_cbranch_execnz .LBB110_58
.LBB110_26:
	s_or_b32 exec_lo, exec_lo, s1
	s_and_saveexec_b32 s1, s5
	s_cbranch_execnz .LBB110_59
.LBB110_27:
	s_or_b32 exec_lo, exec_lo, s1
	s_and_saveexec_b32 s1, s6
	s_cbranch_execnz .LBB110_60
.LBB110_28:
	s_or_b32 exec_lo, exec_lo, s1
	s_and_saveexec_b32 s1, s7
	s_cbranch_execnz .LBB110_61
.LBB110_29:
	s_or_b32 exec_lo, exec_lo, s1
	s_and_saveexec_b32 s1, s8
	s_cbranch_execnz .LBB110_62
.LBB110_30:
	s_or_b32 exec_lo, exec_lo, s1
	s_xor_b32 s1, s12, -1
	s_and_saveexec_b32 s9, s0
	s_cbranch_execz .LBB110_32
.LBB110_31:
	v_mul_lo_u32 v7, s20, v15
	v_mov_b32_e32 v8, 0
	s_delay_alu instid0(VALU_DEP_1) | instskip(SKIP_1) | instid1(VALU_DEP_1)
	v_lshlrev_b64_e32 v[7:8], 3, v[7:8]
	s_wait_alu 0xfffe
	v_add_co_u32 v7, vcc_lo, s16, v7
	s_wait_alu 0xfffd
	s_delay_alu instid0(VALU_DEP_2)
	v_add_co_ci_u32_e64 v8, null, s17, v8, vcc_lo
	global_load_b64 v[7:8], v[7:8], off
.LBB110_32:
	s_wait_alu 0xfffe
	s_or_b32 exec_lo, exec_lo, s9
	v_lshl_add_u32 v57, v65, 3, v60
	v_lshl_add_u32 v58, v17, 3, v60
	;; [unrolled: 1-line block ×5, first 2 shown]
	s_wait_loadcnt 0x0
	ds_store_b64 v57, v[13:14]
	ds_store_b64 v58, v[42:43] offset:4096
	ds_store_b64 v59, v[9:10] offset:8192
	;; [unrolled: 1-line block ×3, first 2 shown]
	v_lshlrev_b32_e32 v9, 3, v60
	v_lshl_add_u32 v42, v20, 3, v60
	v_lshl_add_u32 v43, v23, 3, v60
	;; [unrolled: 1-line block ×3, first 2 shown]
	ds_store_b64 v42, v[1:2] offset:16384
	ds_store_b64 v43, v[3:4] offset:20480
	;; [unrolled: 1-line block ×4, first 2 shown]
	v_lshl_add_u32 v64, v27, 3, v9
	s_wait_dscnt 0x0
	s_barrier_signal -1
	s_barrier_wait -1
	global_inv scope:SCOPE_SE
	ds_load_2addr_b64 v[13:16], v64 offset1:1
	ds_load_2addr_b64 v[9:12], v64 offset0:2 offset1:3
	ds_load_2addr_b64 v[5:8], v64 offset0:4 offset1:5
	;; [unrolled: 1-line block ×3, first 2 shown]
	v_mbcnt_lo_u32_b32 v67, -1, 0
	v_and_b32_e32 v68, 0x3e0, v44
	v_lshrrev_b32_e32 v74, 24, v46
	v_lshrrev_b32_e32 v75, 16, v46
	;; [unrolled: 1-line block ×3, first 2 shown]
	v_and_or_b32 v73, 0x1f00, v60, v67
	v_or_b32_e32 v17, v67, v68
	v_lshrrev_b32_e32 v77, 24, v45
	v_lshrrev_b32_e32 v78, 16, v45
	;; [unrolled: 1-line block ×3, first 2 shown]
	v_bfe_u32 v69, v0, 10, 10
	v_lshlrev_b32_e32 v72, 3, v17
	v_bfe_u32 v70, v0, 20, 10
	v_mad_u32_u24 v71, v73, 7, v73
	v_lshlrev_b32_e32 v66, 2, v60
	s_mov_b32 s12, 0
	s_and_b32 vcc_lo, exec_lo, s1
	s_mov_b32 s1, -1
	s_wait_loadcnt_dscnt 0x0
	s_barrier_signal -1
	s_barrier_wait -1
	global_inv scope:SCOPE_SE
	s_wait_alu 0xfffe
	s_cbranch_vccz .LBB110_63
; %bb.33:
	v_xor_b32_e32 v0, 0x80, v45
	v_xor_b32_e32 v17, 0x80, v79
	;; [unrolled: 1-line block ×8, first 2 shown]
	v_lshlrev_b16 v17, 8, v17
	v_lshlrev_b16 v19, 8, v19
	v_and_b32_e32 v20, 0xff, v20
	v_lshlrev_b16 v21, 8, v21
	v_and_b32_e32 v22, 0xff, v22
	v_lshlrev_b16 v23, 8, v23
	s_mov_b32 s13, s12
	s_mov_b32 s14, s12
	;; [unrolled: 1-line block ×3, first 2 shown]
	v_and_b32_e32 v0, 0xff, v0
	v_and_b32_e32 v18, 0xff, v18
	s_getpc_b64 s[10:11]
	s_wait_alu 0xfffe
	s_sext_i32_i16 s11, s11
	s_add_co_u32 s10, s10, _ZN7rocprim17ROCPRIM_400000_NS16block_radix_sortIaLj512ELj8ElLj1ELj1ELj0ELNS0_26block_radix_rank_algorithmE1ELNS0_18block_padding_hintE2ELNS0_4arch9wavefront6targetE0EE19radix_bits_per_passE@rel32@lo+12
	s_wait_alu 0xfffe
	s_add_co_ci_u32 s11, s11, _ZN7rocprim17ROCPRIM_400000_NS16block_radix_sortIaLj512ELj8ElLj1ELj1ELj0ELNS0_26block_radix_rank_algorithmE1ELNS0_18block_padding_hintE2ELNS0_4arch9wavefront6targetE0EE19radix_bits_per_passE@rel32@hi+24
	s_load_b32 s1, s[10:11], 0x0
	v_or_b32_e32 v0, v0, v17
	v_or_b32_e32 v17, v18, v19
	;; [unrolled: 1-line block ×4, first 2 shown]
	s_delay_alu instid0(VALU_DEP_4) | instskip(NEXT) | instid1(VALU_DEP_4)
	v_and_b32_e32 v0, 0xffff, v0
	v_lshlrev_b32_e32 v17, 16, v17
	s_delay_alu instid0(VALU_DEP_4) | instskip(NEXT) | instid1(VALU_DEP_4)
	v_and_b32_e32 v18, 0xffff, v18
	v_lshlrev_b32_e32 v19, 16, v19
	s_delay_alu instid0(VALU_DEP_3) | instskip(NEXT) | instid1(VALU_DEP_2)
	v_or_b32_e32 v17, v0, v17
	v_or_b32_e32 v18, v18, v19
	ds_store_b64 v72, v[17:18]
	; wave barrier
	ds_load_u8 v0, v73
	ds_load_u8 v80, v73 offset:32
	ds_load_u8 v81, v73 offset:64
	;; [unrolled: 1-line block ×7, first 2 shown]
	s_wait_kmcnt 0x0
	s_min_u32 s1, s1, 8
	v_lshlrev_b32_e32 v17, 3, v72
	s_lshl_b32 s1, -1, s1
	s_wait_loadcnt_dscnt 0x0
	s_not_b32 s9, s1
	s_barrier_signal -1
	s_barrier_wait -1
	global_inv scope:SCOPE_SE
	ds_store_b128 v17, v[13:16]
	ds_store_b128 v17, v[9:12] offset:16
	ds_store_b128 v17, v[5:8] offset:32
	;; [unrolled: 1-line block ×3, first 2 shown]
	; wave barrier
	ds_load_2addr_b64 v[21:24], v71 offset1:32
	ds_load_2addr_b64 v[17:20], v71 offset0:64 offset1:96
	s_wait_alu 0xfffe
	v_and_b32_e32 v39, s9, v0
	ds_load_2addr_b64 v[29:32], v71 offset0:192 offset1:224
	v_and_b32_e32 v25, 1, v39
	v_lshlrev_b32_e32 v35, 30, v39
	v_lshlrev_b32_e32 v36, 29, v39
	;; [unrolled: 1-line block ×3, first 2 shown]
	s_delay_alu instid0(VALU_DEP_4) | instskip(NEXT) | instid1(VALU_DEP_1)
	v_add_co_u32 v33, s1, v25, -1
	v_cndmask_b32_e64 v34, 0, 1, s1
	ds_load_2addr_b64 v[25:28], v71 offset0:128 offset1:160
	s_wait_loadcnt_dscnt 0x0
	s_barrier_signal -1
	s_barrier_wait -1
	v_cmp_ne_u32_e32 vcc_lo, 0, v34
	v_not_b32_e32 v34, v35
	global_inv scope:SCOPE_SE
	s_load_b32 s1, s[24:25], 0xc
	v_xor_b32_e32 v33, vcc_lo, v33
	v_cmp_gt_i32_e32 vcc_lo, 0, v35
	v_ashrrev_i32_e32 v34, 31, v34
	v_not_b32_e32 v35, v36
	s_delay_alu instid0(VALU_DEP_4) | instskip(SKIP_1) | instid1(VALU_DEP_3)
	v_and_b32_e32 v33, exec_lo, v33
	s_wait_alu 0xfffd
	v_xor_b32_e32 v34, vcc_lo, v34
	v_cmp_gt_i32_e32 vcc_lo, 0, v36
	v_ashrrev_i32_e32 v35, 31, v35
	v_not_b32_e32 v36, v37
	s_delay_alu instid0(VALU_DEP_4)
	v_and_b32_e32 v33, v33, v34
	v_lshlrev_b32_e32 v34, 27, v39
	s_wait_alu 0xfffd
	v_xor_b32_e32 v35, vcc_lo, v35
	v_cmp_gt_i32_e32 vcc_lo, 0, v37
	v_ashrrev_i32_e32 v36, 31, v36
	v_not_b32_e32 v37, v34
	s_delay_alu instid0(VALU_DEP_4)
	v_and_b32_e32 v33, v33, v35
	v_lshlrev_b32_e32 v35, 26, v39
	s_wait_alu 0xfffd
	v_xor_b32_e32 v36, vcc_lo, v36
	v_cmp_gt_i32_e32 vcc_lo, 0, v34
	v_ashrrev_i32_e32 v34, 31, v37
	s_wait_kmcnt 0x0
	s_lshr_b32 s10, s1, 16
	v_not_b32_e32 v37, v35
	v_and_b32_e32 v33, v33, v36
	v_lshlrev_b32_e32 v36, 25, v39
	s_wait_alu 0xfffd
	v_xor_b32_e32 v34, vcc_lo, v34
	v_cmp_gt_i32_e32 vcc_lo, 0, v35
	v_ashrrev_i32_e32 v35, 31, v37
	s_wait_alu 0xfffe
	v_mad_u32_u24 v38, v70, s10, v69
	v_not_b32_e32 v37, v36
	v_and_b32_e32 v33, v33, v34
	v_lshlrev_b32_e32 v34, 24, v39
	s_wait_alu 0xfffd
	v_xor_b32_e32 v35, vcc_lo, v35
	v_cmp_gt_i32_e32 vcc_lo, 0, v36
	v_ashrrev_i32_e32 v36, 31, v37
	s_and_b32 s1, s1, 0xffff
	v_not_b32_e32 v37, v34
	v_and_b32_e32 v35, v33, v35
	v_and_b32_e32 v39, 0xff, v39
	s_wait_alu 0xfffd
	v_xor_b32_e32 v36, vcc_lo, v36
	v_cmp_gt_i32_e32 vcc_lo, 0, v34
	v_ashrrev_i32_e32 v37, 31, v37
	s_wait_alu 0xfffe
	v_mad_co_u64_u32 v[33:34], null, v38, s1, v[44:45]
	v_and_b32_e32 v34, v35, v36
	s_wait_alu 0xfffd
	v_xor_b32_e32 v40, vcc_lo, v37
	v_dual_mov_b32 v38, s15 :: v_dual_mov_b32 v37, s14
	v_dual_mov_b32 v36, s13 :: v_dual_mov_b32 v35, s12
	s_delay_alu instid0(VALU_DEP_3)
	v_and_b32_e32 v34, v34, v40
	v_lshrrev_b32_e32 v33, 3, v33
	ds_store_b128 v66, v[35:38] offset:64
	ds_store_b128 v66, v[35:38] offset:80
	v_mbcnt_lo_u32_b32 v87, v34, 0
	v_and_b32_e32 v33, 0x1ffffffc, v33
	v_lshlrev_b32_e32 v35, 6, v39
	v_cmp_ne_u32_e64 s1, 0, v34
	s_wait_loadcnt_dscnt 0x0
	v_cmp_eq_u32_e32 vcc_lo, 0, v87
	s_barrier_signal -1
	v_add_nc_u32_e32 v88, v33, v35
	s_barrier_wait -1
	global_inv scope:SCOPE_SE
	s_and_b32 s10, s1, vcc_lo
	; wave barrier
	s_wait_alu 0xfffe
	s_and_saveexec_b32 s1, s10
; %bb.34:
	v_bcnt_u32_b32 v34, v34, 0
	ds_store_b32 v88, v34 offset:64
; %bb.35:
	s_wait_alu 0xfffe
	s_or_b32 exec_lo, exec_lo, s1
	v_and_b32_e32 v34, s9, v80
	; wave barrier
	s_delay_alu instid0(VALU_DEP_1)
	v_and_b32_e32 v36, 1, v34
	v_lshlrev_b32_e32 v37, 30, v34
	v_lshlrev_b32_e32 v38, 29, v34
	v_lshlrev_b32_e32 v39, 28, v34
	v_lshlrev_b32_e32 v89, 27, v34
	v_add_co_u32 v36, s1, v36, -1
	s_wait_alu 0xf1ff
	v_cndmask_b32_e64 v40, 0, 1, s1
	v_not_b32_e32 v92, v37
	v_cmp_gt_i32_e64 s1, 0, v37
	v_not_b32_e32 v37, v38
	v_lshlrev_b32_e32 v90, 26, v34
	v_cmp_ne_u32_e32 vcc_lo, 0, v40
	v_ashrrev_i32_e32 v40, 31, v92
	v_lshlrev_b32_e32 v91, 25, v34
	v_ashrrev_i32_e32 v37, 31, v37
	v_and_b32_e32 v35, 0xff, v34
	s_wait_alu 0xfffd
	v_xor_b32_e32 v36, vcc_lo, v36
	v_cmp_gt_i32_e32 vcc_lo, 0, v38
	v_not_b32_e32 v38, v39
	s_wait_alu 0xf1ff
	v_xor_b32_e32 v40, s1, v40
	v_cmp_gt_i32_e64 s1, 0, v39
	v_and_b32_e32 v36, exec_lo, v36
	v_not_b32_e32 v39, v89
	v_ashrrev_i32_e32 v38, 31, v38
	s_wait_alu 0xfffd
	v_xor_b32_e32 v37, vcc_lo, v37
	v_cmp_gt_i32_e32 vcc_lo, 0, v89
	v_and_b32_e32 v36, v36, v40
	v_not_b32_e32 v40, v90
	v_ashrrev_i32_e32 v39, 31, v39
	s_wait_alu 0xf1ff
	v_xor_b32_e32 v38, s1, v38
	v_lshlrev_b32_e32 v34, 24, v34
	v_and_b32_e32 v36, v36, v37
	v_cmp_gt_i32_e64 s1, 0, v90
	v_not_b32_e32 v37, v91
	v_ashrrev_i32_e32 v40, 31, v40
	s_wait_alu 0xfffd
	v_xor_b32_e32 v39, vcc_lo, v39
	v_and_b32_e32 v36, v36, v38
	v_cmp_gt_i32_e32 vcc_lo, 0, v91
	v_not_b32_e32 v38, v34
	v_ashrrev_i32_e32 v37, 31, v37
	s_wait_alu 0xf1ff
	v_xor_b32_e32 v40, s1, v40
	v_and_b32_e32 v36, v36, v39
	v_lshlrev_b32_e32 v35, 6, v35
	v_cmp_gt_i32_e64 s1, 0, v34
	v_ashrrev_i32_e32 v34, 31, v38
	s_wait_alu 0xfffd
	v_xor_b32_e32 v37, vcc_lo, v37
	v_and_b32_e32 v36, v36, v40
	v_add_nc_u32_e32 v91, v33, v35
	s_wait_alu 0xf1ff
	v_xor_b32_e32 v34, s1, v34
	s_delay_alu instid0(VALU_DEP_3) | instskip(SKIP_2) | instid1(VALU_DEP_1)
	v_and_b32_e32 v35, v36, v37
	ds_load_b32 v89, v91 offset:64
	; wave barrier
	v_and_b32_e32 v34, v35, v34
	v_mbcnt_lo_u32_b32 v90, v34, 0
	v_cmp_ne_u32_e64 s1, 0, v34
	s_delay_alu instid0(VALU_DEP_2)
	v_cmp_eq_u32_e32 vcc_lo, 0, v90
	s_and_b32 s10, s1, vcc_lo
	s_wait_alu 0xfffe
	s_and_saveexec_b32 s1, s10
	s_cbranch_execz .LBB110_37
; %bb.36:
	s_wait_dscnt 0x0
	v_bcnt_u32_b32 v34, v34, v89
	ds_store_b32 v91, v34 offset:64
.LBB110_37:
	s_wait_alu 0xfffe
	s_or_b32 exec_lo, exec_lo, s1
	v_and_b32_e32 v34, s9, v81
	; wave barrier
	s_delay_alu instid0(VALU_DEP_1)
	v_and_b32_e32 v36, 1, v34
	v_lshlrev_b32_e32 v37, 30, v34
	v_lshlrev_b32_e32 v38, 29, v34
	;; [unrolled: 1-line block ×4, first 2 shown]
	v_add_co_u32 v36, s1, v36, -1
	s_wait_alu 0xf1ff
	v_cndmask_b32_e64 v40, 0, 1, s1
	v_not_b32_e32 v95, v37
	v_cmp_gt_i32_e64 s1, 0, v37
	v_not_b32_e32 v37, v38
	v_lshlrev_b32_e32 v93, 26, v34
	v_cmp_ne_u32_e32 vcc_lo, 0, v40
	v_ashrrev_i32_e32 v40, 31, v95
	v_lshlrev_b32_e32 v94, 25, v34
	v_ashrrev_i32_e32 v37, 31, v37
	v_and_b32_e32 v35, 0xff, v34
	s_wait_alu 0xfffd
	v_xor_b32_e32 v36, vcc_lo, v36
	v_cmp_gt_i32_e32 vcc_lo, 0, v38
	v_not_b32_e32 v38, v39
	s_wait_alu 0xf1ff
	v_xor_b32_e32 v40, s1, v40
	v_cmp_gt_i32_e64 s1, 0, v39
	v_and_b32_e32 v36, exec_lo, v36
	v_not_b32_e32 v39, v92
	v_ashrrev_i32_e32 v38, 31, v38
	s_wait_alu 0xfffd
	v_xor_b32_e32 v37, vcc_lo, v37
	v_cmp_gt_i32_e32 vcc_lo, 0, v92
	v_and_b32_e32 v36, v36, v40
	v_not_b32_e32 v40, v93
	v_ashrrev_i32_e32 v39, 31, v39
	s_wait_alu 0xf1ff
	v_xor_b32_e32 v38, s1, v38
	v_lshlrev_b32_e32 v34, 24, v34
	v_and_b32_e32 v36, v36, v37
	v_cmp_gt_i32_e64 s1, 0, v93
	v_not_b32_e32 v37, v94
	v_ashrrev_i32_e32 v40, 31, v40
	s_wait_alu 0xfffd
	v_xor_b32_e32 v39, vcc_lo, v39
	v_and_b32_e32 v36, v36, v38
	v_cmp_gt_i32_e32 vcc_lo, 0, v94
	v_not_b32_e32 v38, v34
	v_ashrrev_i32_e32 v37, 31, v37
	s_wait_alu 0xf1ff
	v_xor_b32_e32 v40, s1, v40
	v_and_b32_e32 v36, v36, v39
	v_lshlrev_b32_e32 v35, 6, v35
	v_cmp_gt_i32_e64 s1, 0, v34
	v_ashrrev_i32_e32 v34, 31, v38
	s_wait_alu 0xfffd
	v_xor_b32_e32 v37, vcc_lo, v37
	v_and_b32_e32 v36, v36, v40
	v_add_nc_u32_e32 v94, v33, v35
	s_wait_alu 0xf1ff
	v_xor_b32_e32 v34, s1, v34
	s_delay_alu instid0(VALU_DEP_3) | instskip(SKIP_2) | instid1(VALU_DEP_1)
	v_and_b32_e32 v35, v36, v37
	ds_load_b32 v92, v94 offset:64
	; wave barrier
	v_and_b32_e32 v34, v35, v34
	v_mbcnt_lo_u32_b32 v93, v34, 0
	v_cmp_ne_u32_e64 s1, 0, v34
	s_delay_alu instid0(VALU_DEP_2)
	v_cmp_eq_u32_e32 vcc_lo, 0, v93
	s_and_b32 s10, s1, vcc_lo
	s_wait_alu 0xfffe
	s_and_saveexec_b32 s1, s10
	s_cbranch_execz .LBB110_39
; %bb.38:
	s_wait_dscnt 0x0
	v_bcnt_u32_b32 v34, v34, v92
	ds_store_b32 v94, v34 offset:64
.LBB110_39:
	s_wait_alu 0xfffe
	s_or_b32 exec_lo, exec_lo, s1
	v_and_b32_e32 v34, s9, v82
	; wave barrier
	s_delay_alu instid0(VALU_DEP_1)
	v_and_b32_e32 v36, 1, v34
	v_lshlrev_b32_e32 v37, 30, v34
	v_lshlrev_b32_e32 v38, 29, v34
	;; [unrolled: 1-line block ×4, first 2 shown]
	v_add_co_u32 v36, s1, v36, -1
	s_wait_alu 0xf1ff
	v_cndmask_b32_e64 v40, 0, 1, s1
	v_not_b32_e32 v98, v37
	v_cmp_gt_i32_e64 s1, 0, v37
	v_not_b32_e32 v37, v38
	v_lshlrev_b32_e32 v96, 26, v34
	v_cmp_ne_u32_e32 vcc_lo, 0, v40
	v_ashrrev_i32_e32 v40, 31, v98
	v_lshlrev_b32_e32 v97, 25, v34
	v_ashrrev_i32_e32 v37, 31, v37
	v_and_b32_e32 v35, 0xff, v34
	s_wait_alu 0xfffd
	v_xor_b32_e32 v36, vcc_lo, v36
	v_cmp_gt_i32_e32 vcc_lo, 0, v38
	v_not_b32_e32 v38, v39
	s_wait_alu 0xf1ff
	v_xor_b32_e32 v40, s1, v40
	v_cmp_gt_i32_e64 s1, 0, v39
	v_and_b32_e32 v36, exec_lo, v36
	v_not_b32_e32 v39, v95
	v_ashrrev_i32_e32 v38, 31, v38
	s_wait_alu 0xfffd
	v_xor_b32_e32 v37, vcc_lo, v37
	v_cmp_gt_i32_e32 vcc_lo, 0, v95
	v_and_b32_e32 v36, v36, v40
	v_not_b32_e32 v40, v96
	v_ashrrev_i32_e32 v39, 31, v39
	s_wait_alu 0xf1ff
	v_xor_b32_e32 v38, s1, v38
	v_lshlrev_b32_e32 v34, 24, v34
	v_and_b32_e32 v36, v36, v37
	v_cmp_gt_i32_e64 s1, 0, v96
	v_not_b32_e32 v37, v97
	v_ashrrev_i32_e32 v40, 31, v40
	s_wait_alu 0xfffd
	v_xor_b32_e32 v39, vcc_lo, v39
	v_and_b32_e32 v36, v36, v38
	v_cmp_gt_i32_e32 vcc_lo, 0, v97
	v_not_b32_e32 v38, v34
	v_ashrrev_i32_e32 v37, 31, v37
	s_wait_alu 0xf1ff
	v_xor_b32_e32 v40, s1, v40
	v_and_b32_e32 v36, v36, v39
	v_lshlrev_b32_e32 v35, 6, v35
	v_cmp_gt_i32_e64 s1, 0, v34
	v_ashrrev_i32_e32 v34, 31, v38
	s_wait_alu 0xfffd
	v_xor_b32_e32 v37, vcc_lo, v37
	v_and_b32_e32 v36, v36, v40
	v_add_nc_u32_e32 v97, v33, v35
	s_wait_alu 0xf1ff
	v_xor_b32_e32 v34, s1, v34
	s_delay_alu instid0(VALU_DEP_3) | instskip(SKIP_2) | instid1(VALU_DEP_1)
	v_and_b32_e32 v35, v36, v37
	ds_load_b32 v95, v97 offset:64
	; wave barrier
	v_and_b32_e32 v34, v35, v34
	v_mbcnt_lo_u32_b32 v96, v34, 0
	v_cmp_ne_u32_e64 s1, 0, v34
	s_delay_alu instid0(VALU_DEP_2)
	v_cmp_eq_u32_e32 vcc_lo, 0, v96
	s_and_b32 s10, s1, vcc_lo
	s_wait_alu 0xfffe
	s_and_saveexec_b32 s1, s10
	s_cbranch_execz .LBB110_41
; %bb.40:
	s_wait_dscnt 0x0
	v_bcnt_u32_b32 v34, v34, v95
	ds_store_b32 v97, v34 offset:64
.LBB110_41:
	s_wait_alu 0xfffe
	s_or_b32 exec_lo, exec_lo, s1
	v_and_b32_e32 v34, s9, v83
	; wave barrier
	s_delay_alu instid0(VALU_DEP_1)
	v_and_b32_e32 v36, 1, v34
	v_lshlrev_b32_e32 v37, 30, v34
	v_lshlrev_b32_e32 v38, 29, v34
	;; [unrolled: 1-line block ×4, first 2 shown]
	v_add_co_u32 v36, s1, v36, -1
	s_wait_alu 0xf1ff
	v_cndmask_b32_e64 v40, 0, 1, s1
	v_not_b32_e32 v101, v37
	v_cmp_gt_i32_e64 s1, 0, v37
	v_not_b32_e32 v37, v38
	v_lshlrev_b32_e32 v99, 26, v34
	v_cmp_ne_u32_e32 vcc_lo, 0, v40
	v_ashrrev_i32_e32 v40, 31, v101
	v_lshlrev_b32_e32 v100, 25, v34
	v_ashrrev_i32_e32 v37, 31, v37
	v_and_b32_e32 v35, 0xff, v34
	s_wait_alu 0xfffd
	v_xor_b32_e32 v36, vcc_lo, v36
	v_cmp_gt_i32_e32 vcc_lo, 0, v38
	v_not_b32_e32 v38, v39
	s_wait_alu 0xf1ff
	v_xor_b32_e32 v40, s1, v40
	v_cmp_gt_i32_e64 s1, 0, v39
	v_and_b32_e32 v36, exec_lo, v36
	v_not_b32_e32 v39, v98
	v_ashrrev_i32_e32 v38, 31, v38
	s_wait_alu 0xfffd
	v_xor_b32_e32 v37, vcc_lo, v37
	v_cmp_gt_i32_e32 vcc_lo, 0, v98
	v_and_b32_e32 v36, v36, v40
	v_not_b32_e32 v40, v99
	v_ashrrev_i32_e32 v39, 31, v39
	s_wait_alu 0xf1ff
	v_xor_b32_e32 v38, s1, v38
	v_lshlrev_b32_e32 v34, 24, v34
	v_and_b32_e32 v36, v36, v37
	v_cmp_gt_i32_e64 s1, 0, v99
	v_not_b32_e32 v37, v100
	v_ashrrev_i32_e32 v40, 31, v40
	s_wait_alu 0xfffd
	v_xor_b32_e32 v39, vcc_lo, v39
	v_and_b32_e32 v36, v36, v38
	v_cmp_gt_i32_e32 vcc_lo, 0, v100
	v_not_b32_e32 v38, v34
	v_ashrrev_i32_e32 v37, 31, v37
	s_wait_alu 0xf1ff
	v_xor_b32_e32 v40, s1, v40
	v_and_b32_e32 v36, v36, v39
	v_lshlrev_b32_e32 v35, 6, v35
	v_cmp_gt_i32_e64 s1, 0, v34
	v_ashrrev_i32_e32 v34, 31, v38
	s_wait_alu 0xfffd
	v_xor_b32_e32 v37, vcc_lo, v37
	v_and_b32_e32 v36, v36, v40
	v_add_nc_u32_e32 v100, v33, v35
	s_wait_alu 0xf1ff
	v_xor_b32_e32 v34, s1, v34
	s_delay_alu instid0(VALU_DEP_3) | instskip(SKIP_2) | instid1(VALU_DEP_1)
	v_and_b32_e32 v35, v36, v37
	ds_load_b32 v98, v100 offset:64
	; wave barrier
	v_and_b32_e32 v34, v35, v34
	v_mbcnt_lo_u32_b32 v99, v34, 0
	v_cmp_ne_u32_e64 s1, 0, v34
	s_delay_alu instid0(VALU_DEP_2)
	v_cmp_eq_u32_e32 vcc_lo, 0, v99
	s_and_b32 s10, s1, vcc_lo
	s_wait_alu 0xfffe
	s_and_saveexec_b32 s1, s10
	s_cbranch_execz .LBB110_43
; %bb.42:
	s_wait_dscnt 0x0
	v_bcnt_u32_b32 v34, v34, v98
	ds_store_b32 v100, v34 offset:64
.LBB110_43:
	s_wait_alu 0xfffe
	s_or_b32 exec_lo, exec_lo, s1
	v_and_b32_e32 v34, s9, v84
	; wave barrier
	s_delay_alu instid0(VALU_DEP_1)
	v_and_b32_e32 v36, 1, v34
	v_lshlrev_b32_e32 v37, 30, v34
	v_lshlrev_b32_e32 v38, 29, v34
	v_lshlrev_b32_e32 v39, 28, v34
	v_lshlrev_b32_e32 v101, 27, v34
	v_add_co_u32 v36, s1, v36, -1
	s_wait_alu 0xf1ff
	v_cndmask_b32_e64 v40, 0, 1, s1
	v_not_b32_e32 v104, v37
	v_cmp_gt_i32_e64 s1, 0, v37
	v_not_b32_e32 v37, v38
	v_lshlrev_b32_e32 v102, 26, v34
	v_cmp_ne_u32_e32 vcc_lo, 0, v40
	v_ashrrev_i32_e32 v40, 31, v104
	v_lshlrev_b32_e32 v103, 25, v34
	v_ashrrev_i32_e32 v37, 31, v37
	v_and_b32_e32 v35, 0xff, v34
	s_wait_alu 0xfffd
	v_xor_b32_e32 v36, vcc_lo, v36
	v_cmp_gt_i32_e32 vcc_lo, 0, v38
	v_not_b32_e32 v38, v39
	s_wait_alu 0xf1ff
	v_xor_b32_e32 v40, s1, v40
	v_cmp_gt_i32_e64 s1, 0, v39
	v_and_b32_e32 v36, exec_lo, v36
	v_not_b32_e32 v39, v101
	v_ashrrev_i32_e32 v38, 31, v38
	s_wait_alu 0xfffd
	v_xor_b32_e32 v37, vcc_lo, v37
	v_cmp_gt_i32_e32 vcc_lo, 0, v101
	v_and_b32_e32 v36, v36, v40
	v_not_b32_e32 v40, v102
	v_ashrrev_i32_e32 v39, 31, v39
	s_wait_alu 0xf1ff
	v_xor_b32_e32 v38, s1, v38
	v_lshlrev_b32_e32 v34, 24, v34
	v_and_b32_e32 v36, v36, v37
	v_cmp_gt_i32_e64 s1, 0, v102
	v_not_b32_e32 v37, v103
	v_ashrrev_i32_e32 v40, 31, v40
	s_wait_alu 0xfffd
	v_xor_b32_e32 v39, vcc_lo, v39
	v_and_b32_e32 v36, v36, v38
	v_cmp_gt_i32_e32 vcc_lo, 0, v103
	v_not_b32_e32 v38, v34
	v_ashrrev_i32_e32 v37, 31, v37
	s_wait_alu 0xf1ff
	v_xor_b32_e32 v40, s1, v40
	v_and_b32_e32 v36, v36, v39
	v_lshlrev_b32_e32 v35, 6, v35
	v_cmp_gt_i32_e64 s1, 0, v34
	v_ashrrev_i32_e32 v34, 31, v38
	s_wait_alu 0xfffd
	v_xor_b32_e32 v37, vcc_lo, v37
	v_and_b32_e32 v36, v36, v40
	v_add_nc_u32_e32 v103, v33, v35
	s_wait_alu 0xf1ff
	v_xor_b32_e32 v34, s1, v34
	s_delay_alu instid0(VALU_DEP_3) | instskip(SKIP_2) | instid1(VALU_DEP_1)
	v_and_b32_e32 v35, v36, v37
	ds_load_b32 v101, v103 offset:64
	; wave barrier
	v_and_b32_e32 v34, v35, v34
	v_mbcnt_lo_u32_b32 v102, v34, 0
	v_cmp_ne_u32_e64 s1, 0, v34
	s_delay_alu instid0(VALU_DEP_2)
	v_cmp_eq_u32_e32 vcc_lo, 0, v102
	s_and_b32 s10, s1, vcc_lo
	s_wait_alu 0xfffe
	s_and_saveexec_b32 s1, s10
	s_cbranch_execz .LBB110_45
; %bb.44:
	s_wait_dscnt 0x0
	v_bcnt_u32_b32 v34, v34, v101
	ds_store_b32 v103, v34 offset:64
.LBB110_45:
	s_wait_alu 0xfffe
	s_or_b32 exec_lo, exec_lo, s1
	v_and_b32_e32 v34, s9, v85
	; wave barrier
	s_delay_alu instid0(VALU_DEP_1)
	v_and_b32_e32 v36, 1, v34
	v_lshlrev_b32_e32 v37, 30, v34
	v_lshlrev_b32_e32 v38, 29, v34
	;; [unrolled: 1-line block ×4, first 2 shown]
	v_add_co_u32 v36, s1, v36, -1
	s_wait_alu 0xf1ff
	v_cndmask_b32_e64 v40, 0, 1, s1
	v_not_b32_e32 v107, v37
	v_cmp_gt_i32_e64 s1, 0, v37
	v_not_b32_e32 v37, v38
	v_lshlrev_b32_e32 v105, 26, v34
	v_cmp_ne_u32_e32 vcc_lo, 0, v40
	v_ashrrev_i32_e32 v40, 31, v107
	v_lshlrev_b32_e32 v106, 25, v34
	v_ashrrev_i32_e32 v37, 31, v37
	v_and_b32_e32 v35, 0xff, v34
	s_wait_alu 0xfffd
	v_xor_b32_e32 v36, vcc_lo, v36
	v_cmp_gt_i32_e32 vcc_lo, 0, v38
	v_not_b32_e32 v38, v39
	s_wait_alu 0xf1ff
	v_xor_b32_e32 v40, s1, v40
	v_cmp_gt_i32_e64 s1, 0, v39
	v_and_b32_e32 v36, exec_lo, v36
	v_not_b32_e32 v39, v104
	v_ashrrev_i32_e32 v38, 31, v38
	s_wait_alu 0xfffd
	v_xor_b32_e32 v37, vcc_lo, v37
	v_cmp_gt_i32_e32 vcc_lo, 0, v104
	v_and_b32_e32 v36, v36, v40
	v_not_b32_e32 v40, v105
	v_ashrrev_i32_e32 v39, 31, v39
	s_wait_alu 0xf1ff
	v_xor_b32_e32 v38, s1, v38
	v_lshlrev_b32_e32 v34, 24, v34
	v_and_b32_e32 v36, v36, v37
	v_cmp_gt_i32_e64 s1, 0, v105
	v_not_b32_e32 v37, v106
	v_ashrrev_i32_e32 v40, 31, v40
	s_wait_alu 0xfffd
	v_xor_b32_e32 v39, vcc_lo, v39
	v_and_b32_e32 v36, v36, v38
	v_cmp_gt_i32_e32 vcc_lo, 0, v106
	v_not_b32_e32 v38, v34
	v_ashrrev_i32_e32 v37, 31, v37
	s_wait_alu 0xf1ff
	v_xor_b32_e32 v40, s1, v40
	v_and_b32_e32 v36, v36, v39
	v_lshlrev_b32_e32 v35, 6, v35
	v_cmp_gt_i32_e64 s1, 0, v34
	v_ashrrev_i32_e32 v34, 31, v38
	s_wait_alu 0xfffd
	v_xor_b32_e32 v37, vcc_lo, v37
	v_and_b32_e32 v36, v36, v40
	v_add_nc_u32_e32 v106, v33, v35
	s_wait_alu 0xf1ff
	v_xor_b32_e32 v34, s1, v34
	s_delay_alu instid0(VALU_DEP_3) | instskip(SKIP_2) | instid1(VALU_DEP_1)
	v_and_b32_e32 v35, v36, v37
	ds_load_b32 v104, v106 offset:64
	; wave barrier
	v_and_b32_e32 v34, v35, v34
	v_mbcnt_lo_u32_b32 v105, v34, 0
	v_cmp_ne_u32_e64 s1, 0, v34
	s_delay_alu instid0(VALU_DEP_2)
	v_cmp_eq_u32_e32 vcc_lo, 0, v105
	s_and_b32 s10, s1, vcc_lo
	s_wait_alu 0xfffe
	s_and_saveexec_b32 s1, s10
	s_cbranch_execz .LBB110_47
; %bb.46:
	s_wait_dscnt 0x0
	v_bcnt_u32_b32 v34, v34, v104
	ds_store_b32 v106, v34 offset:64
.LBB110_47:
	s_wait_alu 0xfffe
	s_or_b32 exec_lo, exec_lo, s1
	v_and_b32_e32 v34, s9, v86
	; wave barrier
	s_delay_alu instid0(VALU_DEP_1)
	v_and_b32_e32 v36, 1, v34
	v_lshlrev_b32_e32 v37, 30, v34
	v_lshlrev_b32_e32 v38, 29, v34
	;; [unrolled: 1-line block ×4, first 2 shown]
	v_add_co_u32 v36, s1, v36, -1
	s_wait_alu 0xf1ff
	v_cndmask_b32_e64 v40, 0, 1, s1
	v_not_b32_e32 v110, v37
	v_cmp_gt_i32_e64 s1, 0, v37
	v_not_b32_e32 v37, v38
	v_lshlrev_b32_e32 v108, 26, v34
	v_cmp_ne_u32_e32 vcc_lo, 0, v40
	v_ashrrev_i32_e32 v40, 31, v110
	v_lshlrev_b32_e32 v109, 25, v34
	v_ashrrev_i32_e32 v37, 31, v37
	v_and_b32_e32 v35, 0xff, v34
	s_wait_alu 0xfffd
	v_xor_b32_e32 v36, vcc_lo, v36
	v_cmp_gt_i32_e32 vcc_lo, 0, v38
	v_not_b32_e32 v38, v39
	s_wait_alu 0xf1ff
	v_xor_b32_e32 v40, s1, v40
	v_cmp_gt_i32_e64 s1, 0, v39
	v_and_b32_e32 v36, exec_lo, v36
	v_not_b32_e32 v39, v107
	v_ashrrev_i32_e32 v38, 31, v38
	s_wait_alu 0xfffd
	v_xor_b32_e32 v37, vcc_lo, v37
	v_cmp_gt_i32_e32 vcc_lo, 0, v107
	v_and_b32_e32 v36, v36, v40
	v_not_b32_e32 v40, v108
	v_ashrrev_i32_e32 v39, 31, v39
	s_wait_alu 0xf1ff
	v_xor_b32_e32 v38, s1, v38
	v_lshlrev_b32_e32 v34, 24, v34
	v_and_b32_e32 v36, v36, v37
	v_cmp_gt_i32_e64 s1, 0, v108
	v_not_b32_e32 v37, v109
	v_ashrrev_i32_e32 v40, 31, v40
	s_wait_alu 0xfffd
	v_xor_b32_e32 v39, vcc_lo, v39
	v_and_b32_e32 v36, v36, v38
	v_cmp_gt_i32_e32 vcc_lo, 0, v109
	v_not_b32_e32 v38, v34
	v_ashrrev_i32_e32 v37, 31, v37
	s_wait_alu 0xf1ff
	v_xor_b32_e32 v40, s1, v40
	v_and_b32_e32 v36, v36, v39
	v_lshlrev_b32_e32 v35, 6, v35
	v_cmp_gt_i32_e64 s1, 0, v34
	v_ashrrev_i32_e32 v34, 31, v38
	s_wait_alu 0xfffd
	v_xor_b32_e32 v37, vcc_lo, v37
	v_and_b32_e32 v36, v36, v40
	v_add_nc_u32_e32 v109, v33, v35
	s_wait_alu 0xf1ff
	v_xor_b32_e32 v33, s1, v34
	s_delay_alu instid0(VALU_DEP_3) | instskip(SKIP_2) | instid1(VALU_DEP_1)
	v_and_b32_e32 v34, v36, v37
	ds_load_b32 v107, v109 offset:64
	; wave barrier
	v_and_b32_e32 v33, v34, v33
	v_mbcnt_lo_u32_b32 v108, v33, 0
	v_cmp_ne_u32_e64 s1, 0, v33
	s_delay_alu instid0(VALU_DEP_2)
	v_cmp_eq_u32_e32 vcc_lo, 0, v108
	s_and_b32 s9, s1, vcc_lo
	s_wait_alu 0xfffe
	s_and_saveexec_b32 s1, s9
	s_cbranch_execz .LBB110_49
; %bb.48:
	s_wait_dscnt 0x0
	v_bcnt_u32_b32 v33, v33, v107
	ds_store_b32 v109, v33 offset:64
.LBB110_49:
	s_wait_alu 0xfffe
	s_or_b32 exec_lo, exec_lo, s1
	; wave barrier
	s_wait_loadcnt_dscnt 0x0
	s_barrier_signal -1
	s_barrier_wait -1
	global_inv scope:SCOPE_SE
	ds_load_b128 v[37:40], v66 offset:64
	ds_load_b128 v[33:36], v66 offset:80
	v_min_u32_e32 v112, 0x1e0, v68
	s_mov_b32 s12, exec_lo
	s_wait_dscnt 0x1
	v_add_nc_u32_e32 v110, v38, v37
	s_delay_alu instid0(VALU_DEP_1) | instskip(SKIP_1) | instid1(VALU_DEP_1)
	v_add3_u32 v110, v110, v39, v40
	s_wait_dscnt 0x0
	v_add3_u32 v110, v110, v33, v34
	s_delay_alu instid0(VALU_DEP_1) | instskip(SKIP_1) | instid1(VALU_DEP_2)
	v_add3_u32 v36, v110, v35, v36
	v_and_b32_e32 v110, 15, v67
	v_mov_b32_dpp v111, v36 row_shr:1 row_mask:0xf bank_mask:0xf
	s_delay_alu instid0(VALU_DEP_2)
	v_cmp_eq_u32_e32 vcc_lo, 0, v110
	v_cmp_lt_u32_e64 s1, 1, v110
	v_cmp_lt_u32_e64 s9, 3, v110
	;; [unrolled: 1-line block ×3, first 2 shown]
	s_wait_alu 0xfffd
	v_cndmask_b32_e64 v111, v111, 0, vcc_lo
	s_delay_alu instid0(VALU_DEP_1) | instskip(NEXT) | instid1(VALU_DEP_1)
	v_add_nc_u32_e32 v36, v111, v36
	v_mov_b32_dpp v111, v36 row_shr:2 row_mask:0xf bank_mask:0xf
	s_wait_alu 0xf1ff
	s_delay_alu instid0(VALU_DEP_1) | instskip(NEXT) | instid1(VALU_DEP_1)
	v_cndmask_b32_e64 v111, 0, v111, s1
	v_add_nc_u32_e32 v36, v36, v111
	s_delay_alu instid0(VALU_DEP_1) | instskip(NEXT) | instid1(VALU_DEP_1)
	v_mov_b32_dpp v111, v36 row_shr:4 row_mask:0xf bank_mask:0xf
	v_cndmask_b32_e64 v111, 0, v111, s9
	s_delay_alu instid0(VALU_DEP_1) | instskip(NEXT) | instid1(VALU_DEP_1)
	v_add_nc_u32_e32 v36, v36, v111
	v_mov_b32_dpp v111, v36 row_shr:8 row_mask:0xf bank_mask:0xf
	s_delay_alu instid0(VALU_DEP_1) | instskip(SKIP_1) | instid1(VALU_DEP_2)
	v_cndmask_b32_e64 v110, 0, v111, s10
	v_bfe_i32 v111, v67, 4, 1
	v_add_nc_u32_e32 v36, v36, v110
	ds_swizzle_b32 v110, v36 offset:swizzle(BROADCAST,32,15)
	s_wait_dscnt 0x0
	v_and_b32_e32 v110, v111, v110
	v_or_b32_e32 v111, 31, v112
	s_delay_alu instid0(VALU_DEP_2) | instskip(NEXT) | instid1(VALU_DEP_2)
	v_add_nc_u32_e32 v36, v36, v110
	v_cmpx_eq_u32_e64 v44, v111
; %bb.50:
	v_lshlrev_b32_e32 v110, 2, v65
	ds_store_b32 v110, v36
; %bb.51:
	s_wait_alu 0xfffe
	s_or_b32 exec_lo, exec_lo, s12
	s_delay_alu instid0(SALU_CYCLE_1)
	s_mov_b32 s12, exec_lo
	s_wait_loadcnt_dscnt 0x0
	s_barrier_signal -1
	s_barrier_wait -1
	global_inv scope:SCOPE_SE
	v_cmpx_gt_u32_e32 16, v44
	s_cbranch_execz .LBB110_53
; %bb.52:
	v_lshlrev_b32_e32 v110, 2, v44
	ds_load_b32 v111, v110
	s_wait_dscnt 0x0
	v_mov_b32_dpp v112, v111 row_shr:1 row_mask:0xf bank_mask:0xf
	s_delay_alu instid0(VALU_DEP_1) | instskip(NEXT) | instid1(VALU_DEP_1)
	v_cndmask_b32_e64 v112, v112, 0, vcc_lo
	v_add_nc_u32_e32 v111, v112, v111
	s_delay_alu instid0(VALU_DEP_1) | instskip(NEXT) | instid1(VALU_DEP_1)
	v_mov_b32_dpp v112, v111 row_shr:2 row_mask:0xf bank_mask:0xf
	v_cndmask_b32_e64 v112, 0, v112, s1
	s_delay_alu instid0(VALU_DEP_1) | instskip(NEXT) | instid1(VALU_DEP_1)
	v_add_nc_u32_e32 v111, v111, v112
	v_mov_b32_dpp v112, v111 row_shr:4 row_mask:0xf bank_mask:0xf
	s_delay_alu instid0(VALU_DEP_1) | instskip(NEXT) | instid1(VALU_DEP_1)
	v_cndmask_b32_e64 v112, 0, v112, s9
	v_add_nc_u32_e32 v111, v111, v112
	s_delay_alu instid0(VALU_DEP_1) | instskip(NEXT) | instid1(VALU_DEP_1)
	v_mov_b32_dpp v112, v111 row_shr:8 row_mask:0xf bank_mask:0xf
	v_cndmask_b32_e64 v112, 0, v112, s10
	s_delay_alu instid0(VALU_DEP_1)
	v_add_nc_u32_e32 v111, v111, v112
	ds_store_b32 v110, v111
.LBB110_53:
	s_wait_alu 0xfffe
	s_or_b32 exec_lo, exec_lo, s12
	v_mov_b32_e32 v110, 0
	s_mov_b32 s1, exec_lo
	s_wait_loadcnt_dscnt 0x0
	s_barrier_signal -1
	s_barrier_wait -1
	global_inv scope:SCOPE_SE
	v_cmpx_lt_u32_e32 31, v44
; %bb.54:
	v_lshl_add_u32 v110, v65, 2, -4
	ds_load_b32 v110, v110
; %bb.55:
	s_wait_alu 0xfffe
	s_or_b32 exec_lo, exec_lo, s1
	v_sub_co_u32 v111, vcc_lo, v67, 1
	s_wait_dscnt 0x0
	v_add_nc_u32_e32 v36, v110, v36
	s_delay_alu instid0(VALU_DEP_2) | instskip(SKIP_1) | instid1(VALU_DEP_1)
	v_cmp_gt_i32_e64 s1, 0, v111
	s_wait_alu 0xf1ff
	v_cndmask_b32_e64 v111, v111, v67, s1
	s_delay_alu instid0(VALU_DEP_1)
	v_lshlrev_b32_e32 v111, 2, v111
	ds_bpermute_b32 v36, v111, v36
	s_wait_dscnt 0x0
	s_wait_alu 0xfffd
	v_cndmask_b32_e32 v36, v36, v110, vcc_lo
	v_cmp_ne_u32_e32 vcc_lo, 0, v44
	s_wait_alu 0xfffd
	s_delay_alu instid0(VALU_DEP_2) | instskip(NEXT) | instid1(VALU_DEP_1)
	v_cndmask_b32_e32 v36, 0, v36, vcc_lo
	v_add_nc_u32_e32 v37, v36, v37
	s_delay_alu instid0(VALU_DEP_1) | instskip(NEXT) | instid1(VALU_DEP_1)
	v_add_nc_u32_e32 v38, v37, v38
	v_add_nc_u32_e32 v39, v38, v39
	s_delay_alu instid0(VALU_DEP_1) | instskip(NEXT) | instid1(VALU_DEP_1)
	v_add_nc_u32_e32 v110, v39, v40
	;; [unrolled: 3-line block ×3, first 2 shown]
	v_add_nc_u32_e32 v113, v112, v35
	ds_store_b128 v66, v[36:39] offset:64
	ds_store_b128 v66, v[110:113] offset:80
	s_wait_loadcnt_dscnt 0x0
	s_barrier_signal -1
	s_barrier_wait -1
	global_inv scope:SCOPE_SE
	ds_load_b32 v33, v88 offset:64
	ds_load_b32 v34, v91 offset:64
	;; [unrolled: 1-line block ×8, first 2 shown]
	s_wait_loadcnt_dscnt 0x0
	s_barrier_signal -1
	s_barrier_wait -1
	global_inv scope:SCOPE_SE
	v_mad_u32_u24 v88, v44, 56, v60
	v_add_nc_u32_e32 v33, v33, v87
	v_add3_u32 v34, v90, v89, v34
	v_add3_u32 v35, v93, v92, v35
	;; [unrolled: 1-line block ×7, first 2 shown]
	ds_store_b8 v33, v0
	ds_store_b8 v34, v80
	;; [unrolled: 1-line block ×8, first 2 shown]
	s_wait_loadcnt_dscnt 0x0
	s_barrier_signal -1
	s_barrier_wait -1
	global_inv scope:SCOPE_SE
	v_lshlrev_b32_e32 v0, 3, v33
	v_lshlrev_b32_e32 v80, 3, v34
	ds_load_b64 v[33:34], v60
	v_lshlrev_b32_e32 v35, 3, v35
	v_lshlrev_b32_e32 v36, 3, v36
	;; [unrolled: 1-line block ×6, first 2 shown]
	s_wait_loadcnt_dscnt 0x0
	s_barrier_signal -1
	s_barrier_wait -1
	global_inv scope:SCOPE_SE
	ds_store_b64 v0, v[21:22]
	ds_store_b64 v80, v[23:24]
	;; [unrolled: 1-line block ×8, first 2 shown]
	s_wait_loadcnt_dscnt 0x0
	s_barrier_signal -1
	s_barrier_wait -1
	global_inv scope:SCOPE_SE
	ds_load_b128 v[21:24], v88
	ds_load_b128 v[17:20], v88 offset:16
	v_lshrrev_b32_e32 v0, 16, v33
	v_xor_b32_e32 v25, 0x80, v33
	v_lshrrev_b32_e32 v26, 16, v34
	v_and_b32_e32 v35, 0xffffff00, v34
	v_xor_b32_e32 v27, 0x80, v34
	v_and_b32_e32 v33, 0xffffff00, v33
	v_and_b32_e32 v34, 0xff, v25
	v_xor_b32_e32 v25, 0x80, v0
	v_xor_b32_e32 v28, 0x80, v26
	v_and_b32_e32 v0, 0xffffff00, v0
	v_and_b32_e32 v36, 0xff, v27
	;; [unrolled: 1-line block ×5, first 2 shown]
	ds_load_b128 v[29:32], v88 offset:32
	ds_load_b128 v[25:28], v88 offset:48
	v_or_b32_e32 v33, v34, v33
	v_or_b32_e32 v34, v36, v35
	;; [unrolled: 1-line block ×4, first 2 shown]
	s_delay_alu instid0(VALU_DEP_4) | instskip(NEXT) | instid1(VALU_DEP_4)
	v_add_nc_u16 v33, 0x8000, v33
	v_add_nc_u16 v34, 0x8000, v34
	s_delay_alu instid0(VALU_DEP_4) | instskip(NEXT) | instid1(VALU_DEP_4)
	v_add_nc_u16 v0, 0x8000, v0
	v_add_nc_u16 v35, 0x8000, v35
	s_delay_alu instid0(VALU_DEP_4) | instskip(NEXT) | instid1(VALU_DEP_4)
	v_and_b32_e32 v33, 0xffff, v33
	v_and_b32_e32 v34, 0xffff, v34
	s_delay_alu instid0(VALU_DEP_4) | instskip(NEXT) | instid1(VALU_DEP_4)
	v_lshlrev_b32_e32 v0, 16, v0
	v_lshlrev_b32_e32 v35, 16, v35
	s_delay_alu instid0(VALU_DEP_2) | instskip(NEXT) | instid1(VALU_DEP_2)
	v_or_b32_e32 v0, v33, v0
	v_or_b32_e32 v33, v34, v35
	s_branch .LBB110_87
.LBB110_56:
	v_lshlrev_b64_e32 v[1:2], 3, v[41:42]
	v_dual_mov_b32 v43, v42 :: v_dual_mov_b32 v10, v42
	v_dual_mov_b32 v9, v42 :: v_dual_mov_b32 v12, v42
	v_mov_b32_e32 v11, v42
	s_wait_alu 0xfffe
	s_delay_alu instid0(VALU_DEP_4) | instskip(NEXT) | instid1(VALU_DEP_1)
	v_add_co_u32 v1, vcc_lo, s16, v1
	v_add_co_ci_u32_e64 v2, null, s17, v2, vcc_lo
	v_dual_mov_b32 v3, v42 :: v_dual_mov_b32 v6, v42
	v_dual_mov_b32 v5, v42 :: v_dual_mov_b32 v8, v42
	global_load_b64 v[13:14], v[1:2], off
	v_dual_mov_b32 v1, v42 :: v_dual_mov_b32 v4, v42
	v_dual_mov_b32 v2, v42 :: v_dual_mov_b32 v7, v42
	s_or_b32 exec_lo, exec_lo, s1
	s_and_saveexec_b32 s1, s3
	s_cbranch_execz .LBB110_25
.LBB110_57:
	v_mul_lo_u32 v29, s20, v29
	v_mov_b32_e32 v30, 0
	s_delay_alu instid0(VALU_DEP_1) | instskip(SKIP_1) | instid1(VALU_DEP_1)
	v_lshlrev_b64_e32 v[29:30], 3, v[29:30]
	s_wait_alu 0xfffe
	v_add_co_u32 v29, vcc_lo, s16, v29
	s_wait_alu 0xfffd
	s_delay_alu instid0(VALU_DEP_2)
	v_add_co_ci_u32_e64 v30, null, s17, v30, vcc_lo
	global_load_b64 v[42:43], v[29:30], off
	s_or_b32 exec_lo, exec_lo, s1
	s_and_saveexec_b32 s1, s4
	s_cbranch_execz .LBB110_26
.LBB110_58:
	v_mul_lo_u32 v9, s20, v28
	v_mov_b32_e32 v10, 0
	s_delay_alu instid0(VALU_DEP_1) | instskip(SKIP_1) | instid1(VALU_DEP_1)
	v_lshlrev_b64_e32 v[9:10], 3, v[9:10]
	s_wait_alu 0xfffe
	v_add_co_u32 v9, vcc_lo, s16, v9
	s_wait_alu 0xfffd
	s_delay_alu instid0(VALU_DEP_2)
	v_add_co_ci_u32_e64 v10, null, s17, v10, vcc_lo
	global_load_b64 v[9:10], v[9:10], off
	s_or_b32 exec_lo, exec_lo, s1
	s_and_saveexec_b32 s1, s5
	s_cbranch_execz .LBB110_27
.LBB110_59:
	v_mul_lo_u32 v11, s20, v26
	v_mov_b32_e32 v12, 0
	s_delay_alu instid0(VALU_DEP_1) | instskip(SKIP_1) | instid1(VALU_DEP_1)
	v_lshlrev_b64_e32 v[11:12], 3, v[11:12]
	s_wait_alu 0xfffe
	v_add_co_u32 v11, vcc_lo, s16, v11
	s_wait_alu 0xfffd
	s_delay_alu instid0(VALU_DEP_2)
	v_add_co_ci_u32_e64 v12, null, s17, v12, vcc_lo
	global_load_b64 v[11:12], v[11:12], off
	s_or_b32 exec_lo, exec_lo, s1
	s_and_saveexec_b32 s1, s6
	s_cbranch_execz .LBB110_28
.LBB110_60:
	v_mul_lo_u32 v1, s20, v22
	v_mov_b32_e32 v2, 0
	s_delay_alu instid0(VALU_DEP_1) | instskip(SKIP_1) | instid1(VALU_DEP_1)
	v_lshlrev_b64_e32 v[1:2], 3, v[1:2]
	s_wait_alu 0xfffe
	v_add_co_u32 v1, vcc_lo, s16, v1
	s_wait_alu 0xfffd
	s_delay_alu instid0(VALU_DEP_2)
	v_add_co_ci_u32_e64 v2, null, s17, v2, vcc_lo
	global_load_b64 v[1:2], v[1:2], off
	s_or_b32 exec_lo, exec_lo, s1
	s_and_saveexec_b32 s1, s7
	s_cbranch_execz .LBB110_29
.LBB110_61:
	v_mul_lo_u32 v3, s20, v19
	v_mov_b32_e32 v4, 0
	s_delay_alu instid0(VALU_DEP_1) | instskip(SKIP_1) | instid1(VALU_DEP_1)
	v_lshlrev_b64_e32 v[3:4], 3, v[3:4]
	s_wait_alu 0xfffe
	v_add_co_u32 v3, vcc_lo, s16, v3
	s_wait_alu 0xfffd
	s_delay_alu instid0(VALU_DEP_2)
	v_add_co_ci_u32_e64 v4, null, s17, v4, vcc_lo
	global_load_b64 v[3:4], v[3:4], off
	s_or_b32 exec_lo, exec_lo, s1
	s_and_saveexec_b32 s1, s8
	s_cbranch_execz .LBB110_30
.LBB110_62:
	v_mul_lo_u32 v5, s20, v16
	v_mov_b32_e32 v6, 0
	s_delay_alu instid0(VALU_DEP_1) | instskip(SKIP_1) | instid1(VALU_DEP_1)
	v_lshlrev_b64_e32 v[5:6], 3, v[5:6]
	s_wait_alu 0xfffe
	v_add_co_u32 v5, vcc_lo, s16, v5
	s_wait_alu 0xfffd
	s_delay_alu instid0(VALU_DEP_2)
	v_add_co_ci_u32_e64 v6, null, s17, v6, vcc_lo
	global_load_b64 v[5:6], v[5:6], off
	s_or_b32 exec_lo, exec_lo, s1
	s_xor_b32 s1, s12, -1
	s_and_saveexec_b32 s9, s0
	s_cbranch_execnz .LBB110_31
	s_branch .LBB110_32
.LBB110_63:
                                        ; implicit-def: $vgpr27_vgpr28
                                        ; implicit-def: $vgpr31_vgpr32
                                        ; implicit-def: $vgpr19_vgpr20
                                        ; implicit-def: $vgpr23_vgpr24
                                        ; implicit-def: $vgpr33
                                        ; implicit-def: $vgpr0
	s_and_b32 vcc_lo, exec_lo, s1
	s_wait_alu 0xfffe
	s_cbranch_vccz .LBB110_87
; %bb.64:
	v_xor_b32_e32 v0, 0x7f, v45
	s_wait_dscnt 0x2
	v_xor_b32_e32 v17, 0x7f, v79
	v_xor_b32_e32 v18, 0x7f, v78
	;; [unrolled: 1-line block ×7, first 2 shown]
	s_mov_b32 s12, 0
	v_lshlrev_b16 v17, 8, v17
	v_lshlrev_b16 v19, 8, v19
	v_and_b32_e32 v20, 0xff, v20
	v_lshlrev_b16 v21, 8, v21
	v_and_b32_e32 v22, 0xff, v22
	v_lshlrev_b16 v23, 8, v23
	s_mov_b32 s13, s12
	s_mov_b32 s14, s12
	;; [unrolled: 1-line block ×3, first 2 shown]
	v_and_b32_e32 v0, 0xff, v0
	v_and_b32_e32 v18, 0xff, v18
	s_getpc_b64 s[10:11]
	s_wait_alu 0xfffe
	s_sext_i32_i16 s11, s11
	s_add_co_u32 s10, s10, _ZN7rocprim17ROCPRIM_400000_NS16block_radix_sortIaLj512ELj8ElLj1ELj1ELj0ELNS0_26block_radix_rank_algorithmE1ELNS0_18block_padding_hintE2ELNS0_4arch9wavefront6targetE0EE19radix_bits_per_passE@rel32@lo+12
	s_wait_alu 0xfffe
	s_add_co_ci_u32 s11, s11, _ZN7rocprim17ROCPRIM_400000_NS16block_radix_sortIaLj512ELj8ElLj1ELj1ELj0ELNS0_26block_radix_rank_algorithmE1ELNS0_18block_padding_hintE2ELNS0_4arch9wavefront6targetE0EE19radix_bits_per_passE@rel32@hi+24
	s_load_b32 s1, s[10:11], 0x0
	v_or_b32_e32 v0, v0, v17
	v_or_b32_e32 v17, v18, v19
	;; [unrolled: 1-line block ×4, first 2 shown]
	s_delay_alu instid0(VALU_DEP_4) | instskip(NEXT) | instid1(VALU_DEP_4)
	v_and_b32_e32 v0, 0xffff, v0
	v_lshlrev_b32_e32 v17, 16, v17
	s_delay_alu instid0(VALU_DEP_4) | instskip(NEXT) | instid1(VALU_DEP_4)
	v_and_b32_e32 v18, 0xffff, v18
	v_lshlrev_b32_e32 v19, 16, v19
	s_delay_alu instid0(VALU_DEP_3) | instskip(SKIP_1) | instid1(VALU_DEP_3)
	v_or_b32_e32 v17, v0, v17
	v_mad_u32_u24 v0, v72, 7, v72
	v_or_b32_e32 v18, v18, v19
	ds_store_b64 v72, v[17:18]
	; wave barrier
	ds_load_u8 v24, v73
	s_wait_dscnt 0x2
	ds_load_u8 v25, v73 offset:32
	ds_load_u8 v26, v73 offset:64
	;; [unrolled: 1-line block ×7, first 2 shown]
	s_wait_kmcnt 0x0
	s_min_u32 s1, s1, 8
	s_wait_loadcnt_dscnt 0x0
	s_lshl_b32 s1, -1, s1
	s_barrier_signal -1
	s_not_b32 s9, s1
	s_barrier_wait -1
	global_inv scope:SCOPE_SE
	ds_store_b128 v0, v[13:16]
	ds_store_b128 v0, v[9:12] offset:16
	ds_store_b128 v0, v[5:8] offset:32
	;; [unrolled: 1-line block ×3, first 2 shown]
	; wave barrier
	ds_load_2addr_b64 v[12:15], v71 offset1:32
	ds_load_2addr_b64 v[4:7], v71 offset0:64 offset1:96
	ds_load_2addr_b64 v[0:3], v71 offset0:128 offset1:160
	s_wait_alu 0xfffe
	v_and_b32_e32 v22, s9, v24
	s_delay_alu instid0(VALU_DEP_1) | instskip(SKIP_3) | instid1(VALU_DEP_4)
	v_and_b32_e32 v8, 1, v22
	v_lshlrev_b32_e32 v18, 30, v22
	v_lshlrev_b32_e32 v19, 29, v22
	;; [unrolled: 1-line block ×3, first 2 shown]
	v_add_co_u32 v16, s1, v8, -1
	s_delay_alu instid0(VALU_DEP_1)
	v_cndmask_b32_e64 v17, 0, 1, s1
	ds_load_2addr_b64 v[8:11], v71 offset0:192 offset1:224
	s_wait_loadcnt_dscnt 0x0
	s_barrier_signal -1
	s_barrier_wait -1
	v_cmp_ne_u32_e32 vcc_lo, 0, v17
	v_not_b32_e32 v17, v18
	global_inv scope:SCOPE_SE
	s_load_b32 s1, s[24:25], 0xc
	v_xor_b32_e32 v16, vcc_lo, v16
	v_cmp_gt_i32_e32 vcc_lo, 0, v18
	v_ashrrev_i32_e32 v17, 31, v17
	v_not_b32_e32 v18, v19
	s_delay_alu instid0(VALU_DEP_4) | instskip(SKIP_1) | instid1(VALU_DEP_3)
	v_and_b32_e32 v16, exec_lo, v16
	s_wait_alu 0xfffd
	v_xor_b32_e32 v17, vcc_lo, v17
	v_cmp_gt_i32_e32 vcc_lo, 0, v19
	v_ashrrev_i32_e32 v18, 31, v18
	v_not_b32_e32 v19, v20
	s_delay_alu instid0(VALU_DEP_4)
	v_and_b32_e32 v16, v16, v17
	v_lshlrev_b32_e32 v17, 27, v22
	s_wait_alu 0xfffd
	v_xor_b32_e32 v18, vcc_lo, v18
	v_cmp_gt_i32_e32 vcc_lo, 0, v20
	v_ashrrev_i32_e32 v19, 31, v19
	v_not_b32_e32 v20, v17
	s_delay_alu instid0(VALU_DEP_4)
	v_and_b32_e32 v16, v16, v18
	v_lshlrev_b32_e32 v18, 26, v22
	s_wait_alu 0xfffd
	v_xor_b32_e32 v19, vcc_lo, v19
	v_cmp_gt_i32_e32 vcc_lo, 0, v17
	v_ashrrev_i32_e32 v17, 31, v20
	s_wait_kmcnt 0x0
	s_lshr_b32 s10, s1, 16
	v_not_b32_e32 v20, v18
	v_and_b32_e32 v16, v16, v19
	v_lshlrev_b32_e32 v19, 25, v22
	s_wait_alu 0xfffd
	v_xor_b32_e32 v17, vcc_lo, v17
	v_cmp_gt_i32_e32 vcc_lo, 0, v18
	v_ashrrev_i32_e32 v18, 31, v20
	s_and_b32 s1, s1, 0xffff
	v_not_b32_e32 v20, v19
	v_and_b32_e32 v16, v16, v17
	v_lshlrev_b32_e32 v17, 24, v22
	s_wait_alu 0xfffd
	v_xor_b32_e32 v18, vcc_lo, v18
	v_cmp_gt_i32_e32 vcc_lo, 0, v19
	v_ashrrev_i32_e32 v19, 31, v20
	s_wait_alu 0xfffe
	v_mad_u32_u24 v20, v70, s10, v69
	v_not_b32_e32 v21, v17
	v_and_b32_e32 v18, v16, v18
	v_and_b32_e32 v22, 0xff, v22
	s_wait_alu 0xfffd
	v_xor_b32_e32 v19, vcc_lo, v19
	v_cmp_gt_i32_e32 vcc_lo, 0, v17
	v_ashrrev_i32_e32 v21, 31, v21
	v_mad_co_u64_u32 v[16:17], null, v20, s1, v[44:45]
	s_delay_alu instid0(VALU_DEP_4) | instskip(SKIP_1) | instid1(VALU_DEP_3)
	v_and_b32_e32 v17, v18, v19
	s_wait_alu 0xfffd
	v_xor_b32_e32 v23, vcc_lo, v21
	v_dual_mov_b32 v21, s15 :: v_dual_mov_b32 v20, s14
	v_dual_mov_b32 v19, s13 :: v_dual_mov_b32 v18, s12
	s_delay_alu instid0(VALU_DEP_3)
	v_and_b32_e32 v17, v17, v23
	v_lshrrev_b32_e32 v16, 3, v16
	ds_store_b128 v66, v[18:21] offset:64
	ds_store_b128 v66, v[18:21] offset:80
	v_mbcnt_lo_u32_b32 v32, v17, 0
	v_and_b32_e32 v16, 0x1ffffffc, v16
	v_lshlrev_b32_e32 v18, 6, v22
	v_cmp_ne_u32_e64 s1, 0, v17
	s_wait_loadcnt_dscnt 0x0
	v_cmp_eq_u32_e32 vcc_lo, 0, v32
	s_barrier_signal -1
	v_add_nc_u32_e32 v33, v16, v18
	s_barrier_wait -1
	global_inv scope:SCOPE_SE
	s_and_b32 s10, s1, vcc_lo
	; wave barrier
	s_wait_alu 0xfffe
	s_and_saveexec_b32 s1, s10
; %bb.65:
	v_bcnt_u32_b32 v17, v17, 0
	ds_store_b32 v33, v17 offset:64
; %bb.66:
	s_wait_alu 0xfffe
	s_or_b32 exec_lo, exec_lo, s1
	v_and_b32_e32 v17, s9, v25
	; wave barrier
	s_delay_alu instid0(VALU_DEP_1)
	v_and_b32_e32 v19, 1, v17
	v_lshlrev_b32_e32 v20, 30, v17
	v_lshlrev_b32_e32 v21, 29, v17
	v_lshlrev_b32_e32 v22, 28, v17
	v_lshlrev_b32_e32 v34, 27, v17
	v_add_co_u32 v19, s1, v19, -1
	s_wait_alu 0xf1ff
	v_cndmask_b32_e64 v23, 0, 1, s1
	v_not_b32_e32 v37, v20
	v_cmp_gt_i32_e64 s1, 0, v20
	v_not_b32_e32 v20, v21
	v_lshlrev_b32_e32 v35, 26, v17
	v_cmp_ne_u32_e32 vcc_lo, 0, v23
	v_ashrrev_i32_e32 v23, 31, v37
	v_lshlrev_b32_e32 v36, 25, v17
	v_ashrrev_i32_e32 v20, 31, v20
	v_and_b32_e32 v18, 0xff, v17
	s_wait_alu 0xfffd
	v_xor_b32_e32 v19, vcc_lo, v19
	v_cmp_gt_i32_e32 vcc_lo, 0, v21
	v_not_b32_e32 v21, v22
	s_wait_alu 0xf1ff
	v_xor_b32_e32 v23, s1, v23
	v_cmp_gt_i32_e64 s1, 0, v22
	v_and_b32_e32 v19, exec_lo, v19
	v_not_b32_e32 v22, v34
	v_ashrrev_i32_e32 v21, 31, v21
	s_wait_alu 0xfffd
	v_xor_b32_e32 v20, vcc_lo, v20
	v_cmp_gt_i32_e32 vcc_lo, 0, v34
	v_and_b32_e32 v19, v19, v23
	v_not_b32_e32 v23, v35
	v_ashrrev_i32_e32 v22, 31, v22
	s_wait_alu 0xf1ff
	v_xor_b32_e32 v21, s1, v21
	v_lshlrev_b32_e32 v17, 24, v17
	v_and_b32_e32 v19, v19, v20
	v_cmp_gt_i32_e64 s1, 0, v35
	v_not_b32_e32 v20, v36
	v_ashrrev_i32_e32 v23, 31, v23
	s_wait_alu 0xfffd
	v_xor_b32_e32 v22, vcc_lo, v22
	v_and_b32_e32 v19, v19, v21
	v_cmp_gt_i32_e32 vcc_lo, 0, v36
	v_not_b32_e32 v21, v17
	v_ashrrev_i32_e32 v20, 31, v20
	s_wait_alu 0xf1ff
	v_xor_b32_e32 v23, s1, v23
	v_and_b32_e32 v19, v19, v22
	v_lshlrev_b32_e32 v18, 6, v18
	v_cmp_gt_i32_e64 s1, 0, v17
	v_ashrrev_i32_e32 v17, 31, v21
	s_wait_alu 0xfffd
	v_xor_b32_e32 v20, vcc_lo, v20
	v_and_b32_e32 v19, v19, v23
	v_add_nc_u32_e32 v36, v16, v18
	s_wait_alu 0xf1ff
	v_xor_b32_e32 v17, s1, v17
	s_delay_alu instid0(VALU_DEP_3) | instskip(SKIP_2) | instid1(VALU_DEP_1)
	v_and_b32_e32 v18, v19, v20
	ds_load_b32 v34, v36 offset:64
	; wave barrier
	v_and_b32_e32 v17, v18, v17
	v_mbcnt_lo_u32_b32 v35, v17, 0
	v_cmp_ne_u32_e64 s1, 0, v17
	s_delay_alu instid0(VALU_DEP_2)
	v_cmp_eq_u32_e32 vcc_lo, 0, v35
	s_and_b32 s10, s1, vcc_lo
	s_wait_alu 0xfffe
	s_and_saveexec_b32 s1, s10
	s_cbranch_execz .LBB110_68
; %bb.67:
	s_wait_dscnt 0x0
	v_bcnt_u32_b32 v17, v17, v34
	ds_store_b32 v36, v17 offset:64
.LBB110_68:
	s_wait_alu 0xfffe
	s_or_b32 exec_lo, exec_lo, s1
	v_and_b32_e32 v17, s9, v26
	; wave barrier
	s_delay_alu instid0(VALU_DEP_1)
	v_and_b32_e32 v19, 1, v17
	v_lshlrev_b32_e32 v20, 30, v17
	v_lshlrev_b32_e32 v21, 29, v17
	;; [unrolled: 1-line block ×4, first 2 shown]
	v_add_co_u32 v19, s1, v19, -1
	s_wait_alu 0xf1ff
	v_cndmask_b32_e64 v23, 0, 1, s1
	v_not_b32_e32 v40, v20
	v_cmp_gt_i32_e64 s1, 0, v20
	v_not_b32_e32 v20, v21
	v_lshlrev_b32_e32 v38, 26, v17
	v_cmp_ne_u32_e32 vcc_lo, 0, v23
	v_ashrrev_i32_e32 v23, 31, v40
	v_lshlrev_b32_e32 v39, 25, v17
	v_ashrrev_i32_e32 v20, 31, v20
	v_and_b32_e32 v18, 0xff, v17
	s_wait_alu 0xfffd
	v_xor_b32_e32 v19, vcc_lo, v19
	v_cmp_gt_i32_e32 vcc_lo, 0, v21
	v_not_b32_e32 v21, v22
	s_wait_alu 0xf1ff
	v_xor_b32_e32 v23, s1, v23
	v_cmp_gt_i32_e64 s1, 0, v22
	v_and_b32_e32 v19, exec_lo, v19
	v_not_b32_e32 v22, v37
	v_ashrrev_i32_e32 v21, 31, v21
	s_wait_alu 0xfffd
	v_xor_b32_e32 v20, vcc_lo, v20
	v_cmp_gt_i32_e32 vcc_lo, 0, v37
	v_and_b32_e32 v19, v19, v23
	v_not_b32_e32 v23, v38
	v_ashrrev_i32_e32 v22, 31, v22
	s_wait_alu 0xf1ff
	v_xor_b32_e32 v21, s1, v21
	v_lshlrev_b32_e32 v17, 24, v17
	v_and_b32_e32 v19, v19, v20
	v_cmp_gt_i32_e64 s1, 0, v38
	v_not_b32_e32 v20, v39
	v_ashrrev_i32_e32 v23, 31, v23
	s_wait_alu 0xfffd
	v_xor_b32_e32 v22, vcc_lo, v22
	v_and_b32_e32 v19, v19, v21
	v_cmp_gt_i32_e32 vcc_lo, 0, v39
	v_not_b32_e32 v21, v17
	v_ashrrev_i32_e32 v20, 31, v20
	s_wait_alu 0xf1ff
	v_xor_b32_e32 v23, s1, v23
	v_and_b32_e32 v19, v19, v22
	v_lshlrev_b32_e32 v18, 6, v18
	v_cmp_gt_i32_e64 s1, 0, v17
	v_ashrrev_i32_e32 v17, 31, v21
	s_wait_alu 0xfffd
	v_xor_b32_e32 v20, vcc_lo, v20
	v_and_b32_e32 v19, v19, v23
	v_add_nc_u32_e32 v39, v16, v18
	s_wait_alu 0xf1ff
	v_xor_b32_e32 v17, s1, v17
	s_delay_alu instid0(VALU_DEP_3) | instskip(SKIP_2) | instid1(VALU_DEP_1)
	v_and_b32_e32 v18, v19, v20
	ds_load_b32 v37, v39 offset:64
	; wave barrier
	v_and_b32_e32 v17, v18, v17
	v_mbcnt_lo_u32_b32 v38, v17, 0
	v_cmp_ne_u32_e64 s1, 0, v17
	s_delay_alu instid0(VALU_DEP_2)
	v_cmp_eq_u32_e32 vcc_lo, 0, v38
	s_and_b32 s10, s1, vcc_lo
	s_wait_alu 0xfffe
	s_and_saveexec_b32 s1, s10
	s_cbranch_execz .LBB110_70
; %bb.69:
	s_wait_dscnt 0x0
	v_bcnt_u32_b32 v17, v17, v37
	ds_store_b32 v39, v17 offset:64
.LBB110_70:
	s_wait_alu 0xfffe
	s_or_b32 exec_lo, exec_lo, s1
	v_and_b32_e32 v17, s9, v27
	; wave barrier
	s_delay_alu instid0(VALU_DEP_1)
	v_and_b32_e32 v19, 1, v17
	v_lshlrev_b32_e32 v20, 30, v17
	v_lshlrev_b32_e32 v21, 29, v17
	;; [unrolled: 1-line block ×4, first 2 shown]
	v_add_co_u32 v19, s1, v19, -1
	s_wait_alu 0xf1ff
	v_cndmask_b32_e64 v23, 0, 1, s1
	v_not_b32_e32 v69, v20
	v_cmp_gt_i32_e64 s1, 0, v20
	v_not_b32_e32 v20, v21
	v_lshlrev_b32_e32 v45, 26, v17
	v_cmp_ne_u32_e32 vcc_lo, 0, v23
	v_ashrrev_i32_e32 v23, 31, v69
	v_lshlrev_b32_e32 v46, 25, v17
	v_ashrrev_i32_e32 v20, 31, v20
	v_and_b32_e32 v18, 0xff, v17
	s_wait_alu 0xfffd
	v_xor_b32_e32 v19, vcc_lo, v19
	v_cmp_gt_i32_e32 vcc_lo, 0, v21
	v_not_b32_e32 v21, v22
	s_wait_alu 0xf1ff
	v_xor_b32_e32 v23, s1, v23
	v_cmp_gt_i32_e64 s1, 0, v22
	v_and_b32_e32 v19, exec_lo, v19
	v_not_b32_e32 v22, v40
	v_ashrrev_i32_e32 v21, 31, v21
	s_wait_alu 0xfffd
	v_xor_b32_e32 v20, vcc_lo, v20
	v_cmp_gt_i32_e32 vcc_lo, 0, v40
	v_and_b32_e32 v19, v19, v23
	v_not_b32_e32 v23, v45
	v_ashrrev_i32_e32 v22, 31, v22
	s_wait_alu 0xf1ff
	v_xor_b32_e32 v21, s1, v21
	v_lshlrev_b32_e32 v17, 24, v17
	v_and_b32_e32 v19, v19, v20
	v_cmp_gt_i32_e64 s1, 0, v45
	v_not_b32_e32 v20, v46
	v_ashrrev_i32_e32 v23, 31, v23
	s_wait_alu 0xfffd
	v_xor_b32_e32 v22, vcc_lo, v22
	v_and_b32_e32 v19, v19, v21
	v_cmp_gt_i32_e32 vcc_lo, 0, v46
	v_not_b32_e32 v21, v17
	v_ashrrev_i32_e32 v20, 31, v20
	s_wait_alu 0xf1ff
	v_xor_b32_e32 v23, s1, v23
	v_and_b32_e32 v19, v19, v22
	v_lshlrev_b32_e32 v18, 6, v18
	v_cmp_gt_i32_e64 s1, 0, v17
	v_ashrrev_i32_e32 v17, 31, v21
	s_wait_alu 0xfffd
	v_xor_b32_e32 v20, vcc_lo, v20
	v_and_b32_e32 v19, v19, v23
	v_add_nc_u32_e32 v46, v16, v18
	s_wait_alu 0xf1ff
	v_xor_b32_e32 v17, s1, v17
	s_delay_alu instid0(VALU_DEP_3) | instskip(SKIP_2) | instid1(VALU_DEP_1)
	v_and_b32_e32 v18, v19, v20
	ds_load_b32 v40, v46 offset:64
	; wave barrier
	v_and_b32_e32 v17, v18, v17
	v_mbcnt_lo_u32_b32 v45, v17, 0
	v_cmp_ne_u32_e64 s1, 0, v17
	s_delay_alu instid0(VALU_DEP_2)
	v_cmp_eq_u32_e32 vcc_lo, 0, v45
	s_and_b32 s10, s1, vcc_lo
	s_wait_alu 0xfffe
	s_and_saveexec_b32 s1, s10
	s_cbranch_execz .LBB110_72
; %bb.71:
	s_wait_dscnt 0x0
	v_bcnt_u32_b32 v17, v17, v40
	ds_store_b32 v46, v17 offset:64
.LBB110_72:
	s_wait_alu 0xfffe
	s_or_b32 exec_lo, exec_lo, s1
	v_and_b32_e32 v17, s9, v28
	; wave barrier
	s_delay_alu instid0(VALU_DEP_1)
	v_and_b32_e32 v19, 1, v17
	v_lshlrev_b32_e32 v20, 30, v17
	v_lshlrev_b32_e32 v21, 29, v17
	;; [unrolled: 1-line block ×4, first 2 shown]
	v_add_co_u32 v19, s1, v19, -1
	s_wait_alu 0xf1ff
	v_cndmask_b32_e64 v23, 0, 1, s1
	v_not_b32_e32 v72, v20
	v_cmp_gt_i32_e64 s1, 0, v20
	v_not_b32_e32 v20, v21
	v_lshlrev_b32_e32 v70, 26, v17
	v_cmp_ne_u32_e32 vcc_lo, 0, v23
	v_ashrrev_i32_e32 v23, 31, v72
	v_lshlrev_b32_e32 v71, 25, v17
	v_ashrrev_i32_e32 v20, 31, v20
	v_and_b32_e32 v18, 0xff, v17
	s_wait_alu 0xfffd
	v_xor_b32_e32 v19, vcc_lo, v19
	v_cmp_gt_i32_e32 vcc_lo, 0, v21
	v_not_b32_e32 v21, v22
	s_wait_alu 0xf1ff
	v_xor_b32_e32 v23, s1, v23
	v_cmp_gt_i32_e64 s1, 0, v22
	v_and_b32_e32 v19, exec_lo, v19
	v_not_b32_e32 v22, v69
	v_ashrrev_i32_e32 v21, 31, v21
	s_wait_alu 0xfffd
	v_xor_b32_e32 v20, vcc_lo, v20
	v_cmp_gt_i32_e32 vcc_lo, 0, v69
	v_and_b32_e32 v19, v19, v23
	v_not_b32_e32 v23, v70
	v_ashrrev_i32_e32 v22, 31, v22
	s_wait_alu 0xf1ff
	v_xor_b32_e32 v21, s1, v21
	v_lshlrev_b32_e32 v17, 24, v17
	v_and_b32_e32 v19, v19, v20
	v_cmp_gt_i32_e64 s1, 0, v70
	v_not_b32_e32 v20, v71
	v_ashrrev_i32_e32 v23, 31, v23
	s_wait_alu 0xfffd
	v_xor_b32_e32 v22, vcc_lo, v22
	v_and_b32_e32 v19, v19, v21
	v_cmp_gt_i32_e32 vcc_lo, 0, v71
	v_not_b32_e32 v21, v17
	v_ashrrev_i32_e32 v20, 31, v20
	s_wait_alu 0xf1ff
	v_xor_b32_e32 v23, s1, v23
	v_and_b32_e32 v19, v19, v22
	v_lshlrev_b32_e32 v18, 6, v18
	v_cmp_gt_i32_e64 s1, 0, v17
	v_ashrrev_i32_e32 v17, 31, v21
	s_wait_alu 0xfffd
	v_xor_b32_e32 v20, vcc_lo, v20
	v_and_b32_e32 v19, v19, v23
	v_add_nc_u32_e32 v71, v16, v18
	s_wait_alu 0xf1ff
	v_xor_b32_e32 v17, s1, v17
	s_delay_alu instid0(VALU_DEP_3) | instskip(SKIP_2) | instid1(VALU_DEP_1)
	v_and_b32_e32 v18, v19, v20
	ds_load_b32 v69, v71 offset:64
	; wave barrier
	v_and_b32_e32 v17, v18, v17
	v_mbcnt_lo_u32_b32 v70, v17, 0
	v_cmp_ne_u32_e64 s1, 0, v17
	s_delay_alu instid0(VALU_DEP_2)
	v_cmp_eq_u32_e32 vcc_lo, 0, v70
	s_and_b32 s10, s1, vcc_lo
	s_wait_alu 0xfffe
	s_and_saveexec_b32 s1, s10
	s_cbranch_execz .LBB110_74
; %bb.73:
	s_wait_dscnt 0x0
	v_bcnt_u32_b32 v17, v17, v69
	ds_store_b32 v71, v17 offset:64
.LBB110_74:
	s_wait_alu 0xfffe
	s_or_b32 exec_lo, exec_lo, s1
	v_and_b32_e32 v17, s9, v29
	; wave barrier
	s_delay_alu instid0(VALU_DEP_1)
	v_and_b32_e32 v19, 1, v17
	v_lshlrev_b32_e32 v20, 30, v17
	v_lshlrev_b32_e32 v21, 29, v17
	v_lshlrev_b32_e32 v22, 28, v17
	v_lshlrev_b32_e32 v72, 27, v17
	v_add_co_u32 v19, s1, v19, -1
	s_wait_alu 0xf1ff
	v_cndmask_b32_e64 v23, 0, 1, s1
	v_not_b32_e32 v75, v20
	v_cmp_gt_i32_e64 s1, 0, v20
	v_not_b32_e32 v20, v21
	v_lshlrev_b32_e32 v73, 26, v17
	v_cmp_ne_u32_e32 vcc_lo, 0, v23
	v_ashrrev_i32_e32 v23, 31, v75
	v_lshlrev_b32_e32 v74, 25, v17
	v_ashrrev_i32_e32 v20, 31, v20
	v_and_b32_e32 v18, 0xff, v17
	s_wait_alu 0xfffd
	v_xor_b32_e32 v19, vcc_lo, v19
	v_cmp_gt_i32_e32 vcc_lo, 0, v21
	v_not_b32_e32 v21, v22
	s_wait_alu 0xf1ff
	v_xor_b32_e32 v23, s1, v23
	v_cmp_gt_i32_e64 s1, 0, v22
	v_and_b32_e32 v19, exec_lo, v19
	v_not_b32_e32 v22, v72
	v_ashrrev_i32_e32 v21, 31, v21
	s_wait_alu 0xfffd
	v_xor_b32_e32 v20, vcc_lo, v20
	v_cmp_gt_i32_e32 vcc_lo, 0, v72
	v_and_b32_e32 v19, v19, v23
	v_not_b32_e32 v23, v73
	v_ashrrev_i32_e32 v22, 31, v22
	s_wait_alu 0xf1ff
	v_xor_b32_e32 v21, s1, v21
	v_lshlrev_b32_e32 v17, 24, v17
	v_and_b32_e32 v19, v19, v20
	v_cmp_gt_i32_e64 s1, 0, v73
	v_not_b32_e32 v20, v74
	v_ashrrev_i32_e32 v23, 31, v23
	s_wait_alu 0xfffd
	v_xor_b32_e32 v22, vcc_lo, v22
	v_and_b32_e32 v19, v19, v21
	v_cmp_gt_i32_e32 vcc_lo, 0, v74
	v_not_b32_e32 v21, v17
	v_ashrrev_i32_e32 v20, 31, v20
	s_wait_alu 0xf1ff
	v_xor_b32_e32 v23, s1, v23
	v_and_b32_e32 v19, v19, v22
	v_lshlrev_b32_e32 v18, 6, v18
	v_cmp_gt_i32_e64 s1, 0, v17
	v_ashrrev_i32_e32 v17, 31, v21
	s_wait_alu 0xfffd
	v_xor_b32_e32 v20, vcc_lo, v20
	v_and_b32_e32 v19, v19, v23
	v_add_nc_u32_e32 v74, v16, v18
	s_wait_alu 0xf1ff
	v_xor_b32_e32 v17, s1, v17
	s_delay_alu instid0(VALU_DEP_3) | instskip(SKIP_2) | instid1(VALU_DEP_1)
	v_and_b32_e32 v18, v19, v20
	ds_load_b32 v72, v74 offset:64
	; wave barrier
	v_and_b32_e32 v17, v18, v17
	v_mbcnt_lo_u32_b32 v73, v17, 0
	v_cmp_ne_u32_e64 s1, 0, v17
	s_delay_alu instid0(VALU_DEP_2)
	v_cmp_eq_u32_e32 vcc_lo, 0, v73
	s_and_b32 s10, s1, vcc_lo
	s_wait_alu 0xfffe
	s_and_saveexec_b32 s1, s10
	s_cbranch_execz .LBB110_76
; %bb.75:
	s_wait_dscnt 0x0
	v_bcnt_u32_b32 v17, v17, v72
	ds_store_b32 v74, v17 offset:64
.LBB110_76:
	s_wait_alu 0xfffe
	s_or_b32 exec_lo, exec_lo, s1
	v_and_b32_e32 v17, s9, v30
	; wave barrier
	s_delay_alu instid0(VALU_DEP_1)
	v_and_b32_e32 v19, 1, v17
	v_lshlrev_b32_e32 v20, 30, v17
	v_lshlrev_b32_e32 v21, 29, v17
	;; [unrolled: 1-line block ×4, first 2 shown]
	v_add_co_u32 v19, s1, v19, -1
	s_wait_alu 0xf1ff
	v_cndmask_b32_e64 v23, 0, 1, s1
	v_not_b32_e32 v78, v20
	v_cmp_gt_i32_e64 s1, 0, v20
	v_not_b32_e32 v20, v21
	v_lshlrev_b32_e32 v76, 26, v17
	v_cmp_ne_u32_e32 vcc_lo, 0, v23
	v_ashrrev_i32_e32 v23, 31, v78
	v_lshlrev_b32_e32 v77, 25, v17
	v_ashrrev_i32_e32 v20, 31, v20
	v_and_b32_e32 v18, 0xff, v17
	s_wait_alu 0xfffd
	v_xor_b32_e32 v19, vcc_lo, v19
	v_cmp_gt_i32_e32 vcc_lo, 0, v21
	v_not_b32_e32 v21, v22
	s_wait_alu 0xf1ff
	v_xor_b32_e32 v23, s1, v23
	v_cmp_gt_i32_e64 s1, 0, v22
	v_and_b32_e32 v19, exec_lo, v19
	v_not_b32_e32 v22, v75
	v_ashrrev_i32_e32 v21, 31, v21
	s_wait_alu 0xfffd
	v_xor_b32_e32 v20, vcc_lo, v20
	v_cmp_gt_i32_e32 vcc_lo, 0, v75
	v_and_b32_e32 v19, v19, v23
	v_not_b32_e32 v23, v76
	v_ashrrev_i32_e32 v22, 31, v22
	s_wait_alu 0xf1ff
	v_xor_b32_e32 v21, s1, v21
	v_lshlrev_b32_e32 v17, 24, v17
	v_and_b32_e32 v19, v19, v20
	v_cmp_gt_i32_e64 s1, 0, v76
	v_not_b32_e32 v20, v77
	v_ashrrev_i32_e32 v23, 31, v23
	s_wait_alu 0xfffd
	v_xor_b32_e32 v22, vcc_lo, v22
	v_and_b32_e32 v19, v19, v21
	v_cmp_gt_i32_e32 vcc_lo, 0, v77
	v_not_b32_e32 v21, v17
	v_ashrrev_i32_e32 v20, 31, v20
	s_wait_alu 0xf1ff
	v_xor_b32_e32 v23, s1, v23
	v_and_b32_e32 v19, v19, v22
	v_lshlrev_b32_e32 v18, 6, v18
	v_cmp_gt_i32_e64 s1, 0, v17
	v_ashrrev_i32_e32 v17, 31, v21
	s_wait_alu 0xfffd
	v_xor_b32_e32 v20, vcc_lo, v20
	v_and_b32_e32 v19, v19, v23
	v_add_nc_u32_e32 v77, v16, v18
	s_wait_alu 0xf1ff
	v_xor_b32_e32 v17, s1, v17
	s_delay_alu instid0(VALU_DEP_3) | instskip(SKIP_2) | instid1(VALU_DEP_1)
	v_and_b32_e32 v18, v19, v20
	ds_load_b32 v75, v77 offset:64
	; wave barrier
	v_and_b32_e32 v17, v18, v17
	v_mbcnt_lo_u32_b32 v76, v17, 0
	v_cmp_ne_u32_e64 s1, 0, v17
	s_delay_alu instid0(VALU_DEP_2)
	v_cmp_eq_u32_e32 vcc_lo, 0, v76
	s_and_b32 s10, s1, vcc_lo
	s_wait_alu 0xfffe
	s_and_saveexec_b32 s1, s10
	s_cbranch_execz .LBB110_78
; %bb.77:
	s_wait_dscnt 0x0
	v_bcnt_u32_b32 v17, v17, v75
	ds_store_b32 v77, v17 offset:64
.LBB110_78:
	s_wait_alu 0xfffe
	s_or_b32 exec_lo, exec_lo, s1
	v_and_b32_e32 v17, s9, v31
	; wave barrier
	s_delay_alu instid0(VALU_DEP_1)
	v_and_b32_e32 v19, 1, v17
	v_lshlrev_b32_e32 v20, 30, v17
	v_lshlrev_b32_e32 v21, 29, v17
	;; [unrolled: 1-line block ×4, first 2 shown]
	v_add_co_u32 v19, s1, v19, -1
	s_wait_alu 0xf1ff
	v_cndmask_b32_e64 v23, 0, 1, s1
	v_not_b32_e32 v81, v20
	v_cmp_gt_i32_e64 s1, 0, v20
	v_not_b32_e32 v20, v21
	v_lshlrev_b32_e32 v79, 26, v17
	v_cmp_ne_u32_e32 vcc_lo, 0, v23
	v_ashrrev_i32_e32 v23, 31, v81
	v_lshlrev_b32_e32 v80, 25, v17
	v_ashrrev_i32_e32 v20, 31, v20
	v_and_b32_e32 v18, 0xff, v17
	s_wait_alu 0xfffd
	v_xor_b32_e32 v19, vcc_lo, v19
	v_cmp_gt_i32_e32 vcc_lo, 0, v21
	v_not_b32_e32 v21, v22
	s_wait_alu 0xf1ff
	v_xor_b32_e32 v23, s1, v23
	v_cmp_gt_i32_e64 s1, 0, v22
	v_and_b32_e32 v19, exec_lo, v19
	v_not_b32_e32 v22, v78
	v_ashrrev_i32_e32 v21, 31, v21
	s_wait_alu 0xfffd
	v_xor_b32_e32 v20, vcc_lo, v20
	v_cmp_gt_i32_e32 vcc_lo, 0, v78
	v_and_b32_e32 v19, v19, v23
	v_not_b32_e32 v23, v79
	v_ashrrev_i32_e32 v22, 31, v22
	s_wait_alu 0xf1ff
	v_xor_b32_e32 v21, s1, v21
	v_lshlrev_b32_e32 v17, 24, v17
	v_and_b32_e32 v19, v19, v20
	v_cmp_gt_i32_e64 s1, 0, v79
	v_not_b32_e32 v20, v80
	v_ashrrev_i32_e32 v23, 31, v23
	s_wait_alu 0xfffd
	v_xor_b32_e32 v22, vcc_lo, v22
	v_and_b32_e32 v19, v19, v21
	v_cmp_gt_i32_e32 vcc_lo, 0, v80
	v_not_b32_e32 v21, v17
	v_ashrrev_i32_e32 v20, 31, v20
	s_wait_alu 0xf1ff
	v_xor_b32_e32 v23, s1, v23
	v_and_b32_e32 v19, v19, v22
	v_lshlrev_b32_e32 v18, 6, v18
	v_cmp_gt_i32_e64 s1, 0, v17
	v_ashrrev_i32_e32 v17, 31, v21
	s_wait_alu 0xfffd
	v_xor_b32_e32 v20, vcc_lo, v20
	v_and_b32_e32 v19, v19, v23
	v_add_nc_u32_e32 v80, v16, v18
	s_wait_alu 0xf1ff
	v_xor_b32_e32 v16, s1, v17
	s_delay_alu instid0(VALU_DEP_3) | instskip(SKIP_2) | instid1(VALU_DEP_1)
	v_and_b32_e32 v17, v19, v20
	ds_load_b32 v78, v80 offset:64
	; wave barrier
	v_and_b32_e32 v16, v17, v16
	v_mbcnt_lo_u32_b32 v79, v16, 0
	v_cmp_ne_u32_e64 s1, 0, v16
	s_delay_alu instid0(VALU_DEP_2)
	v_cmp_eq_u32_e32 vcc_lo, 0, v79
	s_and_b32 s9, s1, vcc_lo
	s_wait_alu 0xfffe
	s_and_saveexec_b32 s1, s9
	s_cbranch_execz .LBB110_80
; %bb.79:
	s_wait_dscnt 0x0
	v_bcnt_u32_b32 v16, v16, v78
	ds_store_b32 v80, v16 offset:64
.LBB110_80:
	s_wait_alu 0xfffe
	s_or_b32 exec_lo, exec_lo, s1
	; wave barrier
	s_wait_loadcnt_dscnt 0x0
	s_barrier_signal -1
	s_barrier_wait -1
	global_inv scope:SCOPE_SE
	ds_load_b128 v[20:23], v66 offset:64
	ds_load_b128 v[16:19], v66 offset:80
	v_min_u32_e32 v68, 0x1e0, v68
	s_mov_b32 s12, exec_lo
	s_delay_alu instid0(VALU_DEP_1) | instskip(SKIP_2) | instid1(VALU_DEP_1)
	v_or_b32_e32 v68, 31, v68
	s_wait_dscnt 0x1
	v_add_nc_u32_e32 v81, v21, v20
	v_add3_u32 v81, v81, v22, v23
	s_wait_dscnt 0x0
	s_delay_alu instid0(VALU_DEP_1) | instskip(NEXT) | instid1(VALU_DEP_1)
	v_add3_u32 v81, v81, v16, v17
	v_add3_u32 v19, v81, v18, v19
	v_and_b32_e32 v81, 15, v67
	s_delay_alu instid0(VALU_DEP_2) | instskip(NEXT) | instid1(VALU_DEP_2)
	v_mov_b32_dpp v82, v19 row_shr:1 row_mask:0xf bank_mask:0xf
	v_cmp_eq_u32_e32 vcc_lo, 0, v81
	v_cmp_lt_u32_e64 s1, 1, v81
	v_cmp_lt_u32_e64 s9, 3, v81
	;; [unrolled: 1-line block ×3, first 2 shown]
	s_wait_alu 0xfffd
	v_cndmask_b32_e64 v82, v82, 0, vcc_lo
	s_delay_alu instid0(VALU_DEP_1) | instskip(NEXT) | instid1(VALU_DEP_1)
	v_add_nc_u32_e32 v19, v82, v19
	v_mov_b32_dpp v82, v19 row_shr:2 row_mask:0xf bank_mask:0xf
	s_wait_alu 0xf1ff
	s_delay_alu instid0(VALU_DEP_1) | instskip(NEXT) | instid1(VALU_DEP_1)
	v_cndmask_b32_e64 v82, 0, v82, s1
	v_add_nc_u32_e32 v19, v19, v82
	s_delay_alu instid0(VALU_DEP_1) | instskip(NEXT) | instid1(VALU_DEP_1)
	v_mov_b32_dpp v82, v19 row_shr:4 row_mask:0xf bank_mask:0xf
	v_cndmask_b32_e64 v82, 0, v82, s9
	s_delay_alu instid0(VALU_DEP_1) | instskip(NEXT) | instid1(VALU_DEP_1)
	v_add_nc_u32_e32 v19, v19, v82
	v_mov_b32_dpp v82, v19 row_shr:8 row_mask:0xf bank_mask:0xf
	s_delay_alu instid0(VALU_DEP_1) | instskip(SKIP_1) | instid1(VALU_DEP_2)
	v_cndmask_b32_e64 v81, 0, v82, s10
	v_bfe_i32 v82, v67, 4, 1
	v_add_nc_u32_e32 v19, v19, v81
	ds_swizzle_b32 v81, v19 offset:swizzle(BROADCAST,32,15)
	s_wait_dscnt 0x0
	v_and_b32_e32 v81, v82, v81
	s_delay_alu instid0(VALU_DEP_1)
	v_add_nc_u32_e32 v19, v19, v81
	v_cmpx_eq_u32_e64 v44, v68
; %bb.81:
	v_lshlrev_b32_e32 v68, 2, v65
	ds_store_b32 v68, v19
; %bb.82:
	s_wait_alu 0xfffe
	s_or_b32 exec_lo, exec_lo, s12
	s_delay_alu instid0(SALU_CYCLE_1)
	s_mov_b32 s12, exec_lo
	s_wait_loadcnt_dscnt 0x0
	s_barrier_signal -1
	s_barrier_wait -1
	global_inv scope:SCOPE_SE
	v_cmpx_gt_u32_e32 16, v44
	s_cbranch_execz .LBB110_84
; %bb.83:
	v_lshlrev_b32_e32 v68, 2, v44
	ds_load_b32 v81, v68
	s_wait_dscnt 0x0
	v_mov_b32_dpp v82, v81 row_shr:1 row_mask:0xf bank_mask:0xf
	s_delay_alu instid0(VALU_DEP_1) | instskip(NEXT) | instid1(VALU_DEP_1)
	v_cndmask_b32_e64 v82, v82, 0, vcc_lo
	v_add_nc_u32_e32 v81, v82, v81
	s_delay_alu instid0(VALU_DEP_1) | instskip(NEXT) | instid1(VALU_DEP_1)
	v_mov_b32_dpp v82, v81 row_shr:2 row_mask:0xf bank_mask:0xf
	v_cndmask_b32_e64 v82, 0, v82, s1
	s_delay_alu instid0(VALU_DEP_1) | instskip(NEXT) | instid1(VALU_DEP_1)
	v_add_nc_u32_e32 v81, v81, v82
	v_mov_b32_dpp v82, v81 row_shr:4 row_mask:0xf bank_mask:0xf
	s_delay_alu instid0(VALU_DEP_1) | instskip(NEXT) | instid1(VALU_DEP_1)
	v_cndmask_b32_e64 v82, 0, v82, s9
	v_add_nc_u32_e32 v81, v81, v82
	s_delay_alu instid0(VALU_DEP_1) | instskip(NEXT) | instid1(VALU_DEP_1)
	v_mov_b32_dpp v82, v81 row_shr:8 row_mask:0xf bank_mask:0xf
	v_cndmask_b32_e64 v82, 0, v82, s10
	s_delay_alu instid0(VALU_DEP_1)
	v_add_nc_u32_e32 v81, v81, v82
	ds_store_b32 v68, v81
.LBB110_84:
	s_wait_alu 0xfffe
	s_or_b32 exec_lo, exec_lo, s12
	v_mov_b32_e32 v68, 0
	s_mov_b32 s1, exec_lo
	s_wait_loadcnt_dscnt 0x0
	s_barrier_signal -1
	s_barrier_wait -1
	global_inv scope:SCOPE_SE
	v_cmpx_lt_u32_e32 31, v44
; %bb.85:
	v_lshl_add_u32 v65, v65, 2, -4
	ds_load_b32 v68, v65
; %bb.86:
	s_wait_alu 0xfffe
	s_or_b32 exec_lo, exec_lo, s1
	v_sub_co_u32 v65, vcc_lo, v67, 1
	s_wait_dscnt 0x0
	v_add_nc_u32_e32 v19, v68, v19
	s_delay_alu instid0(VALU_DEP_2) | instskip(SKIP_1) | instid1(VALU_DEP_1)
	v_cmp_gt_i32_e64 s1, 0, v65
	s_wait_alu 0xf1ff
	v_cndmask_b32_e64 v65, v65, v67, s1
	s_delay_alu instid0(VALU_DEP_1)
	v_lshlrev_b32_e32 v65, 2, v65
	ds_bpermute_b32 v19, v65, v19
	s_wait_dscnt 0x0
	s_wait_alu 0xfffd
	v_cndmask_b32_e32 v19, v19, v68, vcc_lo
	v_cmp_ne_u32_e32 vcc_lo, 0, v44
	s_wait_alu 0xfffd
	s_delay_alu instid0(VALU_DEP_2) | instskip(NEXT) | instid1(VALU_DEP_1)
	v_cndmask_b32_e32 v19, 0, v19, vcc_lo
	v_add_nc_u32_e32 v20, v19, v20
	s_delay_alu instid0(VALU_DEP_1) | instskip(NEXT) | instid1(VALU_DEP_1)
	v_add_nc_u32_e32 v21, v20, v21
	v_add_nc_u32_e32 v22, v21, v22
	s_delay_alu instid0(VALU_DEP_1) | instskip(NEXT) | instid1(VALU_DEP_1)
	v_add_nc_u32_e32 v81, v22, v23
	;; [unrolled: 3-line block ×3, first 2 shown]
	v_add_nc_u32_e32 v84, v83, v18
	ds_store_b128 v66, v[19:22] offset:64
	ds_store_b128 v66, v[81:84] offset:80
	s_wait_loadcnt_dscnt 0x0
	s_barrier_signal -1
	s_barrier_wait -1
	global_inv scope:SCOPE_SE
	ds_load_b32 v16, v33 offset:64
	ds_load_b32 v17, v36 offset:64
	;; [unrolled: 1-line block ×8, first 2 shown]
	s_wait_loadcnt_dscnt 0x0
	s_barrier_signal -1
	s_barrier_wait -1
	global_inv scope:SCOPE_SE
	v_mad_u32_u24 v36, v44, 56, v60
	v_add_nc_u32_e32 v16, v16, v32
	v_add3_u32 v17, v35, v34, v17
	v_add3_u32 v18, v38, v37, v18
	;; [unrolled: 1-line block ×7, first 2 shown]
	ds_store_b8 v16, v24
	ds_store_b8 v17, v25
	;; [unrolled: 1-line block ×8, first 2 shown]
	s_wait_loadcnt_dscnt 0x0
	s_barrier_signal -1
	s_barrier_wait -1
	global_inv scope:SCOPE_SE
	ds_load_b64 v[33:34], v60
	v_lshlrev_b32_e32 v16, 3, v16
	v_lshlrev_b32_e32 v17, 3, v17
	v_lshlrev_b32_e32 v18, 3, v18
	v_lshlrev_b32_e32 v19, 3, v19
	v_lshlrev_b32_e32 v20, 3, v20
	v_lshlrev_b32_e32 v21, 3, v21
	v_lshlrev_b32_e32 v22, 3, v22
	v_lshlrev_b32_e32 v23, 3, v23
	s_wait_loadcnt_dscnt 0x0
	s_barrier_signal -1
	s_barrier_wait -1
	global_inv scope:SCOPE_SE
	ds_store_b64 v16, v[12:13]
	ds_store_b64 v17, v[14:15]
	;; [unrolled: 1-line block ×8, first 2 shown]
	s_wait_loadcnt_dscnt 0x0
	s_barrier_signal -1
	s_barrier_wait -1
	global_inv scope:SCOPE_SE
	ds_load_b128 v[21:24], v36
	ds_load_b128 v[17:20], v36 offset:16
	ds_load_b128 v[29:32], v36 offset:32
	;; [unrolled: 1-line block ×3, first 2 shown]
	v_lshrrev_b32_e32 v0, 16, v33
	v_lshrrev_b32_e32 v3, 16, v34
	v_and_b32_e32 v1, 0xffffff00, v33
	v_xor_b32_e32 v2, 0x7f, v33
	v_and_b32_e32 v4, 0xffffff00, v34
	v_xor_b32_e32 v5, 0x7f, v34
	;; [unrolled: 2-line block ×4, first 2 shown]
	v_xor_b32_e32 v1, 0x7f00, v1
	v_and_b32_e32 v2, 0xff, v2
	v_xor_b32_e32 v4, 0x7f00, v4
	v_and_b32_e32 v5, 0xff, v5
	v_xor_b32_e32 v6, 0x7f00, v6
	v_and_b32_e32 v0, 0xff, v0
	v_xor_b32_e32 v7, 0x7f00, v7
	v_and_b32_e32 v3, 0xff, v3
	v_or_b32_e32 v1, v2, v1
	v_or_b32_e32 v2, v5, v4
	;; [unrolled: 1-line block ×3, first 2 shown]
	s_delay_alu instid0(VALU_DEP_4) | instskip(NEXT) | instid1(VALU_DEP_4)
	v_or_b32_e32 v3, v3, v7
	v_and_b32_e32 v1, 0xffff, v1
	s_delay_alu instid0(VALU_DEP_4) | instskip(NEXT) | instid1(VALU_DEP_4)
	v_and_b32_e32 v2, 0xffff, v2
	v_lshlrev_b32_e32 v0, 16, v0
	s_delay_alu instid0(VALU_DEP_4) | instskip(NEXT) | instid1(VALU_DEP_2)
	v_lshlrev_b32_e32 v3, 16, v3
	v_or_b32_e32 v0, v1, v0
	s_delay_alu instid0(VALU_DEP_2)
	v_or_b32_e32 v33, v2, v3
.LBB110_87:
	s_wait_loadcnt_dscnt 0x0
	s_barrier_signal -1
	s_barrier_wait -1
	global_inv scope:SCOPE_SE
	ds_store_2addr_b32 v56, v0, v33 offset1:1
	s_wait_loadcnt_dscnt 0x0
	s_barrier_signal -1
	s_barrier_wait -1
	global_inv scope:SCOPE_SE
	ds_load_u8 v8, v49 offset:512
	ds_load_u8 v7, v50 offset:1024
	;; [unrolled: 1-line block ×7, first 2 shown]
	v_add_co_u32 v0, s1, s22, v47
	s_wait_alu 0xf1ff
	v_add_co_ci_u32_e64 v1, null, s23, 0, s1
	s_and_saveexec_b32 s1, s2
	s_cbranch_execnz .LBB110_106
; %bb.88:
	s_wait_alu 0xfffe
	s_or_b32 exec_lo, exec_lo, s1
	s_and_saveexec_b32 s1, s3
	s_cbranch_execnz .LBB110_107
.LBB110_89:
	s_wait_alu 0xfffe
	s_or_b32 exec_lo, exec_lo, s1
	s_and_saveexec_b32 s1, s4
	s_cbranch_execnz .LBB110_108
.LBB110_90:
	s_wait_alu 0xfffe
	s_or_b32 exec_lo, exec_lo, s1
	s_and_saveexec_b32 s1, s5
	s_cbranch_execnz .LBB110_109
.LBB110_91:
	s_wait_alu 0xfffe
	s_or_b32 exec_lo, exec_lo, s1
	s_and_saveexec_b32 s1, s6
	s_cbranch_execnz .LBB110_110
.LBB110_92:
	s_wait_alu 0xfffe
	s_or_b32 exec_lo, exec_lo, s1
	s_and_saveexec_b32 s1, s7
	s_cbranch_execnz .LBB110_111
.LBB110_93:
	s_wait_alu 0xfffe
	s_or_b32 exec_lo, exec_lo, s1
	s_and_saveexec_b32 s1, s8
	s_cbranch_execnz .LBB110_112
.LBB110_94:
	s_wait_alu 0xfffe
	s_or_b32 exec_lo, exec_lo, s1
	s_and_saveexec_b32 s1, s0
	s_cbranch_execz .LBB110_96
.LBB110_95:
	s_mul_i32 s9, s18, 0xe00
	s_wait_alu 0xfffe
	v_add_co_u32 v0, vcc_lo, v0, s9
	s_wait_alu 0xfffd
	v_add_co_ci_u32_e64 v1, null, 0, v1, vcc_lo
	s_wait_dscnt 0x0
	global_store_b8 v[0:1], v2, off
.LBB110_96:
	s_wait_alu 0xfffe
	s_or_b32 exec_lo, exec_lo, s1
	s_wait_storecnt 0x0
	s_wait_loadcnt_dscnt 0x0
	s_barrier_signal -1
	s_barrier_wait -1
	global_inv scope:SCOPE_SE
	ds_store_2addr_b64 v64, v[21:22], v[23:24] offset1:1
	ds_store_2addr_b64 v64, v[17:18], v[19:20] offset0:2 offset1:3
	ds_store_2addr_b64 v64, v[29:30], v[31:32] offset0:4 offset1:5
	;; [unrolled: 1-line block ×3, first 2 shown]
	s_wait_loadcnt_dscnt 0x0
	s_barrier_signal -1
	s_barrier_wait -1
	global_inv scope:SCOPE_SE
	ds_load_b64 v[14:15], v58 offset:4096
	ds_load_b64 v[12:13], v59 offset:8192
	;; [unrolled: 1-line block ×7, first 2 shown]
	v_mov_b32_e32 v42, 0
	s_delay_alu instid0(VALU_DEP_1) | instskip(NEXT) | instid1(VALU_DEP_1)
	v_lshlrev_b64_e32 v[2:3], 3, v[41:42]
	v_add_co_u32 v2, vcc_lo, s16, v2
	s_wait_alu 0xfffd
	s_delay_alu instid0(VALU_DEP_2)
	v_add_co_ci_u32_e64 v3, null, s17, v3, vcc_lo
	s_and_saveexec_b32 s1, s2
	s_cbranch_execnz .LBB110_113
; %bb.97:
	s_wait_alu 0xfffe
	s_or_b32 exec_lo, exec_lo, s1
	s_and_saveexec_b32 s1, s3
	s_cbranch_execnz .LBB110_114
.LBB110_98:
	s_wait_alu 0xfffe
	s_or_b32 exec_lo, exec_lo, s1
	s_and_saveexec_b32 s1, s4
	s_cbranch_execnz .LBB110_115
.LBB110_99:
	s_wait_alu 0xfffe
	s_or_b32 exec_lo, exec_lo, s1
	s_and_saveexec_b32 s1, s5
	s_cbranch_execnz .LBB110_116
.LBB110_100:
	s_wait_alu 0xfffe
	s_or_b32 exec_lo, exec_lo, s1
	s_and_saveexec_b32 s1, s6
	s_cbranch_execnz .LBB110_117
.LBB110_101:
	s_wait_alu 0xfffe
	s_or_b32 exec_lo, exec_lo, s1
	s_and_saveexec_b32 s1, s7
	s_cbranch_execnz .LBB110_118
.LBB110_102:
	s_wait_alu 0xfffe
	s_or_b32 exec_lo, exec_lo, s1
	s_and_saveexec_b32 s1, s8
	s_cbranch_execnz .LBB110_119
.LBB110_103:
	s_wait_alu 0xfffe
	s_or_b32 exec_lo, exec_lo, s1
	s_and_saveexec_b32 s1, s0
	s_cbranch_execz .LBB110_105
.LBB110_104:
	s_mul_i32 s0, s20, 0xe00
	s_mov_b32 s1, 0
	s_wait_alu 0xfffe
	s_lshl_b64 s[0:1], s[0:1], 3
	s_wait_alu 0xfffe
	v_add_co_u32 v2, vcc_lo, v2, s0
	s_wait_alu 0xfffd
	v_add_co_ci_u32_e64 v3, null, s1, v3, vcc_lo
	s_wait_dscnt 0x0
	global_store_b64 v[2:3], v[0:1], off
.LBB110_105:
	s_nop 0
	s_sendmsg sendmsg(MSG_DEALLOC_VGPRS)
	s_endpgm
.LBB110_106:
	ds_load_u8 v9, v48
	s_wait_dscnt 0x0
	global_store_b8 v[0:1], v9, off
	s_wait_alu 0xfffe
	s_or_b32 exec_lo, exec_lo, s1
	s_and_saveexec_b32 s1, s3
	s_cbranch_execz .LBB110_89
.LBB110_107:
	s_lshl_b32 s9, s18, 9
	s_wait_alu 0xfffe
	v_add_co_u32 v9, vcc_lo, v0, s9
	s_wait_alu 0xfffd
	v_add_co_ci_u32_e64 v10, null, 0, v1, vcc_lo
	s_wait_dscnt 0x6
	global_store_b8 v[9:10], v8, off
	s_or_b32 exec_lo, exec_lo, s1
	s_and_saveexec_b32 s1, s4
	s_cbranch_execz .LBB110_90
.LBB110_108:
	s_lshl_b32 s9, s18, 10
	s_wait_dscnt 0x6
	s_wait_alu 0xfffe
	v_add_co_u32 v8, vcc_lo, v0, s9
	s_wait_alu 0xfffd
	v_add_co_ci_u32_e64 v9, null, 0, v1, vcc_lo
	s_wait_dscnt 0x5
	global_store_b8 v[8:9], v7, off
	s_or_b32 exec_lo, exec_lo, s1
	s_and_saveexec_b32 s1, s5
	s_cbranch_execz .LBB110_91
.LBB110_109:
	s_mul_i32 s9, s18, 0x600
	s_wait_dscnt 0x5
	s_wait_alu 0xfffe
	v_add_co_u32 v7, vcc_lo, v0, s9
	s_wait_alu 0xfffd
	v_add_co_ci_u32_e64 v8, null, 0, v1, vcc_lo
	s_wait_dscnt 0x4
	global_store_b8 v[7:8], v6, off
	s_or_b32 exec_lo, exec_lo, s1
	s_and_saveexec_b32 s1, s6
	s_cbranch_execz .LBB110_92
.LBB110_110:
	s_lshl_b32 s9, s18, 11
	s_wait_dscnt 0x4
	s_wait_alu 0xfffe
	v_add_co_u32 v6, vcc_lo, v0, s9
	s_wait_alu 0xfffd
	v_add_co_ci_u32_e64 v7, null, 0, v1, vcc_lo
	s_wait_dscnt 0x3
	global_store_b8 v[6:7], v5, off
	s_or_b32 exec_lo, exec_lo, s1
	s_and_saveexec_b32 s1, s7
	s_cbranch_execz .LBB110_93
.LBB110_111:
	s_mul_i32 s9, s18, 0xa00
	s_wait_dscnt 0x3
	s_wait_alu 0xfffe
	v_add_co_u32 v5, vcc_lo, v0, s9
	s_wait_alu 0xfffd
	v_add_co_ci_u32_e64 v6, null, 0, v1, vcc_lo
	s_wait_dscnt 0x2
	global_store_b8 v[5:6], v4, off
	s_or_b32 exec_lo, exec_lo, s1
	s_and_saveexec_b32 s1, s8
	s_cbranch_execz .LBB110_94
.LBB110_112:
	s_mul_i32 s9, s18, 0xc00
	s_wait_dscnt 0x2
	s_wait_alu 0xfffe
	v_add_co_u32 v4, vcc_lo, v0, s9
	s_wait_alu 0xfffd
	v_add_co_ci_u32_e64 v5, null, 0, v1, vcc_lo
	s_wait_dscnt 0x1
	global_store_b8 v[4:5], v3, off
	s_or_b32 exec_lo, exec_lo, s1
	s_and_saveexec_b32 s1, s0
	s_cbranch_execnz .LBB110_95
	s_branch .LBB110_96
.LBB110_113:
	ds_load_b64 v[16:17], v57
	s_wait_dscnt 0x0
	global_store_b64 v[2:3], v[16:17], off
	s_wait_alu 0xfffe
	s_or_b32 exec_lo, exec_lo, s1
	s_and_saveexec_b32 s1, s3
	s_cbranch_execz .LBB110_98
.LBB110_114:
	s_lshl_b32 s2, s20, 9
	s_mov_b32 s3, 0
	s_delay_alu instid0(SALU_CYCLE_1) | instskip(NEXT) | instid1(SALU_CYCLE_1)
	s_lshl_b64 s[2:3], s[2:3], 3
	v_add_co_u32 v16, vcc_lo, v2, s2
	s_wait_alu 0xfffd
	v_add_co_ci_u32_e64 v17, null, s3, v3, vcc_lo
	s_wait_dscnt 0x6
	global_store_b64 v[16:17], v[14:15], off
	s_wait_alu 0xfffe
	s_or_b32 exec_lo, exec_lo, s1
	s_and_saveexec_b32 s1, s4
	s_cbranch_execz .LBB110_99
.LBB110_115:
	s_lshl_b32 s2, s20, 10
	s_mov_b32 s3, 0
	s_wait_alu 0xfffe
	s_lshl_b64 s[2:3], s[2:3], 3
	s_wait_dscnt 0x6
	s_wait_alu 0xfffe
	v_add_co_u32 v14, vcc_lo, v2, s2
	s_wait_alu 0xfffd
	v_add_co_ci_u32_e64 v15, null, s3, v3, vcc_lo
	s_wait_dscnt 0x5
	global_store_b64 v[14:15], v[12:13], off
	s_or_b32 exec_lo, exec_lo, s1
	s_and_saveexec_b32 s1, s5
	s_cbranch_execz .LBB110_100
.LBB110_116:
	s_mul_i32 s2, s20, 0x600
	s_mov_b32 s3, 0
	s_wait_alu 0xfffe
	s_lshl_b64 s[2:3], s[2:3], 3
	s_wait_dscnt 0x5
	s_wait_alu 0xfffe
	v_add_co_u32 v12, vcc_lo, v2, s2
	s_wait_alu 0xfffd
	v_add_co_ci_u32_e64 v13, null, s3, v3, vcc_lo
	s_wait_dscnt 0x4
	global_store_b64 v[12:13], v[10:11], off
	s_or_b32 exec_lo, exec_lo, s1
	s_and_saveexec_b32 s1, s6
	s_cbranch_execz .LBB110_101
.LBB110_117:
	s_lshl_b32 s2, s20, 11
	s_mov_b32 s3, 0
	s_wait_alu 0xfffe
	s_lshl_b64 s[2:3], s[2:3], 3
	s_wait_dscnt 0x4
	s_wait_alu 0xfffe
	v_add_co_u32 v10, vcc_lo, v2, s2
	s_wait_alu 0xfffd
	v_add_co_ci_u32_e64 v11, null, s3, v3, vcc_lo
	s_wait_dscnt 0x3
	global_store_b64 v[10:11], v[8:9], off
	s_or_b32 exec_lo, exec_lo, s1
	s_and_saveexec_b32 s1, s7
	s_cbranch_execz .LBB110_102
.LBB110_118:
	s_mul_i32 s2, s20, 0xa00
	s_mov_b32 s3, 0
	s_wait_alu 0xfffe
	s_lshl_b64 s[2:3], s[2:3], 3
	s_wait_dscnt 0x3
	s_wait_alu 0xfffe
	v_add_co_u32 v8, vcc_lo, v2, s2
	s_wait_alu 0xfffd
	v_add_co_ci_u32_e64 v9, null, s3, v3, vcc_lo
	s_wait_dscnt 0x2
	global_store_b64 v[8:9], v[6:7], off
	s_or_b32 exec_lo, exec_lo, s1
	s_and_saveexec_b32 s1, s8
	s_cbranch_execz .LBB110_103
.LBB110_119:
	s_mul_i32 s2, s20, 0xc00
	s_mov_b32 s3, 0
	s_wait_alu 0xfffe
	s_lshl_b64 s[2:3], s[2:3], 3
	s_wait_dscnt 0x2
	s_wait_alu 0xfffe
	v_add_co_u32 v6, vcc_lo, v2, s2
	s_wait_alu 0xfffd
	v_add_co_ci_u32_e64 v7, null, s3, v3, vcc_lo
	s_wait_dscnt 0x1
	global_store_b64 v[6:7], v[4:5], off
	s_or_b32 exec_lo, exec_lo, s1
	s_and_saveexec_b32 s1, s0
	s_cbranch_execnz .LBB110_104
	s_branch .LBB110_105
	.section	.rodata,"a",@progbits
	.p2align	6, 0x0
	.amdhsa_kernel _ZN2at6native18radixSortKVInPlaceILin1ELin1ELi512ELi8EaljEEvNS_4cuda6detail10TensorInfoIT3_T5_EES6_S6_S6_NS4_IT4_S6_EES6_b
		.amdhsa_group_segment_fixed_size 33792
		.amdhsa_private_segment_fixed_size 0
		.amdhsa_kernarg_size 712
		.amdhsa_user_sgpr_count 2
		.amdhsa_user_sgpr_dispatch_ptr 0
		.amdhsa_user_sgpr_queue_ptr 0
		.amdhsa_user_sgpr_kernarg_segment_ptr 1
		.amdhsa_user_sgpr_dispatch_id 0
		.amdhsa_user_sgpr_private_segment_size 0
		.amdhsa_wavefront_size32 1
		.amdhsa_uses_dynamic_stack 0
		.amdhsa_enable_private_segment 0
		.amdhsa_system_sgpr_workgroup_id_x 1
		.amdhsa_system_sgpr_workgroup_id_y 1
		.amdhsa_system_sgpr_workgroup_id_z 1
		.amdhsa_system_sgpr_workgroup_info 0
		.amdhsa_system_vgpr_workitem_id 2
		.amdhsa_next_free_vgpr 114
		.amdhsa_next_free_sgpr 26
		.amdhsa_reserve_vcc 1
		.amdhsa_float_round_mode_32 0
		.amdhsa_float_round_mode_16_64 0
		.amdhsa_float_denorm_mode_32 3
		.amdhsa_float_denorm_mode_16_64 3
		.amdhsa_fp16_overflow 0
		.amdhsa_workgroup_processor_mode 1
		.amdhsa_memory_ordered 1
		.amdhsa_forward_progress 1
		.amdhsa_inst_pref_size 108
		.amdhsa_round_robin_scheduling 0
		.amdhsa_exception_fp_ieee_invalid_op 0
		.amdhsa_exception_fp_denorm_src 0
		.amdhsa_exception_fp_ieee_div_zero 0
		.amdhsa_exception_fp_ieee_overflow 0
		.amdhsa_exception_fp_ieee_underflow 0
		.amdhsa_exception_fp_ieee_inexact 0
		.amdhsa_exception_int_div_zero 0
	.end_amdhsa_kernel
	.section	.text._ZN2at6native18radixSortKVInPlaceILin1ELin1ELi512ELi8EaljEEvNS_4cuda6detail10TensorInfoIT3_T5_EES6_S6_S6_NS4_IT4_S6_EES6_b,"axG",@progbits,_ZN2at6native18radixSortKVInPlaceILin1ELin1ELi512ELi8EaljEEvNS_4cuda6detail10TensorInfoIT3_T5_EES6_S6_S6_NS4_IT4_S6_EES6_b,comdat
.Lfunc_end110:
	.size	_ZN2at6native18radixSortKVInPlaceILin1ELin1ELi512ELi8EaljEEvNS_4cuda6detail10TensorInfoIT3_T5_EES6_S6_S6_NS4_IT4_S6_EES6_b, .Lfunc_end110-_ZN2at6native18radixSortKVInPlaceILin1ELin1ELi512ELi8EaljEEvNS_4cuda6detail10TensorInfoIT3_T5_EES6_S6_S6_NS4_IT4_S6_EES6_b
                                        ; -- End function
	.set _ZN2at6native18radixSortKVInPlaceILin1ELin1ELi512ELi8EaljEEvNS_4cuda6detail10TensorInfoIT3_T5_EES6_S6_S6_NS4_IT4_S6_EES6_b.num_vgpr, 114
	.set _ZN2at6native18radixSortKVInPlaceILin1ELin1ELi512ELi8EaljEEvNS_4cuda6detail10TensorInfoIT3_T5_EES6_S6_S6_NS4_IT4_S6_EES6_b.num_agpr, 0
	.set _ZN2at6native18radixSortKVInPlaceILin1ELin1ELi512ELi8EaljEEvNS_4cuda6detail10TensorInfoIT3_T5_EES6_S6_S6_NS4_IT4_S6_EES6_b.numbered_sgpr, 26
	.set _ZN2at6native18radixSortKVInPlaceILin1ELin1ELi512ELi8EaljEEvNS_4cuda6detail10TensorInfoIT3_T5_EES6_S6_S6_NS4_IT4_S6_EES6_b.num_named_barrier, 0
	.set _ZN2at6native18radixSortKVInPlaceILin1ELin1ELi512ELi8EaljEEvNS_4cuda6detail10TensorInfoIT3_T5_EES6_S6_S6_NS4_IT4_S6_EES6_b.private_seg_size, 0
	.set _ZN2at6native18radixSortKVInPlaceILin1ELin1ELi512ELi8EaljEEvNS_4cuda6detail10TensorInfoIT3_T5_EES6_S6_S6_NS4_IT4_S6_EES6_b.uses_vcc, 1
	.set _ZN2at6native18radixSortKVInPlaceILin1ELin1ELi512ELi8EaljEEvNS_4cuda6detail10TensorInfoIT3_T5_EES6_S6_S6_NS4_IT4_S6_EES6_b.uses_flat_scratch, 0
	.set _ZN2at6native18radixSortKVInPlaceILin1ELin1ELi512ELi8EaljEEvNS_4cuda6detail10TensorInfoIT3_T5_EES6_S6_S6_NS4_IT4_S6_EES6_b.has_dyn_sized_stack, 0
	.set _ZN2at6native18radixSortKVInPlaceILin1ELin1ELi512ELi8EaljEEvNS_4cuda6detail10TensorInfoIT3_T5_EES6_S6_S6_NS4_IT4_S6_EES6_b.has_recursion, 0
	.set _ZN2at6native18radixSortKVInPlaceILin1ELin1ELi512ELi8EaljEEvNS_4cuda6detail10TensorInfoIT3_T5_EES6_S6_S6_NS4_IT4_S6_EES6_b.has_indirect_call, 0
	.section	.AMDGPU.csdata,"",@progbits
; Kernel info:
; codeLenInByte = 13816
; TotalNumSgprs: 28
; NumVgprs: 114
; ScratchSize: 0
; MemoryBound: 0
; FloatMode: 240
; IeeeMode: 1
; LDSByteSize: 33792 bytes/workgroup (compile time only)
; SGPRBlocks: 0
; VGPRBlocks: 14
; NumSGPRsForWavesPerEU: 28
; NumVGPRsForWavesPerEU: 114
; Occupancy: 12
; WaveLimiterHint : 1
; COMPUTE_PGM_RSRC2:SCRATCH_EN: 0
; COMPUTE_PGM_RSRC2:USER_SGPR: 2
; COMPUTE_PGM_RSRC2:TRAP_HANDLER: 0
; COMPUTE_PGM_RSRC2:TGID_X_EN: 1
; COMPUTE_PGM_RSRC2:TGID_Y_EN: 1
; COMPUTE_PGM_RSRC2:TGID_Z_EN: 1
; COMPUTE_PGM_RSRC2:TIDIG_COMP_CNT: 2
	.section	.text._ZN2at6native18radixSortKVInPlaceILin1ELin1ELi256ELi8EaljEEvNS_4cuda6detail10TensorInfoIT3_T5_EES6_S6_S6_NS4_IT4_S6_EES6_b,"axG",@progbits,_ZN2at6native18radixSortKVInPlaceILin1ELin1ELi256ELi8EaljEEvNS_4cuda6detail10TensorInfoIT3_T5_EES6_S6_S6_NS4_IT4_S6_EES6_b,comdat
	.protected	_ZN2at6native18radixSortKVInPlaceILin1ELin1ELi256ELi8EaljEEvNS_4cuda6detail10TensorInfoIT3_T5_EES6_S6_S6_NS4_IT4_S6_EES6_b ; -- Begin function _ZN2at6native18radixSortKVInPlaceILin1ELin1ELi256ELi8EaljEEvNS_4cuda6detail10TensorInfoIT3_T5_EES6_S6_S6_NS4_IT4_S6_EES6_b
	.globl	_ZN2at6native18radixSortKVInPlaceILin1ELin1ELi256ELi8EaljEEvNS_4cuda6detail10TensorInfoIT3_T5_EES6_S6_S6_NS4_IT4_S6_EES6_b
	.p2align	8
	.type	_ZN2at6native18radixSortKVInPlaceILin1ELin1ELi256ELi8EaljEEvNS_4cuda6detail10TensorInfoIT3_T5_EES6_S6_S6_NS4_IT4_S6_EES6_b,@function
_ZN2at6native18radixSortKVInPlaceILin1ELin1ELi256ELi8EaljEEvNS_4cuda6detail10TensorInfoIT3_T5_EES6_S6_S6_NS4_IT4_S6_EES6_b: ; @_ZN2at6native18radixSortKVInPlaceILin1ELin1ELi256ELi8EaljEEvNS_4cuda6detail10TensorInfoIT3_T5_EES6_S6_S6_NS4_IT4_S6_EES6_b
; %bb.0:
	s_clause 0x1
	s_load_b64 s[2:3], s[0:1], 0x1c8
	s_load_b96 s[8:10], s[0:1], 0xd8
	s_lshr_b32 s4, ttmp7, 16
	s_wait_kmcnt 0x0
	s_mul_i32 s3, s3, s4
	s_and_b32 s4, ttmp7, 0xffff
	s_delay_alu instid0(SALU_CYCLE_1) | instskip(NEXT) | instid1(SALU_CYCLE_1)
	s_add_co_i32 s3, s3, s4
	s_mul_i32 s2, s3, s2
	s_delay_alu instid0(SALU_CYCLE_1) | instskip(NEXT) | instid1(SALU_CYCLE_1)
	s_add_co_i32 s20, s2, ttmp9
	s_cmp_ge_u32 s20, s8
	s_cbranch_scc1 .LBB111_105
; %bb.1:
	s_load_b32 s4, s[0:1], 0xd0
	s_mov_b32 s3, 0
	s_mov_b32 s2, s20
	s_wait_kmcnt 0x0
	s_cmp_lt_i32 s4, 2
	s_cbranch_scc1 .LBB111_4
; %bb.2:
	s_add_co_i32 s2, s4, -1
	s_delay_alu instid0(SALU_CYCLE_1)
	s_lshl_b64 s[6:7], s[2:3], 2
	s_mov_b32 s2, s20
	s_add_nc_u64 s[12:13], s[0:1], s[6:7]
	s_add_co_i32 s6, s4, 1
	s_add_nc_u64 s[4:5], s[12:13], 8
.LBB111_3:                              ; =>This Inner Loop Header: Depth=1
	s_clause 0x1
	s_load_b32 s7, s[4:5], 0x0
	s_load_b32 s8, s[4:5], 0x64
	s_mov_b32 s13, s2
	s_add_nc_u64 s[4:5], s[4:5], -4
	s_wait_kmcnt 0x0
	s_cvt_f32_u32 s11, s7
	s_sub_co_i32 s12, 0, s7
	s_wait_alu 0xfffe
	s_delay_alu instid0(SALU_CYCLE_1) | instskip(NEXT) | instid1(TRANS32_DEP_1)
	v_rcp_iflag_f32_e32 v1, s11
	v_readfirstlane_b32 s11, v1
	s_mul_f32 s11, s11, 0x4f7ffffe
	s_wait_alu 0xfffe
	s_delay_alu instid0(SALU_CYCLE_2) | instskip(SKIP_1) | instid1(SALU_CYCLE_2)
	s_cvt_u32_f32 s11, s11
	s_wait_alu 0xfffe
	s_mul_i32 s12, s12, s11
	s_delay_alu instid0(SALU_CYCLE_1) | instskip(NEXT) | instid1(SALU_CYCLE_1)
	s_mul_hi_u32 s12, s11, s12
	s_add_co_i32 s11, s11, s12
	s_wait_alu 0xfffe
	s_mul_hi_u32 s2, s2, s11
	s_delay_alu instid0(SALU_CYCLE_1)
	s_mul_i32 s11, s2, s7
	s_add_co_i32 s12, s2, 1
	s_wait_alu 0xfffe
	s_sub_co_i32 s11, s13, s11
	s_wait_alu 0xfffe
	s_sub_co_i32 s14, s11, s7
	s_cmp_ge_u32 s11, s7
	s_cselect_b32 s2, s12, s2
	s_cselect_b32 s11, s14, s11
	s_add_co_i32 s12, s2, 1
	s_wait_alu 0xfffe
	s_cmp_ge_u32 s11, s7
	s_cselect_b32 s2, s12, s2
	s_add_co_i32 s6, s6, -1
	s_mul_i32 s7, s2, s7
	s_delay_alu instid0(SALU_CYCLE_1) | instskip(NEXT) | instid1(SALU_CYCLE_1)
	s_sub_co_i32 s7, s13, s7
	s_mul_i32 s7, s8, s7
	s_delay_alu instid0(SALU_CYCLE_1)
	s_add_co_i32 s3, s7, s3
	s_cmp_gt_u32 s6, 2
	s_cbranch_scc1 .LBB111_3
.LBB111_4:
	s_load_b32 s4, s[0:1], 0x1b8
	s_add_nc_u64 s[22:23], s[0:1], 0x1c8
	s_mov_b32 s13, 0
	s_wait_kmcnt 0x0
	s_cmp_lt_i32 s4, 2
	s_cbranch_scc1 .LBB111_7
; %bb.5:
	s_add_co_i32 s12, s4, -1
	s_delay_alu instid0(SALU_CYCLE_1) | instskip(NEXT) | instid1(SALU_CYCLE_1)
	s_lshl_b64 s[6:7], s[12:13], 2
	s_add_nc_u64 s[14:15], s[0:1], s[6:7]
	s_add_co_i32 s6, s4, 1
	s_add_nc_u64 s[4:5], s[14:15], 0xf0
.LBB111_6:                              ; =>This Inner Loop Header: Depth=1
	s_clause 0x1
	s_load_b32 s7, s[4:5], 0x0
	s_load_b32 s8, s[4:5], 0x64
	s_mov_b32 s14, s20
	s_add_nc_u64 s[4:5], s[4:5], -4
	s_wait_kmcnt 0x0
	s_cvt_f32_u32 s11, s7
	s_sub_co_i32 s12, 0, s7
	s_wait_alu 0xfffe
	s_delay_alu instid0(SALU_CYCLE_1) | instskip(NEXT) | instid1(TRANS32_DEP_1)
	v_rcp_iflag_f32_e32 v1, s11
	v_readfirstlane_b32 s11, v1
	s_mul_f32 s11, s11, 0x4f7ffffe
	s_wait_alu 0xfffe
	s_delay_alu instid0(SALU_CYCLE_2) | instskip(SKIP_1) | instid1(SALU_CYCLE_2)
	s_cvt_u32_f32 s11, s11
	s_wait_alu 0xfffe
	s_mul_i32 s12, s12, s11
	s_delay_alu instid0(SALU_CYCLE_1) | instskip(NEXT) | instid1(SALU_CYCLE_1)
	s_mul_hi_u32 s12, s11, s12
	s_add_co_i32 s11, s11, s12
	s_wait_alu 0xfffe
	s_mul_hi_u32 s11, s20, s11
	s_wait_alu 0xfffe
	s_mul_i32 s12, s11, s7
	s_add_co_i32 s15, s11, 1
	s_sub_co_i32 s12, s20, s12
	s_delay_alu instid0(SALU_CYCLE_1)
	s_sub_co_i32 s16, s12, s7
	s_cmp_ge_u32 s12, s7
	s_cselect_b32 s11, s15, s11
	s_cselect_b32 s12, s16, s12
	s_wait_alu 0xfffe
	s_add_co_i32 s15, s11, 1
	s_cmp_ge_u32 s12, s7
	s_cselect_b32 s20, s15, s11
	s_add_co_i32 s6, s6, -1
	s_mul_i32 s7, s20, s7
	s_delay_alu instid0(SALU_CYCLE_1) | instskip(NEXT) | instid1(SALU_CYCLE_1)
	s_sub_co_i32 s7, s14, s7
	s_mul_i32 s7, s8, s7
	s_delay_alu instid0(SALU_CYCLE_1)
	s_add_co_i32 s13, s7, s13
	s_cmp_gt_u32 s6, 2
	s_cbranch_scc1 .LBB111_6
.LBB111_7:
	s_clause 0x2
	s_load_b32 s4, s[0:1], 0x6c
	s_load_b64 s[16:17], s[0:1], 0x1c0
	s_load_b64 s[6:7], s[0:1], 0x0
	s_mov_b32 s15, 0
	s_wait_kmcnt 0x0
	s_mul_i32 s2, s4, s2
	s_mov_b32 s4, 0xff80
	s_add_co_i32 s14, s2, s3
	s_bitcmp1_b32 s17, 0
	s_movk_i32 s2, 0x8000
	s_cselect_b32 s11, -1, 0
	s_movk_i32 s3, 0x80
	s_wait_alu 0xfffe
	s_and_b32 s5, s11, exec_lo
	s_cselect_b32 s2, s2, 0x7f00
	s_cselect_b32 s3, s3, 0x7f
	;; [unrolled: 1-line block ×3, first 2 shown]
	s_or_b32 s2, s3, s2
	s_add_nc_u64 s[18:19], s[6:7], s[14:15]
	s_and_b32 s3, s2, 0xffff
	s_lshl_b32 s2, s2, 16
	v_mov_b32_e32 v3, s8
	s_or_b32 s4, s3, s2
	s_delay_alu instid0(SALU_CYCLE_1) | instskip(SKIP_2) | instid1(VALU_DEP_2)
	s_mov_b32 s5, s4
	v_dual_mov_b32 v1, s4 :: v_dual_and_b32 v44, 0x3ff, v0
	v_mov_b32_e32 v2, s5
	v_mul_lo_u32 v47, s10, v44
	v_cmp_gt_u32_e64 s2, s9, v44
	s_and_saveexec_b32 s3, s2
	s_cbranch_execz .LBB111_9
; %bb.8:
	global_load_u8 v3, v47, s[18:19]
	v_mov_b32_e32 v2, s4
	s_wait_loadcnt 0x0
	v_perm_b32 v1, v3, s4, 0x3020104
.LBB111_9:
	s_or_b32 exec_lo, exec_lo, s3
	v_add_nc_u32_e32 v29, 0x100, v44
	s_delay_alu instid0(VALU_DEP_1)
	v_cmp_gt_u32_e64 s3, s9, v29
	s_and_saveexec_b32 s4, s3
	s_cbranch_execz .LBB111_11
; %bb.10:
	v_mul_lo_u32 v4, s10, v29
	global_load_u8 v4, v4, s[18:19]
	s_wait_loadcnt 0x0
	v_perm_b32 v1, v1, v4, 0x7060004
.LBB111_11:
	s_wait_alu 0xfffe
	s_or_b32 exec_lo, exec_lo, s4
	v_add_nc_u32_e32 v28, 0x200, v44
	s_delay_alu instid0(VALU_DEP_1)
	v_cmp_gt_u32_e64 s4, s9, v28
	s_and_saveexec_b32 s5, s4
	s_cbranch_execz .LBB111_13
; %bb.12:
	v_mul_lo_u32 v4, s10, v28
	global_load_u8 v4, v4, s[18:19]
	s_wait_loadcnt 0x0
	v_perm_b32 v4, v4, v1, 0xc0c0304
	s_delay_alu instid0(VALU_DEP_1) | instskip(NEXT) | instid1(VALU_DEP_1)
	v_lshlrev_b32_e32 v4, 16, v4
	v_and_or_b32 v1, 0xffff, v1, v4
.LBB111_13:
	s_wait_alu 0xfffe
	s_or_b32 exec_lo, exec_lo, s5
	v_add_nc_u32_e32 v26, 0x300, v44
	s_delay_alu instid0(VALU_DEP_1)
	v_cmp_gt_u32_e64 s5, s9, v26
	s_and_saveexec_b32 s6, s5
	s_cbranch_execz .LBB111_15
; %bb.14:
	v_mul_lo_u32 v4, s10, v26
	global_load_u8 v4, v4, s[18:19]
	s_wait_loadcnt 0x0
	v_perm_b32 v4, v1, v4, 0xc0c0006
	s_delay_alu instid0(VALU_DEP_1) | instskip(NEXT) | instid1(VALU_DEP_1)
	v_lshlrev_b32_e32 v4, 16, v4
	v_and_or_b32 v1, 0xffff, v1, v4
.LBB111_15:
	s_or_b32 exec_lo, exec_lo, s6
	v_or_b32_e32 v22, 0x400, v44
	s_delay_alu instid0(VALU_DEP_1)
	v_cmp_gt_u32_e64 s6, s9, v22
	s_and_saveexec_b32 s7, s6
	s_cbranch_execz .LBB111_17
; %bb.16:
	v_mul_lo_u32 v4, s10, v22
	global_load_u8 v4, v4, s[18:19]
	s_wait_loadcnt 0x0
	v_perm_b32 v2, v4, v2, 0x3020104
.LBB111_17:
	s_or_b32 exec_lo, exec_lo, s7
	v_add_nc_u32_e32 v19, 0x500, v44
	s_delay_alu instid0(VALU_DEP_1)
	v_cmp_gt_u32_e64 s7, s9, v19
	s_and_saveexec_b32 s8, s7
	s_cbranch_execz .LBB111_19
; %bb.18:
	v_mul_lo_u32 v4, s10, v19
	global_load_u8 v4, v4, s[18:19]
	s_wait_loadcnt 0x0
	v_perm_b32 v2, v2, v4, 0x7060004
.LBB111_19:
	s_wait_alu 0xfffe
	s_or_b32 exec_lo, exec_lo, s8
	v_add_nc_u32_e32 v16, 0x600, v44
	s_delay_alu instid0(VALU_DEP_1)
	v_cmp_gt_u32_e64 s8, s9, v16
	s_and_saveexec_b32 s12, s8
	s_cbranch_execz .LBB111_21
; %bb.20:
	v_mul_lo_u32 v4, s10, v16
	global_load_u8 v4, v4, s[18:19]
	s_wait_loadcnt 0x0
	v_perm_b32 v2, v2, v4, 0x7000504
.LBB111_21:
	s_or_b32 exec_lo, exec_lo, s12
	s_clause 0x1
	s_load_b32 s12, s[0:1], 0x154
	s_load_b64 s[14:15], s[0:1], 0xe8
	v_add_nc_u32_e32 v15, 0x700, v44
	s_delay_alu instid0(VALU_DEP_1)
	v_cmp_gt_u32_e64 s0, s9, v15
	s_and_saveexec_b32 s1, s0
	s_cbranch_execz .LBB111_23
; %bb.22:
	v_mul_lo_u32 v4, s10, v15
	global_load_u8 v4, v4, s[18:19]
	s_wait_loadcnt 0x0
	v_perm_b32 v2, v2, v4, 0x60504
.LBB111_23:
	s_or_b32 exec_lo, exec_lo, s1
	v_lshrrev_b32_e32 v65, 5, v44
	v_lshrrev_b32_e32 v17, 5, v29
	;; [unrolled: 1-line block ×5, first 2 shown]
	s_delay_alu instid0(VALU_DEP_4) | instskip(SKIP_4) | instid1(VALU_DEP_4)
	v_dual_mov_b32 v42, 0 :: v_dual_and_b32 v5, 60, v17
	v_and_b32_e32 v4, 28, v65
	v_and_b32_e32 v7, 60, v20
	v_lshrrev_b32_e32 v21, 5, v26
	v_lshrrev_b32_e32 v27, 2, v44
	v_dual_mov_b32 v43, v42 :: v_dual_add_nc_u32 v48, v4, v44
	v_dual_mov_b32 v11, v42 :: v_dual_and_b32 v4, 60, v18
	v_mov_b32_e32 v12, v42
	v_add_nc_u32_e32 v52, v7, v44
	v_and_b32_e32 v7, 0x7c, v24
	s_delay_alu instid0(VALU_DEP_4)
	v_add_nc_u32_e32 v50, v4, v44
	v_and_b32_e32 v4, 60, v21
	v_lshrrev_b32_e32 v23, 5, v19
	v_lshrrev_b32_e32 v25, 5, v15
	v_dual_mov_b32 v13, 0 :: v_dual_add_nc_u32 v54, v7, v44
	v_lshlrev_b32_e32 v60, 3, v44
	v_and_b32_e32 v7, 0xfc, v27
	v_add_nc_u32_e32 v51, v4, v44
	v_and_b32_e32 v4, 0x7c, v23
	v_and_b32_e32 v9, 0x7c, v25
	v_lshrrev_b32_e32 v6, 8, v1
	v_add_nc_u32_e32 v56, v7, v60
	v_dual_mov_b32 v10, v42 :: v_dual_add_nc_u32 v49, v5, v44
	v_lshrrev_b32_e32 v5, 24, v1
	v_lshrrev_b32_e32 v8, 8, v2
	v_dual_mov_b32 v14, 0 :: v_dual_add_nc_u32 v53, v4, v44
	v_lshrrev_b32_e32 v4, 24, v2
	v_add_nc_u32_e32 v55, v9, v44
	v_mov_b32_e32 v9, v42
	v_mov_b32_e32 v7, v42
	ds_store_b8 v48, v3
	ds_store_b8 v49, v6 offset:256
	ds_store_b8_d16_hi v50, v1 offset:512
	ds_store_b8 v51, v5 offset:768
	ds_store_b8 v52, v2 offset:1024
	;; [unrolled: 1-line block ×3, first 2 shown]
	ds_store_b8_d16_hi v54, v2 offset:1536
	ds_store_b8 v55, v4 offset:1792
	s_wait_dscnt 0x0
	s_barrier_signal -1
	s_barrier_wait -1
	global_inv scope:SCOPE_SE
	ds_load_2addr_b32 v[45:46], v56 offset1:1
	s_wait_kmcnt 0x0
	s_mul_i32 s1, s12, s20
	v_mul_lo_u32 v41, s16, v44
	s_mov_b32 s21, 0
	s_add_co_i32 s20, s1, s13
	v_dual_mov_b32 v1, v42 :: v_dual_mov_b32 v2, v42
	v_dual_mov_b32 v3, v42 :: v_dual_mov_b32 v4, v42
	;; [unrolled: 1-line block ×3, first 2 shown]
	v_mov_b32_e32 v8, v42
	s_lshl_b64 s[12:13], s[20:21], 3
	s_wait_loadcnt_dscnt 0x0
	s_add_nc_u64 s[20:21], s[14:15], s[12:13]
	s_barrier_signal -1
	s_barrier_wait -1
	global_inv scope:SCOPE_SE
	s_and_saveexec_b32 s1, s2
	s_cbranch_execnz .LBB111_56
; %bb.24:
	s_or_b32 exec_lo, exec_lo, s1
	s_and_saveexec_b32 s1, s3
	s_cbranch_execnz .LBB111_57
.LBB111_25:
	s_or_b32 exec_lo, exec_lo, s1
	s_and_saveexec_b32 s1, s4
	s_cbranch_execnz .LBB111_58
.LBB111_26:
	s_or_b32 exec_lo, exec_lo, s1
	s_and_saveexec_b32 s1, s5
	s_cbranch_execnz .LBB111_59
.LBB111_27:
	s_or_b32 exec_lo, exec_lo, s1
	s_and_saveexec_b32 s1, s6
	s_cbranch_execnz .LBB111_60
.LBB111_28:
	s_or_b32 exec_lo, exec_lo, s1
	s_and_saveexec_b32 s1, s7
	s_cbranch_execnz .LBB111_61
.LBB111_29:
	s_or_b32 exec_lo, exec_lo, s1
	s_and_saveexec_b32 s1, s8
	s_cbranch_execnz .LBB111_62
.LBB111_30:
	s_or_b32 exec_lo, exec_lo, s1
	s_xor_b32 s1, s11, -1
	s_and_saveexec_b32 s9, s0
	s_cbranch_execz .LBB111_32
.LBB111_31:
	v_mul_lo_u32 v7, s16, v15
	v_mov_b32_e32 v8, 0
	s_delay_alu instid0(VALU_DEP_1) | instskip(NEXT) | instid1(VALU_DEP_1)
	v_lshlrev_b64_e32 v[7:8], 3, v[7:8]
	v_add_co_u32 v7, vcc_lo, s20, v7
	s_wait_alu 0xfffd
	s_delay_alu instid0(VALU_DEP_2)
	v_add_co_ci_u32_e64 v8, null, s21, v8, vcc_lo
	global_load_b64 v[7:8], v[7:8], off
.LBB111_32:
	s_wait_alu 0xfffe
	s_or_b32 exec_lo, exec_lo, s9
	v_lshl_add_u32 v57, v65, 3, v60
	v_lshl_add_u32 v58, v17, 3, v60
	;; [unrolled: 1-line block ×5, first 2 shown]
	s_wait_loadcnt 0x0
	ds_store_b64 v57, v[13:14]
	ds_store_b64 v58, v[42:43] offset:2048
	ds_store_b64 v59, v[9:10] offset:4096
	ds_store_b64 v61, v[11:12] offset:6144
	v_lshlrev_b32_e32 v9, 3, v60
	v_lshl_add_u32 v42, v20, 3, v60
	v_lshl_add_u32 v43, v23, 3, v60
	;; [unrolled: 1-line block ×3, first 2 shown]
	ds_store_b64 v42, v[1:2] offset:8192
	ds_store_b64 v43, v[3:4] offset:10240
	;; [unrolled: 1-line block ×4, first 2 shown]
	v_lshl_add_u32 v64, v27, 3, v9
	s_wait_dscnt 0x0
	s_barrier_signal -1
	s_barrier_wait -1
	global_inv scope:SCOPE_SE
	ds_load_2addr_b64 v[13:16], v64 offset1:1
	ds_load_2addr_b64 v[9:12], v64 offset0:2 offset1:3
	ds_load_2addr_b64 v[5:8], v64 offset0:4 offset1:5
	ds_load_2addr_b64 v[1:4], v64 offset0:6 offset1:7
	v_mbcnt_lo_u32_b32 v67, -1, 0
	v_and_b32_e32 v68, 0x3e0, v44
	v_lshrrev_b32_e32 v74, 24, v46
	v_lshrrev_b32_e32 v75, 16, v46
	v_lshrrev_b32_e32 v76, 8, v46
	v_and_or_b32 v73, 0x1f00, v60, v67
	v_or_b32_e32 v17, v67, v68
	v_lshrrev_b32_e32 v77, 24, v45
	v_lshrrev_b32_e32 v78, 16, v45
	v_lshrrev_b32_e32 v79, 8, v45
	v_bfe_u32 v69, v0, 10, 10
	v_lshlrev_b32_e32 v72, 3, v17
	v_bfe_u32 v70, v0, 20, 10
	v_mad_u32_u24 v71, v73, 7, v73
	v_lshlrev_b32_e32 v66, 2, v60
	s_mov_b32 s12, 0
	s_and_b32 vcc_lo, exec_lo, s1
	s_mov_b32 s1, -1
	s_wait_loadcnt_dscnt 0x0
	s_barrier_signal -1
	s_barrier_wait -1
	global_inv scope:SCOPE_SE
	s_wait_alu 0xfffe
	s_cbranch_vccz .LBB111_63
; %bb.33:
	v_xor_b32_e32 v0, 0x80, v45
	v_xor_b32_e32 v17, 0x80, v79
	;; [unrolled: 1-line block ×8, first 2 shown]
	s_getpc_b64 s[14:15]
	s_sext_i32_i16 s15, s15
	s_add_co_u32 s14, s14, _ZN7rocprim17ROCPRIM_400000_NS16block_radix_sortIaLj256ELj8ElLj1ELj1ELj0ELNS0_26block_radix_rank_algorithmE1ELNS0_18block_padding_hintE2ELNS0_4arch9wavefront6targetE0EE19radix_bits_per_passE@rel32@lo+8
	s_add_co_ci_u32 s15, s15, _ZN7rocprim17ROCPRIM_400000_NS16block_radix_sortIaLj256ELj8ElLj1ELj1ELj0ELNS0_26block_radix_rank_algorithmE1ELNS0_18block_padding_hintE2ELNS0_4arch9wavefront6targetE0EE19radix_bits_per_passE@rel32@hi+16
	v_lshlrev_b16 v17, 8, v17
	v_lshlrev_b16 v19, 8, v19
	v_and_b32_e32 v20, 0xff, v20
	v_lshlrev_b16 v21, 8, v21
	v_and_b32_e32 v22, 0xff, v22
	v_lshlrev_b16 v23, 8, v23
	s_load_b32 s1, s[14:15], 0x0
	s_mov_b32 s13, s12
	s_mov_b32 s14, s12
	;; [unrolled: 1-line block ×3, first 2 shown]
	v_and_b32_e32 v0, 0xff, v0
	v_and_b32_e32 v18, 0xff, v18
	s_delay_alu instid0(VALU_DEP_2) | instskip(NEXT) | instid1(VALU_DEP_2)
	v_or_b32_e32 v0, v0, v17
	v_or_b32_e32 v17, v18, v19
	;; [unrolled: 1-line block ×4, first 2 shown]
	s_delay_alu instid0(VALU_DEP_4) | instskip(NEXT) | instid1(VALU_DEP_4)
	v_and_b32_e32 v0, 0xffff, v0
	v_lshlrev_b32_e32 v17, 16, v17
	s_delay_alu instid0(VALU_DEP_4) | instskip(NEXT) | instid1(VALU_DEP_4)
	v_and_b32_e32 v18, 0xffff, v18
	v_lshlrev_b32_e32 v19, 16, v19
	s_delay_alu instid0(VALU_DEP_3) | instskip(SKIP_2) | instid1(VALU_DEP_2)
	v_or_b32_e32 v17, v0, v17
	s_wait_kmcnt 0x0
	s_min_u32 s1, s1, 8
	v_or_b32_e32 v18, v18, v19
	s_lshl_b32 s1, -1, s1
	s_delay_alu instid0(SALU_CYCLE_1)
	s_not_b32 s9, s1
	ds_store_b64 v72, v[17:18]
	; wave barrier
	ds_load_u8 v0, v73
	ds_load_u8 v80, v73 offset:32
	ds_load_u8 v81, v73 offset:64
	;; [unrolled: 1-line block ×7, first 2 shown]
	v_lshlrev_b32_e32 v17, 3, v72
	s_wait_loadcnt_dscnt 0x0
	s_barrier_signal -1
	s_barrier_wait -1
	global_inv scope:SCOPE_SE
	ds_store_b128 v17, v[13:16]
	ds_store_b128 v17, v[9:12] offset:16
	ds_store_b128 v17, v[5:8] offset:32
	;; [unrolled: 1-line block ×3, first 2 shown]
	; wave barrier
	ds_load_2addr_b64 v[21:24], v71 offset1:32
	ds_load_2addr_b64 v[17:20], v71 offset0:64 offset1:96
	ds_load_2addr_b64 v[29:32], v71 offset0:192 offset1:224
	s_wait_alu 0xfffe
	v_and_b32_e32 v39, s9, v0
	s_delay_alu instid0(VALU_DEP_1) | instskip(SKIP_3) | instid1(VALU_DEP_4)
	v_and_b32_e32 v25, 1, v39
	v_lshlrev_b32_e32 v35, 30, v39
	v_lshlrev_b32_e32 v36, 29, v39
	;; [unrolled: 1-line block ×3, first 2 shown]
	v_add_co_u32 v33, s1, v25, -1
	s_delay_alu instid0(VALU_DEP_1)
	v_cndmask_b32_e64 v34, 0, 1, s1
	ds_load_2addr_b64 v[25:28], v71 offset0:128 offset1:160
	s_wait_loadcnt_dscnt 0x0
	s_barrier_signal -1
	s_barrier_wait -1
	v_cmp_ne_u32_e32 vcc_lo, 0, v34
	v_not_b32_e32 v34, v35
	global_inv scope:SCOPE_SE
	s_load_b32 s1, s[22:23], 0xc
	v_xor_b32_e32 v33, vcc_lo, v33
	v_cmp_gt_i32_e32 vcc_lo, 0, v35
	v_ashrrev_i32_e32 v34, 31, v34
	v_not_b32_e32 v35, v36
	s_delay_alu instid0(VALU_DEP_4) | instskip(SKIP_1) | instid1(VALU_DEP_3)
	v_and_b32_e32 v33, exec_lo, v33
	s_wait_alu 0xfffd
	v_xor_b32_e32 v34, vcc_lo, v34
	v_cmp_gt_i32_e32 vcc_lo, 0, v36
	v_ashrrev_i32_e32 v35, 31, v35
	v_not_b32_e32 v36, v37
	s_delay_alu instid0(VALU_DEP_4)
	v_and_b32_e32 v33, v33, v34
	v_lshlrev_b32_e32 v34, 27, v39
	s_wait_alu 0xfffd
	v_xor_b32_e32 v35, vcc_lo, v35
	v_cmp_gt_i32_e32 vcc_lo, 0, v37
	v_ashrrev_i32_e32 v36, 31, v36
	v_not_b32_e32 v37, v34
	s_delay_alu instid0(VALU_DEP_4)
	v_and_b32_e32 v33, v33, v35
	v_lshlrev_b32_e32 v35, 26, v39
	s_wait_alu 0xfffd
	v_xor_b32_e32 v36, vcc_lo, v36
	v_cmp_gt_i32_e32 vcc_lo, 0, v34
	v_ashrrev_i32_e32 v34, 31, v37
	s_wait_kmcnt 0x0
	s_lshr_b32 s11, s1, 16
	v_not_b32_e32 v37, v35
	v_and_b32_e32 v33, v33, v36
	v_lshlrev_b32_e32 v36, 25, v39
	s_wait_alu 0xfffd
	v_xor_b32_e32 v34, vcc_lo, v34
	v_cmp_gt_i32_e32 vcc_lo, 0, v35
	v_ashrrev_i32_e32 v35, 31, v37
	s_wait_alu 0xfffe
	v_mad_u32_u24 v38, v70, s11, v69
	v_not_b32_e32 v37, v36
	v_and_b32_e32 v33, v33, v34
	v_lshlrev_b32_e32 v34, 24, v39
	s_wait_alu 0xfffd
	v_xor_b32_e32 v35, vcc_lo, v35
	v_cmp_gt_i32_e32 vcc_lo, 0, v36
	v_ashrrev_i32_e32 v36, 31, v37
	s_and_b32 s1, s1, 0xffff
	v_not_b32_e32 v37, v34
	v_and_b32_e32 v35, v33, v35
	v_and_b32_e32 v39, 0xff, v39
	s_wait_alu 0xfffd
	v_xor_b32_e32 v36, vcc_lo, v36
	v_cmp_gt_i32_e32 vcc_lo, 0, v34
	v_ashrrev_i32_e32 v37, 31, v37
	s_wait_alu 0xfffe
	v_mad_co_u64_u32 v[33:34], null, v38, s1, v[44:45]
	v_and_b32_e32 v34, v35, v36
	s_wait_alu 0xfffd
	v_xor_b32_e32 v40, vcc_lo, v37
	v_dual_mov_b32 v38, s15 :: v_dual_mov_b32 v37, s14
	v_dual_mov_b32 v36, s13 :: v_dual_mov_b32 v35, s12
	s_delay_alu instid0(VALU_DEP_3)
	v_and_b32_e32 v34, v34, v40
	v_lshrrev_b32_e32 v33, 3, v33
	ds_store_b128 v66, v[35:38] offset:32
	ds_store_b128 v66, v[35:38] offset:48
	v_mbcnt_lo_u32_b32 v87, v34, 0
	v_and_b32_e32 v33, 0x1ffffffc, v33
	v_lshlrev_b32_e32 v35, 5, v39
	v_cmp_ne_u32_e64 s1, 0, v34
	s_wait_loadcnt_dscnt 0x0
	v_cmp_eq_u32_e32 vcc_lo, 0, v87
	s_barrier_signal -1
	v_add_nc_u32_e32 v88, v33, v35
	s_barrier_wait -1
	global_inv scope:SCOPE_SE
	s_and_b32 s11, s1, vcc_lo
	; wave barrier
	s_wait_alu 0xfffe
	s_and_saveexec_b32 s1, s11
; %bb.34:
	v_bcnt_u32_b32 v34, v34, 0
	ds_store_b32 v88, v34 offset:32
; %bb.35:
	s_wait_alu 0xfffe
	s_or_b32 exec_lo, exec_lo, s1
	v_and_b32_e32 v34, s9, v80
	; wave barrier
	s_delay_alu instid0(VALU_DEP_1)
	v_and_b32_e32 v36, 1, v34
	v_lshlrev_b32_e32 v37, 30, v34
	v_lshlrev_b32_e32 v38, 29, v34
	;; [unrolled: 1-line block ×4, first 2 shown]
	v_add_co_u32 v36, s1, v36, -1
	s_wait_alu 0xf1ff
	v_cndmask_b32_e64 v40, 0, 1, s1
	v_not_b32_e32 v92, v37
	v_cmp_gt_i32_e64 s1, 0, v37
	v_not_b32_e32 v37, v38
	v_lshlrev_b32_e32 v90, 26, v34
	v_cmp_ne_u32_e32 vcc_lo, 0, v40
	v_ashrrev_i32_e32 v40, 31, v92
	v_lshlrev_b32_e32 v91, 25, v34
	v_ashrrev_i32_e32 v37, 31, v37
	v_and_b32_e32 v35, 0xff, v34
	s_wait_alu 0xfffd
	v_xor_b32_e32 v36, vcc_lo, v36
	v_cmp_gt_i32_e32 vcc_lo, 0, v38
	v_not_b32_e32 v38, v39
	s_wait_alu 0xf1ff
	v_xor_b32_e32 v40, s1, v40
	v_cmp_gt_i32_e64 s1, 0, v39
	v_and_b32_e32 v36, exec_lo, v36
	v_not_b32_e32 v39, v89
	v_ashrrev_i32_e32 v38, 31, v38
	s_wait_alu 0xfffd
	v_xor_b32_e32 v37, vcc_lo, v37
	v_cmp_gt_i32_e32 vcc_lo, 0, v89
	v_and_b32_e32 v36, v36, v40
	v_not_b32_e32 v40, v90
	v_ashrrev_i32_e32 v39, 31, v39
	s_wait_alu 0xf1ff
	v_xor_b32_e32 v38, s1, v38
	v_lshlrev_b32_e32 v34, 24, v34
	v_and_b32_e32 v36, v36, v37
	v_cmp_gt_i32_e64 s1, 0, v90
	v_not_b32_e32 v37, v91
	v_ashrrev_i32_e32 v40, 31, v40
	s_wait_alu 0xfffd
	v_xor_b32_e32 v39, vcc_lo, v39
	v_and_b32_e32 v36, v36, v38
	v_cmp_gt_i32_e32 vcc_lo, 0, v91
	v_not_b32_e32 v38, v34
	v_ashrrev_i32_e32 v37, 31, v37
	s_wait_alu 0xf1ff
	v_xor_b32_e32 v40, s1, v40
	v_and_b32_e32 v36, v36, v39
	v_lshlrev_b32_e32 v35, 5, v35
	v_cmp_gt_i32_e64 s1, 0, v34
	v_ashrrev_i32_e32 v34, 31, v38
	s_wait_alu 0xfffd
	v_xor_b32_e32 v37, vcc_lo, v37
	v_and_b32_e32 v36, v36, v40
	v_add_nc_u32_e32 v91, v33, v35
	s_wait_alu 0xf1ff
	v_xor_b32_e32 v34, s1, v34
	s_delay_alu instid0(VALU_DEP_3) | instskip(SKIP_2) | instid1(VALU_DEP_1)
	v_and_b32_e32 v35, v36, v37
	ds_load_b32 v89, v91 offset:32
	; wave barrier
	v_and_b32_e32 v34, v35, v34
	v_mbcnt_lo_u32_b32 v90, v34, 0
	v_cmp_ne_u32_e64 s1, 0, v34
	s_delay_alu instid0(VALU_DEP_2)
	v_cmp_eq_u32_e32 vcc_lo, 0, v90
	s_and_b32 s11, s1, vcc_lo
	s_wait_alu 0xfffe
	s_and_saveexec_b32 s1, s11
	s_cbranch_execz .LBB111_37
; %bb.36:
	s_wait_dscnt 0x0
	v_bcnt_u32_b32 v34, v34, v89
	ds_store_b32 v91, v34 offset:32
.LBB111_37:
	s_wait_alu 0xfffe
	s_or_b32 exec_lo, exec_lo, s1
	v_and_b32_e32 v34, s9, v81
	; wave barrier
	s_delay_alu instid0(VALU_DEP_1)
	v_and_b32_e32 v36, 1, v34
	v_lshlrev_b32_e32 v37, 30, v34
	v_lshlrev_b32_e32 v38, 29, v34
	;; [unrolled: 1-line block ×4, first 2 shown]
	v_add_co_u32 v36, s1, v36, -1
	s_wait_alu 0xf1ff
	v_cndmask_b32_e64 v40, 0, 1, s1
	v_not_b32_e32 v95, v37
	v_cmp_gt_i32_e64 s1, 0, v37
	v_not_b32_e32 v37, v38
	v_lshlrev_b32_e32 v93, 26, v34
	v_cmp_ne_u32_e32 vcc_lo, 0, v40
	v_ashrrev_i32_e32 v40, 31, v95
	v_lshlrev_b32_e32 v94, 25, v34
	v_ashrrev_i32_e32 v37, 31, v37
	v_and_b32_e32 v35, 0xff, v34
	s_wait_alu 0xfffd
	v_xor_b32_e32 v36, vcc_lo, v36
	v_cmp_gt_i32_e32 vcc_lo, 0, v38
	v_not_b32_e32 v38, v39
	s_wait_alu 0xf1ff
	v_xor_b32_e32 v40, s1, v40
	v_cmp_gt_i32_e64 s1, 0, v39
	v_and_b32_e32 v36, exec_lo, v36
	v_not_b32_e32 v39, v92
	v_ashrrev_i32_e32 v38, 31, v38
	s_wait_alu 0xfffd
	v_xor_b32_e32 v37, vcc_lo, v37
	v_cmp_gt_i32_e32 vcc_lo, 0, v92
	v_and_b32_e32 v36, v36, v40
	v_not_b32_e32 v40, v93
	v_ashrrev_i32_e32 v39, 31, v39
	s_wait_alu 0xf1ff
	v_xor_b32_e32 v38, s1, v38
	v_lshlrev_b32_e32 v34, 24, v34
	v_and_b32_e32 v36, v36, v37
	v_cmp_gt_i32_e64 s1, 0, v93
	v_not_b32_e32 v37, v94
	v_ashrrev_i32_e32 v40, 31, v40
	s_wait_alu 0xfffd
	v_xor_b32_e32 v39, vcc_lo, v39
	v_and_b32_e32 v36, v36, v38
	v_cmp_gt_i32_e32 vcc_lo, 0, v94
	v_not_b32_e32 v38, v34
	v_ashrrev_i32_e32 v37, 31, v37
	s_wait_alu 0xf1ff
	v_xor_b32_e32 v40, s1, v40
	v_and_b32_e32 v36, v36, v39
	v_lshlrev_b32_e32 v35, 5, v35
	v_cmp_gt_i32_e64 s1, 0, v34
	v_ashrrev_i32_e32 v34, 31, v38
	s_wait_alu 0xfffd
	v_xor_b32_e32 v37, vcc_lo, v37
	v_and_b32_e32 v36, v36, v40
	v_add_nc_u32_e32 v94, v33, v35
	s_wait_alu 0xf1ff
	v_xor_b32_e32 v34, s1, v34
	s_delay_alu instid0(VALU_DEP_3) | instskip(SKIP_2) | instid1(VALU_DEP_1)
	v_and_b32_e32 v35, v36, v37
	ds_load_b32 v92, v94 offset:32
	; wave barrier
	v_and_b32_e32 v34, v35, v34
	v_mbcnt_lo_u32_b32 v93, v34, 0
	v_cmp_ne_u32_e64 s1, 0, v34
	s_delay_alu instid0(VALU_DEP_2)
	v_cmp_eq_u32_e32 vcc_lo, 0, v93
	s_and_b32 s11, s1, vcc_lo
	s_wait_alu 0xfffe
	s_and_saveexec_b32 s1, s11
	s_cbranch_execz .LBB111_39
; %bb.38:
	s_wait_dscnt 0x0
	v_bcnt_u32_b32 v34, v34, v92
	ds_store_b32 v94, v34 offset:32
.LBB111_39:
	s_wait_alu 0xfffe
	s_or_b32 exec_lo, exec_lo, s1
	v_and_b32_e32 v34, s9, v82
	; wave barrier
	s_delay_alu instid0(VALU_DEP_1)
	v_and_b32_e32 v36, 1, v34
	v_lshlrev_b32_e32 v37, 30, v34
	v_lshlrev_b32_e32 v38, 29, v34
	;; [unrolled: 1-line block ×4, first 2 shown]
	v_add_co_u32 v36, s1, v36, -1
	s_wait_alu 0xf1ff
	v_cndmask_b32_e64 v40, 0, 1, s1
	v_not_b32_e32 v98, v37
	v_cmp_gt_i32_e64 s1, 0, v37
	v_not_b32_e32 v37, v38
	v_lshlrev_b32_e32 v96, 26, v34
	v_cmp_ne_u32_e32 vcc_lo, 0, v40
	v_ashrrev_i32_e32 v40, 31, v98
	v_lshlrev_b32_e32 v97, 25, v34
	v_ashrrev_i32_e32 v37, 31, v37
	v_and_b32_e32 v35, 0xff, v34
	s_wait_alu 0xfffd
	v_xor_b32_e32 v36, vcc_lo, v36
	v_cmp_gt_i32_e32 vcc_lo, 0, v38
	v_not_b32_e32 v38, v39
	s_wait_alu 0xf1ff
	v_xor_b32_e32 v40, s1, v40
	v_cmp_gt_i32_e64 s1, 0, v39
	v_and_b32_e32 v36, exec_lo, v36
	v_not_b32_e32 v39, v95
	v_ashrrev_i32_e32 v38, 31, v38
	s_wait_alu 0xfffd
	v_xor_b32_e32 v37, vcc_lo, v37
	v_cmp_gt_i32_e32 vcc_lo, 0, v95
	v_and_b32_e32 v36, v36, v40
	v_not_b32_e32 v40, v96
	v_ashrrev_i32_e32 v39, 31, v39
	s_wait_alu 0xf1ff
	v_xor_b32_e32 v38, s1, v38
	v_lshlrev_b32_e32 v34, 24, v34
	v_and_b32_e32 v36, v36, v37
	v_cmp_gt_i32_e64 s1, 0, v96
	v_not_b32_e32 v37, v97
	v_ashrrev_i32_e32 v40, 31, v40
	s_wait_alu 0xfffd
	v_xor_b32_e32 v39, vcc_lo, v39
	v_and_b32_e32 v36, v36, v38
	v_cmp_gt_i32_e32 vcc_lo, 0, v97
	v_not_b32_e32 v38, v34
	v_ashrrev_i32_e32 v37, 31, v37
	s_wait_alu 0xf1ff
	v_xor_b32_e32 v40, s1, v40
	v_and_b32_e32 v36, v36, v39
	v_lshlrev_b32_e32 v35, 5, v35
	v_cmp_gt_i32_e64 s1, 0, v34
	v_ashrrev_i32_e32 v34, 31, v38
	s_wait_alu 0xfffd
	v_xor_b32_e32 v37, vcc_lo, v37
	v_and_b32_e32 v36, v36, v40
	v_add_nc_u32_e32 v97, v33, v35
	s_wait_alu 0xf1ff
	v_xor_b32_e32 v34, s1, v34
	s_delay_alu instid0(VALU_DEP_3) | instskip(SKIP_2) | instid1(VALU_DEP_1)
	v_and_b32_e32 v35, v36, v37
	ds_load_b32 v95, v97 offset:32
	; wave barrier
	v_and_b32_e32 v34, v35, v34
	v_mbcnt_lo_u32_b32 v96, v34, 0
	v_cmp_ne_u32_e64 s1, 0, v34
	s_delay_alu instid0(VALU_DEP_2)
	v_cmp_eq_u32_e32 vcc_lo, 0, v96
	s_and_b32 s11, s1, vcc_lo
	s_wait_alu 0xfffe
	s_and_saveexec_b32 s1, s11
	s_cbranch_execz .LBB111_41
; %bb.40:
	s_wait_dscnt 0x0
	v_bcnt_u32_b32 v34, v34, v95
	ds_store_b32 v97, v34 offset:32
.LBB111_41:
	s_wait_alu 0xfffe
	s_or_b32 exec_lo, exec_lo, s1
	v_and_b32_e32 v34, s9, v83
	; wave barrier
	s_delay_alu instid0(VALU_DEP_1)
	v_and_b32_e32 v36, 1, v34
	v_lshlrev_b32_e32 v37, 30, v34
	v_lshlrev_b32_e32 v38, 29, v34
	;; [unrolled: 1-line block ×4, first 2 shown]
	v_add_co_u32 v36, s1, v36, -1
	s_wait_alu 0xf1ff
	v_cndmask_b32_e64 v40, 0, 1, s1
	v_not_b32_e32 v101, v37
	v_cmp_gt_i32_e64 s1, 0, v37
	v_not_b32_e32 v37, v38
	v_lshlrev_b32_e32 v99, 26, v34
	v_cmp_ne_u32_e32 vcc_lo, 0, v40
	v_ashrrev_i32_e32 v40, 31, v101
	v_lshlrev_b32_e32 v100, 25, v34
	v_ashrrev_i32_e32 v37, 31, v37
	v_and_b32_e32 v35, 0xff, v34
	s_wait_alu 0xfffd
	v_xor_b32_e32 v36, vcc_lo, v36
	v_cmp_gt_i32_e32 vcc_lo, 0, v38
	v_not_b32_e32 v38, v39
	s_wait_alu 0xf1ff
	v_xor_b32_e32 v40, s1, v40
	v_cmp_gt_i32_e64 s1, 0, v39
	v_and_b32_e32 v36, exec_lo, v36
	v_not_b32_e32 v39, v98
	v_ashrrev_i32_e32 v38, 31, v38
	s_wait_alu 0xfffd
	v_xor_b32_e32 v37, vcc_lo, v37
	v_cmp_gt_i32_e32 vcc_lo, 0, v98
	v_and_b32_e32 v36, v36, v40
	v_not_b32_e32 v40, v99
	v_ashrrev_i32_e32 v39, 31, v39
	s_wait_alu 0xf1ff
	v_xor_b32_e32 v38, s1, v38
	v_lshlrev_b32_e32 v34, 24, v34
	v_and_b32_e32 v36, v36, v37
	v_cmp_gt_i32_e64 s1, 0, v99
	v_not_b32_e32 v37, v100
	v_ashrrev_i32_e32 v40, 31, v40
	s_wait_alu 0xfffd
	v_xor_b32_e32 v39, vcc_lo, v39
	v_and_b32_e32 v36, v36, v38
	v_cmp_gt_i32_e32 vcc_lo, 0, v100
	v_not_b32_e32 v38, v34
	v_ashrrev_i32_e32 v37, 31, v37
	s_wait_alu 0xf1ff
	v_xor_b32_e32 v40, s1, v40
	v_and_b32_e32 v36, v36, v39
	v_lshlrev_b32_e32 v35, 5, v35
	v_cmp_gt_i32_e64 s1, 0, v34
	v_ashrrev_i32_e32 v34, 31, v38
	s_wait_alu 0xfffd
	v_xor_b32_e32 v37, vcc_lo, v37
	v_and_b32_e32 v36, v36, v40
	v_add_nc_u32_e32 v100, v33, v35
	s_wait_alu 0xf1ff
	v_xor_b32_e32 v34, s1, v34
	s_delay_alu instid0(VALU_DEP_3) | instskip(SKIP_2) | instid1(VALU_DEP_1)
	v_and_b32_e32 v35, v36, v37
	ds_load_b32 v98, v100 offset:32
	; wave barrier
	v_and_b32_e32 v34, v35, v34
	v_mbcnt_lo_u32_b32 v99, v34, 0
	v_cmp_ne_u32_e64 s1, 0, v34
	s_delay_alu instid0(VALU_DEP_2)
	v_cmp_eq_u32_e32 vcc_lo, 0, v99
	s_and_b32 s11, s1, vcc_lo
	s_wait_alu 0xfffe
	s_and_saveexec_b32 s1, s11
	s_cbranch_execz .LBB111_43
; %bb.42:
	s_wait_dscnt 0x0
	v_bcnt_u32_b32 v34, v34, v98
	ds_store_b32 v100, v34 offset:32
.LBB111_43:
	s_wait_alu 0xfffe
	s_or_b32 exec_lo, exec_lo, s1
	v_and_b32_e32 v34, s9, v84
	; wave barrier
	s_delay_alu instid0(VALU_DEP_1)
	v_and_b32_e32 v36, 1, v34
	v_lshlrev_b32_e32 v37, 30, v34
	v_lshlrev_b32_e32 v38, 29, v34
	;; [unrolled: 1-line block ×4, first 2 shown]
	v_add_co_u32 v36, s1, v36, -1
	s_wait_alu 0xf1ff
	v_cndmask_b32_e64 v40, 0, 1, s1
	v_not_b32_e32 v104, v37
	v_cmp_gt_i32_e64 s1, 0, v37
	v_not_b32_e32 v37, v38
	v_lshlrev_b32_e32 v102, 26, v34
	v_cmp_ne_u32_e32 vcc_lo, 0, v40
	v_ashrrev_i32_e32 v40, 31, v104
	v_lshlrev_b32_e32 v103, 25, v34
	v_ashrrev_i32_e32 v37, 31, v37
	v_and_b32_e32 v35, 0xff, v34
	s_wait_alu 0xfffd
	v_xor_b32_e32 v36, vcc_lo, v36
	v_cmp_gt_i32_e32 vcc_lo, 0, v38
	v_not_b32_e32 v38, v39
	s_wait_alu 0xf1ff
	v_xor_b32_e32 v40, s1, v40
	v_cmp_gt_i32_e64 s1, 0, v39
	v_and_b32_e32 v36, exec_lo, v36
	v_not_b32_e32 v39, v101
	v_ashrrev_i32_e32 v38, 31, v38
	s_wait_alu 0xfffd
	v_xor_b32_e32 v37, vcc_lo, v37
	v_cmp_gt_i32_e32 vcc_lo, 0, v101
	v_and_b32_e32 v36, v36, v40
	v_not_b32_e32 v40, v102
	v_ashrrev_i32_e32 v39, 31, v39
	s_wait_alu 0xf1ff
	v_xor_b32_e32 v38, s1, v38
	v_lshlrev_b32_e32 v34, 24, v34
	v_and_b32_e32 v36, v36, v37
	v_cmp_gt_i32_e64 s1, 0, v102
	v_not_b32_e32 v37, v103
	v_ashrrev_i32_e32 v40, 31, v40
	s_wait_alu 0xfffd
	v_xor_b32_e32 v39, vcc_lo, v39
	v_and_b32_e32 v36, v36, v38
	v_cmp_gt_i32_e32 vcc_lo, 0, v103
	v_not_b32_e32 v38, v34
	v_ashrrev_i32_e32 v37, 31, v37
	s_wait_alu 0xf1ff
	v_xor_b32_e32 v40, s1, v40
	v_and_b32_e32 v36, v36, v39
	v_lshlrev_b32_e32 v35, 5, v35
	v_cmp_gt_i32_e64 s1, 0, v34
	v_ashrrev_i32_e32 v34, 31, v38
	s_wait_alu 0xfffd
	v_xor_b32_e32 v37, vcc_lo, v37
	v_and_b32_e32 v36, v36, v40
	v_add_nc_u32_e32 v103, v33, v35
	s_wait_alu 0xf1ff
	v_xor_b32_e32 v34, s1, v34
	s_delay_alu instid0(VALU_DEP_3) | instskip(SKIP_2) | instid1(VALU_DEP_1)
	v_and_b32_e32 v35, v36, v37
	ds_load_b32 v101, v103 offset:32
	; wave barrier
	v_and_b32_e32 v34, v35, v34
	v_mbcnt_lo_u32_b32 v102, v34, 0
	v_cmp_ne_u32_e64 s1, 0, v34
	s_delay_alu instid0(VALU_DEP_2)
	v_cmp_eq_u32_e32 vcc_lo, 0, v102
	s_and_b32 s11, s1, vcc_lo
	s_wait_alu 0xfffe
	s_and_saveexec_b32 s1, s11
	s_cbranch_execz .LBB111_45
; %bb.44:
	s_wait_dscnt 0x0
	v_bcnt_u32_b32 v34, v34, v101
	ds_store_b32 v103, v34 offset:32
.LBB111_45:
	s_wait_alu 0xfffe
	s_or_b32 exec_lo, exec_lo, s1
	v_and_b32_e32 v34, s9, v85
	; wave barrier
	s_delay_alu instid0(VALU_DEP_1)
	v_and_b32_e32 v36, 1, v34
	v_lshlrev_b32_e32 v37, 30, v34
	v_lshlrev_b32_e32 v38, 29, v34
	;; [unrolled: 1-line block ×4, first 2 shown]
	v_add_co_u32 v36, s1, v36, -1
	s_wait_alu 0xf1ff
	v_cndmask_b32_e64 v40, 0, 1, s1
	v_not_b32_e32 v107, v37
	v_cmp_gt_i32_e64 s1, 0, v37
	v_not_b32_e32 v37, v38
	v_lshlrev_b32_e32 v105, 26, v34
	v_cmp_ne_u32_e32 vcc_lo, 0, v40
	v_ashrrev_i32_e32 v40, 31, v107
	v_lshlrev_b32_e32 v106, 25, v34
	v_ashrrev_i32_e32 v37, 31, v37
	v_and_b32_e32 v35, 0xff, v34
	s_wait_alu 0xfffd
	v_xor_b32_e32 v36, vcc_lo, v36
	v_cmp_gt_i32_e32 vcc_lo, 0, v38
	v_not_b32_e32 v38, v39
	s_wait_alu 0xf1ff
	v_xor_b32_e32 v40, s1, v40
	v_cmp_gt_i32_e64 s1, 0, v39
	v_and_b32_e32 v36, exec_lo, v36
	v_not_b32_e32 v39, v104
	v_ashrrev_i32_e32 v38, 31, v38
	s_wait_alu 0xfffd
	v_xor_b32_e32 v37, vcc_lo, v37
	v_cmp_gt_i32_e32 vcc_lo, 0, v104
	v_and_b32_e32 v36, v36, v40
	v_not_b32_e32 v40, v105
	v_ashrrev_i32_e32 v39, 31, v39
	s_wait_alu 0xf1ff
	v_xor_b32_e32 v38, s1, v38
	v_lshlrev_b32_e32 v34, 24, v34
	v_and_b32_e32 v36, v36, v37
	v_cmp_gt_i32_e64 s1, 0, v105
	v_not_b32_e32 v37, v106
	v_ashrrev_i32_e32 v40, 31, v40
	s_wait_alu 0xfffd
	v_xor_b32_e32 v39, vcc_lo, v39
	v_and_b32_e32 v36, v36, v38
	v_cmp_gt_i32_e32 vcc_lo, 0, v106
	v_not_b32_e32 v38, v34
	v_ashrrev_i32_e32 v37, 31, v37
	s_wait_alu 0xf1ff
	v_xor_b32_e32 v40, s1, v40
	v_and_b32_e32 v36, v36, v39
	v_lshlrev_b32_e32 v35, 5, v35
	v_cmp_gt_i32_e64 s1, 0, v34
	v_ashrrev_i32_e32 v34, 31, v38
	s_wait_alu 0xfffd
	v_xor_b32_e32 v37, vcc_lo, v37
	v_and_b32_e32 v36, v36, v40
	v_add_nc_u32_e32 v106, v33, v35
	s_wait_alu 0xf1ff
	v_xor_b32_e32 v34, s1, v34
	s_delay_alu instid0(VALU_DEP_3) | instskip(SKIP_2) | instid1(VALU_DEP_1)
	v_and_b32_e32 v35, v36, v37
	ds_load_b32 v104, v106 offset:32
	; wave barrier
	v_and_b32_e32 v34, v35, v34
	v_mbcnt_lo_u32_b32 v105, v34, 0
	v_cmp_ne_u32_e64 s1, 0, v34
	s_delay_alu instid0(VALU_DEP_2)
	v_cmp_eq_u32_e32 vcc_lo, 0, v105
	s_and_b32 s11, s1, vcc_lo
	s_wait_alu 0xfffe
	s_and_saveexec_b32 s1, s11
	s_cbranch_execz .LBB111_47
; %bb.46:
	s_wait_dscnt 0x0
	v_bcnt_u32_b32 v34, v34, v104
	ds_store_b32 v106, v34 offset:32
.LBB111_47:
	s_wait_alu 0xfffe
	s_or_b32 exec_lo, exec_lo, s1
	v_and_b32_e32 v34, s9, v86
	; wave barrier
	s_delay_alu instid0(VALU_DEP_1)
	v_and_b32_e32 v36, 1, v34
	v_lshlrev_b32_e32 v37, 30, v34
	v_lshlrev_b32_e32 v38, 29, v34
	;; [unrolled: 1-line block ×4, first 2 shown]
	v_add_co_u32 v36, s1, v36, -1
	s_wait_alu 0xf1ff
	v_cndmask_b32_e64 v40, 0, 1, s1
	v_not_b32_e32 v110, v37
	v_cmp_gt_i32_e64 s1, 0, v37
	v_not_b32_e32 v37, v38
	v_lshlrev_b32_e32 v108, 26, v34
	v_cmp_ne_u32_e32 vcc_lo, 0, v40
	v_ashrrev_i32_e32 v40, 31, v110
	v_lshlrev_b32_e32 v109, 25, v34
	v_ashrrev_i32_e32 v37, 31, v37
	v_and_b32_e32 v35, 0xff, v34
	s_wait_alu 0xfffd
	v_xor_b32_e32 v36, vcc_lo, v36
	v_cmp_gt_i32_e32 vcc_lo, 0, v38
	v_not_b32_e32 v38, v39
	s_wait_alu 0xf1ff
	v_xor_b32_e32 v40, s1, v40
	v_cmp_gt_i32_e64 s1, 0, v39
	v_and_b32_e32 v36, exec_lo, v36
	v_not_b32_e32 v39, v107
	v_ashrrev_i32_e32 v38, 31, v38
	s_wait_alu 0xfffd
	v_xor_b32_e32 v37, vcc_lo, v37
	v_cmp_gt_i32_e32 vcc_lo, 0, v107
	v_and_b32_e32 v36, v36, v40
	v_not_b32_e32 v40, v108
	v_ashrrev_i32_e32 v39, 31, v39
	s_wait_alu 0xf1ff
	v_xor_b32_e32 v38, s1, v38
	v_lshlrev_b32_e32 v34, 24, v34
	v_and_b32_e32 v36, v36, v37
	v_cmp_gt_i32_e64 s1, 0, v108
	v_not_b32_e32 v37, v109
	v_ashrrev_i32_e32 v40, 31, v40
	s_wait_alu 0xfffd
	v_xor_b32_e32 v39, vcc_lo, v39
	v_and_b32_e32 v36, v36, v38
	v_cmp_gt_i32_e32 vcc_lo, 0, v109
	v_not_b32_e32 v38, v34
	v_ashrrev_i32_e32 v37, 31, v37
	s_wait_alu 0xf1ff
	v_xor_b32_e32 v40, s1, v40
	v_and_b32_e32 v36, v36, v39
	v_lshlrev_b32_e32 v35, 5, v35
	v_cmp_gt_i32_e64 s1, 0, v34
	v_ashrrev_i32_e32 v34, 31, v38
	s_wait_alu 0xfffd
	v_xor_b32_e32 v37, vcc_lo, v37
	v_and_b32_e32 v36, v36, v40
	v_add_nc_u32_e32 v109, v33, v35
	s_wait_alu 0xf1ff
	v_xor_b32_e32 v33, s1, v34
	s_delay_alu instid0(VALU_DEP_3) | instskip(SKIP_2) | instid1(VALU_DEP_1)
	v_and_b32_e32 v34, v36, v37
	ds_load_b32 v107, v109 offset:32
	; wave barrier
	v_and_b32_e32 v33, v34, v33
	v_mbcnt_lo_u32_b32 v108, v33, 0
	v_cmp_ne_u32_e64 s1, 0, v33
	s_delay_alu instid0(VALU_DEP_2)
	v_cmp_eq_u32_e32 vcc_lo, 0, v108
	s_and_b32 s9, s1, vcc_lo
	s_wait_alu 0xfffe
	s_and_saveexec_b32 s1, s9
	s_cbranch_execz .LBB111_49
; %bb.48:
	s_wait_dscnt 0x0
	v_bcnt_u32_b32 v33, v33, v107
	ds_store_b32 v109, v33 offset:32
.LBB111_49:
	s_wait_alu 0xfffe
	s_or_b32 exec_lo, exec_lo, s1
	; wave barrier
	s_wait_loadcnt_dscnt 0x0
	s_barrier_signal -1
	s_barrier_wait -1
	global_inv scope:SCOPE_SE
	ds_load_b128 v[37:40], v66 offset:32
	ds_load_b128 v[33:36], v66 offset:48
	v_min_u32_e32 v112, 0xe0, v68
	s_mov_b32 s1, exec_lo
	s_wait_dscnt 0x1
	v_add_nc_u32_e32 v110, v38, v37
	s_delay_alu instid0(VALU_DEP_1) | instskip(SKIP_1) | instid1(VALU_DEP_1)
	v_add3_u32 v110, v110, v39, v40
	s_wait_dscnt 0x0
	v_add3_u32 v110, v110, v33, v34
	s_delay_alu instid0(VALU_DEP_1) | instskip(SKIP_1) | instid1(VALU_DEP_2)
	v_add3_u32 v36, v110, v35, v36
	v_and_b32_e32 v110, 15, v67
	v_mov_b32_dpp v111, v36 row_shr:1 row_mask:0xf bank_mask:0xf
	s_delay_alu instid0(VALU_DEP_2) | instskip(SKIP_1) | instid1(VALU_DEP_2)
	v_cmp_ne_u32_e32 vcc_lo, 0, v110
	s_wait_alu 0xfffd
	v_cndmask_b32_e32 v111, 0, v111, vcc_lo
	v_cmp_lt_u32_e32 vcc_lo, 1, v110
	s_delay_alu instid0(VALU_DEP_2) | instskip(NEXT) | instid1(VALU_DEP_1)
	v_add_nc_u32_e32 v36, v111, v36
	v_mov_b32_dpp v111, v36 row_shr:2 row_mask:0xf bank_mask:0xf
	s_wait_alu 0xfffd
	s_delay_alu instid0(VALU_DEP_1) | instskip(SKIP_1) | instid1(VALU_DEP_2)
	v_cndmask_b32_e32 v111, 0, v111, vcc_lo
	v_cmp_lt_u32_e32 vcc_lo, 3, v110
	v_add_nc_u32_e32 v36, v36, v111
	s_delay_alu instid0(VALU_DEP_1) | instskip(SKIP_1) | instid1(VALU_DEP_1)
	v_mov_b32_dpp v111, v36 row_shr:4 row_mask:0xf bank_mask:0xf
	s_wait_alu 0xfffd
	v_cndmask_b32_e32 v111, 0, v111, vcc_lo
	v_cmp_lt_u32_e32 vcc_lo, 7, v110
	s_delay_alu instid0(VALU_DEP_2) | instskip(NEXT) | instid1(VALU_DEP_1)
	v_add_nc_u32_e32 v36, v36, v111
	v_mov_b32_dpp v111, v36 row_shr:8 row_mask:0xf bank_mask:0xf
	s_wait_alu 0xfffd
	s_delay_alu instid0(VALU_DEP_1) | instskip(SKIP_1) | instid1(VALU_DEP_2)
	v_cndmask_b32_e32 v110, 0, v111, vcc_lo
	v_bfe_i32 v111, v67, 4, 1
	v_add_nc_u32_e32 v36, v36, v110
	ds_swizzle_b32 v110, v36 offset:swizzle(BROADCAST,32,15)
	s_wait_dscnt 0x0
	v_and_b32_e32 v110, v111, v110
	v_or_b32_e32 v111, 31, v112
	s_delay_alu instid0(VALU_DEP_2) | instskip(NEXT) | instid1(VALU_DEP_2)
	v_add_nc_u32_e32 v36, v36, v110
	v_cmpx_eq_u32_e64 v44, v111
; %bb.50:
	v_lshlrev_b32_e32 v110, 2, v65
	ds_store_b32 v110, v36
; %bb.51:
	s_wait_alu 0xfffe
	s_or_b32 exec_lo, exec_lo, s1
	s_delay_alu instid0(SALU_CYCLE_1)
	s_mov_b32 s1, exec_lo
	s_wait_loadcnt_dscnt 0x0
	s_barrier_signal -1
	s_barrier_wait -1
	global_inv scope:SCOPE_SE
	v_cmpx_gt_u32_e32 8, v44
	s_cbranch_execz .LBB111_53
; %bb.52:
	v_and_b32_e32 v112, 7, v67
	s_delay_alu instid0(VALU_DEP_1)
	v_cmp_ne_u32_e32 vcc_lo, 0, v112
	v_lshlrev_b32_e32 v110, 2, v44
	ds_load_b32 v111, v110
	s_wait_dscnt 0x0
	v_mov_b32_dpp v113, v111 row_shr:1 row_mask:0xf bank_mask:0xf
	s_wait_alu 0xfffd
	s_delay_alu instid0(VALU_DEP_1) | instskip(SKIP_1) | instid1(VALU_DEP_2)
	v_cndmask_b32_e32 v113, 0, v113, vcc_lo
	v_cmp_lt_u32_e32 vcc_lo, 1, v112
	v_add_nc_u32_e32 v111, v113, v111
	s_delay_alu instid0(VALU_DEP_1) | instskip(SKIP_1) | instid1(VALU_DEP_1)
	v_mov_b32_dpp v113, v111 row_shr:2 row_mask:0xf bank_mask:0xf
	s_wait_alu 0xfffd
	v_cndmask_b32_e32 v113, 0, v113, vcc_lo
	v_cmp_lt_u32_e32 vcc_lo, 3, v112
	s_delay_alu instid0(VALU_DEP_2) | instskip(NEXT) | instid1(VALU_DEP_1)
	v_add_nc_u32_e32 v111, v111, v113
	v_mov_b32_dpp v113, v111 row_shr:4 row_mask:0xf bank_mask:0xf
	s_wait_alu 0xfffd
	s_delay_alu instid0(VALU_DEP_1) | instskip(NEXT) | instid1(VALU_DEP_1)
	v_cndmask_b32_e32 v112, 0, v113, vcc_lo
	v_add_nc_u32_e32 v111, v111, v112
	ds_store_b32 v110, v111
.LBB111_53:
	s_wait_alu 0xfffe
	s_or_b32 exec_lo, exec_lo, s1
	v_mov_b32_e32 v110, 0
	s_mov_b32 s1, exec_lo
	s_wait_loadcnt_dscnt 0x0
	s_barrier_signal -1
	s_barrier_wait -1
	global_inv scope:SCOPE_SE
	v_cmpx_lt_u32_e32 31, v44
; %bb.54:
	v_lshl_add_u32 v110, v65, 2, -4
	ds_load_b32 v110, v110
; %bb.55:
	s_wait_alu 0xfffe
	s_or_b32 exec_lo, exec_lo, s1
	v_sub_co_u32 v111, vcc_lo, v67, 1
	s_wait_dscnt 0x0
	v_add_nc_u32_e32 v36, v110, v36
	s_delay_alu instid0(VALU_DEP_2) | instskip(SKIP_1) | instid1(VALU_DEP_1)
	v_cmp_gt_i32_e64 s1, 0, v111
	s_wait_alu 0xf1ff
	v_cndmask_b32_e64 v111, v111, v67, s1
	s_delay_alu instid0(VALU_DEP_1)
	v_lshlrev_b32_e32 v111, 2, v111
	ds_bpermute_b32 v36, v111, v36
	s_wait_dscnt 0x0
	s_wait_alu 0xfffd
	v_cndmask_b32_e32 v36, v36, v110, vcc_lo
	v_cmp_ne_u32_e32 vcc_lo, 0, v44
	s_wait_alu 0xfffd
	s_delay_alu instid0(VALU_DEP_2) | instskip(NEXT) | instid1(VALU_DEP_1)
	v_cndmask_b32_e32 v36, 0, v36, vcc_lo
	v_add_nc_u32_e32 v37, v36, v37
	s_delay_alu instid0(VALU_DEP_1) | instskip(NEXT) | instid1(VALU_DEP_1)
	v_add_nc_u32_e32 v38, v37, v38
	v_add_nc_u32_e32 v39, v38, v39
	s_delay_alu instid0(VALU_DEP_1) | instskip(NEXT) | instid1(VALU_DEP_1)
	v_add_nc_u32_e32 v110, v39, v40
	;; [unrolled: 3-line block ×3, first 2 shown]
	v_add_nc_u32_e32 v113, v112, v35
	ds_store_b128 v66, v[36:39] offset:32
	ds_store_b128 v66, v[110:113] offset:48
	s_wait_loadcnt_dscnt 0x0
	s_barrier_signal -1
	s_barrier_wait -1
	global_inv scope:SCOPE_SE
	ds_load_b32 v33, v88 offset:32
	ds_load_b32 v34, v91 offset:32
	;; [unrolled: 1-line block ×8, first 2 shown]
	s_wait_loadcnt_dscnt 0x0
	s_barrier_signal -1
	s_barrier_wait -1
	global_inv scope:SCOPE_SE
	v_mad_u32_u24 v88, v44, 56, v60
	v_add_nc_u32_e32 v33, v33, v87
	v_add3_u32 v34, v90, v89, v34
	v_add3_u32 v35, v93, v92, v35
	;; [unrolled: 1-line block ×7, first 2 shown]
	ds_store_b8 v33, v0
	ds_store_b8 v34, v80
	;; [unrolled: 1-line block ×8, first 2 shown]
	s_wait_loadcnt_dscnt 0x0
	s_barrier_signal -1
	s_barrier_wait -1
	global_inv scope:SCOPE_SE
	v_lshlrev_b32_e32 v0, 3, v33
	v_lshlrev_b32_e32 v80, 3, v34
	ds_load_b64 v[33:34], v60
	v_lshlrev_b32_e32 v35, 3, v35
	v_lshlrev_b32_e32 v36, 3, v36
	;; [unrolled: 1-line block ×6, first 2 shown]
	s_wait_loadcnt_dscnt 0x0
	s_barrier_signal -1
	s_barrier_wait -1
	global_inv scope:SCOPE_SE
	ds_store_b64 v0, v[21:22]
	ds_store_b64 v80, v[23:24]
	;; [unrolled: 1-line block ×8, first 2 shown]
	s_wait_loadcnt_dscnt 0x0
	s_barrier_signal -1
	s_barrier_wait -1
	global_inv scope:SCOPE_SE
	ds_load_b128 v[21:24], v88
	ds_load_b128 v[17:20], v88 offset:16
	v_lshrrev_b32_e32 v0, 16, v33
	v_xor_b32_e32 v25, 0x80, v33
	v_lshrrev_b32_e32 v26, 16, v34
	v_and_b32_e32 v35, 0xffffff00, v34
	v_xor_b32_e32 v27, 0x80, v34
	v_and_b32_e32 v33, 0xffffff00, v33
	v_and_b32_e32 v34, 0xff, v25
	v_xor_b32_e32 v25, 0x80, v0
	v_xor_b32_e32 v28, 0x80, v26
	v_and_b32_e32 v0, 0xffffff00, v0
	v_and_b32_e32 v36, 0xff, v27
	;; [unrolled: 1-line block ×5, first 2 shown]
	ds_load_b128 v[29:32], v88 offset:32
	ds_load_b128 v[25:28], v88 offset:48
	v_or_b32_e32 v33, v34, v33
	v_or_b32_e32 v34, v36, v35
	;; [unrolled: 1-line block ×4, first 2 shown]
	s_delay_alu instid0(VALU_DEP_4) | instskip(NEXT) | instid1(VALU_DEP_4)
	v_add_nc_u16 v33, 0x8000, v33
	v_add_nc_u16 v34, 0x8000, v34
	s_delay_alu instid0(VALU_DEP_4) | instskip(NEXT) | instid1(VALU_DEP_4)
	v_add_nc_u16 v0, 0x8000, v0
	v_add_nc_u16 v35, 0x8000, v35
	s_delay_alu instid0(VALU_DEP_4) | instskip(NEXT) | instid1(VALU_DEP_4)
	v_and_b32_e32 v33, 0xffff, v33
	v_and_b32_e32 v34, 0xffff, v34
	s_delay_alu instid0(VALU_DEP_4) | instskip(NEXT) | instid1(VALU_DEP_4)
	v_lshlrev_b32_e32 v0, 16, v0
	v_lshlrev_b32_e32 v35, 16, v35
	s_delay_alu instid0(VALU_DEP_2) | instskip(NEXT) | instid1(VALU_DEP_2)
	v_or_b32_e32 v0, v33, v0
	v_or_b32_e32 v33, v34, v35
	s_branch .LBB111_87
.LBB111_56:
	v_lshlrev_b64_e32 v[1:2], 3, v[41:42]
	v_dual_mov_b32 v43, v42 :: v_dual_mov_b32 v10, v42
	v_dual_mov_b32 v9, v42 :: v_dual_mov_b32 v12, v42
	v_mov_b32_e32 v11, v42
	s_delay_alu instid0(VALU_DEP_4) | instskip(NEXT) | instid1(VALU_DEP_1)
	v_add_co_u32 v1, vcc_lo, s20, v1
	v_add_co_ci_u32_e64 v2, null, s21, v2, vcc_lo
	v_dual_mov_b32 v3, v42 :: v_dual_mov_b32 v6, v42
	v_dual_mov_b32 v5, v42 :: v_dual_mov_b32 v8, v42
	global_load_b64 v[13:14], v[1:2], off
	v_dual_mov_b32 v1, v42 :: v_dual_mov_b32 v4, v42
	v_dual_mov_b32 v2, v42 :: v_dual_mov_b32 v7, v42
	s_or_b32 exec_lo, exec_lo, s1
	s_and_saveexec_b32 s1, s3
	s_cbranch_execz .LBB111_25
.LBB111_57:
	v_mul_lo_u32 v29, s16, v29
	v_mov_b32_e32 v30, 0
	s_delay_alu instid0(VALU_DEP_1) | instskip(NEXT) | instid1(VALU_DEP_1)
	v_lshlrev_b64_e32 v[29:30], 3, v[29:30]
	v_add_co_u32 v29, vcc_lo, s20, v29
	s_wait_alu 0xfffd
	s_delay_alu instid0(VALU_DEP_2)
	v_add_co_ci_u32_e64 v30, null, s21, v30, vcc_lo
	global_load_b64 v[42:43], v[29:30], off
	s_or_b32 exec_lo, exec_lo, s1
	s_and_saveexec_b32 s1, s4
	s_cbranch_execz .LBB111_26
.LBB111_58:
	v_mul_lo_u32 v9, s16, v28
	v_mov_b32_e32 v10, 0
	s_delay_alu instid0(VALU_DEP_1) | instskip(NEXT) | instid1(VALU_DEP_1)
	v_lshlrev_b64_e32 v[9:10], 3, v[9:10]
	v_add_co_u32 v9, vcc_lo, s20, v9
	s_wait_alu 0xfffd
	s_delay_alu instid0(VALU_DEP_2)
	v_add_co_ci_u32_e64 v10, null, s21, v10, vcc_lo
	global_load_b64 v[9:10], v[9:10], off
	s_or_b32 exec_lo, exec_lo, s1
	s_and_saveexec_b32 s1, s5
	s_cbranch_execz .LBB111_27
.LBB111_59:
	v_mul_lo_u32 v11, s16, v26
	v_mov_b32_e32 v12, 0
	s_delay_alu instid0(VALU_DEP_1) | instskip(NEXT) | instid1(VALU_DEP_1)
	v_lshlrev_b64_e32 v[11:12], 3, v[11:12]
	v_add_co_u32 v11, vcc_lo, s20, v11
	s_wait_alu 0xfffd
	s_delay_alu instid0(VALU_DEP_2)
	v_add_co_ci_u32_e64 v12, null, s21, v12, vcc_lo
	global_load_b64 v[11:12], v[11:12], off
	s_or_b32 exec_lo, exec_lo, s1
	s_and_saveexec_b32 s1, s6
	s_cbranch_execz .LBB111_28
.LBB111_60:
	v_mul_lo_u32 v1, s16, v22
	v_mov_b32_e32 v2, 0
	s_delay_alu instid0(VALU_DEP_1) | instskip(NEXT) | instid1(VALU_DEP_1)
	v_lshlrev_b64_e32 v[1:2], 3, v[1:2]
	v_add_co_u32 v1, vcc_lo, s20, v1
	s_wait_alu 0xfffd
	s_delay_alu instid0(VALU_DEP_2)
	v_add_co_ci_u32_e64 v2, null, s21, v2, vcc_lo
	global_load_b64 v[1:2], v[1:2], off
	s_or_b32 exec_lo, exec_lo, s1
	s_and_saveexec_b32 s1, s7
	s_cbranch_execz .LBB111_29
.LBB111_61:
	v_mul_lo_u32 v3, s16, v19
	v_mov_b32_e32 v4, 0
	s_delay_alu instid0(VALU_DEP_1) | instskip(NEXT) | instid1(VALU_DEP_1)
	v_lshlrev_b64_e32 v[3:4], 3, v[3:4]
	v_add_co_u32 v3, vcc_lo, s20, v3
	s_wait_alu 0xfffd
	s_delay_alu instid0(VALU_DEP_2)
	v_add_co_ci_u32_e64 v4, null, s21, v4, vcc_lo
	global_load_b64 v[3:4], v[3:4], off
	s_or_b32 exec_lo, exec_lo, s1
	s_and_saveexec_b32 s1, s8
	s_cbranch_execz .LBB111_30
.LBB111_62:
	v_mul_lo_u32 v5, s16, v16
	v_mov_b32_e32 v6, 0
	s_delay_alu instid0(VALU_DEP_1) | instskip(NEXT) | instid1(VALU_DEP_1)
	v_lshlrev_b64_e32 v[5:6], 3, v[5:6]
	v_add_co_u32 v5, vcc_lo, s20, v5
	s_wait_alu 0xfffd
	s_delay_alu instid0(VALU_DEP_2)
	v_add_co_ci_u32_e64 v6, null, s21, v6, vcc_lo
	global_load_b64 v[5:6], v[5:6], off
	s_or_b32 exec_lo, exec_lo, s1
	s_xor_b32 s1, s11, -1
	s_and_saveexec_b32 s9, s0
	s_cbranch_execnz .LBB111_31
	s_branch .LBB111_32
.LBB111_63:
                                        ; implicit-def: $vgpr27_vgpr28
                                        ; implicit-def: $vgpr31_vgpr32
                                        ; implicit-def: $vgpr19_vgpr20
                                        ; implicit-def: $vgpr23_vgpr24
                                        ; implicit-def: $vgpr33
                                        ; implicit-def: $vgpr0
	s_and_b32 vcc_lo, exec_lo, s1
	s_wait_alu 0xfffe
	s_cbranch_vccz .LBB111_87
; %bb.64:
	v_xor_b32_e32 v0, 0x7f, v45
	s_wait_dscnt 0x2
	v_xor_b32_e32 v17, 0x7f, v79
	v_xor_b32_e32 v18, 0x7f, v78
	;; [unrolled: 1-line block ×7, first 2 shown]
	s_getpc_b64 s[12:13]
	s_sext_i32_i16 s13, s13
	s_add_co_u32 s12, s12, _ZN7rocprim17ROCPRIM_400000_NS16block_radix_sortIaLj256ELj8ElLj1ELj1ELj0ELNS0_26block_radix_rank_algorithmE1ELNS0_18block_padding_hintE2ELNS0_4arch9wavefront6targetE0EE19radix_bits_per_passE@rel32@lo+8
	s_add_co_ci_u32 s13, s13, _ZN7rocprim17ROCPRIM_400000_NS16block_radix_sortIaLj256ELj8ElLj1ELj1ELj0ELNS0_26block_radix_rank_algorithmE1ELNS0_18block_padding_hintE2ELNS0_4arch9wavefront6targetE0EE19radix_bits_per_passE@rel32@hi+16
	v_lshlrev_b16 v17, 8, v17
	s_load_b32 s1, s[12:13], 0x0
	s_mov_b32 s12, 0
	v_lshlrev_b16 v19, 8, v19
	v_and_b32_e32 v20, 0xff, v20
	v_lshlrev_b16 v21, 8, v21
	v_and_b32_e32 v22, 0xff, v22
	v_lshlrev_b16 v23, 8, v23
	s_mov_b32 s13, s12
	s_mov_b32 s14, s12
	;; [unrolled: 1-line block ×3, first 2 shown]
	v_and_b32_e32 v0, 0xff, v0
	v_and_b32_e32 v18, 0xff, v18
	s_delay_alu instid0(VALU_DEP_2) | instskip(NEXT) | instid1(VALU_DEP_2)
	v_or_b32_e32 v0, v0, v17
	v_or_b32_e32 v17, v18, v19
	;; [unrolled: 1-line block ×4, first 2 shown]
	s_delay_alu instid0(VALU_DEP_4) | instskip(NEXT) | instid1(VALU_DEP_4)
	v_and_b32_e32 v0, 0xffff, v0
	v_lshlrev_b32_e32 v17, 16, v17
	s_delay_alu instid0(VALU_DEP_4) | instskip(NEXT) | instid1(VALU_DEP_4)
	v_and_b32_e32 v18, 0xffff, v18
	v_lshlrev_b32_e32 v19, 16, v19
	s_wait_kmcnt 0x0
	s_min_u32 s1, s1, 8
	v_or_b32_e32 v17, v0, v17
	s_lshl_b32 s1, -1, s1
	v_or_b32_e32 v18, v18, v19
	s_not_b32 s9, s1
	v_mad_u32_u24 v0, v72, 7, v72
	ds_store_b64 v72, v[17:18]
	; wave barrier
	ds_load_u8 v24, v73
	s_wait_dscnt 0x2
	ds_load_u8 v25, v73 offset:32
	ds_load_u8 v26, v73 offset:64
	;; [unrolled: 1-line block ×7, first 2 shown]
	s_wait_loadcnt_dscnt 0x0
	s_barrier_signal -1
	s_barrier_wait -1
	global_inv scope:SCOPE_SE
	ds_store_b128 v0, v[13:16]
	ds_store_b128 v0, v[9:12] offset:16
	ds_store_b128 v0, v[5:8] offset:32
	;; [unrolled: 1-line block ×3, first 2 shown]
	; wave barrier
	ds_load_2addr_b64 v[12:15], v71 offset1:32
	ds_load_2addr_b64 v[4:7], v71 offset0:64 offset1:96
	ds_load_2addr_b64 v[0:3], v71 offset0:128 offset1:160
	s_wait_alu 0xfffe
	v_and_b32_e32 v22, s9, v24
	s_delay_alu instid0(VALU_DEP_1) | instskip(SKIP_3) | instid1(VALU_DEP_4)
	v_and_b32_e32 v8, 1, v22
	v_lshlrev_b32_e32 v18, 30, v22
	v_lshlrev_b32_e32 v19, 29, v22
	;; [unrolled: 1-line block ×3, first 2 shown]
	v_add_co_u32 v16, s1, v8, -1
	s_delay_alu instid0(VALU_DEP_1)
	v_cndmask_b32_e64 v17, 0, 1, s1
	ds_load_2addr_b64 v[8:11], v71 offset0:192 offset1:224
	s_wait_loadcnt_dscnt 0x0
	s_barrier_signal -1
	s_barrier_wait -1
	v_cmp_ne_u32_e32 vcc_lo, 0, v17
	v_not_b32_e32 v17, v18
	global_inv scope:SCOPE_SE
	s_load_b32 s1, s[22:23], 0xc
	v_xor_b32_e32 v16, vcc_lo, v16
	v_cmp_gt_i32_e32 vcc_lo, 0, v18
	v_ashrrev_i32_e32 v17, 31, v17
	v_not_b32_e32 v18, v19
	s_delay_alu instid0(VALU_DEP_4) | instskip(SKIP_1) | instid1(VALU_DEP_3)
	v_and_b32_e32 v16, exec_lo, v16
	s_wait_alu 0xfffd
	v_xor_b32_e32 v17, vcc_lo, v17
	v_cmp_gt_i32_e32 vcc_lo, 0, v19
	v_ashrrev_i32_e32 v18, 31, v18
	v_not_b32_e32 v19, v20
	s_delay_alu instid0(VALU_DEP_4)
	v_and_b32_e32 v16, v16, v17
	v_lshlrev_b32_e32 v17, 27, v22
	s_wait_alu 0xfffd
	v_xor_b32_e32 v18, vcc_lo, v18
	v_cmp_gt_i32_e32 vcc_lo, 0, v20
	v_ashrrev_i32_e32 v19, 31, v19
	v_not_b32_e32 v20, v17
	s_delay_alu instid0(VALU_DEP_4)
	v_and_b32_e32 v16, v16, v18
	v_lshlrev_b32_e32 v18, 26, v22
	s_wait_alu 0xfffd
	v_xor_b32_e32 v19, vcc_lo, v19
	v_cmp_gt_i32_e32 vcc_lo, 0, v17
	v_ashrrev_i32_e32 v17, 31, v20
	s_wait_kmcnt 0x0
	s_lshr_b32 s11, s1, 16
	v_not_b32_e32 v20, v18
	v_and_b32_e32 v16, v16, v19
	v_lshlrev_b32_e32 v19, 25, v22
	s_wait_alu 0xfffd
	v_xor_b32_e32 v17, vcc_lo, v17
	v_cmp_gt_i32_e32 vcc_lo, 0, v18
	v_ashrrev_i32_e32 v18, 31, v20
	s_and_b32 s1, s1, 0xffff
	v_not_b32_e32 v20, v19
	v_and_b32_e32 v16, v16, v17
	v_lshlrev_b32_e32 v17, 24, v22
	s_wait_alu 0xfffd
	v_xor_b32_e32 v18, vcc_lo, v18
	v_cmp_gt_i32_e32 vcc_lo, 0, v19
	v_ashrrev_i32_e32 v19, 31, v20
	s_wait_alu 0xfffe
	v_mad_u32_u24 v20, v70, s11, v69
	v_not_b32_e32 v21, v17
	v_and_b32_e32 v18, v16, v18
	v_and_b32_e32 v22, 0xff, v22
	s_wait_alu 0xfffd
	v_xor_b32_e32 v19, vcc_lo, v19
	v_cmp_gt_i32_e32 vcc_lo, 0, v17
	v_ashrrev_i32_e32 v21, 31, v21
	v_mad_co_u64_u32 v[16:17], null, v20, s1, v[44:45]
	s_delay_alu instid0(VALU_DEP_4) | instskip(SKIP_1) | instid1(VALU_DEP_3)
	v_and_b32_e32 v17, v18, v19
	s_wait_alu 0xfffd
	v_xor_b32_e32 v23, vcc_lo, v21
	v_dual_mov_b32 v21, s15 :: v_dual_mov_b32 v20, s14
	v_dual_mov_b32 v19, s13 :: v_dual_mov_b32 v18, s12
	s_delay_alu instid0(VALU_DEP_3)
	v_and_b32_e32 v17, v17, v23
	v_lshrrev_b32_e32 v16, 3, v16
	ds_store_b128 v66, v[18:21] offset:32
	ds_store_b128 v66, v[18:21] offset:48
	v_mbcnt_lo_u32_b32 v32, v17, 0
	v_and_b32_e32 v16, 0x1ffffffc, v16
	v_lshlrev_b32_e32 v18, 5, v22
	v_cmp_ne_u32_e64 s1, 0, v17
	s_wait_loadcnt_dscnt 0x0
	v_cmp_eq_u32_e32 vcc_lo, 0, v32
	s_barrier_signal -1
	v_add_nc_u32_e32 v33, v16, v18
	s_barrier_wait -1
	global_inv scope:SCOPE_SE
	s_and_b32 s11, s1, vcc_lo
	; wave barrier
	s_wait_alu 0xfffe
	s_and_saveexec_b32 s1, s11
; %bb.65:
	v_bcnt_u32_b32 v17, v17, 0
	ds_store_b32 v33, v17 offset:32
; %bb.66:
	s_wait_alu 0xfffe
	s_or_b32 exec_lo, exec_lo, s1
	v_and_b32_e32 v17, s9, v25
	; wave barrier
	s_delay_alu instid0(VALU_DEP_1)
	v_and_b32_e32 v19, 1, v17
	v_lshlrev_b32_e32 v20, 30, v17
	v_lshlrev_b32_e32 v21, 29, v17
	;; [unrolled: 1-line block ×4, first 2 shown]
	v_add_co_u32 v19, s1, v19, -1
	s_wait_alu 0xf1ff
	v_cndmask_b32_e64 v23, 0, 1, s1
	v_not_b32_e32 v37, v20
	v_cmp_gt_i32_e64 s1, 0, v20
	v_not_b32_e32 v20, v21
	v_lshlrev_b32_e32 v35, 26, v17
	v_cmp_ne_u32_e32 vcc_lo, 0, v23
	v_ashrrev_i32_e32 v23, 31, v37
	v_lshlrev_b32_e32 v36, 25, v17
	v_ashrrev_i32_e32 v20, 31, v20
	v_and_b32_e32 v18, 0xff, v17
	s_wait_alu 0xfffd
	v_xor_b32_e32 v19, vcc_lo, v19
	v_cmp_gt_i32_e32 vcc_lo, 0, v21
	v_not_b32_e32 v21, v22
	s_wait_alu 0xf1ff
	v_xor_b32_e32 v23, s1, v23
	v_cmp_gt_i32_e64 s1, 0, v22
	v_and_b32_e32 v19, exec_lo, v19
	v_not_b32_e32 v22, v34
	v_ashrrev_i32_e32 v21, 31, v21
	s_wait_alu 0xfffd
	v_xor_b32_e32 v20, vcc_lo, v20
	v_cmp_gt_i32_e32 vcc_lo, 0, v34
	v_and_b32_e32 v19, v19, v23
	v_not_b32_e32 v23, v35
	v_ashrrev_i32_e32 v22, 31, v22
	s_wait_alu 0xf1ff
	v_xor_b32_e32 v21, s1, v21
	v_lshlrev_b32_e32 v17, 24, v17
	v_and_b32_e32 v19, v19, v20
	v_cmp_gt_i32_e64 s1, 0, v35
	v_not_b32_e32 v20, v36
	v_ashrrev_i32_e32 v23, 31, v23
	s_wait_alu 0xfffd
	v_xor_b32_e32 v22, vcc_lo, v22
	v_and_b32_e32 v19, v19, v21
	v_cmp_gt_i32_e32 vcc_lo, 0, v36
	v_not_b32_e32 v21, v17
	v_ashrrev_i32_e32 v20, 31, v20
	s_wait_alu 0xf1ff
	v_xor_b32_e32 v23, s1, v23
	v_and_b32_e32 v19, v19, v22
	v_lshlrev_b32_e32 v18, 5, v18
	v_cmp_gt_i32_e64 s1, 0, v17
	v_ashrrev_i32_e32 v17, 31, v21
	s_wait_alu 0xfffd
	v_xor_b32_e32 v20, vcc_lo, v20
	v_and_b32_e32 v19, v19, v23
	v_add_nc_u32_e32 v36, v16, v18
	s_wait_alu 0xf1ff
	v_xor_b32_e32 v17, s1, v17
	s_delay_alu instid0(VALU_DEP_3) | instskip(SKIP_2) | instid1(VALU_DEP_1)
	v_and_b32_e32 v18, v19, v20
	ds_load_b32 v34, v36 offset:32
	; wave barrier
	v_and_b32_e32 v17, v18, v17
	v_mbcnt_lo_u32_b32 v35, v17, 0
	v_cmp_ne_u32_e64 s1, 0, v17
	s_delay_alu instid0(VALU_DEP_2)
	v_cmp_eq_u32_e32 vcc_lo, 0, v35
	s_and_b32 s11, s1, vcc_lo
	s_wait_alu 0xfffe
	s_and_saveexec_b32 s1, s11
	s_cbranch_execz .LBB111_68
; %bb.67:
	s_wait_dscnt 0x0
	v_bcnt_u32_b32 v17, v17, v34
	ds_store_b32 v36, v17 offset:32
.LBB111_68:
	s_wait_alu 0xfffe
	s_or_b32 exec_lo, exec_lo, s1
	v_and_b32_e32 v17, s9, v26
	; wave barrier
	s_delay_alu instid0(VALU_DEP_1)
	v_and_b32_e32 v19, 1, v17
	v_lshlrev_b32_e32 v20, 30, v17
	v_lshlrev_b32_e32 v21, 29, v17
	;; [unrolled: 1-line block ×4, first 2 shown]
	v_add_co_u32 v19, s1, v19, -1
	s_wait_alu 0xf1ff
	v_cndmask_b32_e64 v23, 0, 1, s1
	v_not_b32_e32 v40, v20
	v_cmp_gt_i32_e64 s1, 0, v20
	v_not_b32_e32 v20, v21
	v_lshlrev_b32_e32 v38, 26, v17
	v_cmp_ne_u32_e32 vcc_lo, 0, v23
	v_ashrrev_i32_e32 v23, 31, v40
	v_lshlrev_b32_e32 v39, 25, v17
	v_ashrrev_i32_e32 v20, 31, v20
	v_and_b32_e32 v18, 0xff, v17
	s_wait_alu 0xfffd
	v_xor_b32_e32 v19, vcc_lo, v19
	v_cmp_gt_i32_e32 vcc_lo, 0, v21
	v_not_b32_e32 v21, v22
	s_wait_alu 0xf1ff
	v_xor_b32_e32 v23, s1, v23
	v_cmp_gt_i32_e64 s1, 0, v22
	v_and_b32_e32 v19, exec_lo, v19
	v_not_b32_e32 v22, v37
	v_ashrrev_i32_e32 v21, 31, v21
	s_wait_alu 0xfffd
	v_xor_b32_e32 v20, vcc_lo, v20
	v_cmp_gt_i32_e32 vcc_lo, 0, v37
	v_and_b32_e32 v19, v19, v23
	v_not_b32_e32 v23, v38
	v_ashrrev_i32_e32 v22, 31, v22
	s_wait_alu 0xf1ff
	v_xor_b32_e32 v21, s1, v21
	v_lshlrev_b32_e32 v17, 24, v17
	v_and_b32_e32 v19, v19, v20
	v_cmp_gt_i32_e64 s1, 0, v38
	v_not_b32_e32 v20, v39
	v_ashrrev_i32_e32 v23, 31, v23
	s_wait_alu 0xfffd
	v_xor_b32_e32 v22, vcc_lo, v22
	v_and_b32_e32 v19, v19, v21
	v_cmp_gt_i32_e32 vcc_lo, 0, v39
	v_not_b32_e32 v21, v17
	v_ashrrev_i32_e32 v20, 31, v20
	s_wait_alu 0xf1ff
	v_xor_b32_e32 v23, s1, v23
	v_and_b32_e32 v19, v19, v22
	v_lshlrev_b32_e32 v18, 5, v18
	v_cmp_gt_i32_e64 s1, 0, v17
	v_ashrrev_i32_e32 v17, 31, v21
	s_wait_alu 0xfffd
	v_xor_b32_e32 v20, vcc_lo, v20
	v_and_b32_e32 v19, v19, v23
	v_add_nc_u32_e32 v39, v16, v18
	s_wait_alu 0xf1ff
	v_xor_b32_e32 v17, s1, v17
	s_delay_alu instid0(VALU_DEP_3) | instskip(SKIP_2) | instid1(VALU_DEP_1)
	v_and_b32_e32 v18, v19, v20
	ds_load_b32 v37, v39 offset:32
	; wave barrier
	v_and_b32_e32 v17, v18, v17
	v_mbcnt_lo_u32_b32 v38, v17, 0
	v_cmp_ne_u32_e64 s1, 0, v17
	s_delay_alu instid0(VALU_DEP_2)
	v_cmp_eq_u32_e32 vcc_lo, 0, v38
	s_and_b32 s11, s1, vcc_lo
	s_wait_alu 0xfffe
	s_and_saveexec_b32 s1, s11
	s_cbranch_execz .LBB111_70
; %bb.69:
	s_wait_dscnt 0x0
	v_bcnt_u32_b32 v17, v17, v37
	ds_store_b32 v39, v17 offset:32
.LBB111_70:
	s_wait_alu 0xfffe
	s_or_b32 exec_lo, exec_lo, s1
	v_and_b32_e32 v17, s9, v27
	; wave barrier
	s_delay_alu instid0(VALU_DEP_1)
	v_and_b32_e32 v19, 1, v17
	v_lshlrev_b32_e32 v20, 30, v17
	v_lshlrev_b32_e32 v21, 29, v17
	v_lshlrev_b32_e32 v22, 28, v17
	v_lshlrev_b32_e32 v40, 27, v17
	v_add_co_u32 v19, s1, v19, -1
	s_wait_alu 0xf1ff
	v_cndmask_b32_e64 v23, 0, 1, s1
	v_not_b32_e32 v69, v20
	v_cmp_gt_i32_e64 s1, 0, v20
	v_not_b32_e32 v20, v21
	v_lshlrev_b32_e32 v45, 26, v17
	v_cmp_ne_u32_e32 vcc_lo, 0, v23
	v_ashrrev_i32_e32 v23, 31, v69
	v_lshlrev_b32_e32 v46, 25, v17
	v_ashrrev_i32_e32 v20, 31, v20
	v_and_b32_e32 v18, 0xff, v17
	s_wait_alu 0xfffd
	v_xor_b32_e32 v19, vcc_lo, v19
	v_cmp_gt_i32_e32 vcc_lo, 0, v21
	v_not_b32_e32 v21, v22
	s_wait_alu 0xf1ff
	v_xor_b32_e32 v23, s1, v23
	v_cmp_gt_i32_e64 s1, 0, v22
	v_and_b32_e32 v19, exec_lo, v19
	v_not_b32_e32 v22, v40
	v_ashrrev_i32_e32 v21, 31, v21
	s_wait_alu 0xfffd
	v_xor_b32_e32 v20, vcc_lo, v20
	v_cmp_gt_i32_e32 vcc_lo, 0, v40
	v_and_b32_e32 v19, v19, v23
	v_not_b32_e32 v23, v45
	v_ashrrev_i32_e32 v22, 31, v22
	s_wait_alu 0xf1ff
	v_xor_b32_e32 v21, s1, v21
	v_lshlrev_b32_e32 v17, 24, v17
	v_and_b32_e32 v19, v19, v20
	v_cmp_gt_i32_e64 s1, 0, v45
	v_not_b32_e32 v20, v46
	v_ashrrev_i32_e32 v23, 31, v23
	s_wait_alu 0xfffd
	v_xor_b32_e32 v22, vcc_lo, v22
	v_and_b32_e32 v19, v19, v21
	v_cmp_gt_i32_e32 vcc_lo, 0, v46
	v_not_b32_e32 v21, v17
	v_ashrrev_i32_e32 v20, 31, v20
	s_wait_alu 0xf1ff
	v_xor_b32_e32 v23, s1, v23
	v_and_b32_e32 v19, v19, v22
	v_lshlrev_b32_e32 v18, 5, v18
	v_cmp_gt_i32_e64 s1, 0, v17
	v_ashrrev_i32_e32 v17, 31, v21
	s_wait_alu 0xfffd
	v_xor_b32_e32 v20, vcc_lo, v20
	v_and_b32_e32 v19, v19, v23
	v_add_nc_u32_e32 v46, v16, v18
	s_wait_alu 0xf1ff
	v_xor_b32_e32 v17, s1, v17
	s_delay_alu instid0(VALU_DEP_3) | instskip(SKIP_2) | instid1(VALU_DEP_1)
	v_and_b32_e32 v18, v19, v20
	ds_load_b32 v40, v46 offset:32
	; wave barrier
	v_and_b32_e32 v17, v18, v17
	v_mbcnt_lo_u32_b32 v45, v17, 0
	v_cmp_ne_u32_e64 s1, 0, v17
	s_delay_alu instid0(VALU_DEP_2)
	v_cmp_eq_u32_e32 vcc_lo, 0, v45
	s_and_b32 s11, s1, vcc_lo
	s_wait_alu 0xfffe
	s_and_saveexec_b32 s1, s11
	s_cbranch_execz .LBB111_72
; %bb.71:
	s_wait_dscnt 0x0
	v_bcnt_u32_b32 v17, v17, v40
	ds_store_b32 v46, v17 offset:32
.LBB111_72:
	s_wait_alu 0xfffe
	s_or_b32 exec_lo, exec_lo, s1
	v_and_b32_e32 v17, s9, v28
	; wave barrier
	s_delay_alu instid0(VALU_DEP_1)
	v_and_b32_e32 v19, 1, v17
	v_lshlrev_b32_e32 v20, 30, v17
	v_lshlrev_b32_e32 v21, 29, v17
	;; [unrolled: 1-line block ×4, first 2 shown]
	v_add_co_u32 v19, s1, v19, -1
	s_wait_alu 0xf1ff
	v_cndmask_b32_e64 v23, 0, 1, s1
	v_not_b32_e32 v72, v20
	v_cmp_gt_i32_e64 s1, 0, v20
	v_not_b32_e32 v20, v21
	v_lshlrev_b32_e32 v70, 26, v17
	v_cmp_ne_u32_e32 vcc_lo, 0, v23
	v_ashrrev_i32_e32 v23, 31, v72
	v_lshlrev_b32_e32 v71, 25, v17
	v_ashrrev_i32_e32 v20, 31, v20
	v_and_b32_e32 v18, 0xff, v17
	s_wait_alu 0xfffd
	v_xor_b32_e32 v19, vcc_lo, v19
	v_cmp_gt_i32_e32 vcc_lo, 0, v21
	v_not_b32_e32 v21, v22
	s_wait_alu 0xf1ff
	v_xor_b32_e32 v23, s1, v23
	v_cmp_gt_i32_e64 s1, 0, v22
	v_and_b32_e32 v19, exec_lo, v19
	v_not_b32_e32 v22, v69
	v_ashrrev_i32_e32 v21, 31, v21
	s_wait_alu 0xfffd
	v_xor_b32_e32 v20, vcc_lo, v20
	v_cmp_gt_i32_e32 vcc_lo, 0, v69
	v_and_b32_e32 v19, v19, v23
	v_not_b32_e32 v23, v70
	v_ashrrev_i32_e32 v22, 31, v22
	s_wait_alu 0xf1ff
	v_xor_b32_e32 v21, s1, v21
	v_lshlrev_b32_e32 v17, 24, v17
	v_and_b32_e32 v19, v19, v20
	v_cmp_gt_i32_e64 s1, 0, v70
	v_not_b32_e32 v20, v71
	v_ashrrev_i32_e32 v23, 31, v23
	s_wait_alu 0xfffd
	v_xor_b32_e32 v22, vcc_lo, v22
	v_and_b32_e32 v19, v19, v21
	v_cmp_gt_i32_e32 vcc_lo, 0, v71
	v_not_b32_e32 v21, v17
	v_ashrrev_i32_e32 v20, 31, v20
	s_wait_alu 0xf1ff
	v_xor_b32_e32 v23, s1, v23
	v_and_b32_e32 v19, v19, v22
	v_lshlrev_b32_e32 v18, 5, v18
	v_cmp_gt_i32_e64 s1, 0, v17
	v_ashrrev_i32_e32 v17, 31, v21
	s_wait_alu 0xfffd
	v_xor_b32_e32 v20, vcc_lo, v20
	v_and_b32_e32 v19, v19, v23
	v_add_nc_u32_e32 v71, v16, v18
	s_wait_alu 0xf1ff
	v_xor_b32_e32 v17, s1, v17
	s_delay_alu instid0(VALU_DEP_3) | instskip(SKIP_2) | instid1(VALU_DEP_1)
	v_and_b32_e32 v18, v19, v20
	ds_load_b32 v69, v71 offset:32
	; wave barrier
	v_and_b32_e32 v17, v18, v17
	v_mbcnt_lo_u32_b32 v70, v17, 0
	v_cmp_ne_u32_e64 s1, 0, v17
	s_delay_alu instid0(VALU_DEP_2)
	v_cmp_eq_u32_e32 vcc_lo, 0, v70
	s_and_b32 s11, s1, vcc_lo
	s_wait_alu 0xfffe
	s_and_saveexec_b32 s1, s11
	s_cbranch_execz .LBB111_74
; %bb.73:
	s_wait_dscnt 0x0
	v_bcnt_u32_b32 v17, v17, v69
	ds_store_b32 v71, v17 offset:32
.LBB111_74:
	s_wait_alu 0xfffe
	s_or_b32 exec_lo, exec_lo, s1
	v_and_b32_e32 v17, s9, v29
	; wave barrier
	s_delay_alu instid0(VALU_DEP_1)
	v_and_b32_e32 v19, 1, v17
	v_lshlrev_b32_e32 v20, 30, v17
	v_lshlrev_b32_e32 v21, 29, v17
	v_lshlrev_b32_e32 v22, 28, v17
	v_lshlrev_b32_e32 v72, 27, v17
	v_add_co_u32 v19, s1, v19, -1
	s_wait_alu 0xf1ff
	v_cndmask_b32_e64 v23, 0, 1, s1
	v_not_b32_e32 v75, v20
	v_cmp_gt_i32_e64 s1, 0, v20
	v_not_b32_e32 v20, v21
	v_lshlrev_b32_e32 v73, 26, v17
	v_cmp_ne_u32_e32 vcc_lo, 0, v23
	v_ashrrev_i32_e32 v23, 31, v75
	v_lshlrev_b32_e32 v74, 25, v17
	v_ashrrev_i32_e32 v20, 31, v20
	v_and_b32_e32 v18, 0xff, v17
	s_wait_alu 0xfffd
	v_xor_b32_e32 v19, vcc_lo, v19
	v_cmp_gt_i32_e32 vcc_lo, 0, v21
	v_not_b32_e32 v21, v22
	s_wait_alu 0xf1ff
	v_xor_b32_e32 v23, s1, v23
	v_cmp_gt_i32_e64 s1, 0, v22
	v_and_b32_e32 v19, exec_lo, v19
	v_not_b32_e32 v22, v72
	v_ashrrev_i32_e32 v21, 31, v21
	s_wait_alu 0xfffd
	v_xor_b32_e32 v20, vcc_lo, v20
	v_cmp_gt_i32_e32 vcc_lo, 0, v72
	v_and_b32_e32 v19, v19, v23
	v_not_b32_e32 v23, v73
	v_ashrrev_i32_e32 v22, 31, v22
	s_wait_alu 0xf1ff
	v_xor_b32_e32 v21, s1, v21
	v_lshlrev_b32_e32 v17, 24, v17
	v_and_b32_e32 v19, v19, v20
	v_cmp_gt_i32_e64 s1, 0, v73
	v_not_b32_e32 v20, v74
	v_ashrrev_i32_e32 v23, 31, v23
	s_wait_alu 0xfffd
	v_xor_b32_e32 v22, vcc_lo, v22
	v_and_b32_e32 v19, v19, v21
	v_cmp_gt_i32_e32 vcc_lo, 0, v74
	v_not_b32_e32 v21, v17
	v_ashrrev_i32_e32 v20, 31, v20
	s_wait_alu 0xf1ff
	v_xor_b32_e32 v23, s1, v23
	v_and_b32_e32 v19, v19, v22
	v_lshlrev_b32_e32 v18, 5, v18
	v_cmp_gt_i32_e64 s1, 0, v17
	v_ashrrev_i32_e32 v17, 31, v21
	s_wait_alu 0xfffd
	v_xor_b32_e32 v20, vcc_lo, v20
	v_and_b32_e32 v19, v19, v23
	v_add_nc_u32_e32 v74, v16, v18
	s_wait_alu 0xf1ff
	v_xor_b32_e32 v17, s1, v17
	s_delay_alu instid0(VALU_DEP_3) | instskip(SKIP_2) | instid1(VALU_DEP_1)
	v_and_b32_e32 v18, v19, v20
	ds_load_b32 v72, v74 offset:32
	; wave barrier
	v_and_b32_e32 v17, v18, v17
	v_mbcnt_lo_u32_b32 v73, v17, 0
	v_cmp_ne_u32_e64 s1, 0, v17
	s_delay_alu instid0(VALU_DEP_2)
	v_cmp_eq_u32_e32 vcc_lo, 0, v73
	s_and_b32 s11, s1, vcc_lo
	s_wait_alu 0xfffe
	s_and_saveexec_b32 s1, s11
	s_cbranch_execz .LBB111_76
; %bb.75:
	s_wait_dscnt 0x0
	v_bcnt_u32_b32 v17, v17, v72
	ds_store_b32 v74, v17 offset:32
.LBB111_76:
	s_wait_alu 0xfffe
	s_or_b32 exec_lo, exec_lo, s1
	v_and_b32_e32 v17, s9, v30
	; wave barrier
	s_delay_alu instid0(VALU_DEP_1)
	v_and_b32_e32 v19, 1, v17
	v_lshlrev_b32_e32 v20, 30, v17
	v_lshlrev_b32_e32 v21, 29, v17
	;; [unrolled: 1-line block ×4, first 2 shown]
	v_add_co_u32 v19, s1, v19, -1
	s_wait_alu 0xf1ff
	v_cndmask_b32_e64 v23, 0, 1, s1
	v_not_b32_e32 v78, v20
	v_cmp_gt_i32_e64 s1, 0, v20
	v_not_b32_e32 v20, v21
	v_lshlrev_b32_e32 v76, 26, v17
	v_cmp_ne_u32_e32 vcc_lo, 0, v23
	v_ashrrev_i32_e32 v23, 31, v78
	v_lshlrev_b32_e32 v77, 25, v17
	v_ashrrev_i32_e32 v20, 31, v20
	v_and_b32_e32 v18, 0xff, v17
	s_wait_alu 0xfffd
	v_xor_b32_e32 v19, vcc_lo, v19
	v_cmp_gt_i32_e32 vcc_lo, 0, v21
	v_not_b32_e32 v21, v22
	s_wait_alu 0xf1ff
	v_xor_b32_e32 v23, s1, v23
	v_cmp_gt_i32_e64 s1, 0, v22
	v_and_b32_e32 v19, exec_lo, v19
	v_not_b32_e32 v22, v75
	v_ashrrev_i32_e32 v21, 31, v21
	s_wait_alu 0xfffd
	v_xor_b32_e32 v20, vcc_lo, v20
	v_cmp_gt_i32_e32 vcc_lo, 0, v75
	v_and_b32_e32 v19, v19, v23
	v_not_b32_e32 v23, v76
	v_ashrrev_i32_e32 v22, 31, v22
	s_wait_alu 0xf1ff
	v_xor_b32_e32 v21, s1, v21
	v_lshlrev_b32_e32 v17, 24, v17
	v_and_b32_e32 v19, v19, v20
	v_cmp_gt_i32_e64 s1, 0, v76
	v_not_b32_e32 v20, v77
	v_ashrrev_i32_e32 v23, 31, v23
	s_wait_alu 0xfffd
	v_xor_b32_e32 v22, vcc_lo, v22
	v_and_b32_e32 v19, v19, v21
	v_cmp_gt_i32_e32 vcc_lo, 0, v77
	v_not_b32_e32 v21, v17
	v_ashrrev_i32_e32 v20, 31, v20
	s_wait_alu 0xf1ff
	v_xor_b32_e32 v23, s1, v23
	v_and_b32_e32 v19, v19, v22
	v_lshlrev_b32_e32 v18, 5, v18
	v_cmp_gt_i32_e64 s1, 0, v17
	v_ashrrev_i32_e32 v17, 31, v21
	s_wait_alu 0xfffd
	v_xor_b32_e32 v20, vcc_lo, v20
	v_and_b32_e32 v19, v19, v23
	v_add_nc_u32_e32 v77, v16, v18
	s_wait_alu 0xf1ff
	v_xor_b32_e32 v17, s1, v17
	s_delay_alu instid0(VALU_DEP_3) | instskip(SKIP_2) | instid1(VALU_DEP_1)
	v_and_b32_e32 v18, v19, v20
	ds_load_b32 v75, v77 offset:32
	; wave barrier
	v_and_b32_e32 v17, v18, v17
	v_mbcnt_lo_u32_b32 v76, v17, 0
	v_cmp_ne_u32_e64 s1, 0, v17
	s_delay_alu instid0(VALU_DEP_2)
	v_cmp_eq_u32_e32 vcc_lo, 0, v76
	s_and_b32 s11, s1, vcc_lo
	s_wait_alu 0xfffe
	s_and_saveexec_b32 s1, s11
	s_cbranch_execz .LBB111_78
; %bb.77:
	s_wait_dscnt 0x0
	v_bcnt_u32_b32 v17, v17, v75
	ds_store_b32 v77, v17 offset:32
.LBB111_78:
	s_wait_alu 0xfffe
	s_or_b32 exec_lo, exec_lo, s1
	v_and_b32_e32 v17, s9, v31
	; wave barrier
	s_delay_alu instid0(VALU_DEP_1)
	v_and_b32_e32 v19, 1, v17
	v_lshlrev_b32_e32 v20, 30, v17
	v_lshlrev_b32_e32 v21, 29, v17
	;; [unrolled: 1-line block ×4, first 2 shown]
	v_add_co_u32 v19, s1, v19, -1
	s_wait_alu 0xf1ff
	v_cndmask_b32_e64 v23, 0, 1, s1
	v_not_b32_e32 v81, v20
	v_cmp_gt_i32_e64 s1, 0, v20
	v_not_b32_e32 v20, v21
	v_lshlrev_b32_e32 v79, 26, v17
	v_cmp_ne_u32_e32 vcc_lo, 0, v23
	v_ashrrev_i32_e32 v23, 31, v81
	v_lshlrev_b32_e32 v80, 25, v17
	v_ashrrev_i32_e32 v20, 31, v20
	v_and_b32_e32 v18, 0xff, v17
	s_wait_alu 0xfffd
	v_xor_b32_e32 v19, vcc_lo, v19
	v_cmp_gt_i32_e32 vcc_lo, 0, v21
	v_not_b32_e32 v21, v22
	s_wait_alu 0xf1ff
	v_xor_b32_e32 v23, s1, v23
	v_cmp_gt_i32_e64 s1, 0, v22
	v_and_b32_e32 v19, exec_lo, v19
	v_not_b32_e32 v22, v78
	v_ashrrev_i32_e32 v21, 31, v21
	s_wait_alu 0xfffd
	v_xor_b32_e32 v20, vcc_lo, v20
	v_cmp_gt_i32_e32 vcc_lo, 0, v78
	v_and_b32_e32 v19, v19, v23
	v_not_b32_e32 v23, v79
	v_ashrrev_i32_e32 v22, 31, v22
	s_wait_alu 0xf1ff
	v_xor_b32_e32 v21, s1, v21
	v_lshlrev_b32_e32 v17, 24, v17
	v_and_b32_e32 v19, v19, v20
	v_cmp_gt_i32_e64 s1, 0, v79
	v_not_b32_e32 v20, v80
	v_ashrrev_i32_e32 v23, 31, v23
	s_wait_alu 0xfffd
	v_xor_b32_e32 v22, vcc_lo, v22
	v_and_b32_e32 v19, v19, v21
	v_cmp_gt_i32_e32 vcc_lo, 0, v80
	v_not_b32_e32 v21, v17
	v_ashrrev_i32_e32 v20, 31, v20
	s_wait_alu 0xf1ff
	v_xor_b32_e32 v23, s1, v23
	v_and_b32_e32 v19, v19, v22
	v_lshlrev_b32_e32 v18, 5, v18
	v_cmp_gt_i32_e64 s1, 0, v17
	v_ashrrev_i32_e32 v17, 31, v21
	s_wait_alu 0xfffd
	v_xor_b32_e32 v20, vcc_lo, v20
	v_and_b32_e32 v19, v19, v23
	v_add_nc_u32_e32 v80, v16, v18
	s_wait_alu 0xf1ff
	v_xor_b32_e32 v16, s1, v17
	s_delay_alu instid0(VALU_DEP_3) | instskip(SKIP_2) | instid1(VALU_DEP_1)
	v_and_b32_e32 v17, v19, v20
	ds_load_b32 v78, v80 offset:32
	; wave barrier
	v_and_b32_e32 v16, v17, v16
	v_mbcnt_lo_u32_b32 v79, v16, 0
	v_cmp_ne_u32_e64 s1, 0, v16
	s_delay_alu instid0(VALU_DEP_2)
	v_cmp_eq_u32_e32 vcc_lo, 0, v79
	s_and_b32 s9, s1, vcc_lo
	s_wait_alu 0xfffe
	s_and_saveexec_b32 s1, s9
	s_cbranch_execz .LBB111_80
; %bb.79:
	s_wait_dscnt 0x0
	v_bcnt_u32_b32 v16, v16, v78
	ds_store_b32 v80, v16 offset:32
.LBB111_80:
	s_wait_alu 0xfffe
	s_or_b32 exec_lo, exec_lo, s1
	; wave barrier
	s_wait_loadcnt_dscnt 0x0
	s_barrier_signal -1
	s_barrier_wait -1
	global_inv scope:SCOPE_SE
	ds_load_b128 v[20:23], v66 offset:32
	ds_load_b128 v[16:19], v66 offset:48
	v_min_u32_e32 v68, 0xe0, v68
	s_mov_b32 s1, exec_lo
	s_delay_alu instid0(VALU_DEP_1) | instskip(SKIP_2) | instid1(VALU_DEP_1)
	v_or_b32_e32 v68, 31, v68
	s_wait_dscnt 0x1
	v_add_nc_u32_e32 v81, v21, v20
	v_add3_u32 v81, v81, v22, v23
	s_wait_dscnt 0x0
	s_delay_alu instid0(VALU_DEP_1) | instskip(NEXT) | instid1(VALU_DEP_1)
	v_add3_u32 v81, v81, v16, v17
	v_add3_u32 v19, v81, v18, v19
	v_and_b32_e32 v81, 15, v67
	s_delay_alu instid0(VALU_DEP_2) | instskip(NEXT) | instid1(VALU_DEP_2)
	v_mov_b32_dpp v82, v19 row_shr:1 row_mask:0xf bank_mask:0xf
	v_cmp_ne_u32_e32 vcc_lo, 0, v81
	s_wait_alu 0xfffd
	s_delay_alu instid0(VALU_DEP_2) | instskip(SKIP_1) | instid1(VALU_DEP_2)
	v_cndmask_b32_e32 v82, 0, v82, vcc_lo
	v_cmp_lt_u32_e32 vcc_lo, 1, v81
	v_add_nc_u32_e32 v19, v82, v19
	s_delay_alu instid0(VALU_DEP_1) | instskip(SKIP_1) | instid1(VALU_DEP_1)
	v_mov_b32_dpp v82, v19 row_shr:2 row_mask:0xf bank_mask:0xf
	s_wait_alu 0xfffd
	v_cndmask_b32_e32 v82, 0, v82, vcc_lo
	v_cmp_lt_u32_e32 vcc_lo, 3, v81
	s_delay_alu instid0(VALU_DEP_2) | instskip(NEXT) | instid1(VALU_DEP_1)
	v_add_nc_u32_e32 v19, v19, v82
	v_mov_b32_dpp v82, v19 row_shr:4 row_mask:0xf bank_mask:0xf
	s_wait_alu 0xfffd
	s_delay_alu instid0(VALU_DEP_1) | instskip(SKIP_1) | instid1(VALU_DEP_2)
	v_cndmask_b32_e32 v82, 0, v82, vcc_lo
	v_cmp_lt_u32_e32 vcc_lo, 7, v81
	v_add_nc_u32_e32 v19, v19, v82
	s_delay_alu instid0(VALU_DEP_1) | instskip(SKIP_1) | instid1(VALU_DEP_1)
	v_mov_b32_dpp v82, v19 row_shr:8 row_mask:0xf bank_mask:0xf
	s_wait_alu 0xfffd
	v_cndmask_b32_e32 v81, 0, v82, vcc_lo
	v_bfe_i32 v82, v67, 4, 1
	s_delay_alu instid0(VALU_DEP_2) | instskip(SKIP_3) | instid1(VALU_DEP_1)
	v_add_nc_u32_e32 v19, v19, v81
	ds_swizzle_b32 v81, v19 offset:swizzle(BROADCAST,32,15)
	s_wait_dscnt 0x0
	v_and_b32_e32 v81, v82, v81
	v_add_nc_u32_e32 v19, v19, v81
	v_cmpx_eq_u32_e64 v44, v68
; %bb.81:
	v_lshlrev_b32_e32 v68, 2, v65
	ds_store_b32 v68, v19
; %bb.82:
	s_wait_alu 0xfffe
	s_or_b32 exec_lo, exec_lo, s1
	s_delay_alu instid0(SALU_CYCLE_1)
	s_mov_b32 s1, exec_lo
	s_wait_loadcnt_dscnt 0x0
	s_barrier_signal -1
	s_barrier_wait -1
	global_inv scope:SCOPE_SE
	v_cmpx_gt_u32_e32 8, v44
	s_cbranch_execz .LBB111_84
; %bb.83:
	v_and_b32_e32 v82, 7, v67
	s_delay_alu instid0(VALU_DEP_1)
	v_cmp_ne_u32_e32 vcc_lo, 0, v82
	v_lshlrev_b32_e32 v68, 2, v44
	ds_load_b32 v81, v68
	s_wait_dscnt 0x0
	v_mov_b32_dpp v83, v81 row_shr:1 row_mask:0xf bank_mask:0xf
	s_wait_alu 0xfffd
	s_delay_alu instid0(VALU_DEP_1) | instskip(SKIP_1) | instid1(VALU_DEP_2)
	v_cndmask_b32_e32 v83, 0, v83, vcc_lo
	v_cmp_lt_u32_e32 vcc_lo, 1, v82
	v_add_nc_u32_e32 v81, v83, v81
	s_delay_alu instid0(VALU_DEP_1) | instskip(SKIP_1) | instid1(VALU_DEP_1)
	v_mov_b32_dpp v83, v81 row_shr:2 row_mask:0xf bank_mask:0xf
	s_wait_alu 0xfffd
	v_cndmask_b32_e32 v83, 0, v83, vcc_lo
	v_cmp_lt_u32_e32 vcc_lo, 3, v82
	s_delay_alu instid0(VALU_DEP_2) | instskip(NEXT) | instid1(VALU_DEP_1)
	v_add_nc_u32_e32 v81, v81, v83
	v_mov_b32_dpp v83, v81 row_shr:4 row_mask:0xf bank_mask:0xf
	s_wait_alu 0xfffd
	s_delay_alu instid0(VALU_DEP_1) | instskip(NEXT) | instid1(VALU_DEP_1)
	v_cndmask_b32_e32 v82, 0, v83, vcc_lo
	v_add_nc_u32_e32 v81, v81, v82
	ds_store_b32 v68, v81
.LBB111_84:
	s_wait_alu 0xfffe
	s_or_b32 exec_lo, exec_lo, s1
	v_mov_b32_e32 v68, 0
	s_mov_b32 s1, exec_lo
	s_wait_loadcnt_dscnt 0x0
	s_barrier_signal -1
	s_barrier_wait -1
	global_inv scope:SCOPE_SE
	v_cmpx_lt_u32_e32 31, v44
; %bb.85:
	v_lshl_add_u32 v65, v65, 2, -4
	ds_load_b32 v68, v65
; %bb.86:
	s_wait_alu 0xfffe
	s_or_b32 exec_lo, exec_lo, s1
	v_sub_co_u32 v65, vcc_lo, v67, 1
	s_wait_dscnt 0x0
	v_add_nc_u32_e32 v19, v68, v19
	s_delay_alu instid0(VALU_DEP_2) | instskip(SKIP_1) | instid1(VALU_DEP_1)
	v_cmp_gt_i32_e64 s1, 0, v65
	s_wait_alu 0xf1ff
	v_cndmask_b32_e64 v65, v65, v67, s1
	s_delay_alu instid0(VALU_DEP_1)
	v_lshlrev_b32_e32 v65, 2, v65
	ds_bpermute_b32 v19, v65, v19
	s_wait_dscnt 0x0
	s_wait_alu 0xfffd
	v_cndmask_b32_e32 v19, v19, v68, vcc_lo
	v_cmp_ne_u32_e32 vcc_lo, 0, v44
	s_wait_alu 0xfffd
	s_delay_alu instid0(VALU_DEP_2) | instskip(NEXT) | instid1(VALU_DEP_1)
	v_cndmask_b32_e32 v19, 0, v19, vcc_lo
	v_add_nc_u32_e32 v20, v19, v20
	s_delay_alu instid0(VALU_DEP_1) | instskip(NEXT) | instid1(VALU_DEP_1)
	v_add_nc_u32_e32 v21, v20, v21
	v_add_nc_u32_e32 v22, v21, v22
	s_delay_alu instid0(VALU_DEP_1) | instskip(NEXT) | instid1(VALU_DEP_1)
	v_add_nc_u32_e32 v81, v22, v23
	;; [unrolled: 3-line block ×3, first 2 shown]
	v_add_nc_u32_e32 v84, v83, v18
	ds_store_b128 v66, v[19:22] offset:32
	ds_store_b128 v66, v[81:84] offset:48
	s_wait_loadcnt_dscnt 0x0
	s_barrier_signal -1
	s_barrier_wait -1
	global_inv scope:SCOPE_SE
	ds_load_b32 v16, v33 offset:32
	ds_load_b32 v17, v36 offset:32
	;; [unrolled: 1-line block ×8, first 2 shown]
	s_wait_loadcnt_dscnt 0x0
	s_barrier_signal -1
	s_barrier_wait -1
	global_inv scope:SCOPE_SE
	v_mad_u32_u24 v36, v44, 56, v60
	v_add_nc_u32_e32 v16, v16, v32
	v_add3_u32 v17, v35, v34, v17
	v_add3_u32 v18, v38, v37, v18
	;; [unrolled: 1-line block ×7, first 2 shown]
	ds_store_b8 v16, v24
	ds_store_b8 v17, v25
	;; [unrolled: 1-line block ×8, first 2 shown]
	s_wait_loadcnt_dscnt 0x0
	s_barrier_signal -1
	s_barrier_wait -1
	global_inv scope:SCOPE_SE
	ds_load_b64 v[33:34], v60
	v_lshlrev_b32_e32 v16, 3, v16
	v_lshlrev_b32_e32 v17, 3, v17
	v_lshlrev_b32_e32 v18, 3, v18
	v_lshlrev_b32_e32 v19, 3, v19
	v_lshlrev_b32_e32 v20, 3, v20
	v_lshlrev_b32_e32 v21, 3, v21
	v_lshlrev_b32_e32 v22, 3, v22
	v_lshlrev_b32_e32 v23, 3, v23
	s_wait_loadcnt_dscnt 0x0
	s_barrier_signal -1
	s_barrier_wait -1
	global_inv scope:SCOPE_SE
	ds_store_b64 v16, v[12:13]
	ds_store_b64 v17, v[14:15]
	;; [unrolled: 1-line block ×8, first 2 shown]
	s_wait_loadcnt_dscnt 0x0
	s_barrier_signal -1
	s_barrier_wait -1
	global_inv scope:SCOPE_SE
	ds_load_b128 v[21:24], v36
	ds_load_b128 v[17:20], v36 offset:16
	ds_load_b128 v[29:32], v36 offset:32
	ds_load_b128 v[25:28], v36 offset:48
	v_lshrrev_b32_e32 v0, 16, v33
	v_lshrrev_b32_e32 v3, 16, v34
	v_and_b32_e32 v1, 0xffffff00, v33
	v_xor_b32_e32 v2, 0x7f, v33
	v_and_b32_e32 v4, 0xffffff00, v34
	v_xor_b32_e32 v5, 0x7f, v34
	;; [unrolled: 2-line block ×4, first 2 shown]
	v_xor_b32_e32 v1, 0x7f00, v1
	v_and_b32_e32 v2, 0xff, v2
	v_xor_b32_e32 v4, 0x7f00, v4
	v_and_b32_e32 v5, 0xff, v5
	;; [unrolled: 2-line block ×4, first 2 shown]
	v_or_b32_e32 v1, v2, v1
	v_or_b32_e32 v2, v5, v4
	;; [unrolled: 1-line block ×3, first 2 shown]
	s_delay_alu instid0(VALU_DEP_4) | instskip(NEXT) | instid1(VALU_DEP_4)
	v_or_b32_e32 v3, v3, v7
	v_and_b32_e32 v1, 0xffff, v1
	s_delay_alu instid0(VALU_DEP_4) | instskip(NEXT) | instid1(VALU_DEP_4)
	v_and_b32_e32 v2, 0xffff, v2
	v_lshlrev_b32_e32 v0, 16, v0
	s_delay_alu instid0(VALU_DEP_4) | instskip(NEXT) | instid1(VALU_DEP_2)
	v_lshlrev_b32_e32 v3, 16, v3
	v_or_b32_e32 v0, v1, v0
	s_delay_alu instid0(VALU_DEP_2)
	v_or_b32_e32 v33, v2, v3
.LBB111_87:
	s_wait_loadcnt_dscnt 0x0
	s_barrier_signal -1
	s_barrier_wait -1
	global_inv scope:SCOPE_SE
	ds_store_2addr_b32 v56, v0, v33 offset1:1
	s_wait_loadcnt_dscnt 0x0
	s_barrier_signal -1
	s_barrier_wait -1
	global_inv scope:SCOPE_SE
	ds_load_u8 v8, v49 offset:256
	ds_load_u8 v7, v50 offset:512
	;; [unrolled: 1-line block ×7, first 2 shown]
	v_add_co_u32 v0, s1, s18, v47
	s_wait_alu 0xf1ff
	v_add_co_ci_u32_e64 v1, null, s19, 0, s1
	s_and_saveexec_b32 s1, s2
	s_cbranch_execnz .LBB111_106
; %bb.88:
	s_wait_alu 0xfffe
	s_or_b32 exec_lo, exec_lo, s1
	s_and_saveexec_b32 s1, s3
	s_cbranch_execnz .LBB111_107
.LBB111_89:
	s_wait_alu 0xfffe
	s_or_b32 exec_lo, exec_lo, s1
	s_and_saveexec_b32 s1, s4
	s_cbranch_execnz .LBB111_108
.LBB111_90:
	s_wait_alu 0xfffe
	s_or_b32 exec_lo, exec_lo, s1
	s_and_saveexec_b32 s1, s5
	s_cbranch_execnz .LBB111_109
.LBB111_91:
	s_wait_alu 0xfffe
	s_or_b32 exec_lo, exec_lo, s1
	s_and_saveexec_b32 s1, s6
	s_cbranch_execnz .LBB111_110
.LBB111_92:
	s_wait_alu 0xfffe
	s_or_b32 exec_lo, exec_lo, s1
	s_and_saveexec_b32 s1, s7
	s_cbranch_execnz .LBB111_111
.LBB111_93:
	s_wait_alu 0xfffe
	s_or_b32 exec_lo, exec_lo, s1
	s_and_saveexec_b32 s1, s8
	s_cbranch_execnz .LBB111_112
.LBB111_94:
	s_wait_alu 0xfffe
	s_or_b32 exec_lo, exec_lo, s1
	s_and_saveexec_b32 s1, s0
	s_cbranch_execz .LBB111_96
.LBB111_95:
	s_mul_i32 s9, s10, 0x700
	s_wait_alu 0xfffe
	v_add_co_u32 v0, vcc_lo, v0, s9
	s_wait_alu 0xfffd
	v_add_co_ci_u32_e64 v1, null, 0, v1, vcc_lo
	s_wait_dscnt 0x0
	global_store_b8 v[0:1], v2, off
.LBB111_96:
	s_wait_alu 0xfffe
	s_or_b32 exec_lo, exec_lo, s1
	s_wait_storecnt 0x0
	s_wait_loadcnt_dscnt 0x0
	s_barrier_signal -1
	s_barrier_wait -1
	global_inv scope:SCOPE_SE
	ds_store_2addr_b64 v64, v[21:22], v[23:24] offset1:1
	ds_store_2addr_b64 v64, v[17:18], v[19:20] offset0:2 offset1:3
	ds_store_2addr_b64 v64, v[29:30], v[31:32] offset0:4 offset1:5
	;; [unrolled: 1-line block ×3, first 2 shown]
	s_wait_loadcnt_dscnt 0x0
	s_barrier_signal -1
	s_barrier_wait -1
	global_inv scope:SCOPE_SE
	ds_load_b64 v[14:15], v58 offset:2048
	ds_load_b64 v[12:13], v59 offset:4096
	;; [unrolled: 1-line block ×7, first 2 shown]
	v_mov_b32_e32 v42, 0
	s_delay_alu instid0(VALU_DEP_1) | instskip(NEXT) | instid1(VALU_DEP_1)
	v_lshlrev_b64_e32 v[2:3], 3, v[41:42]
	v_add_co_u32 v2, vcc_lo, s20, v2
	s_wait_alu 0xfffd
	s_delay_alu instid0(VALU_DEP_2)
	v_add_co_ci_u32_e64 v3, null, s21, v3, vcc_lo
	s_and_saveexec_b32 s1, s2
	s_cbranch_execnz .LBB111_113
; %bb.97:
	s_wait_alu 0xfffe
	s_or_b32 exec_lo, exec_lo, s1
	s_and_saveexec_b32 s1, s3
	s_cbranch_execnz .LBB111_114
.LBB111_98:
	s_wait_alu 0xfffe
	s_or_b32 exec_lo, exec_lo, s1
	s_and_saveexec_b32 s1, s4
	s_cbranch_execnz .LBB111_115
.LBB111_99:
	s_wait_alu 0xfffe
	s_or_b32 exec_lo, exec_lo, s1
	s_and_saveexec_b32 s1, s5
	s_cbranch_execnz .LBB111_116
.LBB111_100:
	s_wait_alu 0xfffe
	s_or_b32 exec_lo, exec_lo, s1
	s_and_saveexec_b32 s1, s6
	s_cbranch_execnz .LBB111_117
.LBB111_101:
	s_wait_alu 0xfffe
	s_or_b32 exec_lo, exec_lo, s1
	s_and_saveexec_b32 s1, s7
	s_cbranch_execnz .LBB111_118
.LBB111_102:
	s_wait_alu 0xfffe
	s_or_b32 exec_lo, exec_lo, s1
	s_and_saveexec_b32 s1, s8
	s_cbranch_execnz .LBB111_119
.LBB111_103:
	s_wait_alu 0xfffe
	s_or_b32 exec_lo, exec_lo, s1
	s_and_saveexec_b32 s1, s0
	s_cbranch_execz .LBB111_105
.LBB111_104:
	s_mul_i32 s0, s16, 0x700
	s_mov_b32 s1, 0
	s_wait_alu 0xfffe
	s_lshl_b64 s[0:1], s[0:1], 3
	s_wait_alu 0xfffe
	v_add_co_u32 v2, vcc_lo, v2, s0
	s_wait_alu 0xfffd
	v_add_co_ci_u32_e64 v3, null, s1, v3, vcc_lo
	s_wait_dscnt 0x0
	global_store_b64 v[2:3], v[0:1], off
.LBB111_105:
	s_nop 0
	s_sendmsg sendmsg(MSG_DEALLOC_VGPRS)
	s_endpgm
.LBB111_106:
	ds_load_u8 v9, v48
	s_wait_dscnt 0x0
	global_store_b8 v[0:1], v9, off
	s_wait_alu 0xfffe
	s_or_b32 exec_lo, exec_lo, s1
	s_and_saveexec_b32 s1, s3
	s_cbranch_execz .LBB111_89
.LBB111_107:
	s_lshl_b32 s9, s10, 8
	s_wait_alu 0xfffe
	v_add_co_u32 v9, vcc_lo, v0, s9
	s_wait_alu 0xfffd
	v_add_co_ci_u32_e64 v10, null, 0, v1, vcc_lo
	s_wait_dscnt 0x6
	global_store_b8 v[9:10], v8, off
	s_or_b32 exec_lo, exec_lo, s1
	s_and_saveexec_b32 s1, s4
	s_cbranch_execz .LBB111_90
.LBB111_108:
	s_lshl_b32 s9, s10, 9
	s_wait_dscnt 0x6
	s_wait_alu 0xfffe
	v_add_co_u32 v8, vcc_lo, v0, s9
	s_wait_alu 0xfffd
	v_add_co_ci_u32_e64 v9, null, 0, v1, vcc_lo
	s_wait_dscnt 0x5
	global_store_b8 v[8:9], v7, off
	s_or_b32 exec_lo, exec_lo, s1
	s_and_saveexec_b32 s1, s5
	s_cbranch_execz .LBB111_91
.LBB111_109:
	s_mul_i32 s9, s10, 0x300
	s_wait_dscnt 0x5
	s_wait_alu 0xfffe
	v_add_co_u32 v7, vcc_lo, v0, s9
	s_wait_alu 0xfffd
	v_add_co_ci_u32_e64 v8, null, 0, v1, vcc_lo
	s_wait_dscnt 0x4
	global_store_b8 v[7:8], v6, off
	s_or_b32 exec_lo, exec_lo, s1
	s_and_saveexec_b32 s1, s6
	s_cbranch_execz .LBB111_92
.LBB111_110:
	s_lshl_b32 s9, s10, 10
	s_wait_dscnt 0x4
	s_wait_alu 0xfffe
	v_add_co_u32 v6, vcc_lo, v0, s9
	s_wait_alu 0xfffd
	v_add_co_ci_u32_e64 v7, null, 0, v1, vcc_lo
	s_wait_dscnt 0x3
	global_store_b8 v[6:7], v5, off
	s_or_b32 exec_lo, exec_lo, s1
	s_and_saveexec_b32 s1, s7
	s_cbranch_execz .LBB111_93
.LBB111_111:
	s_mul_i32 s9, s10, 0x500
	s_wait_dscnt 0x3
	s_wait_alu 0xfffe
	v_add_co_u32 v5, vcc_lo, v0, s9
	s_wait_alu 0xfffd
	v_add_co_ci_u32_e64 v6, null, 0, v1, vcc_lo
	s_wait_dscnt 0x2
	global_store_b8 v[5:6], v4, off
	s_or_b32 exec_lo, exec_lo, s1
	s_and_saveexec_b32 s1, s8
	s_cbranch_execz .LBB111_94
.LBB111_112:
	s_mul_i32 s9, s10, 0x600
	s_wait_dscnt 0x2
	s_wait_alu 0xfffe
	v_add_co_u32 v4, vcc_lo, v0, s9
	s_wait_alu 0xfffd
	v_add_co_ci_u32_e64 v5, null, 0, v1, vcc_lo
	s_wait_dscnt 0x1
	global_store_b8 v[4:5], v3, off
	s_or_b32 exec_lo, exec_lo, s1
	s_and_saveexec_b32 s1, s0
	s_cbranch_execnz .LBB111_95
	s_branch .LBB111_96
.LBB111_113:
	ds_load_b64 v[16:17], v57
	s_wait_dscnt 0x0
	global_store_b64 v[2:3], v[16:17], off
	s_wait_alu 0xfffe
	s_or_b32 exec_lo, exec_lo, s1
	s_and_saveexec_b32 s1, s3
	s_cbranch_execz .LBB111_98
.LBB111_114:
	s_lshl_b32 s2, s16, 8
	s_mov_b32 s3, 0
	s_delay_alu instid0(SALU_CYCLE_1) | instskip(NEXT) | instid1(SALU_CYCLE_1)
	s_lshl_b64 s[2:3], s[2:3], 3
	v_add_co_u32 v16, vcc_lo, v2, s2
	s_wait_alu 0xfffd
	v_add_co_ci_u32_e64 v17, null, s3, v3, vcc_lo
	s_wait_dscnt 0x6
	global_store_b64 v[16:17], v[14:15], off
	s_wait_alu 0xfffe
	s_or_b32 exec_lo, exec_lo, s1
	s_and_saveexec_b32 s1, s4
	s_cbranch_execz .LBB111_99
.LBB111_115:
	s_lshl_b32 s2, s16, 9
	s_mov_b32 s3, 0
	s_wait_alu 0xfffe
	s_lshl_b64 s[2:3], s[2:3], 3
	s_wait_dscnt 0x6
	s_wait_alu 0xfffe
	v_add_co_u32 v14, vcc_lo, v2, s2
	s_wait_alu 0xfffd
	v_add_co_ci_u32_e64 v15, null, s3, v3, vcc_lo
	s_wait_dscnt 0x5
	global_store_b64 v[14:15], v[12:13], off
	s_or_b32 exec_lo, exec_lo, s1
	s_and_saveexec_b32 s1, s5
	s_cbranch_execz .LBB111_100
.LBB111_116:
	s_mul_i32 s2, s16, 0x300
	s_mov_b32 s3, 0
	s_wait_alu 0xfffe
	s_lshl_b64 s[2:3], s[2:3], 3
	s_wait_dscnt 0x5
	s_wait_alu 0xfffe
	v_add_co_u32 v12, vcc_lo, v2, s2
	s_wait_alu 0xfffd
	v_add_co_ci_u32_e64 v13, null, s3, v3, vcc_lo
	s_wait_dscnt 0x4
	global_store_b64 v[12:13], v[10:11], off
	s_or_b32 exec_lo, exec_lo, s1
	s_and_saveexec_b32 s1, s6
	s_cbranch_execz .LBB111_101
.LBB111_117:
	s_lshl_b32 s2, s16, 10
	s_mov_b32 s3, 0
	s_wait_alu 0xfffe
	s_lshl_b64 s[2:3], s[2:3], 3
	s_wait_dscnt 0x4
	s_wait_alu 0xfffe
	v_add_co_u32 v10, vcc_lo, v2, s2
	s_wait_alu 0xfffd
	v_add_co_ci_u32_e64 v11, null, s3, v3, vcc_lo
	s_wait_dscnt 0x3
	global_store_b64 v[10:11], v[8:9], off
	s_or_b32 exec_lo, exec_lo, s1
	s_and_saveexec_b32 s1, s7
	s_cbranch_execz .LBB111_102
.LBB111_118:
	s_mul_i32 s2, s16, 0x500
	s_mov_b32 s3, 0
	s_wait_alu 0xfffe
	s_lshl_b64 s[2:3], s[2:3], 3
	s_wait_dscnt 0x3
	s_wait_alu 0xfffe
	v_add_co_u32 v8, vcc_lo, v2, s2
	s_wait_alu 0xfffd
	v_add_co_ci_u32_e64 v9, null, s3, v3, vcc_lo
	s_wait_dscnt 0x2
	global_store_b64 v[8:9], v[6:7], off
	s_or_b32 exec_lo, exec_lo, s1
	s_and_saveexec_b32 s1, s8
	s_cbranch_execz .LBB111_103
.LBB111_119:
	s_mul_i32 s2, s16, 0x600
	s_mov_b32 s3, 0
	s_wait_alu 0xfffe
	s_lshl_b64 s[2:3], s[2:3], 3
	s_wait_dscnt 0x2
	s_wait_alu 0xfffe
	v_add_co_u32 v6, vcc_lo, v2, s2
	s_wait_alu 0xfffd
	v_add_co_ci_u32_e64 v7, null, s3, v3, vcc_lo
	s_wait_dscnt 0x1
	global_store_b64 v[6:7], v[4:5], off
	s_or_b32 exec_lo, exec_lo, s1
	s_and_saveexec_b32 s1, s0
	s_cbranch_execnz .LBB111_104
	s_branch .LBB111_105
	.section	.rodata,"a",@progbits
	.p2align	6, 0x0
	.amdhsa_kernel _ZN2at6native18radixSortKVInPlaceILin1ELin1ELi256ELi8EaljEEvNS_4cuda6detail10TensorInfoIT3_T5_EES6_S6_S6_NS4_IT4_S6_EES6_b
		.amdhsa_group_segment_fixed_size 16896
		.amdhsa_private_segment_fixed_size 0
		.amdhsa_kernarg_size 712
		.amdhsa_user_sgpr_count 2
		.amdhsa_user_sgpr_dispatch_ptr 0
		.amdhsa_user_sgpr_queue_ptr 0
		.amdhsa_user_sgpr_kernarg_segment_ptr 1
		.amdhsa_user_sgpr_dispatch_id 0
		.amdhsa_user_sgpr_private_segment_size 0
		.amdhsa_wavefront_size32 1
		.amdhsa_uses_dynamic_stack 0
		.amdhsa_enable_private_segment 0
		.amdhsa_system_sgpr_workgroup_id_x 1
		.amdhsa_system_sgpr_workgroup_id_y 1
		.amdhsa_system_sgpr_workgroup_id_z 1
		.amdhsa_system_sgpr_workgroup_info 0
		.amdhsa_system_vgpr_workitem_id 2
		.amdhsa_next_free_vgpr 114
		.amdhsa_next_free_sgpr 24
		.amdhsa_reserve_vcc 1
		.amdhsa_float_round_mode_32 0
		.amdhsa_float_round_mode_16_64 0
		.amdhsa_float_denorm_mode_32 3
		.amdhsa_float_denorm_mode_16_64 3
		.amdhsa_fp16_overflow 0
		.amdhsa_workgroup_processor_mode 1
		.amdhsa_memory_ordered 1
		.amdhsa_forward_progress 1
		.amdhsa_inst_pref_size 108
		.amdhsa_round_robin_scheduling 0
		.amdhsa_exception_fp_ieee_invalid_op 0
		.amdhsa_exception_fp_denorm_src 0
		.amdhsa_exception_fp_ieee_div_zero 0
		.amdhsa_exception_fp_ieee_overflow 0
		.amdhsa_exception_fp_ieee_underflow 0
		.amdhsa_exception_fp_ieee_inexact 0
		.amdhsa_exception_int_div_zero 0
	.end_amdhsa_kernel
	.section	.text._ZN2at6native18radixSortKVInPlaceILin1ELin1ELi256ELi8EaljEEvNS_4cuda6detail10TensorInfoIT3_T5_EES6_S6_S6_NS4_IT4_S6_EES6_b,"axG",@progbits,_ZN2at6native18radixSortKVInPlaceILin1ELin1ELi256ELi8EaljEEvNS_4cuda6detail10TensorInfoIT3_T5_EES6_S6_S6_NS4_IT4_S6_EES6_b,comdat
.Lfunc_end111:
	.size	_ZN2at6native18radixSortKVInPlaceILin1ELin1ELi256ELi8EaljEEvNS_4cuda6detail10TensorInfoIT3_T5_EES6_S6_S6_NS4_IT4_S6_EES6_b, .Lfunc_end111-_ZN2at6native18radixSortKVInPlaceILin1ELin1ELi256ELi8EaljEEvNS_4cuda6detail10TensorInfoIT3_T5_EES6_S6_S6_NS4_IT4_S6_EES6_b
                                        ; -- End function
	.set _ZN2at6native18radixSortKVInPlaceILin1ELin1ELi256ELi8EaljEEvNS_4cuda6detail10TensorInfoIT3_T5_EES6_S6_S6_NS4_IT4_S6_EES6_b.num_vgpr, 114
	.set _ZN2at6native18radixSortKVInPlaceILin1ELin1ELi256ELi8EaljEEvNS_4cuda6detail10TensorInfoIT3_T5_EES6_S6_S6_NS4_IT4_S6_EES6_b.num_agpr, 0
	.set _ZN2at6native18radixSortKVInPlaceILin1ELin1ELi256ELi8EaljEEvNS_4cuda6detail10TensorInfoIT3_T5_EES6_S6_S6_NS4_IT4_S6_EES6_b.numbered_sgpr, 24
	.set _ZN2at6native18radixSortKVInPlaceILin1ELin1ELi256ELi8EaljEEvNS_4cuda6detail10TensorInfoIT3_T5_EES6_S6_S6_NS4_IT4_S6_EES6_b.num_named_barrier, 0
	.set _ZN2at6native18radixSortKVInPlaceILin1ELin1ELi256ELi8EaljEEvNS_4cuda6detail10TensorInfoIT3_T5_EES6_S6_S6_NS4_IT4_S6_EES6_b.private_seg_size, 0
	.set _ZN2at6native18radixSortKVInPlaceILin1ELin1ELi256ELi8EaljEEvNS_4cuda6detail10TensorInfoIT3_T5_EES6_S6_S6_NS4_IT4_S6_EES6_b.uses_vcc, 1
	.set _ZN2at6native18radixSortKVInPlaceILin1ELin1ELi256ELi8EaljEEvNS_4cuda6detail10TensorInfoIT3_T5_EES6_S6_S6_NS4_IT4_S6_EES6_b.uses_flat_scratch, 0
	.set _ZN2at6native18radixSortKVInPlaceILin1ELin1ELi256ELi8EaljEEvNS_4cuda6detail10TensorInfoIT3_T5_EES6_S6_S6_NS4_IT4_S6_EES6_b.has_dyn_sized_stack, 0
	.set _ZN2at6native18radixSortKVInPlaceILin1ELin1ELi256ELi8EaljEEvNS_4cuda6detail10TensorInfoIT3_T5_EES6_S6_S6_NS4_IT4_S6_EES6_b.has_recursion, 0
	.set _ZN2at6native18radixSortKVInPlaceILin1ELin1ELi256ELi8EaljEEvNS_4cuda6detail10TensorInfoIT3_T5_EES6_S6_S6_NS4_IT4_S6_EES6_b.has_indirect_call, 0
	.section	.AMDGPU.csdata,"",@progbits
; Kernel info:
; codeLenInByte = 13700
; TotalNumSgprs: 26
; NumVgprs: 114
; ScratchSize: 0
; MemoryBound: 0
; FloatMode: 240
; IeeeMode: 1
; LDSByteSize: 16896 bytes/workgroup (compile time only)
; SGPRBlocks: 0
; VGPRBlocks: 14
; NumSGPRsForWavesPerEU: 26
; NumVGPRsForWavesPerEU: 114
; Occupancy: 12
; WaveLimiterHint : 1
; COMPUTE_PGM_RSRC2:SCRATCH_EN: 0
; COMPUTE_PGM_RSRC2:USER_SGPR: 2
; COMPUTE_PGM_RSRC2:TRAP_HANDLER: 0
; COMPUTE_PGM_RSRC2:TGID_X_EN: 1
; COMPUTE_PGM_RSRC2:TGID_Y_EN: 1
; COMPUTE_PGM_RSRC2:TGID_Z_EN: 1
; COMPUTE_PGM_RSRC2:TIDIG_COMP_CNT: 2
	.section	.text._ZN2at6native18radixSortKVInPlaceILin1ELin1ELi128ELi8EaljEEvNS_4cuda6detail10TensorInfoIT3_T5_EES6_S6_S6_NS4_IT4_S6_EES6_b,"axG",@progbits,_ZN2at6native18radixSortKVInPlaceILin1ELin1ELi128ELi8EaljEEvNS_4cuda6detail10TensorInfoIT3_T5_EES6_S6_S6_NS4_IT4_S6_EES6_b,comdat
	.protected	_ZN2at6native18radixSortKVInPlaceILin1ELin1ELi128ELi8EaljEEvNS_4cuda6detail10TensorInfoIT3_T5_EES6_S6_S6_NS4_IT4_S6_EES6_b ; -- Begin function _ZN2at6native18radixSortKVInPlaceILin1ELin1ELi128ELi8EaljEEvNS_4cuda6detail10TensorInfoIT3_T5_EES6_S6_S6_NS4_IT4_S6_EES6_b
	.globl	_ZN2at6native18radixSortKVInPlaceILin1ELin1ELi128ELi8EaljEEvNS_4cuda6detail10TensorInfoIT3_T5_EES6_S6_S6_NS4_IT4_S6_EES6_b
	.p2align	8
	.type	_ZN2at6native18radixSortKVInPlaceILin1ELin1ELi128ELi8EaljEEvNS_4cuda6detail10TensorInfoIT3_T5_EES6_S6_S6_NS4_IT4_S6_EES6_b,@function
_ZN2at6native18radixSortKVInPlaceILin1ELin1ELi128ELi8EaljEEvNS_4cuda6detail10TensorInfoIT3_T5_EES6_S6_S6_NS4_IT4_S6_EES6_b: ; @_ZN2at6native18radixSortKVInPlaceILin1ELin1ELi128ELi8EaljEEvNS_4cuda6detail10TensorInfoIT3_T5_EES6_S6_S6_NS4_IT4_S6_EES6_b
; %bb.0:
	s_clause 0x1
	s_load_b64 s[2:3], s[0:1], 0x1c8
	s_load_b96 s[8:10], s[0:1], 0xd8
	s_lshr_b32 s4, ttmp7, 16
	s_wait_kmcnt 0x0
	s_mul_i32 s3, s3, s4
	s_and_b32 s4, ttmp7, 0xffff
	s_delay_alu instid0(SALU_CYCLE_1) | instskip(NEXT) | instid1(SALU_CYCLE_1)
	s_add_co_i32 s3, s3, s4
	s_mul_i32 s2, s3, s2
	s_delay_alu instid0(SALU_CYCLE_1) | instskip(NEXT) | instid1(SALU_CYCLE_1)
	s_add_co_i32 s20, s2, ttmp9
	s_cmp_ge_u32 s20, s8
	s_cbranch_scc1 .LBB112_105
; %bb.1:
	s_load_b32 s4, s[0:1], 0xd0
	s_mov_b32 s3, 0
	s_mov_b32 s2, s20
	s_wait_kmcnt 0x0
	s_cmp_lt_i32 s4, 2
	s_cbranch_scc1 .LBB112_4
; %bb.2:
	s_add_co_i32 s2, s4, -1
	s_delay_alu instid0(SALU_CYCLE_1)
	s_lshl_b64 s[6:7], s[2:3], 2
	s_mov_b32 s2, s20
	s_add_nc_u64 s[12:13], s[0:1], s[6:7]
	s_add_co_i32 s6, s4, 1
	s_add_nc_u64 s[4:5], s[12:13], 8
.LBB112_3:                              ; =>This Inner Loop Header: Depth=1
	s_clause 0x1
	s_load_b32 s7, s[4:5], 0x0
	s_load_b32 s8, s[4:5], 0x64
	s_mov_b32 s13, s2
	s_add_nc_u64 s[4:5], s[4:5], -4
	s_wait_kmcnt 0x0
	s_cvt_f32_u32 s11, s7
	s_sub_co_i32 s12, 0, s7
	s_wait_alu 0xfffe
	s_delay_alu instid0(SALU_CYCLE_1) | instskip(NEXT) | instid1(TRANS32_DEP_1)
	v_rcp_iflag_f32_e32 v1, s11
	v_readfirstlane_b32 s11, v1
	s_mul_f32 s11, s11, 0x4f7ffffe
	s_wait_alu 0xfffe
	s_delay_alu instid0(SALU_CYCLE_2) | instskip(SKIP_1) | instid1(SALU_CYCLE_2)
	s_cvt_u32_f32 s11, s11
	s_wait_alu 0xfffe
	s_mul_i32 s12, s12, s11
	s_delay_alu instid0(SALU_CYCLE_1) | instskip(NEXT) | instid1(SALU_CYCLE_1)
	s_mul_hi_u32 s12, s11, s12
	s_add_co_i32 s11, s11, s12
	s_wait_alu 0xfffe
	s_mul_hi_u32 s2, s2, s11
	s_delay_alu instid0(SALU_CYCLE_1)
	s_mul_i32 s11, s2, s7
	s_add_co_i32 s12, s2, 1
	s_wait_alu 0xfffe
	s_sub_co_i32 s11, s13, s11
	s_wait_alu 0xfffe
	s_sub_co_i32 s14, s11, s7
	s_cmp_ge_u32 s11, s7
	s_cselect_b32 s2, s12, s2
	s_cselect_b32 s11, s14, s11
	s_add_co_i32 s12, s2, 1
	s_wait_alu 0xfffe
	s_cmp_ge_u32 s11, s7
	s_cselect_b32 s2, s12, s2
	s_add_co_i32 s6, s6, -1
	s_mul_i32 s7, s2, s7
	s_delay_alu instid0(SALU_CYCLE_1) | instskip(NEXT) | instid1(SALU_CYCLE_1)
	s_sub_co_i32 s7, s13, s7
	s_mul_i32 s7, s8, s7
	s_delay_alu instid0(SALU_CYCLE_1)
	s_add_co_i32 s3, s7, s3
	s_cmp_gt_u32 s6, 2
	s_cbranch_scc1 .LBB112_3
.LBB112_4:
	s_load_b32 s4, s[0:1], 0x1b8
	s_add_nc_u64 s[22:23], s[0:1], 0x1c8
	s_mov_b32 s13, 0
	s_wait_kmcnt 0x0
	s_cmp_lt_i32 s4, 2
	s_cbranch_scc1 .LBB112_7
; %bb.5:
	s_add_co_i32 s12, s4, -1
	s_delay_alu instid0(SALU_CYCLE_1) | instskip(NEXT) | instid1(SALU_CYCLE_1)
	s_lshl_b64 s[6:7], s[12:13], 2
	s_add_nc_u64 s[14:15], s[0:1], s[6:7]
	s_add_co_i32 s6, s4, 1
	s_add_nc_u64 s[4:5], s[14:15], 0xf0
.LBB112_6:                              ; =>This Inner Loop Header: Depth=1
	s_clause 0x1
	s_load_b32 s7, s[4:5], 0x0
	s_load_b32 s8, s[4:5], 0x64
	s_mov_b32 s14, s20
	s_add_nc_u64 s[4:5], s[4:5], -4
	s_wait_kmcnt 0x0
	s_cvt_f32_u32 s11, s7
	s_sub_co_i32 s12, 0, s7
	s_wait_alu 0xfffe
	s_delay_alu instid0(SALU_CYCLE_1) | instskip(NEXT) | instid1(TRANS32_DEP_1)
	v_rcp_iflag_f32_e32 v1, s11
	v_readfirstlane_b32 s11, v1
	s_mul_f32 s11, s11, 0x4f7ffffe
	s_wait_alu 0xfffe
	s_delay_alu instid0(SALU_CYCLE_2) | instskip(SKIP_1) | instid1(SALU_CYCLE_2)
	s_cvt_u32_f32 s11, s11
	s_wait_alu 0xfffe
	s_mul_i32 s12, s12, s11
	s_delay_alu instid0(SALU_CYCLE_1) | instskip(NEXT) | instid1(SALU_CYCLE_1)
	s_mul_hi_u32 s12, s11, s12
	s_add_co_i32 s11, s11, s12
	s_wait_alu 0xfffe
	s_mul_hi_u32 s11, s20, s11
	s_wait_alu 0xfffe
	s_mul_i32 s12, s11, s7
	s_add_co_i32 s15, s11, 1
	s_sub_co_i32 s12, s20, s12
	s_delay_alu instid0(SALU_CYCLE_1)
	s_sub_co_i32 s16, s12, s7
	s_cmp_ge_u32 s12, s7
	s_cselect_b32 s11, s15, s11
	s_cselect_b32 s12, s16, s12
	s_wait_alu 0xfffe
	s_add_co_i32 s15, s11, 1
	s_cmp_ge_u32 s12, s7
	s_cselect_b32 s20, s15, s11
	s_add_co_i32 s6, s6, -1
	s_mul_i32 s7, s20, s7
	s_delay_alu instid0(SALU_CYCLE_1) | instskip(NEXT) | instid1(SALU_CYCLE_1)
	s_sub_co_i32 s7, s14, s7
	s_mul_i32 s7, s8, s7
	s_delay_alu instid0(SALU_CYCLE_1)
	s_add_co_i32 s13, s7, s13
	s_cmp_gt_u32 s6, 2
	s_cbranch_scc1 .LBB112_6
.LBB112_7:
	s_clause 0x2
	s_load_b32 s4, s[0:1], 0x6c
	s_load_b64 s[16:17], s[0:1], 0x1c0
	s_load_b64 s[6:7], s[0:1], 0x0
	s_mov_b32 s15, 0
	s_wait_kmcnt 0x0
	s_mul_i32 s2, s4, s2
	s_mov_b32 s4, 0xff80
	s_add_co_i32 s14, s2, s3
	s_bitcmp1_b32 s17, 0
	s_movk_i32 s2, 0x8000
	s_cselect_b32 s11, -1, 0
	s_movk_i32 s3, 0x80
	s_wait_alu 0xfffe
	s_and_b32 s5, s11, exec_lo
	s_cselect_b32 s2, s2, 0x7f00
	s_cselect_b32 s3, s3, 0x7f
	;; [unrolled: 1-line block ×3, first 2 shown]
	s_or_b32 s2, s3, s2
	s_add_nc_u64 s[18:19], s[6:7], s[14:15]
	s_and_b32 s3, s2, 0xffff
	s_lshl_b32 s2, s2, 16
	v_mov_b32_e32 v3, s8
	s_or_b32 s4, s3, s2
	s_delay_alu instid0(SALU_CYCLE_1) | instskip(SKIP_2) | instid1(VALU_DEP_2)
	s_mov_b32 s5, s4
	v_dual_mov_b32 v1, s4 :: v_dual_and_b32 v44, 0x3ff, v0
	v_mov_b32_e32 v2, s5
	v_mul_lo_u32 v47, s10, v44
	v_cmp_gt_u32_e64 s2, s9, v44
	s_and_saveexec_b32 s3, s2
	s_cbranch_execz .LBB112_9
; %bb.8:
	global_load_u8 v3, v47, s[18:19]
	v_mov_b32_e32 v2, s4
	s_wait_loadcnt 0x0
	v_perm_b32 v1, v3, s4, 0x3020104
.LBB112_9:
	s_or_b32 exec_lo, exec_lo, s3
	v_add_nc_u32_e32 v29, 0x80, v44
	s_delay_alu instid0(VALU_DEP_1)
	v_cmp_gt_u32_e64 s3, s9, v29
	s_and_saveexec_b32 s4, s3
	s_cbranch_execz .LBB112_11
; %bb.10:
	v_mul_lo_u32 v4, s10, v29
	global_load_u8 v4, v4, s[18:19]
	s_wait_loadcnt 0x0
	v_perm_b32 v1, v1, v4, 0x7060004
.LBB112_11:
	s_wait_alu 0xfffe
	s_or_b32 exec_lo, exec_lo, s4
	v_add_nc_u32_e32 v28, 0x100, v44
	s_delay_alu instid0(VALU_DEP_1)
	v_cmp_gt_u32_e64 s4, s9, v28
	s_and_saveexec_b32 s5, s4
	s_cbranch_execz .LBB112_13
; %bb.12:
	v_mul_lo_u32 v4, s10, v28
	global_load_u8 v4, v4, s[18:19]
	s_wait_loadcnt 0x0
	v_perm_b32 v4, v4, v1, 0xc0c0304
	s_delay_alu instid0(VALU_DEP_1) | instskip(NEXT) | instid1(VALU_DEP_1)
	v_lshlrev_b32_e32 v4, 16, v4
	v_and_or_b32 v1, 0xffff, v1, v4
.LBB112_13:
	s_wait_alu 0xfffe
	s_or_b32 exec_lo, exec_lo, s5
	v_add_nc_u32_e32 v26, 0x180, v44
	s_delay_alu instid0(VALU_DEP_1)
	v_cmp_gt_u32_e64 s5, s9, v26
	s_and_saveexec_b32 s6, s5
	s_cbranch_execz .LBB112_15
; %bb.14:
	v_mul_lo_u32 v4, s10, v26
	global_load_u8 v4, v4, s[18:19]
	s_wait_loadcnt 0x0
	v_perm_b32 v4, v1, v4, 0xc0c0006
	s_delay_alu instid0(VALU_DEP_1) | instskip(NEXT) | instid1(VALU_DEP_1)
	v_lshlrev_b32_e32 v4, 16, v4
	v_and_or_b32 v1, 0xffff, v1, v4
.LBB112_15:
	s_or_b32 exec_lo, exec_lo, s6
	v_add_nc_u32_e32 v22, 0x200, v44
	s_delay_alu instid0(VALU_DEP_1)
	v_cmp_gt_u32_e64 s6, s9, v22
	s_and_saveexec_b32 s7, s6
	s_cbranch_execz .LBB112_17
; %bb.16:
	v_mul_lo_u32 v4, s10, v22
	global_load_u8 v4, v4, s[18:19]
	s_wait_loadcnt 0x0
	v_perm_b32 v2, v4, v2, 0x3020104
.LBB112_17:
	s_or_b32 exec_lo, exec_lo, s7
	v_add_nc_u32_e32 v19, 0x280, v44
	s_delay_alu instid0(VALU_DEP_1)
	v_cmp_gt_u32_e64 s7, s9, v19
	s_and_saveexec_b32 s8, s7
	s_cbranch_execz .LBB112_19
; %bb.18:
	v_mul_lo_u32 v4, s10, v19
	global_load_u8 v4, v4, s[18:19]
	s_wait_loadcnt 0x0
	v_perm_b32 v2, v2, v4, 0x7060004
.LBB112_19:
	s_wait_alu 0xfffe
	s_or_b32 exec_lo, exec_lo, s8
	v_add_nc_u32_e32 v16, 0x300, v44
	s_delay_alu instid0(VALU_DEP_1)
	v_cmp_gt_u32_e64 s8, s9, v16
	s_and_saveexec_b32 s12, s8
	s_cbranch_execz .LBB112_21
; %bb.20:
	v_mul_lo_u32 v4, s10, v16
	global_load_u8 v4, v4, s[18:19]
	s_wait_loadcnt 0x0
	v_perm_b32 v2, v2, v4, 0x7000504
.LBB112_21:
	s_or_b32 exec_lo, exec_lo, s12
	s_clause 0x1
	s_load_b32 s12, s[0:1], 0x154
	s_load_b64 s[14:15], s[0:1], 0xe8
	v_add_nc_u32_e32 v15, 0x380, v44
	s_delay_alu instid0(VALU_DEP_1)
	v_cmp_gt_u32_e64 s0, s9, v15
	s_and_saveexec_b32 s1, s0
	s_cbranch_execz .LBB112_23
; %bb.22:
	v_mul_lo_u32 v4, s10, v15
	global_load_u8 v4, v4, s[18:19]
	s_wait_loadcnt 0x0
	v_perm_b32 v2, v2, v4, 0x60504
.LBB112_23:
	s_or_b32 exec_lo, exec_lo, s1
	v_lshrrev_b32_e32 v65, 5, v44
	v_lshrrev_b32_e32 v17, 5, v29
	;; [unrolled: 1-line block ×5, first 2 shown]
	s_delay_alu instid0(VALU_DEP_4) | instskip(SKIP_4) | instid1(VALU_DEP_4)
	v_dual_mov_b32 v42, 0 :: v_dual_and_b32 v5, 60, v17
	v_and_b32_e32 v4, 28, v65
	v_and_b32_e32 v7, 60, v20
	v_lshrrev_b32_e32 v21, 5, v26
	v_lshrrev_b32_e32 v27, 2, v44
	v_dual_mov_b32 v43, v42 :: v_dual_add_nc_u32 v48, v4, v44
	v_dual_mov_b32 v11, v42 :: v_dual_and_b32 v4, 60, v18
	v_mov_b32_e32 v12, v42
	v_add_nc_u32_e32 v52, v7, v44
	v_and_b32_e32 v7, 60, v24
	s_delay_alu instid0(VALU_DEP_4)
	v_add_nc_u32_e32 v50, v4, v44
	v_and_b32_e32 v4, 60, v21
	v_lshrrev_b32_e32 v23, 5, v19
	v_lshrrev_b32_e32 v25, 5, v15
	v_dual_mov_b32 v13, 0 :: v_dual_add_nc_u32 v54, v7, v44
	v_lshlrev_b32_e32 v60, 3, v44
	v_and_b32_e32 v7, 0xfc, v27
	v_add_nc_u32_e32 v51, v4, v44
	v_and_b32_e32 v4, 60, v23
	v_and_b32_e32 v9, 60, v25
	v_lshrrev_b32_e32 v6, 8, v1
	v_add_nc_u32_e32 v56, v7, v60
	v_dual_mov_b32 v10, v42 :: v_dual_add_nc_u32 v49, v5, v44
	v_lshrrev_b32_e32 v5, 24, v1
	v_lshrrev_b32_e32 v8, 8, v2
	v_dual_mov_b32 v14, 0 :: v_dual_add_nc_u32 v53, v4, v44
	v_lshrrev_b32_e32 v4, 24, v2
	v_add_nc_u32_e32 v55, v9, v44
	v_mov_b32_e32 v9, v42
	v_mov_b32_e32 v7, v42
	ds_store_b8 v48, v3
	ds_store_b8 v49, v6 offset:128
	ds_store_b8_d16_hi v50, v1 offset:256
	ds_store_b8 v51, v5 offset:384
	ds_store_b8 v52, v2 offset:512
	;; [unrolled: 1-line block ×3, first 2 shown]
	ds_store_b8_d16_hi v54, v2 offset:768
	ds_store_b8 v55, v4 offset:896
	s_wait_dscnt 0x0
	s_barrier_signal -1
	s_barrier_wait -1
	global_inv scope:SCOPE_SE
	ds_load_2addr_b32 v[45:46], v56 offset1:1
	s_wait_kmcnt 0x0
	s_mul_i32 s1, s12, s20
	v_mul_lo_u32 v41, s16, v44
	s_mov_b32 s21, 0
	s_add_co_i32 s20, s1, s13
	v_dual_mov_b32 v1, v42 :: v_dual_mov_b32 v2, v42
	v_dual_mov_b32 v3, v42 :: v_dual_mov_b32 v4, v42
	;; [unrolled: 1-line block ×3, first 2 shown]
	v_mov_b32_e32 v8, v42
	s_lshl_b64 s[12:13], s[20:21], 3
	s_wait_loadcnt_dscnt 0x0
	s_add_nc_u64 s[20:21], s[14:15], s[12:13]
	s_barrier_signal -1
	s_barrier_wait -1
	global_inv scope:SCOPE_SE
	s_and_saveexec_b32 s1, s2
	s_cbranch_execnz .LBB112_56
; %bb.24:
	s_or_b32 exec_lo, exec_lo, s1
	s_and_saveexec_b32 s1, s3
	s_cbranch_execnz .LBB112_57
.LBB112_25:
	s_or_b32 exec_lo, exec_lo, s1
	s_and_saveexec_b32 s1, s4
	s_cbranch_execnz .LBB112_58
.LBB112_26:
	s_or_b32 exec_lo, exec_lo, s1
	s_and_saveexec_b32 s1, s5
	s_cbranch_execnz .LBB112_59
.LBB112_27:
	s_or_b32 exec_lo, exec_lo, s1
	s_and_saveexec_b32 s1, s6
	s_cbranch_execnz .LBB112_60
.LBB112_28:
	s_or_b32 exec_lo, exec_lo, s1
	s_and_saveexec_b32 s1, s7
	s_cbranch_execnz .LBB112_61
.LBB112_29:
	s_or_b32 exec_lo, exec_lo, s1
	s_and_saveexec_b32 s1, s8
	s_cbranch_execnz .LBB112_62
.LBB112_30:
	s_or_b32 exec_lo, exec_lo, s1
	s_xor_b32 s1, s11, -1
	s_and_saveexec_b32 s9, s0
	s_cbranch_execz .LBB112_32
.LBB112_31:
	v_mul_lo_u32 v7, s16, v15
	v_mov_b32_e32 v8, 0
	s_delay_alu instid0(VALU_DEP_1) | instskip(NEXT) | instid1(VALU_DEP_1)
	v_lshlrev_b64_e32 v[7:8], 3, v[7:8]
	v_add_co_u32 v7, vcc_lo, s20, v7
	s_wait_alu 0xfffd
	s_delay_alu instid0(VALU_DEP_2)
	v_add_co_ci_u32_e64 v8, null, s21, v8, vcc_lo
	global_load_b64 v[7:8], v[7:8], off
.LBB112_32:
	s_wait_alu 0xfffe
	s_or_b32 exec_lo, exec_lo, s9
	v_lshl_add_u32 v57, v65, 3, v60
	v_lshl_add_u32 v58, v17, 3, v60
	;; [unrolled: 1-line block ×5, first 2 shown]
	s_wait_loadcnt 0x0
	ds_store_b64 v57, v[13:14]
	ds_store_b64 v58, v[42:43] offset:1024
	ds_store_b64 v59, v[9:10] offset:2048
	;; [unrolled: 1-line block ×3, first 2 shown]
	v_lshlrev_b32_e32 v9, 3, v60
	v_lshl_add_u32 v42, v20, 3, v60
	v_lshl_add_u32 v43, v23, 3, v60
	;; [unrolled: 1-line block ×3, first 2 shown]
	ds_store_b64 v42, v[1:2] offset:4096
	ds_store_b64 v43, v[3:4] offset:5120
	;; [unrolled: 1-line block ×4, first 2 shown]
	v_lshl_add_u32 v64, v27, 3, v9
	s_wait_dscnt 0x0
	s_barrier_signal -1
	s_barrier_wait -1
	global_inv scope:SCOPE_SE
	ds_load_2addr_b64 v[13:16], v64 offset1:1
	ds_load_2addr_b64 v[9:12], v64 offset0:2 offset1:3
	ds_load_2addr_b64 v[5:8], v64 offset0:4 offset1:5
	;; [unrolled: 1-line block ×3, first 2 shown]
	v_mbcnt_lo_u32_b32 v67, -1, 0
	v_and_b32_e32 v68, 0x3e0, v44
	v_lshrrev_b32_e32 v74, 24, v46
	v_lshrrev_b32_e32 v75, 16, v46
	;; [unrolled: 1-line block ×3, first 2 shown]
	v_and_or_b32 v73, 0x1f00, v60, v67
	v_or_b32_e32 v17, v67, v68
	v_lshrrev_b32_e32 v77, 24, v45
	v_lshrrev_b32_e32 v78, 16, v45
	;; [unrolled: 1-line block ×3, first 2 shown]
	v_bfe_u32 v69, v0, 10, 10
	v_lshlrev_b32_e32 v72, 3, v17
	v_bfe_u32 v70, v0, 20, 10
	v_mad_u32_u24 v71, v73, 7, v73
	v_lshlrev_b32_e32 v66, 2, v60
	s_mov_b32 s12, 0
	s_and_b32 vcc_lo, exec_lo, s1
	s_mov_b32 s1, -1
	s_wait_loadcnt_dscnt 0x0
	s_barrier_signal -1
	s_barrier_wait -1
	global_inv scope:SCOPE_SE
	s_wait_alu 0xfffe
	s_cbranch_vccz .LBB112_63
; %bb.33:
	v_xor_b32_e32 v0, 0x80, v45
	v_xor_b32_e32 v17, 0x80, v79
	;; [unrolled: 1-line block ×8, first 2 shown]
	s_getpc_b64 s[14:15]
	s_sext_i32_i16 s15, s15
	s_add_co_u32 s14, s14, _ZN7rocprim17ROCPRIM_400000_NS16block_radix_sortIaLj128ELj8ElLj1ELj1ELj0ELNS0_26block_radix_rank_algorithmE1ELNS0_18block_padding_hintE2ELNS0_4arch9wavefront6targetE0EE19radix_bits_per_passE@rel32@lo+8
	s_add_co_ci_u32 s15, s15, _ZN7rocprim17ROCPRIM_400000_NS16block_radix_sortIaLj128ELj8ElLj1ELj1ELj0ELNS0_26block_radix_rank_algorithmE1ELNS0_18block_padding_hintE2ELNS0_4arch9wavefront6targetE0EE19radix_bits_per_passE@rel32@hi+16
	v_lshlrev_b16 v17, 8, v17
	v_lshlrev_b16 v19, 8, v19
	v_and_b32_e32 v20, 0xff, v20
	v_lshlrev_b16 v21, 8, v21
	v_and_b32_e32 v22, 0xff, v22
	v_lshlrev_b16 v23, 8, v23
	s_load_b32 s1, s[14:15], 0x0
	s_mov_b32 s13, s12
	s_mov_b32 s14, s12
	;; [unrolled: 1-line block ×3, first 2 shown]
	v_and_b32_e32 v0, 0xff, v0
	v_and_b32_e32 v18, 0xff, v18
	s_delay_alu instid0(VALU_DEP_2) | instskip(NEXT) | instid1(VALU_DEP_2)
	v_or_b32_e32 v0, v0, v17
	v_or_b32_e32 v17, v18, v19
	;; [unrolled: 1-line block ×4, first 2 shown]
	s_delay_alu instid0(VALU_DEP_4) | instskip(NEXT) | instid1(VALU_DEP_4)
	v_and_b32_e32 v0, 0xffff, v0
	v_lshlrev_b32_e32 v17, 16, v17
	s_delay_alu instid0(VALU_DEP_4) | instskip(NEXT) | instid1(VALU_DEP_4)
	v_and_b32_e32 v18, 0xffff, v18
	v_lshlrev_b32_e32 v19, 16, v19
	s_delay_alu instid0(VALU_DEP_3) | instskip(SKIP_2) | instid1(VALU_DEP_2)
	v_or_b32_e32 v17, v0, v17
	s_wait_kmcnt 0x0
	s_min_u32 s1, s1, 8
	v_or_b32_e32 v18, v18, v19
	s_lshl_b32 s1, -1, s1
	s_delay_alu instid0(SALU_CYCLE_1)
	s_not_b32 s9, s1
	ds_store_b64 v72, v[17:18]
	; wave barrier
	ds_load_u8 v0, v73
	ds_load_u8 v80, v73 offset:32
	ds_load_u8 v81, v73 offset:64
	;; [unrolled: 1-line block ×7, first 2 shown]
	v_lshlrev_b32_e32 v17, 3, v72
	s_wait_loadcnt_dscnt 0x0
	s_barrier_signal -1
	s_barrier_wait -1
	global_inv scope:SCOPE_SE
	ds_store_b128 v17, v[13:16]
	ds_store_b128 v17, v[9:12] offset:16
	ds_store_b128 v17, v[5:8] offset:32
	;; [unrolled: 1-line block ×3, first 2 shown]
	; wave barrier
	ds_load_2addr_b64 v[21:24], v71 offset1:32
	ds_load_2addr_b64 v[17:20], v71 offset0:64 offset1:96
	ds_load_2addr_b64 v[29:32], v71 offset0:192 offset1:224
	s_wait_alu 0xfffe
	v_and_b32_e32 v39, s9, v0
	s_delay_alu instid0(VALU_DEP_1) | instskip(SKIP_3) | instid1(VALU_DEP_4)
	v_and_b32_e32 v25, 1, v39
	v_lshlrev_b32_e32 v35, 30, v39
	v_lshlrev_b32_e32 v36, 29, v39
	;; [unrolled: 1-line block ×3, first 2 shown]
	v_add_co_u32 v33, s1, v25, -1
	s_delay_alu instid0(VALU_DEP_1)
	v_cndmask_b32_e64 v34, 0, 1, s1
	ds_load_2addr_b64 v[25:28], v71 offset0:128 offset1:160
	s_wait_loadcnt_dscnt 0x0
	s_barrier_signal -1
	s_barrier_wait -1
	v_cmp_ne_u32_e32 vcc_lo, 0, v34
	v_not_b32_e32 v34, v35
	global_inv scope:SCOPE_SE
	s_load_b32 s1, s[22:23], 0xc
	v_xor_b32_e32 v33, vcc_lo, v33
	v_cmp_gt_i32_e32 vcc_lo, 0, v35
	v_ashrrev_i32_e32 v34, 31, v34
	v_not_b32_e32 v35, v36
	s_delay_alu instid0(VALU_DEP_4) | instskip(SKIP_1) | instid1(VALU_DEP_3)
	v_and_b32_e32 v33, exec_lo, v33
	s_wait_alu 0xfffd
	v_xor_b32_e32 v34, vcc_lo, v34
	v_cmp_gt_i32_e32 vcc_lo, 0, v36
	v_ashrrev_i32_e32 v35, 31, v35
	v_not_b32_e32 v36, v37
	s_delay_alu instid0(VALU_DEP_4)
	v_and_b32_e32 v33, v33, v34
	v_lshlrev_b32_e32 v34, 27, v39
	s_wait_alu 0xfffd
	v_xor_b32_e32 v35, vcc_lo, v35
	v_cmp_gt_i32_e32 vcc_lo, 0, v37
	v_ashrrev_i32_e32 v36, 31, v36
	v_not_b32_e32 v37, v34
	s_delay_alu instid0(VALU_DEP_4)
	v_and_b32_e32 v33, v33, v35
	v_lshlrev_b32_e32 v35, 26, v39
	s_wait_alu 0xfffd
	v_xor_b32_e32 v36, vcc_lo, v36
	v_cmp_gt_i32_e32 vcc_lo, 0, v34
	v_ashrrev_i32_e32 v34, 31, v37
	s_wait_kmcnt 0x0
	s_lshr_b32 s11, s1, 16
	v_not_b32_e32 v37, v35
	v_and_b32_e32 v33, v33, v36
	v_lshlrev_b32_e32 v36, 25, v39
	s_wait_alu 0xfffd
	v_xor_b32_e32 v34, vcc_lo, v34
	v_cmp_gt_i32_e32 vcc_lo, 0, v35
	v_ashrrev_i32_e32 v35, 31, v37
	s_wait_alu 0xfffe
	v_mad_u32_u24 v38, v70, s11, v69
	v_not_b32_e32 v37, v36
	v_and_b32_e32 v33, v33, v34
	v_lshlrev_b32_e32 v34, 24, v39
	s_wait_alu 0xfffd
	v_xor_b32_e32 v35, vcc_lo, v35
	v_cmp_gt_i32_e32 vcc_lo, 0, v36
	v_ashrrev_i32_e32 v36, 31, v37
	s_and_b32 s1, s1, 0xffff
	v_not_b32_e32 v37, v34
	v_and_b32_e32 v35, v33, v35
	v_and_b32_e32 v39, 0xff, v39
	s_wait_alu 0xfffd
	v_xor_b32_e32 v36, vcc_lo, v36
	v_cmp_gt_i32_e32 vcc_lo, 0, v34
	v_ashrrev_i32_e32 v37, 31, v37
	s_wait_alu 0xfffe
	v_mad_co_u64_u32 v[33:34], null, v38, s1, v[44:45]
	v_and_b32_e32 v34, v35, v36
	s_wait_alu 0xfffd
	v_xor_b32_e32 v40, vcc_lo, v37
	v_dual_mov_b32 v38, s15 :: v_dual_mov_b32 v37, s14
	v_dual_mov_b32 v36, s13 :: v_dual_mov_b32 v35, s12
	s_delay_alu instid0(VALU_DEP_3)
	v_and_b32_e32 v34, v34, v40
	v_lshrrev_b32_e32 v33, 3, v33
	ds_store_b128 v66, v[35:38] offset:16
	ds_store_b128 v66, v[35:38] offset:32
	v_mbcnt_lo_u32_b32 v87, v34, 0
	v_and_b32_e32 v33, 0x1ffffffc, v33
	v_lshlrev_b32_e32 v35, 4, v39
	v_cmp_ne_u32_e64 s1, 0, v34
	s_wait_loadcnt_dscnt 0x0
	v_cmp_eq_u32_e32 vcc_lo, 0, v87
	s_barrier_signal -1
	v_add_nc_u32_e32 v88, v33, v35
	s_barrier_wait -1
	global_inv scope:SCOPE_SE
	s_and_b32 s11, s1, vcc_lo
	; wave barrier
	s_wait_alu 0xfffe
	s_and_saveexec_b32 s1, s11
; %bb.34:
	v_bcnt_u32_b32 v34, v34, 0
	ds_store_b32 v88, v34 offset:16
; %bb.35:
	s_wait_alu 0xfffe
	s_or_b32 exec_lo, exec_lo, s1
	v_and_b32_e32 v34, s9, v80
	; wave barrier
	s_delay_alu instid0(VALU_DEP_1)
	v_and_b32_e32 v36, 1, v34
	v_lshlrev_b32_e32 v37, 30, v34
	v_lshlrev_b32_e32 v38, 29, v34
	;; [unrolled: 1-line block ×4, first 2 shown]
	v_add_co_u32 v36, s1, v36, -1
	s_wait_alu 0xf1ff
	v_cndmask_b32_e64 v40, 0, 1, s1
	v_not_b32_e32 v92, v37
	v_cmp_gt_i32_e64 s1, 0, v37
	v_not_b32_e32 v37, v38
	v_lshlrev_b32_e32 v90, 26, v34
	v_cmp_ne_u32_e32 vcc_lo, 0, v40
	v_ashrrev_i32_e32 v40, 31, v92
	v_lshlrev_b32_e32 v91, 25, v34
	v_ashrrev_i32_e32 v37, 31, v37
	v_and_b32_e32 v35, 0xff, v34
	s_wait_alu 0xfffd
	v_xor_b32_e32 v36, vcc_lo, v36
	v_cmp_gt_i32_e32 vcc_lo, 0, v38
	v_not_b32_e32 v38, v39
	s_wait_alu 0xf1ff
	v_xor_b32_e32 v40, s1, v40
	v_cmp_gt_i32_e64 s1, 0, v39
	v_and_b32_e32 v36, exec_lo, v36
	v_not_b32_e32 v39, v89
	v_ashrrev_i32_e32 v38, 31, v38
	s_wait_alu 0xfffd
	v_xor_b32_e32 v37, vcc_lo, v37
	v_cmp_gt_i32_e32 vcc_lo, 0, v89
	v_and_b32_e32 v36, v36, v40
	v_not_b32_e32 v40, v90
	v_ashrrev_i32_e32 v39, 31, v39
	s_wait_alu 0xf1ff
	v_xor_b32_e32 v38, s1, v38
	v_lshlrev_b32_e32 v34, 24, v34
	v_and_b32_e32 v36, v36, v37
	v_cmp_gt_i32_e64 s1, 0, v90
	v_not_b32_e32 v37, v91
	v_ashrrev_i32_e32 v40, 31, v40
	s_wait_alu 0xfffd
	v_xor_b32_e32 v39, vcc_lo, v39
	v_and_b32_e32 v36, v36, v38
	v_cmp_gt_i32_e32 vcc_lo, 0, v91
	v_not_b32_e32 v38, v34
	v_ashrrev_i32_e32 v37, 31, v37
	s_wait_alu 0xf1ff
	v_xor_b32_e32 v40, s1, v40
	v_and_b32_e32 v36, v36, v39
	v_lshlrev_b32_e32 v35, 4, v35
	v_cmp_gt_i32_e64 s1, 0, v34
	v_ashrrev_i32_e32 v34, 31, v38
	s_wait_alu 0xfffd
	v_xor_b32_e32 v37, vcc_lo, v37
	v_and_b32_e32 v36, v36, v40
	v_add_nc_u32_e32 v91, v33, v35
	s_wait_alu 0xf1ff
	v_xor_b32_e32 v34, s1, v34
	s_delay_alu instid0(VALU_DEP_3) | instskip(SKIP_2) | instid1(VALU_DEP_1)
	v_and_b32_e32 v35, v36, v37
	ds_load_b32 v89, v91 offset:16
	; wave barrier
	v_and_b32_e32 v34, v35, v34
	v_mbcnt_lo_u32_b32 v90, v34, 0
	v_cmp_ne_u32_e64 s1, 0, v34
	s_delay_alu instid0(VALU_DEP_2)
	v_cmp_eq_u32_e32 vcc_lo, 0, v90
	s_and_b32 s11, s1, vcc_lo
	s_wait_alu 0xfffe
	s_and_saveexec_b32 s1, s11
	s_cbranch_execz .LBB112_37
; %bb.36:
	s_wait_dscnt 0x0
	v_bcnt_u32_b32 v34, v34, v89
	ds_store_b32 v91, v34 offset:16
.LBB112_37:
	s_wait_alu 0xfffe
	s_or_b32 exec_lo, exec_lo, s1
	v_and_b32_e32 v34, s9, v81
	; wave barrier
	s_delay_alu instid0(VALU_DEP_1)
	v_and_b32_e32 v36, 1, v34
	v_lshlrev_b32_e32 v37, 30, v34
	v_lshlrev_b32_e32 v38, 29, v34
	;; [unrolled: 1-line block ×4, first 2 shown]
	v_add_co_u32 v36, s1, v36, -1
	s_wait_alu 0xf1ff
	v_cndmask_b32_e64 v40, 0, 1, s1
	v_not_b32_e32 v95, v37
	v_cmp_gt_i32_e64 s1, 0, v37
	v_not_b32_e32 v37, v38
	v_lshlrev_b32_e32 v93, 26, v34
	v_cmp_ne_u32_e32 vcc_lo, 0, v40
	v_ashrrev_i32_e32 v40, 31, v95
	v_lshlrev_b32_e32 v94, 25, v34
	v_ashrrev_i32_e32 v37, 31, v37
	v_and_b32_e32 v35, 0xff, v34
	s_wait_alu 0xfffd
	v_xor_b32_e32 v36, vcc_lo, v36
	v_cmp_gt_i32_e32 vcc_lo, 0, v38
	v_not_b32_e32 v38, v39
	s_wait_alu 0xf1ff
	v_xor_b32_e32 v40, s1, v40
	v_cmp_gt_i32_e64 s1, 0, v39
	v_and_b32_e32 v36, exec_lo, v36
	v_not_b32_e32 v39, v92
	v_ashrrev_i32_e32 v38, 31, v38
	s_wait_alu 0xfffd
	v_xor_b32_e32 v37, vcc_lo, v37
	v_cmp_gt_i32_e32 vcc_lo, 0, v92
	v_and_b32_e32 v36, v36, v40
	v_not_b32_e32 v40, v93
	v_ashrrev_i32_e32 v39, 31, v39
	s_wait_alu 0xf1ff
	v_xor_b32_e32 v38, s1, v38
	v_lshlrev_b32_e32 v34, 24, v34
	v_and_b32_e32 v36, v36, v37
	v_cmp_gt_i32_e64 s1, 0, v93
	v_not_b32_e32 v37, v94
	v_ashrrev_i32_e32 v40, 31, v40
	s_wait_alu 0xfffd
	v_xor_b32_e32 v39, vcc_lo, v39
	v_and_b32_e32 v36, v36, v38
	v_cmp_gt_i32_e32 vcc_lo, 0, v94
	v_not_b32_e32 v38, v34
	v_ashrrev_i32_e32 v37, 31, v37
	s_wait_alu 0xf1ff
	v_xor_b32_e32 v40, s1, v40
	v_and_b32_e32 v36, v36, v39
	v_lshlrev_b32_e32 v35, 4, v35
	v_cmp_gt_i32_e64 s1, 0, v34
	v_ashrrev_i32_e32 v34, 31, v38
	s_wait_alu 0xfffd
	v_xor_b32_e32 v37, vcc_lo, v37
	v_and_b32_e32 v36, v36, v40
	v_add_nc_u32_e32 v94, v33, v35
	s_wait_alu 0xf1ff
	v_xor_b32_e32 v34, s1, v34
	s_delay_alu instid0(VALU_DEP_3) | instskip(SKIP_2) | instid1(VALU_DEP_1)
	v_and_b32_e32 v35, v36, v37
	ds_load_b32 v92, v94 offset:16
	; wave barrier
	v_and_b32_e32 v34, v35, v34
	v_mbcnt_lo_u32_b32 v93, v34, 0
	v_cmp_ne_u32_e64 s1, 0, v34
	s_delay_alu instid0(VALU_DEP_2)
	v_cmp_eq_u32_e32 vcc_lo, 0, v93
	s_and_b32 s11, s1, vcc_lo
	s_wait_alu 0xfffe
	s_and_saveexec_b32 s1, s11
	s_cbranch_execz .LBB112_39
; %bb.38:
	s_wait_dscnt 0x0
	v_bcnt_u32_b32 v34, v34, v92
	ds_store_b32 v94, v34 offset:16
.LBB112_39:
	s_wait_alu 0xfffe
	s_or_b32 exec_lo, exec_lo, s1
	v_and_b32_e32 v34, s9, v82
	; wave barrier
	s_delay_alu instid0(VALU_DEP_1)
	v_and_b32_e32 v36, 1, v34
	v_lshlrev_b32_e32 v37, 30, v34
	v_lshlrev_b32_e32 v38, 29, v34
	;; [unrolled: 1-line block ×4, first 2 shown]
	v_add_co_u32 v36, s1, v36, -1
	s_wait_alu 0xf1ff
	v_cndmask_b32_e64 v40, 0, 1, s1
	v_not_b32_e32 v98, v37
	v_cmp_gt_i32_e64 s1, 0, v37
	v_not_b32_e32 v37, v38
	v_lshlrev_b32_e32 v96, 26, v34
	v_cmp_ne_u32_e32 vcc_lo, 0, v40
	v_ashrrev_i32_e32 v40, 31, v98
	v_lshlrev_b32_e32 v97, 25, v34
	v_ashrrev_i32_e32 v37, 31, v37
	v_and_b32_e32 v35, 0xff, v34
	s_wait_alu 0xfffd
	v_xor_b32_e32 v36, vcc_lo, v36
	v_cmp_gt_i32_e32 vcc_lo, 0, v38
	v_not_b32_e32 v38, v39
	s_wait_alu 0xf1ff
	v_xor_b32_e32 v40, s1, v40
	v_cmp_gt_i32_e64 s1, 0, v39
	v_and_b32_e32 v36, exec_lo, v36
	v_not_b32_e32 v39, v95
	v_ashrrev_i32_e32 v38, 31, v38
	s_wait_alu 0xfffd
	v_xor_b32_e32 v37, vcc_lo, v37
	v_cmp_gt_i32_e32 vcc_lo, 0, v95
	v_and_b32_e32 v36, v36, v40
	v_not_b32_e32 v40, v96
	v_ashrrev_i32_e32 v39, 31, v39
	s_wait_alu 0xf1ff
	v_xor_b32_e32 v38, s1, v38
	v_lshlrev_b32_e32 v34, 24, v34
	v_and_b32_e32 v36, v36, v37
	v_cmp_gt_i32_e64 s1, 0, v96
	v_not_b32_e32 v37, v97
	v_ashrrev_i32_e32 v40, 31, v40
	s_wait_alu 0xfffd
	v_xor_b32_e32 v39, vcc_lo, v39
	v_and_b32_e32 v36, v36, v38
	v_cmp_gt_i32_e32 vcc_lo, 0, v97
	v_not_b32_e32 v38, v34
	v_ashrrev_i32_e32 v37, 31, v37
	s_wait_alu 0xf1ff
	v_xor_b32_e32 v40, s1, v40
	v_and_b32_e32 v36, v36, v39
	v_lshlrev_b32_e32 v35, 4, v35
	v_cmp_gt_i32_e64 s1, 0, v34
	v_ashrrev_i32_e32 v34, 31, v38
	s_wait_alu 0xfffd
	v_xor_b32_e32 v37, vcc_lo, v37
	v_and_b32_e32 v36, v36, v40
	v_add_nc_u32_e32 v97, v33, v35
	s_wait_alu 0xf1ff
	v_xor_b32_e32 v34, s1, v34
	s_delay_alu instid0(VALU_DEP_3) | instskip(SKIP_2) | instid1(VALU_DEP_1)
	v_and_b32_e32 v35, v36, v37
	ds_load_b32 v95, v97 offset:16
	; wave barrier
	v_and_b32_e32 v34, v35, v34
	v_mbcnt_lo_u32_b32 v96, v34, 0
	v_cmp_ne_u32_e64 s1, 0, v34
	s_delay_alu instid0(VALU_DEP_2)
	v_cmp_eq_u32_e32 vcc_lo, 0, v96
	s_and_b32 s11, s1, vcc_lo
	s_wait_alu 0xfffe
	s_and_saveexec_b32 s1, s11
	s_cbranch_execz .LBB112_41
; %bb.40:
	s_wait_dscnt 0x0
	v_bcnt_u32_b32 v34, v34, v95
	ds_store_b32 v97, v34 offset:16
.LBB112_41:
	s_wait_alu 0xfffe
	s_or_b32 exec_lo, exec_lo, s1
	v_and_b32_e32 v34, s9, v83
	; wave barrier
	s_delay_alu instid0(VALU_DEP_1)
	v_and_b32_e32 v36, 1, v34
	v_lshlrev_b32_e32 v37, 30, v34
	v_lshlrev_b32_e32 v38, 29, v34
	;; [unrolled: 1-line block ×4, first 2 shown]
	v_add_co_u32 v36, s1, v36, -1
	s_wait_alu 0xf1ff
	v_cndmask_b32_e64 v40, 0, 1, s1
	v_not_b32_e32 v101, v37
	v_cmp_gt_i32_e64 s1, 0, v37
	v_not_b32_e32 v37, v38
	v_lshlrev_b32_e32 v99, 26, v34
	v_cmp_ne_u32_e32 vcc_lo, 0, v40
	v_ashrrev_i32_e32 v40, 31, v101
	v_lshlrev_b32_e32 v100, 25, v34
	v_ashrrev_i32_e32 v37, 31, v37
	v_and_b32_e32 v35, 0xff, v34
	s_wait_alu 0xfffd
	v_xor_b32_e32 v36, vcc_lo, v36
	v_cmp_gt_i32_e32 vcc_lo, 0, v38
	v_not_b32_e32 v38, v39
	s_wait_alu 0xf1ff
	v_xor_b32_e32 v40, s1, v40
	v_cmp_gt_i32_e64 s1, 0, v39
	v_and_b32_e32 v36, exec_lo, v36
	v_not_b32_e32 v39, v98
	v_ashrrev_i32_e32 v38, 31, v38
	s_wait_alu 0xfffd
	v_xor_b32_e32 v37, vcc_lo, v37
	v_cmp_gt_i32_e32 vcc_lo, 0, v98
	v_and_b32_e32 v36, v36, v40
	v_not_b32_e32 v40, v99
	v_ashrrev_i32_e32 v39, 31, v39
	s_wait_alu 0xf1ff
	v_xor_b32_e32 v38, s1, v38
	v_lshlrev_b32_e32 v34, 24, v34
	v_and_b32_e32 v36, v36, v37
	v_cmp_gt_i32_e64 s1, 0, v99
	v_not_b32_e32 v37, v100
	v_ashrrev_i32_e32 v40, 31, v40
	s_wait_alu 0xfffd
	v_xor_b32_e32 v39, vcc_lo, v39
	v_and_b32_e32 v36, v36, v38
	v_cmp_gt_i32_e32 vcc_lo, 0, v100
	v_not_b32_e32 v38, v34
	v_ashrrev_i32_e32 v37, 31, v37
	s_wait_alu 0xf1ff
	v_xor_b32_e32 v40, s1, v40
	v_and_b32_e32 v36, v36, v39
	v_lshlrev_b32_e32 v35, 4, v35
	v_cmp_gt_i32_e64 s1, 0, v34
	v_ashrrev_i32_e32 v34, 31, v38
	s_wait_alu 0xfffd
	v_xor_b32_e32 v37, vcc_lo, v37
	v_and_b32_e32 v36, v36, v40
	v_add_nc_u32_e32 v100, v33, v35
	s_wait_alu 0xf1ff
	v_xor_b32_e32 v34, s1, v34
	s_delay_alu instid0(VALU_DEP_3) | instskip(SKIP_2) | instid1(VALU_DEP_1)
	v_and_b32_e32 v35, v36, v37
	ds_load_b32 v98, v100 offset:16
	; wave barrier
	v_and_b32_e32 v34, v35, v34
	v_mbcnt_lo_u32_b32 v99, v34, 0
	v_cmp_ne_u32_e64 s1, 0, v34
	s_delay_alu instid0(VALU_DEP_2)
	v_cmp_eq_u32_e32 vcc_lo, 0, v99
	s_and_b32 s11, s1, vcc_lo
	s_wait_alu 0xfffe
	s_and_saveexec_b32 s1, s11
	s_cbranch_execz .LBB112_43
; %bb.42:
	s_wait_dscnt 0x0
	v_bcnt_u32_b32 v34, v34, v98
	ds_store_b32 v100, v34 offset:16
.LBB112_43:
	s_wait_alu 0xfffe
	s_or_b32 exec_lo, exec_lo, s1
	v_and_b32_e32 v34, s9, v84
	; wave barrier
	s_delay_alu instid0(VALU_DEP_1)
	v_and_b32_e32 v36, 1, v34
	v_lshlrev_b32_e32 v37, 30, v34
	v_lshlrev_b32_e32 v38, 29, v34
	;; [unrolled: 1-line block ×4, first 2 shown]
	v_add_co_u32 v36, s1, v36, -1
	s_wait_alu 0xf1ff
	v_cndmask_b32_e64 v40, 0, 1, s1
	v_not_b32_e32 v104, v37
	v_cmp_gt_i32_e64 s1, 0, v37
	v_not_b32_e32 v37, v38
	v_lshlrev_b32_e32 v102, 26, v34
	v_cmp_ne_u32_e32 vcc_lo, 0, v40
	v_ashrrev_i32_e32 v40, 31, v104
	v_lshlrev_b32_e32 v103, 25, v34
	v_ashrrev_i32_e32 v37, 31, v37
	v_and_b32_e32 v35, 0xff, v34
	s_wait_alu 0xfffd
	v_xor_b32_e32 v36, vcc_lo, v36
	v_cmp_gt_i32_e32 vcc_lo, 0, v38
	v_not_b32_e32 v38, v39
	s_wait_alu 0xf1ff
	v_xor_b32_e32 v40, s1, v40
	v_cmp_gt_i32_e64 s1, 0, v39
	v_and_b32_e32 v36, exec_lo, v36
	v_not_b32_e32 v39, v101
	v_ashrrev_i32_e32 v38, 31, v38
	s_wait_alu 0xfffd
	v_xor_b32_e32 v37, vcc_lo, v37
	v_cmp_gt_i32_e32 vcc_lo, 0, v101
	v_and_b32_e32 v36, v36, v40
	v_not_b32_e32 v40, v102
	v_ashrrev_i32_e32 v39, 31, v39
	s_wait_alu 0xf1ff
	v_xor_b32_e32 v38, s1, v38
	v_lshlrev_b32_e32 v34, 24, v34
	v_and_b32_e32 v36, v36, v37
	v_cmp_gt_i32_e64 s1, 0, v102
	v_not_b32_e32 v37, v103
	v_ashrrev_i32_e32 v40, 31, v40
	s_wait_alu 0xfffd
	v_xor_b32_e32 v39, vcc_lo, v39
	v_and_b32_e32 v36, v36, v38
	v_cmp_gt_i32_e32 vcc_lo, 0, v103
	v_not_b32_e32 v38, v34
	v_ashrrev_i32_e32 v37, 31, v37
	s_wait_alu 0xf1ff
	v_xor_b32_e32 v40, s1, v40
	v_and_b32_e32 v36, v36, v39
	v_lshlrev_b32_e32 v35, 4, v35
	v_cmp_gt_i32_e64 s1, 0, v34
	v_ashrrev_i32_e32 v34, 31, v38
	s_wait_alu 0xfffd
	v_xor_b32_e32 v37, vcc_lo, v37
	v_and_b32_e32 v36, v36, v40
	v_add_nc_u32_e32 v103, v33, v35
	s_wait_alu 0xf1ff
	v_xor_b32_e32 v34, s1, v34
	s_delay_alu instid0(VALU_DEP_3) | instskip(SKIP_2) | instid1(VALU_DEP_1)
	v_and_b32_e32 v35, v36, v37
	ds_load_b32 v101, v103 offset:16
	; wave barrier
	v_and_b32_e32 v34, v35, v34
	v_mbcnt_lo_u32_b32 v102, v34, 0
	v_cmp_ne_u32_e64 s1, 0, v34
	s_delay_alu instid0(VALU_DEP_2)
	v_cmp_eq_u32_e32 vcc_lo, 0, v102
	s_and_b32 s11, s1, vcc_lo
	s_wait_alu 0xfffe
	s_and_saveexec_b32 s1, s11
	s_cbranch_execz .LBB112_45
; %bb.44:
	s_wait_dscnt 0x0
	v_bcnt_u32_b32 v34, v34, v101
	ds_store_b32 v103, v34 offset:16
.LBB112_45:
	s_wait_alu 0xfffe
	s_or_b32 exec_lo, exec_lo, s1
	v_and_b32_e32 v34, s9, v85
	; wave barrier
	s_delay_alu instid0(VALU_DEP_1)
	v_and_b32_e32 v36, 1, v34
	v_lshlrev_b32_e32 v37, 30, v34
	v_lshlrev_b32_e32 v38, 29, v34
	;; [unrolled: 1-line block ×4, first 2 shown]
	v_add_co_u32 v36, s1, v36, -1
	s_wait_alu 0xf1ff
	v_cndmask_b32_e64 v40, 0, 1, s1
	v_not_b32_e32 v107, v37
	v_cmp_gt_i32_e64 s1, 0, v37
	v_not_b32_e32 v37, v38
	v_lshlrev_b32_e32 v105, 26, v34
	v_cmp_ne_u32_e32 vcc_lo, 0, v40
	v_ashrrev_i32_e32 v40, 31, v107
	v_lshlrev_b32_e32 v106, 25, v34
	v_ashrrev_i32_e32 v37, 31, v37
	v_and_b32_e32 v35, 0xff, v34
	s_wait_alu 0xfffd
	v_xor_b32_e32 v36, vcc_lo, v36
	v_cmp_gt_i32_e32 vcc_lo, 0, v38
	v_not_b32_e32 v38, v39
	s_wait_alu 0xf1ff
	v_xor_b32_e32 v40, s1, v40
	v_cmp_gt_i32_e64 s1, 0, v39
	v_and_b32_e32 v36, exec_lo, v36
	v_not_b32_e32 v39, v104
	v_ashrrev_i32_e32 v38, 31, v38
	s_wait_alu 0xfffd
	v_xor_b32_e32 v37, vcc_lo, v37
	v_cmp_gt_i32_e32 vcc_lo, 0, v104
	v_and_b32_e32 v36, v36, v40
	v_not_b32_e32 v40, v105
	v_ashrrev_i32_e32 v39, 31, v39
	s_wait_alu 0xf1ff
	v_xor_b32_e32 v38, s1, v38
	v_lshlrev_b32_e32 v34, 24, v34
	v_and_b32_e32 v36, v36, v37
	v_cmp_gt_i32_e64 s1, 0, v105
	v_not_b32_e32 v37, v106
	v_ashrrev_i32_e32 v40, 31, v40
	s_wait_alu 0xfffd
	v_xor_b32_e32 v39, vcc_lo, v39
	v_and_b32_e32 v36, v36, v38
	v_cmp_gt_i32_e32 vcc_lo, 0, v106
	v_not_b32_e32 v38, v34
	v_ashrrev_i32_e32 v37, 31, v37
	s_wait_alu 0xf1ff
	v_xor_b32_e32 v40, s1, v40
	v_and_b32_e32 v36, v36, v39
	v_lshlrev_b32_e32 v35, 4, v35
	v_cmp_gt_i32_e64 s1, 0, v34
	v_ashrrev_i32_e32 v34, 31, v38
	s_wait_alu 0xfffd
	v_xor_b32_e32 v37, vcc_lo, v37
	v_and_b32_e32 v36, v36, v40
	v_add_nc_u32_e32 v106, v33, v35
	s_wait_alu 0xf1ff
	v_xor_b32_e32 v34, s1, v34
	s_delay_alu instid0(VALU_DEP_3) | instskip(SKIP_2) | instid1(VALU_DEP_1)
	v_and_b32_e32 v35, v36, v37
	ds_load_b32 v104, v106 offset:16
	; wave barrier
	v_and_b32_e32 v34, v35, v34
	v_mbcnt_lo_u32_b32 v105, v34, 0
	v_cmp_ne_u32_e64 s1, 0, v34
	s_delay_alu instid0(VALU_DEP_2)
	v_cmp_eq_u32_e32 vcc_lo, 0, v105
	s_and_b32 s11, s1, vcc_lo
	s_wait_alu 0xfffe
	s_and_saveexec_b32 s1, s11
	s_cbranch_execz .LBB112_47
; %bb.46:
	s_wait_dscnt 0x0
	v_bcnt_u32_b32 v34, v34, v104
	ds_store_b32 v106, v34 offset:16
.LBB112_47:
	s_wait_alu 0xfffe
	s_or_b32 exec_lo, exec_lo, s1
	v_and_b32_e32 v34, s9, v86
	; wave barrier
	s_delay_alu instid0(VALU_DEP_1)
	v_and_b32_e32 v36, 1, v34
	v_lshlrev_b32_e32 v37, 30, v34
	v_lshlrev_b32_e32 v38, 29, v34
	;; [unrolled: 1-line block ×4, first 2 shown]
	v_add_co_u32 v36, s1, v36, -1
	s_wait_alu 0xf1ff
	v_cndmask_b32_e64 v40, 0, 1, s1
	v_not_b32_e32 v110, v37
	v_cmp_gt_i32_e64 s1, 0, v37
	v_not_b32_e32 v37, v38
	v_lshlrev_b32_e32 v108, 26, v34
	v_cmp_ne_u32_e32 vcc_lo, 0, v40
	v_ashrrev_i32_e32 v40, 31, v110
	v_lshlrev_b32_e32 v109, 25, v34
	v_ashrrev_i32_e32 v37, 31, v37
	v_and_b32_e32 v35, 0xff, v34
	s_wait_alu 0xfffd
	v_xor_b32_e32 v36, vcc_lo, v36
	v_cmp_gt_i32_e32 vcc_lo, 0, v38
	v_not_b32_e32 v38, v39
	s_wait_alu 0xf1ff
	v_xor_b32_e32 v40, s1, v40
	v_cmp_gt_i32_e64 s1, 0, v39
	v_and_b32_e32 v36, exec_lo, v36
	v_not_b32_e32 v39, v107
	v_ashrrev_i32_e32 v38, 31, v38
	s_wait_alu 0xfffd
	v_xor_b32_e32 v37, vcc_lo, v37
	v_cmp_gt_i32_e32 vcc_lo, 0, v107
	v_and_b32_e32 v36, v36, v40
	v_not_b32_e32 v40, v108
	v_ashrrev_i32_e32 v39, 31, v39
	s_wait_alu 0xf1ff
	v_xor_b32_e32 v38, s1, v38
	v_lshlrev_b32_e32 v34, 24, v34
	v_and_b32_e32 v36, v36, v37
	v_cmp_gt_i32_e64 s1, 0, v108
	v_not_b32_e32 v37, v109
	v_ashrrev_i32_e32 v40, 31, v40
	s_wait_alu 0xfffd
	v_xor_b32_e32 v39, vcc_lo, v39
	v_and_b32_e32 v36, v36, v38
	v_cmp_gt_i32_e32 vcc_lo, 0, v109
	v_not_b32_e32 v38, v34
	v_ashrrev_i32_e32 v37, 31, v37
	s_wait_alu 0xf1ff
	v_xor_b32_e32 v40, s1, v40
	v_and_b32_e32 v36, v36, v39
	v_lshlrev_b32_e32 v35, 4, v35
	v_cmp_gt_i32_e64 s1, 0, v34
	v_ashrrev_i32_e32 v34, 31, v38
	s_wait_alu 0xfffd
	v_xor_b32_e32 v37, vcc_lo, v37
	v_and_b32_e32 v36, v36, v40
	v_add_nc_u32_e32 v109, v33, v35
	s_wait_alu 0xf1ff
	v_xor_b32_e32 v33, s1, v34
	s_delay_alu instid0(VALU_DEP_3) | instskip(SKIP_2) | instid1(VALU_DEP_1)
	v_and_b32_e32 v34, v36, v37
	ds_load_b32 v107, v109 offset:16
	; wave barrier
	v_and_b32_e32 v33, v34, v33
	v_mbcnt_lo_u32_b32 v108, v33, 0
	v_cmp_ne_u32_e64 s1, 0, v33
	s_delay_alu instid0(VALU_DEP_2)
	v_cmp_eq_u32_e32 vcc_lo, 0, v108
	s_and_b32 s9, s1, vcc_lo
	s_wait_alu 0xfffe
	s_and_saveexec_b32 s1, s9
	s_cbranch_execz .LBB112_49
; %bb.48:
	s_wait_dscnt 0x0
	v_bcnt_u32_b32 v33, v33, v107
	ds_store_b32 v109, v33 offset:16
.LBB112_49:
	s_wait_alu 0xfffe
	s_or_b32 exec_lo, exec_lo, s1
	; wave barrier
	s_wait_loadcnt_dscnt 0x0
	s_barrier_signal -1
	s_barrier_wait -1
	global_inv scope:SCOPE_SE
	ds_load_b128 v[37:40], v66 offset:16
	ds_load_b128 v[33:36], v66 offset:32
	v_min_u32_e32 v112, 0x60, v68
	s_mov_b32 s1, exec_lo
	s_wait_dscnt 0x1
	v_add_nc_u32_e32 v110, v38, v37
	s_delay_alu instid0(VALU_DEP_1) | instskip(SKIP_1) | instid1(VALU_DEP_1)
	v_add3_u32 v110, v110, v39, v40
	s_wait_dscnt 0x0
	v_add3_u32 v110, v110, v33, v34
	s_delay_alu instid0(VALU_DEP_1) | instskip(SKIP_1) | instid1(VALU_DEP_2)
	v_add3_u32 v36, v110, v35, v36
	v_and_b32_e32 v110, 15, v67
	v_mov_b32_dpp v111, v36 row_shr:1 row_mask:0xf bank_mask:0xf
	s_delay_alu instid0(VALU_DEP_2) | instskip(SKIP_1) | instid1(VALU_DEP_2)
	v_cmp_ne_u32_e32 vcc_lo, 0, v110
	s_wait_alu 0xfffd
	v_cndmask_b32_e32 v111, 0, v111, vcc_lo
	v_cmp_lt_u32_e32 vcc_lo, 1, v110
	s_delay_alu instid0(VALU_DEP_2) | instskip(NEXT) | instid1(VALU_DEP_1)
	v_add_nc_u32_e32 v36, v111, v36
	v_mov_b32_dpp v111, v36 row_shr:2 row_mask:0xf bank_mask:0xf
	s_wait_alu 0xfffd
	s_delay_alu instid0(VALU_DEP_1) | instskip(SKIP_1) | instid1(VALU_DEP_2)
	v_cndmask_b32_e32 v111, 0, v111, vcc_lo
	v_cmp_lt_u32_e32 vcc_lo, 3, v110
	v_add_nc_u32_e32 v36, v36, v111
	s_delay_alu instid0(VALU_DEP_1) | instskip(SKIP_1) | instid1(VALU_DEP_1)
	v_mov_b32_dpp v111, v36 row_shr:4 row_mask:0xf bank_mask:0xf
	s_wait_alu 0xfffd
	v_cndmask_b32_e32 v111, 0, v111, vcc_lo
	v_cmp_lt_u32_e32 vcc_lo, 7, v110
	s_delay_alu instid0(VALU_DEP_2) | instskip(NEXT) | instid1(VALU_DEP_1)
	v_add_nc_u32_e32 v36, v36, v111
	v_mov_b32_dpp v111, v36 row_shr:8 row_mask:0xf bank_mask:0xf
	s_wait_alu 0xfffd
	s_delay_alu instid0(VALU_DEP_1) | instskip(SKIP_1) | instid1(VALU_DEP_2)
	v_cndmask_b32_e32 v110, 0, v111, vcc_lo
	v_bfe_i32 v111, v67, 4, 1
	v_add_nc_u32_e32 v36, v36, v110
	ds_swizzle_b32 v110, v36 offset:swizzle(BROADCAST,32,15)
	s_wait_dscnt 0x0
	v_and_b32_e32 v110, v111, v110
	v_or_b32_e32 v111, 31, v112
	s_delay_alu instid0(VALU_DEP_2) | instskip(NEXT) | instid1(VALU_DEP_2)
	v_add_nc_u32_e32 v36, v36, v110
	v_cmpx_eq_u32_e64 v44, v111
; %bb.50:
	v_lshlrev_b32_e32 v110, 2, v65
	ds_store_b32 v110, v36
; %bb.51:
	s_wait_alu 0xfffe
	s_or_b32 exec_lo, exec_lo, s1
	s_delay_alu instid0(SALU_CYCLE_1)
	s_mov_b32 s1, exec_lo
	s_wait_loadcnt_dscnt 0x0
	s_barrier_signal -1
	s_barrier_wait -1
	global_inv scope:SCOPE_SE
	v_cmpx_gt_u32_e32 4, v44
	s_cbranch_execz .LBB112_53
; %bb.52:
	v_and_b32_e32 v112, 3, v67
	s_delay_alu instid0(VALU_DEP_1)
	v_cmp_ne_u32_e32 vcc_lo, 0, v112
	v_lshlrev_b32_e32 v110, 2, v44
	ds_load_b32 v111, v110
	s_wait_dscnt 0x0
	v_mov_b32_dpp v113, v111 row_shr:1 row_mask:0xf bank_mask:0xf
	s_wait_alu 0xfffd
	s_delay_alu instid0(VALU_DEP_1) | instskip(SKIP_1) | instid1(VALU_DEP_2)
	v_cndmask_b32_e32 v113, 0, v113, vcc_lo
	v_cmp_lt_u32_e32 vcc_lo, 1, v112
	v_add_nc_u32_e32 v111, v113, v111
	s_delay_alu instid0(VALU_DEP_1) | instskip(SKIP_1) | instid1(VALU_DEP_1)
	v_mov_b32_dpp v113, v111 row_shr:2 row_mask:0xf bank_mask:0xf
	s_wait_alu 0xfffd
	v_cndmask_b32_e32 v112, 0, v113, vcc_lo
	s_delay_alu instid0(VALU_DEP_1)
	v_add_nc_u32_e32 v111, v111, v112
	ds_store_b32 v110, v111
.LBB112_53:
	s_wait_alu 0xfffe
	s_or_b32 exec_lo, exec_lo, s1
	v_mov_b32_e32 v110, 0
	s_mov_b32 s1, exec_lo
	s_wait_loadcnt_dscnt 0x0
	s_barrier_signal -1
	s_barrier_wait -1
	global_inv scope:SCOPE_SE
	v_cmpx_lt_u32_e32 31, v44
; %bb.54:
	v_lshl_add_u32 v110, v65, 2, -4
	ds_load_b32 v110, v110
; %bb.55:
	s_wait_alu 0xfffe
	s_or_b32 exec_lo, exec_lo, s1
	v_sub_co_u32 v111, vcc_lo, v67, 1
	s_wait_dscnt 0x0
	v_add_nc_u32_e32 v36, v110, v36
	s_delay_alu instid0(VALU_DEP_2) | instskip(SKIP_1) | instid1(VALU_DEP_1)
	v_cmp_gt_i32_e64 s1, 0, v111
	s_wait_alu 0xf1ff
	v_cndmask_b32_e64 v111, v111, v67, s1
	s_delay_alu instid0(VALU_DEP_1)
	v_lshlrev_b32_e32 v111, 2, v111
	ds_bpermute_b32 v36, v111, v36
	s_wait_dscnt 0x0
	s_wait_alu 0xfffd
	v_cndmask_b32_e32 v36, v36, v110, vcc_lo
	v_cmp_ne_u32_e32 vcc_lo, 0, v44
	s_wait_alu 0xfffd
	s_delay_alu instid0(VALU_DEP_2) | instskip(NEXT) | instid1(VALU_DEP_1)
	v_cndmask_b32_e32 v36, 0, v36, vcc_lo
	v_add_nc_u32_e32 v37, v36, v37
	s_delay_alu instid0(VALU_DEP_1) | instskip(NEXT) | instid1(VALU_DEP_1)
	v_add_nc_u32_e32 v38, v37, v38
	v_add_nc_u32_e32 v39, v38, v39
	s_delay_alu instid0(VALU_DEP_1) | instskip(NEXT) | instid1(VALU_DEP_1)
	v_add_nc_u32_e32 v110, v39, v40
	;; [unrolled: 3-line block ×3, first 2 shown]
	v_add_nc_u32_e32 v113, v112, v35
	ds_store_b128 v66, v[36:39] offset:16
	ds_store_b128 v66, v[110:113] offset:32
	s_wait_loadcnt_dscnt 0x0
	s_barrier_signal -1
	s_barrier_wait -1
	global_inv scope:SCOPE_SE
	ds_load_b32 v33, v88 offset:16
	ds_load_b32 v34, v91 offset:16
	ds_load_b32 v35, v94 offset:16
	ds_load_b32 v36, v97 offset:16
	ds_load_b32 v37, v100 offset:16
	ds_load_b32 v38, v103 offset:16
	ds_load_b32 v39, v106 offset:16
	ds_load_b32 v40, v109 offset:16
	s_wait_loadcnt_dscnt 0x0
	s_barrier_signal -1
	s_barrier_wait -1
	global_inv scope:SCOPE_SE
	v_mad_u32_u24 v88, v44, 56, v60
	v_add_nc_u32_e32 v33, v33, v87
	v_add3_u32 v34, v90, v89, v34
	v_add3_u32 v35, v93, v92, v35
	;; [unrolled: 1-line block ×7, first 2 shown]
	ds_store_b8 v33, v0
	ds_store_b8 v34, v80
	;; [unrolled: 1-line block ×8, first 2 shown]
	s_wait_loadcnt_dscnt 0x0
	s_barrier_signal -1
	s_barrier_wait -1
	global_inv scope:SCOPE_SE
	v_lshlrev_b32_e32 v0, 3, v33
	v_lshlrev_b32_e32 v80, 3, v34
	ds_load_b64 v[33:34], v60
	v_lshlrev_b32_e32 v35, 3, v35
	v_lshlrev_b32_e32 v36, 3, v36
	;; [unrolled: 1-line block ×6, first 2 shown]
	s_wait_loadcnt_dscnt 0x0
	s_barrier_signal -1
	s_barrier_wait -1
	global_inv scope:SCOPE_SE
	ds_store_b64 v0, v[21:22]
	ds_store_b64 v80, v[23:24]
	;; [unrolled: 1-line block ×8, first 2 shown]
	s_wait_loadcnt_dscnt 0x0
	s_barrier_signal -1
	s_barrier_wait -1
	global_inv scope:SCOPE_SE
	ds_load_b128 v[21:24], v88
	ds_load_b128 v[17:20], v88 offset:16
	v_lshrrev_b32_e32 v0, 16, v33
	v_xor_b32_e32 v25, 0x80, v33
	v_lshrrev_b32_e32 v26, 16, v34
	v_and_b32_e32 v35, 0xffffff00, v34
	v_xor_b32_e32 v27, 0x80, v34
	v_and_b32_e32 v33, 0xffffff00, v33
	v_and_b32_e32 v34, 0xff, v25
	v_xor_b32_e32 v25, 0x80, v0
	v_xor_b32_e32 v28, 0x80, v26
	v_and_b32_e32 v0, 0xffffff00, v0
	v_and_b32_e32 v36, 0xff, v27
	;; [unrolled: 1-line block ×5, first 2 shown]
	ds_load_b128 v[29:32], v88 offset:32
	ds_load_b128 v[25:28], v88 offset:48
	v_or_b32_e32 v33, v34, v33
	v_or_b32_e32 v34, v36, v35
	;; [unrolled: 1-line block ×4, first 2 shown]
	s_delay_alu instid0(VALU_DEP_4) | instskip(NEXT) | instid1(VALU_DEP_4)
	v_add_nc_u16 v33, 0x8000, v33
	v_add_nc_u16 v34, 0x8000, v34
	s_delay_alu instid0(VALU_DEP_4) | instskip(NEXT) | instid1(VALU_DEP_4)
	v_add_nc_u16 v0, 0x8000, v0
	v_add_nc_u16 v35, 0x8000, v35
	s_delay_alu instid0(VALU_DEP_4) | instskip(NEXT) | instid1(VALU_DEP_4)
	v_and_b32_e32 v33, 0xffff, v33
	v_and_b32_e32 v34, 0xffff, v34
	s_delay_alu instid0(VALU_DEP_4) | instskip(NEXT) | instid1(VALU_DEP_4)
	v_lshlrev_b32_e32 v0, 16, v0
	v_lshlrev_b32_e32 v35, 16, v35
	s_delay_alu instid0(VALU_DEP_2) | instskip(NEXT) | instid1(VALU_DEP_2)
	v_or_b32_e32 v0, v33, v0
	v_or_b32_e32 v33, v34, v35
	s_branch .LBB112_87
.LBB112_56:
	v_lshlrev_b64_e32 v[1:2], 3, v[41:42]
	v_dual_mov_b32 v43, v42 :: v_dual_mov_b32 v10, v42
	v_dual_mov_b32 v9, v42 :: v_dual_mov_b32 v12, v42
	v_mov_b32_e32 v11, v42
	s_delay_alu instid0(VALU_DEP_4) | instskip(NEXT) | instid1(VALU_DEP_1)
	v_add_co_u32 v1, vcc_lo, s20, v1
	v_add_co_ci_u32_e64 v2, null, s21, v2, vcc_lo
	v_dual_mov_b32 v3, v42 :: v_dual_mov_b32 v6, v42
	v_dual_mov_b32 v5, v42 :: v_dual_mov_b32 v8, v42
	global_load_b64 v[13:14], v[1:2], off
	v_dual_mov_b32 v1, v42 :: v_dual_mov_b32 v4, v42
	v_dual_mov_b32 v2, v42 :: v_dual_mov_b32 v7, v42
	s_or_b32 exec_lo, exec_lo, s1
	s_and_saveexec_b32 s1, s3
	s_cbranch_execz .LBB112_25
.LBB112_57:
	v_mul_lo_u32 v29, s16, v29
	v_mov_b32_e32 v30, 0
	s_delay_alu instid0(VALU_DEP_1) | instskip(NEXT) | instid1(VALU_DEP_1)
	v_lshlrev_b64_e32 v[29:30], 3, v[29:30]
	v_add_co_u32 v29, vcc_lo, s20, v29
	s_wait_alu 0xfffd
	s_delay_alu instid0(VALU_DEP_2)
	v_add_co_ci_u32_e64 v30, null, s21, v30, vcc_lo
	global_load_b64 v[42:43], v[29:30], off
	s_or_b32 exec_lo, exec_lo, s1
	s_and_saveexec_b32 s1, s4
	s_cbranch_execz .LBB112_26
.LBB112_58:
	v_mul_lo_u32 v9, s16, v28
	v_mov_b32_e32 v10, 0
	s_delay_alu instid0(VALU_DEP_1) | instskip(NEXT) | instid1(VALU_DEP_1)
	v_lshlrev_b64_e32 v[9:10], 3, v[9:10]
	v_add_co_u32 v9, vcc_lo, s20, v9
	s_wait_alu 0xfffd
	s_delay_alu instid0(VALU_DEP_2)
	v_add_co_ci_u32_e64 v10, null, s21, v10, vcc_lo
	global_load_b64 v[9:10], v[9:10], off
	s_or_b32 exec_lo, exec_lo, s1
	s_and_saveexec_b32 s1, s5
	s_cbranch_execz .LBB112_27
.LBB112_59:
	v_mul_lo_u32 v11, s16, v26
	v_mov_b32_e32 v12, 0
	s_delay_alu instid0(VALU_DEP_1) | instskip(NEXT) | instid1(VALU_DEP_1)
	v_lshlrev_b64_e32 v[11:12], 3, v[11:12]
	v_add_co_u32 v11, vcc_lo, s20, v11
	s_wait_alu 0xfffd
	s_delay_alu instid0(VALU_DEP_2)
	v_add_co_ci_u32_e64 v12, null, s21, v12, vcc_lo
	global_load_b64 v[11:12], v[11:12], off
	s_or_b32 exec_lo, exec_lo, s1
	s_and_saveexec_b32 s1, s6
	s_cbranch_execz .LBB112_28
.LBB112_60:
	v_mul_lo_u32 v1, s16, v22
	v_mov_b32_e32 v2, 0
	s_delay_alu instid0(VALU_DEP_1) | instskip(NEXT) | instid1(VALU_DEP_1)
	v_lshlrev_b64_e32 v[1:2], 3, v[1:2]
	v_add_co_u32 v1, vcc_lo, s20, v1
	s_wait_alu 0xfffd
	s_delay_alu instid0(VALU_DEP_2)
	v_add_co_ci_u32_e64 v2, null, s21, v2, vcc_lo
	global_load_b64 v[1:2], v[1:2], off
	s_or_b32 exec_lo, exec_lo, s1
	s_and_saveexec_b32 s1, s7
	s_cbranch_execz .LBB112_29
.LBB112_61:
	v_mul_lo_u32 v3, s16, v19
	v_mov_b32_e32 v4, 0
	s_delay_alu instid0(VALU_DEP_1) | instskip(NEXT) | instid1(VALU_DEP_1)
	v_lshlrev_b64_e32 v[3:4], 3, v[3:4]
	v_add_co_u32 v3, vcc_lo, s20, v3
	s_wait_alu 0xfffd
	s_delay_alu instid0(VALU_DEP_2)
	v_add_co_ci_u32_e64 v4, null, s21, v4, vcc_lo
	global_load_b64 v[3:4], v[3:4], off
	s_or_b32 exec_lo, exec_lo, s1
	s_and_saveexec_b32 s1, s8
	s_cbranch_execz .LBB112_30
.LBB112_62:
	v_mul_lo_u32 v5, s16, v16
	v_mov_b32_e32 v6, 0
	s_delay_alu instid0(VALU_DEP_1) | instskip(NEXT) | instid1(VALU_DEP_1)
	v_lshlrev_b64_e32 v[5:6], 3, v[5:6]
	v_add_co_u32 v5, vcc_lo, s20, v5
	s_wait_alu 0xfffd
	s_delay_alu instid0(VALU_DEP_2)
	v_add_co_ci_u32_e64 v6, null, s21, v6, vcc_lo
	global_load_b64 v[5:6], v[5:6], off
	s_or_b32 exec_lo, exec_lo, s1
	s_xor_b32 s1, s11, -1
	s_and_saveexec_b32 s9, s0
	s_cbranch_execnz .LBB112_31
	s_branch .LBB112_32
.LBB112_63:
                                        ; implicit-def: $vgpr27_vgpr28
                                        ; implicit-def: $vgpr31_vgpr32
                                        ; implicit-def: $vgpr19_vgpr20
                                        ; implicit-def: $vgpr23_vgpr24
                                        ; implicit-def: $vgpr33
                                        ; implicit-def: $vgpr0
	s_and_b32 vcc_lo, exec_lo, s1
	s_wait_alu 0xfffe
	s_cbranch_vccz .LBB112_87
; %bb.64:
	v_xor_b32_e32 v0, 0x7f, v45
	s_wait_dscnt 0x2
	v_xor_b32_e32 v17, 0x7f, v79
	v_xor_b32_e32 v18, 0x7f, v78
	v_xor_b32_e32 v19, 0x7f, v77
	v_xor_b32_e32 v20, 0x7f, v46
	v_xor_b32_e32 v21, 0x7f, v76
	v_xor_b32_e32 v22, 0x7f, v75
	v_xor_b32_e32 v23, 0x7f, v74
	s_getpc_b64 s[12:13]
	s_sext_i32_i16 s13, s13
	s_add_co_u32 s12, s12, _ZN7rocprim17ROCPRIM_400000_NS16block_radix_sortIaLj128ELj8ElLj1ELj1ELj0ELNS0_26block_radix_rank_algorithmE1ELNS0_18block_padding_hintE2ELNS0_4arch9wavefront6targetE0EE19radix_bits_per_passE@rel32@lo+8
	s_add_co_ci_u32 s13, s13, _ZN7rocprim17ROCPRIM_400000_NS16block_radix_sortIaLj128ELj8ElLj1ELj1ELj0ELNS0_26block_radix_rank_algorithmE1ELNS0_18block_padding_hintE2ELNS0_4arch9wavefront6targetE0EE19radix_bits_per_passE@rel32@hi+16
	v_lshlrev_b16 v17, 8, v17
	s_load_b32 s1, s[12:13], 0x0
	s_mov_b32 s12, 0
	v_lshlrev_b16 v19, 8, v19
	v_and_b32_e32 v20, 0xff, v20
	v_lshlrev_b16 v21, 8, v21
	v_and_b32_e32 v22, 0xff, v22
	v_lshlrev_b16 v23, 8, v23
	s_mov_b32 s13, s12
	s_mov_b32 s14, s12
	;; [unrolled: 1-line block ×3, first 2 shown]
	v_and_b32_e32 v0, 0xff, v0
	v_and_b32_e32 v18, 0xff, v18
	s_delay_alu instid0(VALU_DEP_2) | instskip(NEXT) | instid1(VALU_DEP_2)
	v_or_b32_e32 v0, v0, v17
	v_or_b32_e32 v17, v18, v19
	;; [unrolled: 1-line block ×4, first 2 shown]
	s_delay_alu instid0(VALU_DEP_4) | instskip(NEXT) | instid1(VALU_DEP_4)
	v_and_b32_e32 v0, 0xffff, v0
	v_lshlrev_b32_e32 v17, 16, v17
	s_delay_alu instid0(VALU_DEP_4) | instskip(NEXT) | instid1(VALU_DEP_4)
	v_and_b32_e32 v18, 0xffff, v18
	v_lshlrev_b32_e32 v19, 16, v19
	s_wait_kmcnt 0x0
	s_min_u32 s1, s1, 8
	v_or_b32_e32 v17, v0, v17
	s_lshl_b32 s1, -1, s1
	v_or_b32_e32 v18, v18, v19
	s_not_b32 s9, s1
	v_mad_u32_u24 v0, v72, 7, v72
	ds_store_b64 v72, v[17:18]
	; wave barrier
	ds_load_u8 v24, v73
	s_wait_dscnt 0x2
	ds_load_u8 v25, v73 offset:32
	ds_load_u8 v26, v73 offset:64
	;; [unrolled: 1-line block ×7, first 2 shown]
	s_wait_loadcnt_dscnt 0x0
	s_barrier_signal -1
	s_barrier_wait -1
	global_inv scope:SCOPE_SE
	ds_store_b128 v0, v[13:16]
	ds_store_b128 v0, v[9:12] offset:16
	ds_store_b128 v0, v[5:8] offset:32
	;; [unrolled: 1-line block ×3, first 2 shown]
	; wave barrier
	ds_load_2addr_b64 v[12:15], v71 offset1:32
	ds_load_2addr_b64 v[4:7], v71 offset0:64 offset1:96
	ds_load_2addr_b64 v[0:3], v71 offset0:128 offset1:160
	s_wait_alu 0xfffe
	v_and_b32_e32 v22, s9, v24
	s_delay_alu instid0(VALU_DEP_1) | instskip(SKIP_3) | instid1(VALU_DEP_4)
	v_and_b32_e32 v8, 1, v22
	v_lshlrev_b32_e32 v18, 30, v22
	v_lshlrev_b32_e32 v19, 29, v22
	;; [unrolled: 1-line block ×3, first 2 shown]
	v_add_co_u32 v16, s1, v8, -1
	s_delay_alu instid0(VALU_DEP_1)
	v_cndmask_b32_e64 v17, 0, 1, s1
	ds_load_2addr_b64 v[8:11], v71 offset0:192 offset1:224
	s_wait_loadcnt_dscnt 0x0
	s_barrier_signal -1
	s_barrier_wait -1
	v_cmp_ne_u32_e32 vcc_lo, 0, v17
	v_not_b32_e32 v17, v18
	global_inv scope:SCOPE_SE
	s_load_b32 s1, s[22:23], 0xc
	v_xor_b32_e32 v16, vcc_lo, v16
	v_cmp_gt_i32_e32 vcc_lo, 0, v18
	v_ashrrev_i32_e32 v17, 31, v17
	v_not_b32_e32 v18, v19
	s_delay_alu instid0(VALU_DEP_4) | instskip(SKIP_1) | instid1(VALU_DEP_3)
	v_and_b32_e32 v16, exec_lo, v16
	s_wait_alu 0xfffd
	v_xor_b32_e32 v17, vcc_lo, v17
	v_cmp_gt_i32_e32 vcc_lo, 0, v19
	v_ashrrev_i32_e32 v18, 31, v18
	v_not_b32_e32 v19, v20
	s_delay_alu instid0(VALU_DEP_4)
	v_and_b32_e32 v16, v16, v17
	v_lshlrev_b32_e32 v17, 27, v22
	s_wait_alu 0xfffd
	v_xor_b32_e32 v18, vcc_lo, v18
	v_cmp_gt_i32_e32 vcc_lo, 0, v20
	v_ashrrev_i32_e32 v19, 31, v19
	v_not_b32_e32 v20, v17
	s_delay_alu instid0(VALU_DEP_4)
	v_and_b32_e32 v16, v16, v18
	v_lshlrev_b32_e32 v18, 26, v22
	s_wait_alu 0xfffd
	v_xor_b32_e32 v19, vcc_lo, v19
	v_cmp_gt_i32_e32 vcc_lo, 0, v17
	v_ashrrev_i32_e32 v17, 31, v20
	s_wait_kmcnt 0x0
	s_lshr_b32 s11, s1, 16
	v_not_b32_e32 v20, v18
	v_and_b32_e32 v16, v16, v19
	v_lshlrev_b32_e32 v19, 25, v22
	s_wait_alu 0xfffd
	v_xor_b32_e32 v17, vcc_lo, v17
	v_cmp_gt_i32_e32 vcc_lo, 0, v18
	v_ashrrev_i32_e32 v18, 31, v20
	s_and_b32 s1, s1, 0xffff
	v_not_b32_e32 v20, v19
	v_and_b32_e32 v16, v16, v17
	v_lshlrev_b32_e32 v17, 24, v22
	s_wait_alu 0xfffd
	v_xor_b32_e32 v18, vcc_lo, v18
	v_cmp_gt_i32_e32 vcc_lo, 0, v19
	v_ashrrev_i32_e32 v19, 31, v20
	s_wait_alu 0xfffe
	v_mad_u32_u24 v20, v70, s11, v69
	v_not_b32_e32 v21, v17
	v_and_b32_e32 v18, v16, v18
	v_and_b32_e32 v22, 0xff, v22
	s_wait_alu 0xfffd
	v_xor_b32_e32 v19, vcc_lo, v19
	v_cmp_gt_i32_e32 vcc_lo, 0, v17
	v_ashrrev_i32_e32 v21, 31, v21
	v_mad_co_u64_u32 v[16:17], null, v20, s1, v[44:45]
	s_delay_alu instid0(VALU_DEP_4) | instskip(SKIP_1) | instid1(VALU_DEP_3)
	v_and_b32_e32 v17, v18, v19
	s_wait_alu 0xfffd
	v_xor_b32_e32 v23, vcc_lo, v21
	v_dual_mov_b32 v21, s15 :: v_dual_mov_b32 v20, s14
	v_dual_mov_b32 v19, s13 :: v_dual_mov_b32 v18, s12
	s_delay_alu instid0(VALU_DEP_3)
	v_and_b32_e32 v17, v17, v23
	v_lshrrev_b32_e32 v16, 3, v16
	ds_store_b128 v66, v[18:21] offset:16
	ds_store_b128 v66, v[18:21] offset:32
	v_mbcnt_lo_u32_b32 v32, v17, 0
	v_and_b32_e32 v16, 0x1ffffffc, v16
	v_lshlrev_b32_e32 v18, 4, v22
	v_cmp_ne_u32_e64 s1, 0, v17
	s_wait_loadcnt_dscnt 0x0
	v_cmp_eq_u32_e32 vcc_lo, 0, v32
	s_barrier_signal -1
	v_add_nc_u32_e32 v33, v16, v18
	s_barrier_wait -1
	global_inv scope:SCOPE_SE
	s_and_b32 s11, s1, vcc_lo
	; wave barrier
	s_wait_alu 0xfffe
	s_and_saveexec_b32 s1, s11
; %bb.65:
	v_bcnt_u32_b32 v17, v17, 0
	ds_store_b32 v33, v17 offset:16
; %bb.66:
	s_wait_alu 0xfffe
	s_or_b32 exec_lo, exec_lo, s1
	v_and_b32_e32 v17, s9, v25
	; wave barrier
	s_delay_alu instid0(VALU_DEP_1)
	v_and_b32_e32 v19, 1, v17
	v_lshlrev_b32_e32 v20, 30, v17
	v_lshlrev_b32_e32 v21, 29, v17
	;; [unrolled: 1-line block ×4, first 2 shown]
	v_add_co_u32 v19, s1, v19, -1
	s_wait_alu 0xf1ff
	v_cndmask_b32_e64 v23, 0, 1, s1
	v_not_b32_e32 v37, v20
	v_cmp_gt_i32_e64 s1, 0, v20
	v_not_b32_e32 v20, v21
	v_lshlrev_b32_e32 v35, 26, v17
	v_cmp_ne_u32_e32 vcc_lo, 0, v23
	v_ashrrev_i32_e32 v23, 31, v37
	v_lshlrev_b32_e32 v36, 25, v17
	v_ashrrev_i32_e32 v20, 31, v20
	v_and_b32_e32 v18, 0xff, v17
	s_wait_alu 0xfffd
	v_xor_b32_e32 v19, vcc_lo, v19
	v_cmp_gt_i32_e32 vcc_lo, 0, v21
	v_not_b32_e32 v21, v22
	s_wait_alu 0xf1ff
	v_xor_b32_e32 v23, s1, v23
	v_cmp_gt_i32_e64 s1, 0, v22
	v_and_b32_e32 v19, exec_lo, v19
	v_not_b32_e32 v22, v34
	v_ashrrev_i32_e32 v21, 31, v21
	s_wait_alu 0xfffd
	v_xor_b32_e32 v20, vcc_lo, v20
	v_cmp_gt_i32_e32 vcc_lo, 0, v34
	v_and_b32_e32 v19, v19, v23
	v_not_b32_e32 v23, v35
	v_ashrrev_i32_e32 v22, 31, v22
	s_wait_alu 0xf1ff
	v_xor_b32_e32 v21, s1, v21
	v_lshlrev_b32_e32 v17, 24, v17
	v_and_b32_e32 v19, v19, v20
	v_cmp_gt_i32_e64 s1, 0, v35
	v_not_b32_e32 v20, v36
	v_ashrrev_i32_e32 v23, 31, v23
	s_wait_alu 0xfffd
	v_xor_b32_e32 v22, vcc_lo, v22
	v_and_b32_e32 v19, v19, v21
	v_cmp_gt_i32_e32 vcc_lo, 0, v36
	v_not_b32_e32 v21, v17
	v_ashrrev_i32_e32 v20, 31, v20
	s_wait_alu 0xf1ff
	v_xor_b32_e32 v23, s1, v23
	v_and_b32_e32 v19, v19, v22
	v_lshlrev_b32_e32 v18, 4, v18
	v_cmp_gt_i32_e64 s1, 0, v17
	v_ashrrev_i32_e32 v17, 31, v21
	s_wait_alu 0xfffd
	v_xor_b32_e32 v20, vcc_lo, v20
	v_and_b32_e32 v19, v19, v23
	v_add_nc_u32_e32 v36, v16, v18
	s_wait_alu 0xf1ff
	v_xor_b32_e32 v17, s1, v17
	s_delay_alu instid0(VALU_DEP_3) | instskip(SKIP_2) | instid1(VALU_DEP_1)
	v_and_b32_e32 v18, v19, v20
	ds_load_b32 v34, v36 offset:16
	; wave barrier
	v_and_b32_e32 v17, v18, v17
	v_mbcnt_lo_u32_b32 v35, v17, 0
	v_cmp_ne_u32_e64 s1, 0, v17
	s_delay_alu instid0(VALU_DEP_2)
	v_cmp_eq_u32_e32 vcc_lo, 0, v35
	s_and_b32 s11, s1, vcc_lo
	s_wait_alu 0xfffe
	s_and_saveexec_b32 s1, s11
	s_cbranch_execz .LBB112_68
; %bb.67:
	s_wait_dscnt 0x0
	v_bcnt_u32_b32 v17, v17, v34
	ds_store_b32 v36, v17 offset:16
.LBB112_68:
	s_wait_alu 0xfffe
	s_or_b32 exec_lo, exec_lo, s1
	v_and_b32_e32 v17, s9, v26
	; wave barrier
	s_delay_alu instid0(VALU_DEP_1)
	v_and_b32_e32 v19, 1, v17
	v_lshlrev_b32_e32 v20, 30, v17
	v_lshlrev_b32_e32 v21, 29, v17
	;; [unrolled: 1-line block ×4, first 2 shown]
	v_add_co_u32 v19, s1, v19, -1
	s_wait_alu 0xf1ff
	v_cndmask_b32_e64 v23, 0, 1, s1
	v_not_b32_e32 v40, v20
	v_cmp_gt_i32_e64 s1, 0, v20
	v_not_b32_e32 v20, v21
	v_lshlrev_b32_e32 v38, 26, v17
	v_cmp_ne_u32_e32 vcc_lo, 0, v23
	v_ashrrev_i32_e32 v23, 31, v40
	v_lshlrev_b32_e32 v39, 25, v17
	v_ashrrev_i32_e32 v20, 31, v20
	v_and_b32_e32 v18, 0xff, v17
	s_wait_alu 0xfffd
	v_xor_b32_e32 v19, vcc_lo, v19
	v_cmp_gt_i32_e32 vcc_lo, 0, v21
	v_not_b32_e32 v21, v22
	s_wait_alu 0xf1ff
	v_xor_b32_e32 v23, s1, v23
	v_cmp_gt_i32_e64 s1, 0, v22
	v_and_b32_e32 v19, exec_lo, v19
	v_not_b32_e32 v22, v37
	v_ashrrev_i32_e32 v21, 31, v21
	s_wait_alu 0xfffd
	v_xor_b32_e32 v20, vcc_lo, v20
	v_cmp_gt_i32_e32 vcc_lo, 0, v37
	v_and_b32_e32 v19, v19, v23
	v_not_b32_e32 v23, v38
	v_ashrrev_i32_e32 v22, 31, v22
	s_wait_alu 0xf1ff
	v_xor_b32_e32 v21, s1, v21
	v_lshlrev_b32_e32 v17, 24, v17
	v_and_b32_e32 v19, v19, v20
	v_cmp_gt_i32_e64 s1, 0, v38
	v_not_b32_e32 v20, v39
	v_ashrrev_i32_e32 v23, 31, v23
	s_wait_alu 0xfffd
	v_xor_b32_e32 v22, vcc_lo, v22
	v_and_b32_e32 v19, v19, v21
	v_cmp_gt_i32_e32 vcc_lo, 0, v39
	v_not_b32_e32 v21, v17
	v_ashrrev_i32_e32 v20, 31, v20
	s_wait_alu 0xf1ff
	v_xor_b32_e32 v23, s1, v23
	v_and_b32_e32 v19, v19, v22
	v_lshlrev_b32_e32 v18, 4, v18
	v_cmp_gt_i32_e64 s1, 0, v17
	v_ashrrev_i32_e32 v17, 31, v21
	s_wait_alu 0xfffd
	v_xor_b32_e32 v20, vcc_lo, v20
	v_and_b32_e32 v19, v19, v23
	v_add_nc_u32_e32 v39, v16, v18
	s_wait_alu 0xf1ff
	v_xor_b32_e32 v17, s1, v17
	s_delay_alu instid0(VALU_DEP_3) | instskip(SKIP_2) | instid1(VALU_DEP_1)
	v_and_b32_e32 v18, v19, v20
	ds_load_b32 v37, v39 offset:16
	; wave barrier
	v_and_b32_e32 v17, v18, v17
	v_mbcnt_lo_u32_b32 v38, v17, 0
	v_cmp_ne_u32_e64 s1, 0, v17
	s_delay_alu instid0(VALU_DEP_2)
	v_cmp_eq_u32_e32 vcc_lo, 0, v38
	s_and_b32 s11, s1, vcc_lo
	s_wait_alu 0xfffe
	s_and_saveexec_b32 s1, s11
	s_cbranch_execz .LBB112_70
; %bb.69:
	s_wait_dscnt 0x0
	v_bcnt_u32_b32 v17, v17, v37
	ds_store_b32 v39, v17 offset:16
.LBB112_70:
	s_wait_alu 0xfffe
	s_or_b32 exec_lo, exec_lo, s1
	v_and_b32_e32 v17, s9, v27
	; wave barrier
	s_delay_alu instid0(VALU_DEP_1)
	v_and_b32_e32 v19, 1, v17
	v_lshlrev_b32_e32 v20, 30, v17
	v_lshlrev_b32_e32 v21, 29, v17
	;; [unrolled: 1-line block ×4, first 2 shown]
	v_add_co_u32 v19, s1, v19, -1
	s_wait_alu 0xf1ff
	v_cndmask_b32_e64 v23, 0, 1, s1
	v_not_b32_e32 v69, v20
	v_cmp_gt_i32_e64 s1, 0, v20
	v_not_b32_e32 v20, v21
	v_lshlrev_b32_e32 v45, 26, v17
	v_cmp_ne_u32_e32 vcc_lo, 0, v23
	v_ashrrev_i32_e32 v23, 31, v69
	v_lshlrev_b32_e32 v46, 25, v17
	v_ashrrev_i32_e32 v20, 31, v20
	v_and_b32_e32 v18, 0xff, v17
	s_wait_alu 0xfffd
	v_xor_b32_e32 v19, vcc_lo, v19
	v_cmp_gt_i32_e32 vcc_lo, 0, v21
	v_not_b32_e32 v21, v22
	s_wait_alu 0xf1ff
	v_xor_b32_e32 v23, s1, v23
	v_cmp_gt_i32_e64 s1, 0, v22
	v_and_b32_e32 v19, exec_lo, v19
	v_not_b32_e32 v22, v40
	v_ashrrev_i32_e32 v21, 31, v21
	s_wait_alu 0xfffd
	v_xor_b32_e32 v20, vcc_lo, v20
	v_cmp_gt_i32_e32 vcc_lo, 0, v40
	v_and_b32_e32 v19, v19, v23
	v_not_b32_e32 v23, v45
	v_ashrrev_i32_e32 v22, 31, v22
	s_wait_alu 0xf1ff
	v_xor_b32_e32 v21, s1, v21
	v_lshlrev_b32_e32 v17, 24, v17
	v_and_b32_e32 v19, v19, v20
	v_cmp_gt_i32_e64 s1, 0, v45
	v_not_b32_e32 v20, v46
	v_ashrrev_i32_e32 v23, 31, v23
	s_wait_alu 0xfffd
	v_xor_b32_e32 v22, vcc_lo, v22
	v_and_b32_e32 v19, v19, v21
	v_cmp_gt_i32_e32 vcc_lo, 0, v46
	v_not_b32_e32 v21, v17
	v_ashrrev_i32_e32 v20, 31, v20
	s_wait_alu 0xf1ff
	v_xor_b32_e32 v23, s1, v23
	v_and_b32_e32 v19, v19, v22
	v_lshlrev_b32_e32 v18, 4, v18
	v_cmp_gt_i32_e64 s1, 0, v17
	v_ashrrev_i32_e32 v17, 31, v21
	s_wait_alu 0xfffd
	v_xor_b32_e32 v20, vcc_lo, v20
	v_and_b32_e32 v19, v19, v23
	v_add_nc_u32_e32 v46, v16, v18
	s_wait_alu 0xf1ff
	v_xor_b32_e32 v17, s1, v17
	s_delay_alu instid0(VALU_DEP_3) | instskip(SKIP_2) | instid1(VALU_DEP_1)
	v_and_b32_e32 v18, v19, v20
	ds_load_b32 v40, v46 offset:16
	; wave barrier
	v_and_b32_e32 v17, v18, v17
	v_mbcnt_lo_u32_b32 v45, v17, 0
	v_cmp_ne_u32_e64 s1, 0, v17
	s_delay_alu instid0(VALU_DEP_2)
	v_cmp_eq_u32_e32 vcc_lo, 0, v45
	s_and_b32 s11, s1, vcc_lo
	s_wait_alu 0xfffe
	s_and_saveexec_b32 s1, s11
	s_cbranch_execz .LBB112_72
; %bb.71:
	s_wait_dscnt 0x0
	v_bcnt_u32_b32 v17, v17, v40
	ds_store_b32 v46, v17 offset:16
.LBB112_72:
	s_wait_alu 0xfffe
	s_or_b32 exec_lo, exec_lo, s1
	v_and_b32_e32 v17, s9, v28
	; wave barrier
	s_delay_alu instid0(VALU_DEP_1)
	v_and_b32_e32 v19, 1, v17
	v_lshlrev_b32_e32 v20, 30, v17
	v_lshlrev_b32_e32 v21, 29, v17
	;; [unrolled: 1-line block ×4, first 2 shown]
	v_add_co_u32 v19, s1, v19, -1
	s_wait_alu 0xf1ff
	v_cndmask_b32_e64 v23, 0, 1, s1
	v_not_b32_e32 v72, v20
	v_cmp_gt_i32_e64 s1, 0, v20
	v_not_b32_e32 v20, v21
	v_lshlrev_b32_e32 v70, 26, v17
	v_cmp_ne_u32_e32 vcc_lo, 0, v23
	v_ashrrev_i32_e32 v23, 31, v72
	v_lshlrev_b32_e32 v71, 25, v17
	v_ashrrev_i32_e32 v20, 31, v20
	v_and_b32_e32 v18, 0xff, v17
	s_wait_alu 0xfffd
	v_xor_b32_e32 v19, vcc_lo, v19
	v_cmp_gt_i32_e32 vcc_lo, 0, v21
	v_not_b32_e32 v21, v22
	s_wait_alu 0xf1ff
	v_xor_b32_e32 v23, s1, v23
	v_cmp_gt_i32_e64 s1, 0, v22
	v_and_b32_e32 v19, exec_lo, v19
	v_not_b32_e32 v22, v69
	v_ashrrev_i32_e32 v21, 31, v21
	s_wait_alu 0xfffd
	v_xor_b32_e32 v20, vcc_lo, v20
	v_cmp_gt_i32_e32 vcc_lo, 0, v69
	v_and_b32_e32 v19, v19, v23
	v_not_b32_e32 v23, v70
	v_ashrrev_i32_e32 v22, 31, v22
	s_wait_alu 0xf1ff
	v_xor_b32_e32 v21, s1, v21
	v_lshlrev_b32_e32 v17, 24, v17
	v_and_b32_e32 v19, v19, v20
	v_cmp_gt_i32_e64 s1, 0, v70
	v_not_b32_e32 v20, v71
	v_ashrrev_i32_e32 v23, 31, v23
	s_wait_alu 0xfffd
	v_xor_b32_e32 v22, vcc_lo, v22
	v_and_b32_e32 v19, v19, v21
	v_cmp_gt_i32_e32 vcc_lo, 0, v71
	v_not_b32_e32 v21, v17
	v_ashrrev_i32_e32 v20, 31, v20
	s_wait_alu 0xf1ff
	v_xor_b32_e32 v23, s1, v23
	v_and_b32_e32 v19, v19, v22
	v_lshlrev_b32_e32 v18, 4, v18
	v_cmp_gt_i32_e64 s1, 0, v17
	v_ashrrev_i32_e32 v17, 31, v21
	s_wait_alu 0xfffd
	v_xor_b32_e32 v20, vcc_lo, v20
	v_and_b32_e32 v19, v19, v23
	v_add_nc_u32_e32 v71, v16, v18
	s_wait_alu 0xf1ff
	v_xor_b32_e32 v17, s1, v17
	s_delay_alu instid0(VALU_DEP_3) | instskip(SKIP_2) | instid1(VALU_DEP_1)
	v_and_b32_e32 v18, v19, v20
	ds_load_b32 v69, v71 offset:16
	; wave barrier
	v_and_b32_e32 v17, v18, v17
	v_mbcnt_lo_u32_b32 v70, v17, 0
	v_cmp_ne_u32_e64 s1, 0, v17
	s_delay_alu instid0(VALU_DEP_2)
	v_cmp_eq_u32_e32 vcc_lo, 0, v70
	s_and_b32 s11, s1, vcc_lo
	s_wait_alu 0xfffe
	s_and_saveexec_b32 s1, s11
	s_cbranch_execz .LBB112_74
; %bb.73:
	s_wait_dscnt 0x0
	v_bcnt_u32_b32 v17, v17, v69
	ds_store_b32 v71, v17 offset:16
.LBB112_74:
	s_wait_alu 0xfffe
	s_or_b32 exec_lo, exec_lo, s1
	v_and_b32_e32 v17, s9, v29
	; wave barrier
	s_delay_alu instid0(VALU_DEP_1)
	v_and_b32_e32 v19, 1, v17
	v_lshlrev_b32_e32 v20, 30, v17
	v_lshlrev_b32_e32 v21, 29, v17
	;; [unrolled: 1-line block ×4, first 2 shown]
	v_add_co_u32 v19, s1, v19, -1
	s_wait_alu 0xf1ff
	v_cndmask_b32_e64 v23, 0, 1, s1
	v_not_b32_e32 v75, v20
	v_cmp_gt_i32_e64 s1, 0, v20
	v_not_b32_e32 v20, v21
	v_lshlrev_b32_e32 v73, 26, v17
	v_cmp_ne_u32_e32 vcc_lo, 0, v23
	v_ashrrev_i32_e32 v23, 31, v75
	v_lshlrev_b32_e32 v74, 25, v17
	v_ashrrev_i32_e32 v20, 31, v20
	v_and_b32_e32 v18, 0xff, v17
	s_wait_alu 0xfffd
	v_xor_b32_e32 v19, vcc_lo, v19
	v_cmp_gt_i32_e32 vcc_lo, 0, v21
	v_not_b32_e32 v21, v22
	s_wait_alu 0xf1ff
	v_xor_b32_e32 v23, s1, v23
	v_cmp_gt_i32_e64 s1, 0, v22
	v_and_b32_e32 v19, exec_lo, v19
	v_not_b32_e32 v22, v72
	v_ashrrev_i32_e32 v21, 31, v21
	s_wait_alu 0xfffd
	v_xor_b32_e32 v20, vcc_lo, v20
	v_cmp_gt_i32_e32 vcc_lo, 0, v72
	v_and_b32_e32 v19, v19, v23
	v_not_b32_e32 v23, v73
	v_ashrrev_i32_e32 v22, 31, v22
	s_wait_alu 0xf1ff
	v_xor_b32_e32 v21, s1, v21
	v_lshlrev_b32_e32 v17, 24, v17
	v_and_b32_e32 v19, v19, v20
	v_cmp_gt_i32_e64 s1, 0, v73
	v_not_b32_e32 v20, v74
	v_ashrrev_i32_e32 v23, 31, v23
	s_wait_alu 0xfffd
	v_xor_b32_e32 v22, vcc_lo, v22
	v_and_b32_e32 v19, v19, v21
	v_cmp_gt_i32_e32 vcc_lo, 0, v74
	v_not_b32_e32 v21, v17
	v_ashrrev_i32_e32 v20, 31, v20
	s_wait_alu 0xf1ff
	v_xor_b32_e32 v23, s1, v23
	v_and_b32_e32 v19, v19, v22
	v_lshlrev_b32_e32 v18, 4, v18
	v_cmp_gt_i32_e64 s1, 0, v17
	v_ashrrev_i32_e32 v17, 31, v21
	s_wait_alu 0xfffd
	v_xor_b32_e32 v20, vcc_lo, v20
	v_and_b32_e32 v19, v19, v23
	v_add_nc_u32_e32 v74, v16, v18
	s_wait_alu 0xf1ff
	v_xor_b32_e32 v17, s1, v17
	s_delay_alu instid0(VALU_DEP_3) | instskip(SKIP_2) | instid1(VALU_DEP_1)
	v_and_b32_e32 v18, v19, v20
	ds_load_b32 v72, v74 offset:16
	; wave barrier
	v_and_b32_e32 v17, v18, v17
	v_mbcnt_lo_u32_b32 v73, v17, 0
	v_cmp_ne_u32_e64 s1, 0, v17
	s_delay_alu instid0(VALU_DEP_2)
	v_cmp_eq_u32_e32 vcc_lo, 0, v73
	s_and_b32 s11, s1, vcc_lo
	s_wait_alu 0xfffe
	s_and_saveexec_b32 s1, s11
	s_cbranch_execz .LBB112_76
; %bb.75:
	s_wait_dscnt 0x0
	v_bcnt_u32_b32 v17, v17, v72
	ds_store_b32 v74, v17 offset:16
.LBB112_76:
	s_wait_alu 0xfffe
	s_or_b32 exec_lo, exec_lo, s1
	v_and_b32_e32 v17, s9, v30
	; wave barrier
	s_delay_alu instid0(VALU_DEP_1)
	v_and_b32_e32 v19, 1, v17
	v_lshlrev_b32_e32 v20, 30, v17
	v_lshlrev_b32_e32 v21, 29, v17
	;; [unrolled: 1-line block ×4, first 2 shown]
	v_add_co_u32 v19, s1, v19, -1
	s_wait_alu 0xf1ff
	v_cndmask_b32_e64 v23, 0, 1, s1
	v_not_b32_e32 v78, v20
	v_cmp_gt_i32_e64 s1, 0, v20
	v_not_b32_e32 v20, v21
	v_lshlrev_b32_e32 v76, 26, v17
	v_cmp_ne_u32_e32 vcc_lo, 0, v23
	v_ashrrev_i32_e32 v23, 31, v78
	v_lshlrev_b32_e32 v77, 25, v17
	v_ashrrev_i32_e32 v20, 31, v20
	v_and_b32_e32 v18, 0xff, v17
	s_wait_alu 0xfffd
	v_xor_b32_e32 v19, vcc_lo, v19
	v_cmp_gt_i32_e32 vcc_lo, 0, v21
	v_not_b32_e32 v21, v22
	s_wait_alu 0xf1ff
	v_xor_b32_e32 v23, s1, v23
	v_cmp_gt_i32_e64 s1, 0, v22
	v_and_b32_e32 v19, exec_lo, v19
	v_not_b32_e32 v22, v75
	v_ashrrev_i32_e32 v21, 31, v21
	s_wait_alu 0xfffd
	v_xor_b32_e32 v20, vcc_lo, v20
	v_cmp_gt_i32_e32 vcc_lo, 0, v75
	v_and_b32_e32 v19, v19, v23
	v_not_b32_e32 v23, v76
	v_ashrrev_i32_e32 v22, 31, v22
	s_wait_alu 0xf1ff
	v_xor_b32_e32 v21, s1, v21
	v_lshlrev_b32_e32 v17, 24, v17
	v_and_b32_e32 v19, v19, v20
	v_cmp_gt_i32_e64 s1, 0, v76
	v_not_b32_e32 v20, v77
	v_ashrrev_i32_e32 v23, 31, v23
	s_wait_alu 0xfffd
	v_xor_b32_e32 v22, vcc_lo, v22
	v_and_b32_e32 v19, v19, v21
	v_cmp_gt_i32_e32 vcc_lo, 0, v77
	v_not_b32_e32 v21, v17
	v_ashrrev_i32_e32 v20, 31, v20
	s_wait_alu 0xf1ff
	v_xor_b32_e32 v23, s1, v23
	v_and_b32_e32 v19, v19, v22
	v_lshlrev_b32_e32 v18, 4, v18
	v_cmp_gt_i32_e64 s1, 0, v17
	v_ashrrev_i32_e32 v17, 31, v21
	s_wait_alu 0xfffd
	v_xor_b32_e32 v20, vcc_lo, v20
	v_and_b32_e32 v19, v19, v23
	v_add_nc_u32_e32 v77, v16, v18
	s_wait_alu 0xf1ff
	v_xor_b32_e32 v17, s1, v17
	s_delay_alu instid0(VALU_DEP_3) | instskip(SKIP_2) | instid1(VALU_DEP_1)
	v_and_b32_e32 v18, v19, v20
	ds_load_b32 v75, v77 offset:16
	; wave barrier
	v_and_b32_e32 v17, v18, v17
	v_mbcnt_lo_u32_b32 v76, v17, 0
	v_cmp_ne_u32_e64 s1, 0, v17
	s_delay_alu instid0(VALU_DEP_2)
	v_cmp_eq_u32_e32 vcc_lo, 0, v76
	s_and_b32 s11, s1, vcc_lo
	s_wait_alu 0xfffe
	s_and_saveexec_b32 s1, s11
	s_cbranch_execz .LBB112_78
; %bb.77:
	s_wait_dscnt 0x0
	v_bcnt_u32_b32 v17, v17, v75
	ds_store_b32 v77, v17 offset:16
.LBB112_78:
	s_wait_alu 0xfffe
	s_or_b32 exec_lo, exec_lo, s1
	v_and_b32_e32 v17, s9, v31
	; wave barrier
	s_delay_alu instid0(VALU_DEP_1)
	v_and_b32_e32 v19, 1, v17
	v_lshlrev_b32_e32 v20, 30, v17
	v_lshlrev_b32_e32 v21, 29, v17
	;; [unrolled: 1-line block ×4, first 2 shown]
	v_add_co_u32 v19, s1, v19, -1
	s_wait_alu 0xf1ff
	v_cndmask_b32_e64 v23, 0, 1, s1
	v_not_b32_e32 v81, v20
	v_cmp_gt_i32_e64 s1, 0, v20
	v_not_b32_e32 v20, v21
	v_lshlrev_b32_e32 v79, 26, v17
	v_cmp_ne_u32_e32 vcc_lo, 0, v23
	v_ashrrev_i32_e32 v23, 31, v81
	v_lshlrev_b32_e32 v80, 25, v17
	v_ashrrev_i32_e32 v20, 31, v20
	v_and_b32_e32 v18, 0xff, v17
	s_wait_alu 0xfffd
	v_xor_b32_e32 v19, vcc_lo, v19
	v_cmp_gt_i32_e32 vcc_lo, 0, v21
	v_not_b32_e32 v21, v22
	s_wait_alu 0xf1ff
	v_xor_b32_e32 v23, s1, v23
	v_cmp_gt_i32_e64 s1, 0, v22
	v_and_b32_e32 v19, exec_lo, v19
	v_not_b32_e32 v22, v78
	v_ashrrev_i32_e32 v21, 31, v21
	s_wait_alu 0xfffd
	v_xor_b32_e32 v20, vcc_lo, v20
	v_cmp_gt_i32_e32 vcc_lo, 0, v78
	v_and_b32_e32 v19, v19, v23
	v_not_b32_e32 v23, v79
	v_ashrrev_i32_e32 v22, 31, v22
	s_wait_alu 0xf1ff
	v_xor_b32_e32 v21, s1, v21
	v_lshlrev_b32_e32 v17, 24, v17
	v_and_b32_e32 v19, v19, v20
	v_cmp_gt_i32_e64 s1, 0, v79
	v_not_b32_e32 v20, v80
	v_ashrrev_i32_e32 v23, 31, v23
	s_wait_alu 0xfffd
	v_xor_b32_e32 v22, vcc_lo, v22
	v_and_b32_e32 v19, v19, v21
	v_cmp_gt_i32_e32 vcc_lo, 0, v80
	v_not_b32_e32 v21, v17
	v_ashrrev_i32_e32 v20, 31, v20
	s_wait_alu 0xf1ff
	v_xor_b32_e32 v23, s1, v23
	v_and_b32_e32 v19, v19, v22
	v_lshlrev_b32_e32 v18, 4, v18
	v_cmp_gt_i32_e64 s1, 0, v17
	v_ashrrev_i32_e32 v17, 31, v21
	s_wait_alu 0xfffd
	v_xor_b32_e32 v20, vcc_lo, v20
	v_and_b32_e32 v19, v19, v23
	v_add_nc_u32_e32 v80, v16, v18
	s_wait_alu 0xf1ff
	v_xor_b32_e32 v16, s1, v17
	s_delay_alu instid0(VALU_DEP_3) | instskip(SKIP_2) | instid1(VALU_DEP_1)
	v_and_b32_e32 v17, v19, v20
	ds_load_b32 v78, v80 offset:16
	; wave barrier
	v_and_b32_e32 v16, v17, v16
	v_mbcnt_lo_u32_b32 v79, v16, 0
	v_cmp_ne_u32_e64 s1, 0, v16
	s_delay_alu instid0(VALU_DEP_2)
	v_cmp_eq_u32_e32 vcc_lo, 0, v79
	s_and_b32 s9, s1, vcc_lo
	s_wait_alu 0xfffe
	s_and_saveexec_b32 s1, s9
	s_cbranch_execz .LBB112_80
; %bb.79:
	s_wait_dscnt 0x0
	v_bcnt_u32_b32 v16, v16, v78
	ds_store_b32 v80, v16 offset:16
.LBB112_80:
	s_wait_alu 0xfffe
	s_or_b32 exec_lo, exec_lo, s1
	; wave barrier
	s_wait_loadcnt_dscnt 0x0
	s_barrier_signal -1
	s_barrier_wait -1
	global_inv scope:SCOPE_SE
	ds_load_b128 v[20:23], v66 offset:16
	ds_load_b128 v[16:19], v66 offset:32
	v_min_u32_e32 v68, 0x60, v68
	s_mov_b32 s1, exec_lo
	s_delay_alu instid0(VALU_DEP_1) | instskip(SKIP_2) | instid1(VALU_DEP_1)
	v_or_b32_e32 v68, 31, v68
	s_wait_dscnt 0x1
	v_add_nc_u32_e32 v81, v21, v20
	v_add3_u32 v81, v81, v22, v23
	s_wait_dscnt 0x0
	s_delay_alu instid0(VALU_DEP_1) | instskip(NEXT) | instid1(VALU_DEP_1)
	v_add3_u32 v81, v81, v16, v17
	v_add3_u32 v19, v81, v18, v19
	v_and_b32_e32 v81, 15, v67
	s_delay_alu instid0(VALU_DEP_2) | instskip(NEXT) | instid1(VALU_DEP_2)
	v_mov_b32_dpp v82, v19 row_shr:1 row_mask:0xf bank_mask:0xf
	v_cmp_ne_u32_e32 vcc_lo, 0, v81
	s_wait_alu 0xfffd
	s_delay_alu instid0(VALU_DEP_2) | instskip(SKIP_1) | instid1(VALU_DEP_2)
	v_cndmask_b32_e32 v82, 0, v82, vcc_lo
	v_cmp_lt_u32_e32 vcc_lo, 1, v81
	v_add_nc_u32_e32 v19, v82, v19
	s_delay_alu instid0(VALU_DEP_1) | instskip(SKIP_1) | instid1(VALU_DEP_1)
	v_mov_b32_dpp v82, v19 row_shr:2 row_mask:0xf bank_mask:0xf
	s_wait_alu 0xfffd
	v_cndmask_b32_e32 v82, 0, v82, vcc_lo
	v_cmp_lt_u32_e32 vcc_lo, 3, v81
	s_delay_alu instid0(VALU_DEP_2) | instskip(NEXT) | instid1(VALU_DEP_1)
	v_add_nc_u32_e32 v19, v19, v82
	v_mov_b32_dpp v82, v19 row_shr:4 row_mask:0xf bank_mask:0xf
	s_wait_alu 0xfffd
	s_delay_alu instid0(VALU_DEP_1) | instskip(SKIP_1) | instid1(VALU_DEP_2)
	v_cndmask_b32_e32 v82, 0, v82, vcc_lo
	v_cmp_lt_u32_e32 vcc_lo, 7, v81
	v_add_nc_u32_e32 v19, v19, v82
	s_delay_alu instid0(VALU_DEP_1) | instskip(SKIP_1) | instid1(VALU_DEP_1)
	v_mov_b32_dpp v82, v19 row_shr:8 row_mask:0xf bank_mask:0xf
	s_wait_alu 0xfffd
	v_cndmask_b32_e32 v81, 0, v82, vcc_lo
	v_bfe_i32 v82, v67, 4, 1
	s_delay_alu instid0(VALU_DEP_2) | instskip(SKIP_3) | instid1(VALU_DEP_1)
	v_add_nc_u32_e32 v19, v19, v81
	ds_swizzle_b32 v81, v19 offset:swizzle(BROADCAST,32,15)
	s_wait_dscnt 0x0
	v_and_b32_e32 v81, v82, v81
	v_add_nc_u32_e32 v19, v19, v81
	v_cmpx_eq_u32_e64 v44, v68
; %bb.81:
	v_lshlrev_b32_e32 v68, 2, v65
	ds_store_b32 v68, v19
; %bb.82:
	s_wait_alu 0xfffe
	s_or_b32 exec_lo, exec_lo, s1
	s_delay_alu instid0(SALU_CYCLE_1)
	s_mov_b32 s1, exec_lo
	s_wait_loadcnt_dscnt 0x0
	s_barrier_signal -1
	s_barrier_wait -1
	global_inv scope:SCOPE_SE
	v_cmpx_gt_u32_e32 4, v44
	s_cbranch_execz .LBB112_84
; %bb.83:
	v_and_b32_e32 v82, 3, v67
	s_delay_alu instid0(VALU_DEP_1)
	v_cmp_ne_u32_e32 vcc_lo, 0, v82
	v_lshlrev_b32_e32 v68, 2, v44
	ds_load_b32 v81, v68
	s_wait_dscnt 0x0
	v_mov_b32_dpp v83, v81 row_shr:1 row_mask:0xf bank_mask:0xf
	s_wait_alu 0xfffd
	s_delay_alu instid0(VALU_DEP_1) | instskip(SKIP_1) | instid1(VALU_DEP_2)
	v_cndmask_b32_e32 v83, 0, v83, vcc_lo
	v_cmp_lt_u32_e32 vcc_lo, 1, v82
	v_add_nc_u32_e32 v81, v83, v81
	s_delay_alu instid0(VALU_DEP_1) | instskip(SKIP_1) | instid1(VALU_DEP_1)
	v_mov_b32_dpp v83, v81 row_shr:2 row_mask:0xf bank_mask:0xf
	s_wait_alu 0xfffd
	v_cndmask_b32_e32 v82, 0, v83, vcc_lo
	s_delay_alu instid0(VALU_DEP_1)
	v_add_nc_u32_e32 v81, v81, v82
	ds_store_b32 v68, v81
.LBB112_84:
	s_wait_alu 0xfffe
	s_or_b32 exec_lo, exec_lo, s1
	v_mov_b32_e32 v68, 0
	s_mov_b32 s1, exec_lo
	s_wait_loadcnt_dscnt 0x0
	s_barrier_signal -1
	s_barrier_wait -1
	global_inv scope:SCOPE_SE
	v_cmpx_lt_u32_e32 31, v44
; %bb.85:
	v_lshl_add_u32 v65, v65, 2, -4
	ds_load_b32 v68, v65
; %bb.86:
	s_wait_alu 0xfffe
	s_or_b32 exec_lo, exec_lo, s1
	v_sub_co_u32 v65, vcc_lo, v67, 1
	s_wait_dscnt 0x0
	v_add_nc_u32_e32 v19, v68, v19
	s_delay_alu instid0(VALU_DEP_2) | instskip(SKIP_1) | instid1(VALU_DEP_1)
	v_cmp_gt_i32_e64 s1, 0, v65
	s_wait_alu 0xf1ff
	v_cndmask_b32_e64 v65, v65, v67, s1
	s_delay_alu instid0(VALU_DEP_1)
	v_lshlrev_b32_e32 v65, 2, v65
	ds_bpermute_b32 v19, v65, v19
	s_wait_dscnt 0x0
	s_wait_alu 0xfffd
	v_cndmask_b32_e32 v19, v19, v68, vcc_lo
	v_cmp_ne_u32_e32 vcc_lo, 0, v44
	s_wait_alu 0xfffd
	s_delay_alu instid0(VALU_DEP_2) | instskip(NEXT) | instid1(VALU_DEP_1)
	v_cndmask_b32_e32 v19, 0, v19, vcc_lo
	v_add_nc_u32_e32 v20, v19, v20
	s_delay_alu instid0(VALU_DEP_1) | instskip(NEXT) | instid1(VALU_DEP_1)
	v_add_nc_u32_e32 v21, v20, v21
	v_add_nc_u32_e32 v22, v21, v22
	s_delay_alu instid0(VALU_DEP_1) | instskip(NEXT) | instid1(VALU_DEP_1)
	v_add_nc_u32_e32 v81, v22, v23
	;; [unrolled: 3-line block ×3, first 2 shown]
	v_add_nc_u32_e32 v84, v83, v18
	ds_store_b128 v66, v[19:22] offset:16
	ds_store_b128 v66, v[81:84] offset:32
	s_wait_loadcnt_dscnt 0x0
	s_barrier_signal -1
	s_barrier_wait -1
	global_inv scope:SCOPE_SE
	ds_load_b32 v16, v33 offset:16
	ds_load_b32 v17, v36 offset:16
	;; [unrolled: 1-line block ×8, first 2 shown]
	s_wait_loadcnt_dscnt 0x0
	s_barrier_signal -1
	s_barrier_wait -1
	global_inv scope:SCOPE_SE
	v_mad_u32_u24 v36, v44, 56, v60
	v_add_nc_u32_e32 v16, v16, v32
	v_add3_u32 v17, v35, v34, v17
	v_add3_u32 v18, v38, v37, v18
	;; [unrolled: 1-line block ×7, first 2 shown]
	ds_store_b8 v16, v24
	ds_store_b8 v17, v25
	ds_store_b8 v18, v26
	ds_store_b8 v19, v27
	ds_store_b8 v20, v28
	ds_store_b8 v21, v29
	ds_store_b8 v22, v30
	ds_store_b8 v23, v31
	s_wait_loadcnt_dscnt 0x0
	s_barrier_signal -1
	s_barrier_wait -1
	global_inv scope:SCOPE_SE
	ds_load_b64 v[33:34], v60
	v_lshlrev_b32_e32 v16, 3, v16
	v_lshlrev_b32_e32 v17, 3, v17
	;; [unrolled: 1-line block ×8, first 2 shown]
	s_wait_loadcnt_dscnt 0x0
	s_barrier_signal -1
	s_barrier_wait -1
	global_inv scope:SCOPE_SE
	ds_store_b64 v16, v[12:13]
	ds_store_b64 v17, v[14:15]
	;; [unrolled: 1-line block ×8, first 2 shown]
	s_wait_loadcnt_dscnt 0x0
	s_barrier_signal -1
	s_barrier_wait -1
	global_inv scope:SCOPE_SE
	ds_load_b128 v[21:24], v36
	ds_load_b128 v[17:20], v36 offset:16
	ds_load_b128 v[29:32], v36 offset:32
	ds_load_b128 v[25:28], v36 offset:48
	v_lshrrev_b32_e32 v0, 16, v33
	v_lshrrev_b32_e32 v3, 16, v34
	v_and_b32_e32 v1, 0xffffff00, v33
	v_xor_b32_e32 v2, 0x7f, v33
	v_and_b32_e32 v4, 0xffffff00, v34
	v_xor_b32_e32 v5, 0x7f, v34
	;; [unrolled: 2-line block ×4, first 2 shown]
	v_xor_b32_e32 v1, 0x7f00, v1
	v_and_b32_e32 v2, 0xff, v2
	v_xor_b32_e32 v4, 0x7f00, v4
	v_and_b32_e32 v5, 0xff, v5
	v_xor_b32_e32 v6, 0x7f00, v6
	v_and_b32_e32 v0, 0xff, v0
	v_xor_b32_e32 v7, 0x7f00, v7
	v_and_b32_e32 v3, 0xff, v3
	v_or_b32_e32 v1, v2, v1
	v_or_b32_e32 v2, v5, v4
	;; [unrolled: 1-line block ×3, first 2 shown]
	s_delay_alu instid0(VALU_DEP_4) | instskip(NEXT) | instid1(VALU_DEP_4)
	v_or_b32_e32 v3, v3, v7
	v_and_b32_e32 v1, 0xffff, v1
	s_delay_alu instid0(VALU_DEP_4) | instskip(NEXT) | instid1(VALU_DEP_4)
	v_and_b32_e32 v2, 0xffff, v2
	v_lshlrev_b32_e32 v0, 16, v0
	s_delay_alu instid0(VALU_DEP_4) | instskip(NEXT) | instid1(VALU_DEP_2)
	v_lshlrev_b32_e32 v3, 16, v3
	v_or_b32_e32 v0, v1, v0
	s_delay_alu instid0(VALU_DEP_2)
	v_or_b32_e32 v33, v2, v3
.LBB112_87:
	s_wait_loadcnt_dscnt 0x0
	s_barrier_signal -1
	s_barrier_wait -1
	global_inv scope:SCOPE_SE
	ds_store_2addr_b32 v56, v0, v33 offset1:1
	s_wait_loadcnt_dscnt 0x0
	s_barrier_signal -1
	s_barrier_wait -1
	global_inv scope:SCOPE_SE
	ds_load_u8 v8, v49 offset:128
	ds_load_u8 v7, v50 offset:256
	;; [unrolled: 1-line block ×7, first 2 shown]
	v_add_co_u32 v0, s1, s18, v47
	s_wait_alu 0xf1ff
	v_add_co_ci_u32_e64 v1, null, s19, 0, s1
	s_and_saveexec_b32 s1, s2
	s_cbranch_execnz .LBB112_106
; %bb.88:
	s_wait_alu 0xfffe
	s_or_b32 exec_lo, exec_lo, s1
	s_and_saveexec_b32 s1, s3
	s_cbranch_execnz .LBB112_107
.LBB112_89:
	s_wait_alu 0xfffe
	s_or_b32 exec_lo, exec_lo, s1
	s_and_saveexec_b32 s1, s4
	s_cbranch_execnz .LBB112_108
.LBB112_90:
	s_wait_alu 0xfffe
	s_or_b32 exec_lo, exec_lo, s1
	s_and_saveexec_b32 s1, s5
	s_cbranch_execnz .LBB112_109
.LBB112_91:
	s_wait_alu 0xfffe
	s_or_b32 exec_lo, exec_lo, s1
	s_and_saveexec_b32 s1, s6
	s_cbranch_execnz .LBB112_110
.LBB112_92:
	s_wait_alu 0xfffe
	s_or_b32 exec_lo, exec_lo, s1
	s_and_saveexec_b32 s1, s7
	s_cbranch_execnz .LBB112_111
.LBB112_93:
	s_wait_alu 0xfffe
	s_or_b32 exec_lo, exec_lo, s1
	s_and_saveexec_b32 s1, s8
	s_cbranch_execnz .LBB112_112
.LBB112_94:
	s_wait_alu 0xfffe
	s_or_b32 exec_lo, exec_lo, s1
	s_and_saveexec_b32 s1, s0
	s_cbranch_execz .LBB112_96
.LBB112_95:
	s_mul_i32 s9, s10, 0x380
	s_wait_alu 0xfffe
	v_add_co_u32 v0, vcc_lo, v0, s9
	s_wait_alu 0xfffd
	v_add_co_ci_u32_e64 v1, null, 0, v1, vcc_lo
	s_wait_dscnt 0x0
	global_store_b8 v[0:1], v2, off
.LBB112_96:
	s_wait_alu 0xfffe
	s_or_b32 exec_lo, exec_lo, s1
	s_wait_storecnt 0x0
	s_wait_loadcnt_dscnt 0x0
	s_barrier_signal -1
	s_barrier_wait -1
	global_inv scope:SCOPE_SE
	ds_store_2addr_b64 v64, v[21:22], v[23:24] offset1:1
	ds_store_2addr_b64 v64, v[17:18], v[19:20] offset0:2 offset1:3
	ds_store_2addr_b64 v64, v[29:30], v[31:32] offset0:4 offset1:5
	ds_store_2addr_b64 v64, v[25:26], v[27:28] offset0:6 offset1:7
	s_wait_loadcnt_dscnt 0x0
	s_barrier_signal -1
	s_barrier_wait -1
	global_inv scope:SCOPE_SE
	ds_load_b64 v[14:15], v58 offset:1024
	ds_load_b64 v[12:13], v59 offset:2048
	;; [unrolled: 1-line block ×7, first 2 shown]
	v_mov_b32_e32 v42, 0
	s_delay_alu instid0(VALU_DEP_1) | instskip(NEXT) | instid1(VALU_DEP_1)
	v_lshlrev_b64_e32 v[2:3], 3, v[41:42]
	v_add_co_u32 v2, vcc_lo, s20, v2
	s_wait_alu 0xfffd
	s_delay_alu instid0(VALU_DEP_2)
	v_add_co_ci_u32_e64 v3, null, s21, v3, vcc_lo
	s_and_saveexec_b32 s1, s2
	s_cbranch_execnz .LBB112_113
; %bb.97:
	s_wait_alu 0xfffe
	s_or_b32 exec_lo, exec_lo, s1
	s_and_saveexec_b32 s1, s3
	s_cbranch_execnz .LBB112_114
.LBB112_98:
	s_wait_alu 0xfffe
	s_or_b32 exec_lo, exec_lo, s1
	s_and_saveexec_b32 s1, s4
	s_cbranch_execnz .LBB112_115
.LBB112_99:
	s_wait_alu 0xfffe
	s_or_b32 exec_lo, exec_lo, s1
	s_and_saveexec_b32 s1, s5
	s_cbranch_execnz .LBB112_116
.LBB112_100:
	s_wait_alu 0xfffe
	s_or_b32 exec_lo, exec_lo, s1
	s_and_saveexec_b32 s1, s6
	s_cbranch_execnz .LBB112_117
.LBB112_101:
	s_wait_alu 0xfffe
	s_or_b32 exec_lo, exec_lo, s1
	s_and_saveexec_b32 s1, s7
	s_cbranch_execnz .LBB112_118
.LBB112_102:
	s_wait_alu 0xfffe
	s_or_b32 exec_lo, exec_lo, s1
	s_and_saveexec_b32 s1, s8
	s_cbranch_execnz .LBB112_119
.LBB112_103:
	s_wait_alu 0xfffe
	s_or_b32 exec_lo, exec_lo, s1
	s_and_saveexec_b32 s1, s0
	s_cbranch_execz .LBB112_105
.LBB112_104:
	s_mul_i32 s0, s16, 0x380
	s_mov_b32 s1, 0
	s_wait_alu 0xfffe
	s_lshl_b64 s[0:1], s[0:1], 3
	s_wait_alu 0xfffe
	v_add_co_u32 v2, vcc_lo, v2, s0
	s_wait_alu 0xfffd
	v_add_co_ci_u32_e64 v3, null, s1, v3, vcc_lo
	s_wait_dscnt 0x0
	global_store_b64 v[2:3], v[0:1], off
.LBB112_105:
	s_nop 0
	s_sendmsg sendmsg(MSG_DEALLOC_VGPRS)
	s_endpgm
.LBB112_106:
	ds_load_u8 v9, v48
	s_wait_dscnt 0x0
	global_store_b8 v[0:1], v9, off
	s_wait_alu 0xfffe
	s_or_b32 exec_lo, exec_lo, s1
	s_and_saveexec_b32 s1, s3
	s_cbranch_execz .LBB112_89
.LBB112_107:
	s_lshl_b32 s9, s10, 7
	s_wait_alu 0xfffe
	v_add_co_u32 v9, vcc_lo, v0, s9
	s_wait_alu 0xfffd
	v_add_co_ci_u32_e64 v10, null, 0, v1, vcc_lo
	s_wait_dscnt 0x6
	global_store_b8 v[9:10], v8, off
	s_or_b32 exec_lo, exec_lo, s1
	s_and_saveexec_b32 s1, s4
	s_cbranch_execz .LBB112_90
.LBB112_108:
	s_lshl_b32 s9, s10, 8
	s_wait_dscnt 0x6
	s_wait_alu 0xfffe
	v_add_co_u32 v8, vcc_lo, v0, s9
	s_wait_alu 0xfffd
	v_add_co_ci_u32_e64 v9, null, 0, v1, vcc_lo
	s_wait_dscnt 0x5
	global_store_b8 v[8:9], v7, off
	s_or_b32 exec_lo, exec_lo, s1
	s_and_saveexec_b32 s1, s5
	s_cbranch_execz .LBB112_91
.LBB112_109:
	s_mul_i32 s9, s10, 0x180
	s_wait_dscnt 0x5
	s_wait_alu 0xfffe
	v_add_co_u32 v7, vcc_lo, v0, s9
	s_wait_alu 0xfffd
	v_add_co_ci_u32_e64 v8, null, 0, v1, vcc_lo
	s_wait_dscnt 0x4
	global_store_b8 v[7:8], v6, off
	s_or_b32 exec_lo, exec_lo, s1
	s_and_saveexec_b32 s1, s6
	s_cbranch_execz .LBB112_92
.LBB112_110:
	s_lshl_b32 s9, s10, 9
	s_wait_dscnt 0x4
	s_wait_alu 0xfffe
	v_add_co_u32 v6, vcc_lo, v0, s9
	s_wait_alu 0xfffd
	v_add_co_ci_u32_e64 v7, null, 0, v1, vcc_lo
	s_wait_dscnt 0x3
	global_store_b8 v[6:7], v5, off
	s_or_b32 exec_lo, exec_lo, s1
	s_and_saveexec_b32 s1, s7
	s_cbranch_execz .LBB112_93
.LBB112_111:
	s_mul_i32 s9, s10, 0x280
	s_wait_dscnt 0x3
	s_wait_alu 0xfffe
	v_add_co_u32 v5, vcc_lo, v0, s9
	s_wait_alu 0xfffd
	v_add_co_ci_u32_e64 v6, null, 0, v1, vcc_lo
	s_wait_dscnt 0x2
	global_store_b8 v[5:6], v4, off
	s_or_b32 exec_lo, exec_lo, s1
	s_and_saveexec_b32 s1, s8
	s_cbranch_execz .LBB112_94
.LBB112_112:
	s_mul_i32 s9, s10, 0x300
	s_wait_dscnt 0x2
	s_wait_alu 0xfffe
	v_add_co_u32 v4, vcc_lo, v0, s9
	s_wait_alu 0xfffd
	v_add_co_ci_u32_e64 v5, null, 0, v1, vcc_lo
	s_wait_dscnt 0x1
	global_store_b8 v[4:5], v3, off
	s_or_b32 exec_lo, exec_lo, s1
	s_and_saveexec_b32 s1, s0
	s_cbranch_execnz .LBB112_95
	s_branch .LBB112_96
.LBB112_113:
	ds_load_b64 v[16:17], v57
	s_wait_dscnt 0x0
	global_store_b64 v[2:3], v[16:17], off
	s_wait_alu 0xfffe
	s_or_b32 exec_lo, exec_lo, s1
	s_and_saveexec_b32 s1, s3
	s_cbranch_execz .LBB112_98
.LBB112_114:
	s_lshl_b32 s2, s16, 7
	s_mov_b32 s3, 0
	s_delay_alu instid0(SALU_CYCLE_1) | instskip(NEXT) | instid1(SALU_CYCLE_1)
	s_lshl_b64 s[2:3], s[2:3], 3
	v_add_co_u32 v16, vcc_lo, v2, s2
	s_wait_alu 0xfffd
	v_add_co_ci_u32_e64 v17, null, s3, v3, vcc_lo
	s_wait_dscnt 0x6
	global_store_b64 v[16:17], v[14:15], off
	s_wait_alu 0xfffe
	s_or_b32 exec_lo, exec_lo, s1
	s_and_saveexec_b32 s1, s4
	s_cbranch_execz .LBB112_99
.LBB112_115:
	s_lshl_b32 s2, s16, 8
	s_mov_b32 s3, 0
	s_wait_alu 0xfffe
	s_lshl_b64 s[2:3], s[2:3], 3
	s_wait_dscnt 0x6
	s_wait_alu 0xfffe
	v_add_co_u32 v14, vcc_lo, v2, s2
	s_wait_alu 0xfffd
	v_add_co_ci_u32_e64 v15, null, s3, v3, vcc_lo
	s_wait_dscnt 0x5
	global_store_b64 v[14:15], v[12:13], off
	s_or_b32 exec_lo, exec_lo, s1
	s_and_saveexec_b32 s1, s5
	s_cbranch_execz .LBB112_100
.LBB112_116:
	s_mul_i32 s2, s16, 0x180
	s_mov_b32 s3, 0
	s_wait_alu 0xfffe
	s_lshl_b64 s[2:3], s[2:3], 3
	s_wait_dscnt 0x5
	s_wait_alu 0xfffe
	v_add_co_u32 v12, vcc_lo, v2, s2
	s_wait_alu 0xfffd
	v_add_co_ci_u32_e64 v13, null, s3, v3, vcc_lo
	s_wait_dscnt 0x4
	global_store_b64 v[12:13], v[10:11], off
	s_or_b32 exec_lo, exec_lo, s1
	s_and_saveexec_b32 s1, s6
	s_cbranch_execz .LBB112_101
.LBB112_117:
	s_lshl_b32 s2, s16, 9
	s_mov_b32 s3, 0
	s_wait_alu 0xfffe
	s_lshl_b64 s[2:3], s[2:3], 3
	s_wait_dscnt 0x4
	s_wait_alu 0xfffe
	v_add_co_u32 v10, vcc_lo, v2, s2
	s_wait_alu 0xfffd
	v_add_co_ci_u32_e64 v11, null, s3, v3, vcc_lo
	s_wait_dscnt 0x3
	global_store_b64 v[10:11], v[8:9], off
	s_or_b32 exec_lo, exec_lo, s1
	s_and_saveexec_b32 s1, s7
	s_cbranch_execz .LBB112_102
.LBB112_118:
	s_mul_i32 s2, s16, 0x280
	s_mov_b32 s3, 0
	s_wait_alu 0xfffe
	s_lshl_b64 s[2:3], s[2:3], 3
	s_wait_dscnt 0x3
	s_wait_alu 0xfffe
	v_add_co_u32 v8, vcc_lo, v2, s2
	s_wait_alu 0xfffd
	v_add_co_ci_u32_e64 v9, null, s3, v3, vcc_lo
	s_wait_dscnt 0x2
	global_store_b64 v[8:9], v[6:7], off
	s_or_b32 exec_lo, exec_lo, s1
	s_and_saveexec_b32 s1, s8
	s_cbranch_execz .LBB112_103
.LBB112_119:
	s_mul_i32 s2, s16, 0x300
	s_mov_b32 s3, 0
	s_wait_alu 0xfffe
	s_lshl_b64 s[2:3], s[2:3], 3
	s_wait_dscnt 0x2
	s_wait_alu 0xfffe
	v_add_co_u32 v6, vcc_lo, v2, s2
	s_wait_alu 0xfffd
	v_add_co_ci_u32_e64 v7, null, s3, v3, vcc_lo
	s_wait_dscnt 0x1
	global_store_b64 v[6:7], v[4:5], off
	s_or_b32 exec_lo, exec_lo, s1
	s_and_saveexec_b32 s1, s0
	s_cbranch_execnz .LBB112_104
	s_branch .LBB112_105
	.section	.rodata,"a",@progbits
	.p2align	6, 0x0
	.amdhsa_kernel _ZN2at6native18radixSortKVInPlaceILin1ELin1ELi128ELi8EaljEEvNS_4cuda6detail10TensorInfoIT3_T5_EES6_S6_S6_NS4_IT4_S6_EES6_b
		.amdhsa_group_segment_fixed_size 8448
		.amdhsa_private_segment_fixed_size 0
		.amdhsa_kernarg_size 712
		.amdhsa_user_sgpr_count 2
		.amdhsa_user_sgpr_dispatch_ptr 0
		.amdhsa_user_sgpr_queue_ptr 0
		.amdhsa_user_sgpr_kernarg_segment_ptr 1
		.amdhsa_user_sgpr_dispatch_id 0
		.amdhsa_user_sgpr_private_segment_size 0
		.amdhsa_wavefront_size32 1
		.amdhsa_uses_dynamic_stack 0
		.amdhsa_enable_private_segment 0
		.amdhsa_system_sgpr_workgroup_id_x 1
		.amdhsa_system_sgpr_workgroup_id_y 1
		.amdhsa_system_sgpr_workgroup_id_z 1
		.amdhsa_system_sgpr_workgroup_info 0
		.amdhsa_system_vgpr_workitem_id 2
		.amdhsa_next_free_vgpr 114
		.amdhsa_next_free_sgpr 24
		.amdhsa_reserve_vcc 1
		.amdhsa_float_round_mode_32 0
		.amdhsa_float_round_mode_16_64 0
		.amdhsa_float_denorm_mode_32 3
		.amdhsa_float_denorm_mode_16_64 3
		.amdhsa_fp16_overflow 0
		.amdhsa_workgroup_processor_mode 1
		.amdhsa_memory_ordered 1
		.amdhsa_forward_progress 1
		.amdhsa_inst_pref_size 107
		.amdhsa_round_robin_scheduling 0
		.amdhsa_exception_fp_ieee_invalid_op 0
		.amdhsa_exception_fp_denorm_src 0
		.amdhsa_exception_fp_ieee_div_zero 0
		.amdhsa_exception_fp_ieee_overflow 0
		.amdhsa_exception_fp_ieee_underflow 0
		.amdhsa_exception_fp_ieee_inexact 0
		.amdhsa_exception_int_div_zero 0
	.end_amdhsa_kernel
	.section	.text._ZN2at6native18radixSortKVInPlaceILin1ELin1ELi128ELi8EaljEEvNS_4cuda6detail10TensorInfoIT3_T5_EES6_S6_S6_NS4_IT4_S6_EES6_b,"axG",@progbits,_ZN2at6native18radixSortKVInPlaceILin1ELin1ELi128ELi8EaljEEvNS_4cuda6detail10TensorInfoIT3_T5_EES6_S6_S6_NS4_IT4_S6_EES6_b,comdat
.Lfunc_end112:
	.size	_ZN2at6native18radixSortKVInPlaceILin1ELin1ELi128ELi8EaljEEvNS_4cuda6detail10TensorInfoIT3_T5_EES6_S6_S6_NS4_IT4_S6_EES6_b, .Lfunc_end112-_ZN2at6native18radixSortKVInPlaceILin1ELin1ELi128ELi8EaljEEvNS_4cuda6detail10TensorInfoIT3_T5_EES6_S6_S6_NS4_IT4_S6_EES6_b
                                        ; -- End function
	.set _ZN2at6native18radixSortKVInPlaceILin1ELin1ELi128ELi8EaljEEvNS_4cuda6detail10TensorInfoIT3_T5_EES6_S6_S6_NS4_IT4_S6_EES6_b.num_vgpr, 114
	.set _ZN2at6native18radixSortKVInPlaceILin1ELin1ELi128ELi8EaljEEvNS_4cuda6detail10TensorInfoIT3_T5_EES6_S6_S6_NS4_IT4_S6_EES6_b.num_agpr, 0
	.set _ZN2at6native18radixSortKVInPlaceILin1ELin1ELi128ELi8EaljEEvNS_4cuda6detail10TensorInfoIT3_T5_EES6_S6_S6_NS4_IT4_S6_EES6_b.numbered_sgpr, 24
	.set _ZN2at6native18radixSortKVInPlaceILin1ELin1ELi128ELi8EaljEEvNS_4cuda6detail10TensorInfoIT3_T5_EES6_S6_S6_NS4_IT4_S6_EES6_b.num_named_barrier, 0
	.set _ZN2at6native18radixSortKVInPlaceILin1ELin1ELi128ELi8EaljEEvNS_4cuda6detail10TensorInfoIT3_T5_EES6_S6_S6_NS4_IT4_S6_EES6_b.private_seg_size, 0
	.set _ZN2at6native18radixSortKVInPlaceILin1ELin1ELi128ELi8EaljEEvNS_4cuda6detail10TensorInfoIT3_T5_EES6_S6_S6_NS4_IT4_S6_EES6_b.uses_vcc, 1
	.set _ZN2at6native18radixSortKVInPlaceILin1ELin1ELi128ELi8EaljEEvNS_4cuda6detail10TensorInfoIT3_T5_EES6_S6_S6_NS4_IT4_S6_EES6_b.uses_flat_scratch, 0
	.set _ZN2at6native18radixSortKVInPlaceILin1ELin1ELi128ELi8EaljEEvNS_4cuda6detail10TensorInfoIT3_T5_EES6_S6_S6_NS4_IT4_S6_EES6_b.has_dyn_sized_stack, 0
	.set _ZN2at6native18radixSortKVInPlaceILin1ELin1ELi128ELi8EaljEEvNS_4cuda6detail10TensorInfoIT3_T5_EES6_S6_S6_NS4_IT4_S6_EES6_b.has_recursion, 0
	.set _ZN2at6native18radixSortKVInPlaceILin1ELin1ELi128ELi8EaljEEvNS_4cuda6detail10TensorInfoIT3_T5_EES6_S6_S6_NS4_IT4_S6_EES6_b.has_indirect_call, 0
	.section	.AMDGPU.csdata,"",@progbits
; Kernel info:
; codeLenInByte = 13632
; TotalNumSgprs: 26
; NumVgprs: 114
; ScratchSize: 0
; MemoryBound: 0
; FloatMode: 240
; IeeeMode: 1
; LDSByteSize: 8448 bytes/workgroup (compile time only)
; SGPRBlocks: 0
; VGPRBlocks: 14
; NumSGPRsForWavesPerEU: 26
; NumVGPRsForWavesPerEU: 114
; Occupancy: 12
; WaveLimiterHint : 1
; COMPUTE_PGM_RSRC2:SCRATCH_EN: 0
; COMPUTE_PGM_RSRC2:USER_SGPR: 2
; COMPUTE_PGM_RSRC2:TRAP_HANDLER: 0
; COMPUTE_PGM_RSRC2:TGID_X_EN: 1
; COMPUTE_PGM_RSRC2:TGID_Y_EN: 1
; COMPUTE_PGM_RSRC2:TGID_Z_EN: 1
; COMPUTE_PGM_RSRC2:TIDIG_COMP_CNT: 2
	.section	.text._ZN2at6native18radixSortKVInPlaceILin1ELin1ELi32ELi4EaljEEvNS_4cuda6detail10TensorInfoIT3_T5_EES6_S6_S6_NS4_IT4_S6_EES6_b,"axG",@progbits,_ZN2at6native18radixSortKVInPlaceILin1ELin1ELi32ELi4EaljEEvNS_4cuda6detail10TensorInfoIT3_T5_EES6_S6_S6_NS4_IT4_S6_EES6_b,comdat
	.protected	_ZN2at6native18radixSortKVInPlaceILin1ELin1ELi32ELi4EaljEEvNS_4cuda6detail10TensorInfoIT3_T5_EES6_S6_S6_NS4_IT4_S6_EES6_b ; -- Begin function _ZN2at6native18radixSortKVInPlaceILin1ELin1ELi32ELi4EaljEEvNS_4cuda6detail10TensorInfoIT3_T5_EES6_S6_S6_NS4_IT4_S6_EES6_b
	.globl	_ZN2at6native18radixSortKVInPlaceILin1ELin1ELi32ELi4EaljEEvNS_4cuda6detail10TensorInfoIT3_T5_EES6_S6_S6_NS4_IT4_S6_EES6_b
	.p2align	8
	.type	_ZN2at6native18radixSortKVInPlaceILin1ELin1ELi32ELi4EaljEEvNS_4cuda6detail10TensorInfoIT3_T5_EES6_S6_S6_NS4_IT4_S6_EES6_b,@function
_ZN2at6native18radixSortKVInPlaceILin1ELin1ELi32ELi4EaljEEvNS_4cuda6detail10TensorInfoIT3_T5_EES6_S6_S6_NS4_IT4_S6_EES6_b: ; @_ZN2at6native18radixSortKVInPlaceILin1ELin1ELi32ELi4EaljEEvNS_4cuda6detail10TensorInfoIT3_T5_EES6_S6_S6_NS4_IT4_S6_EES6_b
; %bb.0:
	s_clause 0x1
	s_load_b64 s[2:3], s[0:1], 0x1c8
	s_load_b96 s[8:10], s[0:1], 0xd8
	s_lshr_b32 s4, ttmp7, 16
	s_wait_kmcnt 0x0
	s_mul_i32 s3, s3, s4
	s_and_b32 s4, ttmp7, 0xffff
	s_delay_alu instid0(SALU_CYCLE_1) | instskip(NEXT) | instid1(SALU_CYCLE_1)
	s_add_co_i32 s3, s3, s4
	s_mul_i32 s2, s3, s2
	s_delay_alu instid0(SALU_CYCLE_1) | instskip(NEXT) | instid1(SALU_CYCLE_1)
	s_add_co_i32 s11, s2, ttmp9
	s_cmp_ge_u32 s11, s8
	s_cbranch_scc1 .LBB113_57
; %bb.1:
	s_load_b32 s4, s[0:1], 0xd0
	s_mov_b32 s3, 0
	s_mov_b32 s2, s11
	s_wait_kmcnt 0x0
	s_cmp_lt_i32 s4, 2
	s_cbranch_scc1 .LBB113_4
; %bb.2:
	s_add_co_i32 s2, s4, -1
	s_delay_alu instid0(SALU_CYCLE_1)
	s_lshl_b64 s[6:7], s[2:3], 2
	s_mov_b32 s2, s11
	s_add_nc_u64 s[12:13], s[0:1], s[6:7]
	s_add_co_i32 s6, s4, 1
	s_add_nc_u64 s[4:5], s[12:13], 8
.LBB113_3:                              ; =>This Inner Loop Header: Depth=1
	s_clause 0x1
	s_load_b32 s7, s[4:5], 0x0
	s_load_b32 s8, s[4:5], 0x64
	s_mov_b32 s14, s2
	s_add_nc_u64 s[4:5], s[4:5], -4
	s_wait_kmcnt 0x0
	s_cvt_f32_u32 s12, s7
	s_sub_co_i32 s13, 0, s7
	s_wait_alu 0xfffe
	s_delay_alu instid0(SALU_CYCLE_1) | instskip(NEXT) | instid1(TRANS32_DEP_1)
	v_rcp_iflag_f32_e32 v1, s12
	v_readfirstlane_b32 s12, v1
	s_mul_f32 s12, s12, 0x4f7ffffe
	s_wait_alu 0xfffe
	s_delay_alu instid0(SALU_CYCLE_2) | instskip(SKIP_1) | instid1(SALU_CYCLE_2)
	s_cvt_u32_f32 s12, s12
	s_wait_alu 0xfffe
	s_mul_i32 s13, s13, s12
	s_wait_alu 0xfffe
	s_mul_hi_u32 s13, s12, s13
	s_wait_alu 0xfffe
	s_add_co_i32 s12, s12, s13
	s_wait_alu 0xfffe
	s_mul_hi_u32 s2, s2, s12
	s_delay_alu instid0(SALU_CYCLE_1)
	s_mul_i32 s12, s2, s7
	s_add_co_i32 s13, s2, 1
	s_wait_alu 0xfffe
	s_sub_co_i32 s12, s14, s12
	s_wait_alu 0xfffe
	s_sub_co_i32 s15, s12, s7
	s_cmp_ge_u32 s12, s7
	s_cselect_b32 s2, s13, s2
	s_cselect_b32 s12, s15, s12
	s_add_co_i32 s13, s2, 1
	s_wait_alu 0xfffe
	s_cmp_ge_u32 s12, s7
	s_cselect_b32 s2, s13, s2
	s_add_co_i32 s6, s6, -1
	s_mul_i32 s7, s2, s7
	s_delay_alu instid0(SALU_CYCLE_1) | instskip(NEXT) | instid1(SALU_CYCLE_1)
	s_sub_co_i32 s7, s14, s7
	s_mul_i32 s7, s8, s7
	s_delay_alu instid0(SALU_CYCLE_1)
	s_add_co_i32 s3, s7, s3
	s_cmp_gt_u32 s6, 2
	s_cbranch_scc1 .LBB113_3
.LBB113_4:
	s_load_b32 s6, s[0:1], 0x1b8
	s_add_nc_u64 s[18:19], s[0:1], 0x1c8
	s_mov_b32 s5, 0
	s_wait_kmcnt 0x0
	s_cmp_lt_i32 s6, 2
	s_cbranch_scc1 .LBB113_7
; %bb.5:
	s_add_co_i32 s4, s6, -1
	s_delay_alu instid0(SALU_CYCLE_1)
	s_lshl_b64 s[12:13], s[4:5], 2
	s_add_co_i32 s4, s6, 1
	s_wait_alu 0xfffe
	s_add_nc_u64 s[12:13], s[0:1], s[12:13]
	s_wait_alu 0xfffe
	s_add_nc_u64 s[6:7], s[12:13], 0xf0
.LBB113_6:                              ; =>This Inner Loop Header: Depth=1
	s_clause 0x1
	s_load_b32 s8, s[6:7], 0x0
	s_load_b32 s12, s[6:7], 0x64
	s_mov_b32 s15, s11
	s_add_nc_u64 s[6:7], s[6:7], -4
	s_wait_kmcnt 0x0
	s_cvt_f32_u32 s13, s8
	s_sub_co_i32 s14, 0, s8
	s_wait_alu 0xfffe
	s_delay_alu instid0(SALU_CYCLE_1) | instskip(NEXT) | instid1(TRANS32_DEP_1)
	v_rcp_iflag_f32_e32 v1, s13
	v_readfirstlane_b32 s13, v1
	s_mul_f32 s13, s13, 0x4f7ffffe
	s_wait_alu 0xfffe
	s_delay_alu instid0(SALU_CYCLE_2) | instskip(SKIP_1) | instid1(SALU_CYCLE_2)
	s_cvt_u32_f32 s13, s13
	s_wait_alu 0xfffe
	s_mul_i32 s14, s14, s13
	s_delay_alu instid0(SALU_CYCLE_1) | instskip(NEXT) | instid1(SALU_CYCLE_1)
	s_mul_hi_u32 s14, s13, s14
	s_add_co_i32 s13, s13, s14
	s_wait_alu 0xfffe
	s_mul_hi_u32 s11, s11, s13
	s_delay_alu instid0(SALU_CYCLE_1)
	s_mul_i32 s13, s11, s8
	s_add_co_i32 s14, s11, 1
	s_wait_alu 0xfffe
	s_sub_co_i32 s13, s15, s13
	s_wait_alu 0xfffe
	s_sub_co_i32 s16, s13, s8
	s_cmp_ge_u32 s13, s8
	s_cselect_b32 s11, s14, s11
	s_cselect_b32 s13, s16, s13
	s_add_co_i32 s14, s11, 1
	s_wait_alu 0xfffe
	s_cmp_ge_u32 s13, s8
	s_cselect_b32 s11, s14, s11
	s_add_co_i32 s4, s4, -1
	s_mul_i32 s8, s11, s8
	s_delay_alu instid0(SALU_CYCLE_1) | instskip(NEXT) | instid1(SALU_CYCLE_1)
	s_sub_co_i32 s8, s15, s8
	s_mul_i32 s8, s12, s8
	s_delay_alu instid0(SALU_CYCLE_1)
	s_add_co_i32 s5, s8, s5
	s_cmp_gt_u32 s4, 2
	s_cbranch_scc1 .LBB113_6
.LBB113_7:
	s_clause 0x2
	s_load_b32 s4, s[0:1], 0x6c
	s_load_b64 s[12:13], s[0:1], 0x1c0
	s_load_b64 s[6:7], s[0:1], 0x0
	s_movk_i32 s15, 0x8000
	s_wait_kmcnt 0x0
	s_mul_i32 s2, s4, s2
	s_mov_b32 s4, 0xff80
	s_add_co_i32 s14, s2, s3
	s_bitcmp1_b32 s13, 0
	s_movk_i32 s2, 0x80
	s_cselect_b32 s8, -1, 0
	s_delay_alu instid0(SALU_CYCLE_1) | instskip(SKIP_3) | instid1(SALU_CYCLE_1)
	s_and_b32 s3, s8, exec_lo
	s_cselect_b32 s3, s15, 0x7f00
	s_cselect_b32 s2, s2, 0x7f
	;; [unrolled: 1-line block ×3, first 2 shown]
	v_dual_mov_b32 v2, s4 :: v_dual_and_b32 v11, 0x3ff, v0
	s_or_b32 s2, s2, s3
	s_mov_b32 s15, 0
	s_and_b32 s3, s2, 0xffff
	s_lshl_b32 s2, s2, 16
	v_mul_lo_u32 v20, s10, v11
	s_or_b32 s3, s3, s2
	v_cmp_gt_u32_e64 s2, s9, v11
	v_mov_b32_e32 v1, s3
	s_add_nc_u64 s[14:15], s[6:7], s[14:15]
	s_and_saveexec_b32 s4, s2
	s_cbranch_execz .LBB113_9
; %bb.8:
	global_load_u8 v2, v20, s[14:15]
	s_wait_loadcnt 0x0
	v_perm_b32 v1, v2, s3, 0x3020104
.LBB113_9:
	s_wait_alu 0xfffe
	s_or_b32 exec_lo, exec_lo, s4
	v_add_nc_u32_e32 v5, 32, v11
	s_delay_alu instid0(VALU_DEP_1)
	v_cmp_gt_u32_e64 s4, s9, v5
	s_and_saveexec_b32 s3, s4
	s_cbranch_execz .LBB113_11
; %bb.10:
	v_mul_lo_u32 v3, s10, v5
	global_load_u8 v3, v3, s[14:15]
	s_wait_loadcnt 0x0
	v_perm_b32 v1, v1, v3, 0x7060004
.LBB113_11:
	s_wait_alu 0xfffe
	s_or_b32 exec_lo, exec_lo, s3
	v_add_nc_u32_e32 v16, 64, v11
	s_delay_alu instid0(VALU_DEP_1)
	v_cmp_gt_u32_e64 s3, s9, v16
	s_and_saveexec_b32 s6, s3
	s_cbranch_execz .LBB113_13
; %bb.12:
	v_mul_lo_u32 v3, s10, v16
	global_load_u8 v3, v3, s[14:15]
	s_wait_loadcnt 0x0
	v_perm_b32 v1, v1, v3, 0x7000504
.LBB113_13:
	s_or_b32 exec_lo, exec_lo, s6
	s_clause 0x1
	s_load_b32 s13, s[0:1], 0x154
	s_load_b64 s[6:7], s[0:1], 0xe8
	v_add_nc_u32_e32 v14, 0x60, v11
	s_delay_alu instid0(VALU_DEP_1)
	v_cmp_gt_u32_e64 s0, s9, v14
	s_and_saveexec_b32 s1, s0
	s_cbranch_execz .LBB113_15
; %bb.14:
	v_mul_lo_u32 v3, s10, v14
	global_load_u8 v3, v3, s[14:15]
	s_wait_loadcnt 0x0
	v_perm_b32 v1, v1, v3, 0x60504
.LBB113_15:
	s_or_b32 exec_lo, exec_lo, s1
	v_lshrrev_b32_e32 v13, 5, v5
	v_lshrrev_b32_e32 v12, 5, v11
	;; [unrolled: 1-line block ×5, first 2 shown]
	v_and_b32_e32 v6, 60, v13
	v_and_b32_e32 v4, 28, v12
	;; [unrolled: 1-line block ×3, first 2 shown]
	v_lshlrev_b32_e32 v31, 2, v11
	v_lshrrev_b32_e32 v3, 8, v1
	v_add_nc_u32_e32 v22, v6, v11
	v_and_b32_e32 v6, 0x7c, v18
	v_add_nc_u32_e32 v21, v4, v11
	v_and_b32_e32 v4, 60, v17
	v_add_nc_u32_e32 v23, v7, v11
	v_lshrrev_b32_e32 v7, 24, v1
	v_add_nc_u32_e32 v25, v6, v31
	ds_store_b8 v21, v2
	ds_store_b8 v22, v3 offset:32
	v_add_nc_u32_e32 v24, v4, v11
	ds_store_b8_d16_hi v23, v1 offset:64
	ds_store_b8 v24, v7 offset:96
	s_wait_dscnt 0x0
	; wave barrier
	global_inv scope:SCOPE_SE
	ds_load_b32 v36, v25
	s_wait_kmcnt 0x0
	s_mul_i32 s1, s13, s11
	v_mul_lo_u32 v9, s12, v11
	s_add_co_i32 s16, s1, s5
	s_mov_b32 s17, 0
	v_mov_b32_e32 v1, 0
	v_dual_mov_b32 v3, 0 :: v_dual_mov_b32 v2, 0
	v_mov_b32_e32 v4, 0
	s_lshl_b64 s[16:17], s[16:17], 3
	s_wait_loadcnt_dscnt 0x0
	s_add_nc_u64 s[16:17], s[6:7], s[16:17]
	; wave barrier
	global_inv scope:SCOPE_SE
	s_and_saveexec_b32 s1, s2
	s_cbranch_execz .LBB113_17
; %bb.16:
	v_mov_b32_e32 v10, 0
	s_delay_alu instid0(VALU_DEP_1) | instskip(NEXT) | instid1(VALU_DEP_1)
	v_lshlrev_b64_e32 v[3:4], 3, v[9:10]
	v_add_co_u32 v3, vcc_lo, s16, v3
	s_delay_alu instid0(VALU_DEP_1)
	v_add_co_ci_u32_e64 v4, null, s17, v4, vcc_lo
	global_load_b64 v[3:4], v[3:4], off
.LBB113_17:
	s_or_b32 exec_lo, exec_lo, s1
	s_and_saveexec_b32 s1, s4
	s_cbranch_execz .LBB113_19
; %bb.18:
	v_mul_lo_u32 v1, s12, v5
	v_mov_b32_e32 v2, 0
	s_delay_alu instid0(VALU_DEP_1) | instskip(NEXT) | instid1(VALU_DEP_1)
	v_lshlrev_b64_e32 v[1:2], 3, v[1:2]
	v_add_co_u32 v1, vcc_lo, s16, v1
	s_wait_alu 0xfffd
	s_delay_alu instid0(VALU_DEP_2)
	v_add_co_ci_u32_e64 v2, null, s17, v2, vcc_lo
	global_load_b64 v[1:2], v[1:2], off
.LBB113_19:
	s_or_b32 exec_lo, exec_lo, s1
	v_mov_b32_e32 v5, 0
	v_dual_mov_b32 v6, 0 :: v_dual_mov_b32 v7, 0
	v_mov_b32_e32 v8, 0
	s_and_saveexec_b32 s1, s3
	s_cbranch_execz .LBB113_21
; %bb.20:
	v_mul_lo_u32 v7, s12, v16
	v_mov_b32_e32 v8, 0
	s_delay_alu instid0(VALU_DEP_1) | instskip(NEXT) | instid1(VALU_DEP_1)
	v_lshlrev_b64_e32 v[7:8], 3, v[7:8]
	v_add_co_u32 v7, vcc_lo, s16, v7
	s_wait_alu 0xfffd
	s_delay_alu instid0(VALU_DEP_2)
	v_add_co_ci_u32_e64 v8, null, s17, v8, vcc_lo
	global_load_b64 v[7:8], v[7:8], off
.LBB113_21:
	s_or_b32 exec_lo, exec_lo, s1
	s_xor_b32 s7, s8, -1
	s_and_saveexec_b32 s1, s0
	s_cbranch_execz .LBB113_23
; %bb.22:
	v_mul_lo_u32 v5, s12, v14
	v_mov_b32_e32 v6, 0
	s_delay_alu instid0(VALU_DEP_1) | instskip(NEXT) | instid1(VALU_DEP_1)
	v_lshlrev_b64_e32 v[5:6], 3, v[5:6]
	v_add_co_u32 v5, vcc_lo, s16, v5
	s_wait_alu 0xfffd
	s_delay_alu instid0(VALU_DEP_2)
	v_add_co_ci_u32_e64 v6, null, s17, v6, vcc_lo
	global_load_b64 v[5:6], v[5:6], off
.LBB113_23:
	s_or_b32 exec_lo, exec_lo, s1
	v_lshlrev_b32_e32 v14, 3, v11
	v_lshlrev_b32_e32 v10, 3, v31
	v_mbcnt_lo_u32_b32 v32, -1, 0
	v_lshrrev_b32_e32 v38, 24, v36
	v_lshrrev_b32_e32 v39, 16, v36
	v_lshl_add_u32 v26, v12, 3, v14
	v_lshl_add_u32 v30, v18, 3, v10
	;; [unrolled: 1-line block ×5, first 2 shown]
	s_wait_loadcnt 0x0
	ds_store_b64 v26, v[3:4]
	ds_store_b64 v27, v[1:2] offset:256
	ds_store_b64 v28, v[7:8] offset:512
	;; [unrolled: 1-line block ×3, first 2 shown]
	s_wait_dscnt 0x0
	; wave barrier
	global_inv scope:SCOPE_SE
	ds_load_2addr_b64 v[5:8], v30 offset1:1
	ds_load_2addr_b64 v[1:4], v30 offset0:2 offset1:3
	v_and_b32_e32 v37, 3, v32
	v_lshrrev_b32_e32 v40, 8, v36
	v_and_b32_e32 v34, 28, v32
	s_and_b32 vcc_lo, exec_lo, s7
	v_bfe_u32 v35, v0, 10, 10
	v_cmp_eq_u32_e64 s6, 0, v37
	v_cmp_eq_u32_e64 s5, 1, v37
	;; [unrolled: 1-line block ×3, first 2 shown]
	v_bfe_u32 v0, v0, 20, 10
	v_cmp_eq_u32_e64 s7, 3, v37
	v_lshlrev_b32_e32 v33, 5, v11
	s_mov_b32 s8, -1
	; wave barrier
	s_wait_loadcnt_dscnt 0x0
	global_inv scope:SCOPE_SE
                                        ; implicit-def: $vgpr12
	s_wait_alu 0xfffe
	s_cbranch_vccz .LBB113_35
; %bb.24:
	v_xor_b32_e32 v12, 0x80, v36
	v_xor_b32_e32 v13, 0x80, v40
	;; [unrolled: 1-line block ×4, first 2 shown]
	s_getpc_b64 s[8:9]
	s_wait_alu 0xfffe
	s_sext_i32_i16 s9, s9
	s_add_co_u32 s8, s8, _ZN7rocprim17ROCPRIM_400000_NS16block_radix_sortIaLj32ELj4ElLj1ELj1ELj0ELNS0_26block_radix_rank_algorithmE1ELNS0_18block_padding_hintE2ELNS0_4arch9wavefront6targetE0EE19radix_bits_per_passE@rel32@lo+12
	s_wait_alu 0xfffe
	s_add_co_ci_u32 s9, s9, _ZN7rocprim17ROCPRIM_400000_NS16block_radix_sortIaLj32ELj4ElLj1ELj1ELj0ELNS0_26block_radix_rank_algorithmE1ELNS0_18block_padding_hintE2ELNS0_4arch9wavefront6targetE0EE19radix_bits_per_passE@rel32@hi+24
	v_and_b32_e32 v12, 0xff, v12
	v_and_b32_e32 v13, 0xff, v13
	;; [unrolled: 1-line block ×4, first 2 shown]
	s_load_b32 s8, s[8:9], 0x0
	ds_bpermute_b32 v15, v34, v12
	ds_bpermute_b32 v16, v34, v13
	;; [unrolled: 1-line block ×4, first 2 shown]
	ds_bpermute_b32 v41, v34, v12 offset:32
	; wave barrier
	s_wait_loadcnt_dscnt 0x0
	global_inv scope:SCOPE_SE
	s_load_b32 s11, s[18:19], 0xc
	ds_bpermute_b32 v48, v34, v5
	ds_bpermute_b32 v49, v34, v6
	;; [unrolled: 1-line block ×7, first 2 shown]
	ds_bpermute_b32 v45, v34, v5 offset:32
	ds_bpermute_b32 v65, v34, v6 offset:32
	;; [unrolled: 1-line block ×4, first 2 shown]
	s_wait_kmcnt 0x0
	s_min_u32 s8, s8, 8
	v_and_b32_e32 v15, 0xff, v15
	v_and_b32_e32 v16, 0xff, v16
	;; [unrolled: 1-line block ×3, first 2 shown]
	s_wait_alu 0xfffe
	s_lshl_b32 s8, -1, s8
	ds_bpermute_b32 v53, v34, v1 offset:32
	v_cndmask_b32_e64 v15, 0, v15, s6
	s_wait_alu 0xfffe
	s_not_b32 s9, s8
	s_lshr_b32 s8, s11, 16
	s_and_b32 s11, s11, 0xffff
	ds_bpermute_b32 v55, v34, v2 offset:32
	v_cndmask_b32_e64 v15, v15, v16, s5
	ds_bpermute_b32 v51, v34, v3 offset:32
	ds_bpermute_b32 v56, v34, v4 offset:32
	;; [unrolled: 1-line block ×4, first 2 shown]
	v_cndmask_b32_e64 v15, v15, v18, s1
	v_lshlrev_b16 v18, 8, v41
	ds_bpermute_b32 v41, v34, v3
	ds_bpermute_b32 v60, v34, v7 offset:64
	ds_bpermute_b32 v63, v34, v8 offset:64
	v_perm_b32 v16, v19, v15, 0x3020104
	ds_bpermute_b32 v57, v34, v1 offset:64
	ds_bpermute_b32 v61, v34, v2 offset:64
	ds_bpermute_b32 v46, v34, v3 offset:64
	ds_bpermute_b32 v58, v34, v4 offset:64
	v_cndmask_b32_e64 v15, v15, v16, s7
	ds_bpermute_b32 v16, v34, v13 offset:32
	ds_bpermute_b32 v66, v34, v5 offset:96
	;; [unrolled: 1-line block ×4, first 2 shown]
	v_and_b32_e32 v19, 0xff, v15
	ds_bpermute_b32 v73, v34, v8 offset:96
	ds_bpermute_b32 v72, v34, v2 offset:96
	v_or_b32_e32 v18, v19, v18
	ds_bpermute_b32 v19, v34, v14 offset:32
	v_and_b32_e32 v18, 0xffff, v18
	s_delay_alu instid0(VALU_DEP_1) | instskip(SKIP_2) | instid1(VALU_DEP_2)
	v_cndmask_b32_e64 v15, v15, v18, s6
	s_wait_dscnt 0x6
	v_lshlrev_b16 v16, 8, v16
	v_and_b32_e32 v18, 0xff, v15
	s_delay_alu instid0(VALU_DEP_1) | instskip(NEXT) | instid1(VALU_DEP_1)
	v_or_b32_e32 v16, v18, v16
	v_and_b32_e32 v16, 0xffff, v16
	s_delay_alu instid0(VALU_DEP_1) | instskip(NEXT) | instid1(VALU_DEP_1)
	v_and_or_b32 v16, 0xffff0000, v15, v16
	v_cndmask_b32_e64 v15, v15, v16, s5
	s_wait_dscnt 0x0
	v_lshlrev_b16 v16, 8, v19
	ds_bpermute_b32 v19, v34, v17 offset:32
	v_and_b32_e32 v18, 0xff, v15
	s_delay_alu instid0(VALU_DEP_1) | instskip(NEXT) | instid1(VALU_DEP_1)
	v_or_b32_e32 v16, v18, v16
	v_and_b32_e32 v16, 0xffff, v16
	s_delay_alu instid0(VALU_DEP_1) | instskip(NEXT) | instid1(VALU_DEP_1)
	v_and_or_b32 v16, 0xffff0000, v15, v16
	v_cndmask_b32_e64 v15, v15, v16, s1
	s_wait_dscnt 0x0
	v_lshlrev_b16 v16, 8, v19
	ds_bpermute_b32 v19, v34, v12 offset:64
	ds_bpermute_b32 v12, v34, v12 offset:96
	v_and_b32_e32 v18, 0xff, v15
	s_delay_alu instid0(VALU_DEP_1) | instskip(NEXT) | instid1(VALU_DEP_1)
	v_or_b32_e32 v16, v18, v16
	v_and_b32_e32 v16, 0xffff, v16
	s_delay_alu instid0(VALU_DEP_1) | instskip(SKIP_2) | instid1(VALU_DEP_2)
	v_and_or_b32 v16, 0xffff0000, v15, v16
	s_wait_dscnt 0x0
	v_lshlrev_b16 v12, 8, v12
	v_cndmask_b32_e64 v15, v15, v16, s7
	ds_bpermute_b32 v16, v34, v13 offset:64
	ds_bpermute_b32 v13, v34, v13 offset:96
	v_perm_b32 v18, v19, v15, 0xc0c0304
	s_delay_alu instid0(VALU_DEP_1) | instskip(NEXT) | instid1(VALU_DEP_1)
	v_lshlrev_b32_e32 v18, 16, v18
	v_and_or_b32 v18, 0xffff, v15, v18
	s_delay_alu instid0(VALU_DEP_1)
	v_cndmask_b32_e64 v15, v15, v18, s6
	ds_bpermute_b32 v18, v34, v14 offset:64
	s_wait_dscnt 0x1
	v_lshlrev_b16 v13, 8, v13
	ds_bpermute_b32 v14, v34, v14 offset:96
	v_perm_b32 v16, v16, v15, 0xc0c0304
	s_delay_alu instid0(VALU_DEP_1) | instskip(NEXT) | instid1(VALU_DEP_1)
	v_lshlrev_b32_e32 v16, 16, v16
	v_and_or_b32 v16, 0xffff, v15, v16
	s_delay_alu instid0(VALU_DEP_1) | instskip(SKIP_4) | instid1(VALU_DEP_1)
	v_cndmask_b32_e64 v15, v15, v16, s5
	ds_bpermute_b32 v16, v34, v17 offset:64
	s_wait_dscnt 0x1
	v_lshlrev_b16 v14, 8, v14
	v_perm_b32 v18, v18, v15, 0xc0c0304
	v_lshlrev_b32_e32 v18, 16, v18
	s_delay_alu instid0(VALU_DEP_1) | instskip(NEXT) | instid1(VALU_DEP_1)
	v_and_or_b32 v18, 0xffff, v15, v18
	v_cndmask_b32_e64 v15, v15, v18, s1
	s_wait_dscnt 0x0
	s_delay_alu instid0(VALU_DEP_1) | instskip(NEXT) | instid1(VALU_DEP_1)
	v_perm_b32 v16, v16, v15, 0xc0c0304
	v_lshlrev_b32_e32 v16, 16, v16
	s_delay_alu instid0(VALU_DEP_1) | instskip(NEXT) | instid1(VALU_DEP_1)
	v_and_or_b32 v16, 0xffff, v15, v16
	v_cndmask_b32_e64 v15, v15, v16, s7
	s_delay_alu instid0(VALU_DEP_1) | instskip(NEXT) | instid1(VALU_DEP_1)
	v_lshrrev_b32_e32 v16, 16, v15
	v_and_b32_e32 v16, 0xff, v16
	s_delay_alu instid0(VALU_DEP_1) | instskip(NEXT) | instid1(VALU_DEP_1)
	v_or_b32_e32 v12, v16, v12
	v_lshlrev_b32_e32 v12, 16, v12
	s_delay_alu instid0(VALU_DEP_1) | instskip(NEXT) | instid1(VALU_DEP_1)
	v_and_or_b32 v12, 0xffff, v15, v12
	v_cndmask_b32_e64 v12, v15, v12, s6
	s_delay_alu instid0(VALU_DEP_1) | instskip(NEXT) | instid1(VALU_DEP_1)
	v_lshrrev_b32_e32 v15, 16, v12
	v_and_b32_e32 v15, 0xff, v15
	s_delay_alu instid0(VALU_DEP_1) | instskip(NEXT) | instid1(VALU_DEP_1)
	v_or_b32_e32 v13, v15, v13
	v_lshlrev_b32_e32 v13, 16, v13
	s_delay_alu instid0(VALU_DEP_1) | instskip(NEXT) | instid1(VALU_DEP_1)
	v_and_or_b32 v13, 0xffff, v12, v13
	v_cndmask_b32_e64 v12, v12, v13, s5
	s_delay_alu instid0(VALU_DEP_1) | instskip(NEXT) | instid1(VALU_DEP_1)
	v_lshrrev_b32_e32 v13, 16, v12
	v_and_b32_e32 v13, 0xff, v13
	s_delay_alu instid0(VALU_DEP_1) | instskip(SKIP_2) | instid1(VALU_DEP_1)
	v_or_b32_e32 v13, v13, v14
	ds_bpermute_b32 v14, v34, v17 offset:96
	v_lshlrev_b32_e32 v13, 16, v13
	v_and_or_b32 v13, 0xffff, v12, v13
	s_delay_alu instid0(VALU_DEP_1) | instskip(NEXT) | instid1(VALU_DEP_1)
	v_cndmask_b32_e64 v12, v12, v13, s1
	v_lshrrev_b32_e32 v13, 16, v12
	s_wait_dscnt 0x0
	v_lshlrev_b16 v14, 8, v14
	s_delay_alu instid0(VALU_DEP_2) | instskip(NEXT) | instid1(VALU_DEP_1)
	v_and_b32_e32 v13, 0xff, v13
	v_or_b32_e32 v13, v13, v14
	s_delay_alu instid0(VALU_DEP_1) | instskip(NEXT) | instid1(VALU_DEP_1)
	v_lshlrev_b32_e32 v13, 16, v13
	v_and_or_b32 v13, 0xffff, v12, v13
	s_delay_alu instid0(VALU_DEP_1) | instskip(SKIP_2) | instid1(VALU_DEP_2)
	v_cndmask_b32_e64 v68, v12, v13, s7
	s_wait_alu 0xfffe
	v_mad_u32_u24 v12, v0, s8, v35
	v_and_b32_e32 v14, s9, v68
	s_delay_alu instid0(VALU_DEP_1)
	v_and_b32_e32 v13, 1, v14
	v_lshlrev_b32_e32 v15, 30, v14
	v_lshlrev_b32_e32 v16, 29, v14
	;; [unrolled: 1-line block ×4, first 2 shown]
	v_add_co_u32 v13, s8, v13, -1
	s_wait_alu 0xf1ff
	v_cndmask_b32_e64 v18, 0, 1, s8
	v_not_b32_e32 v71, v15
	v_cmp_gt_i32_e64 s8, 0, v15
	v_not_b32_e32 v15, v16
	v_lshlrev_b32_e32 v69, 26, v14
	v_cmp_ne_u32_e32 vcc_lo, 0, v18
	v_ashrrev_i32_e32 v71, 31, v71
	v_lshlrev_b32_e32 v70, 25, v14
	v_ashrrev_i32_e32 v15, 31, v15
	v_lshlrev_b32_e32 v18, 24, v14
	s_wait_alu 0xfffd
	v_xor_b32_e32 v13, vcc_lo, v13
	v_cmp_gt_i32_e32 vcc_lo, 0, v16
	v_not_b32_e32 v16, v17
	s_wait_alu 0xf1ff
	v_xor_b32_e32 v71, s8, v71
	v_cmp_gt_i32_e64 s8, 0, v17
	v_and_b32_e32 v13, exec_lo, v13
	v_not_b32_e32 v17, v19
	v_ashrrev_i32_e32 v16, 31, v16
	s_wait_alu 0xfffd
	v_xor_b32_e32 v15, vcc_lo, v15
	v_cmp_gt_i32_e32 vcc_lo, 0, v19
	v_and_b32_e32 v13, v13, v71
	v_not_b32_e32 v19, v69
	v_ashrrev_i32_e32 v17, 31, v17
	s_wait_alu 0xf1ff
	v_xor_b32_e32 v16, s8, v16
	v_cmp_gt_i32_e64 s8, 0, v69
	v_and_b32_e32 v13, v13, v15
	v_not_b32_e32 v15, v70
	v_ashrrev_i32_e32 v19, 31, v19
	s_wait_alu 0xfffd
	v_xor_b32_e32 v17, vcc_lo, v17
	v_cmp_gt_i32_e32 vcc_lo, 0, v70
	v_and_b32_e32 v13, v13, v16
	v_not_b32_e32 v16, v18
	v_ashrrev_i32_e32 v15, 31, v15
	s_wait_alu 0xf1ff
	v_xor_b32_e32 v19, s8, v19
	v_cmp_gt_i32_e64 s8, 0, v18
	v_and_b32_e32 v17, v13, v17
	v_mad_co_u64_u32 v[12:13], null, v12, s11, v[11:12]
	v_ashrrev_i32_e32 v13, 31, v16
	s_wait_alu 0xfffd
	v_xor_b32_e32 v15, vcc_lo, v15
	v_and_b32_e32 v16, v17, v19
	ds_bpermute_b32 v70, v34, v1 offset:96
	ds_bpermute_b32 v69, v34, v3 offset:96
	s_wait_alu 0xf1ff
	v_xor_b32_e32 v13, s8, v13
	ds_bpermute_b32 v71, v34, v4 offset:96
	v_and_b32_e32 v15, v16, v15
	v_lshrrev_b32_e32 v12, 3, v12
	v_and_b32_e32 v14, 0xff, v14
	s_delay_alu instid0(VALU_DEP_3) | instskip(NEXT) | instid1(VALU_DEP_3)
	v_and_b32_e32 v13, v15, v13
	v_dual_mov_b32 v15, 0 :: v_dual_and_b32 v12, 0x1ffffffc, v12
	ds_store_2addr_b32 v33, v15, v15 offset0:1 offset1:2
	ds_store_2addr_b32 v33, v15, v15 offset0:3 offset1:4
	;; [unrolled: 1-line block ×4, first 2 shown]
	v_mbcnt_lo_u32_b32 v74, v13, 0
	v_cmp_ne_u32_e64 s8, 0, v13
	v_lshl_add_u32 v76, v14, 2, v12
	; wave barrier
	s_wait_loadcnt_dscnt 0x0
	global_inv scope:SCOPE_SE
	v_cmp_eq_u32_e32 vcc_lo, 0, v74
	; wave barrier
	s_and_b32 s11, s8, vcc_lo
	s_wait_alu 0xfffe
	s_and_saveexec_b32 s8, s11
; %bb.25:
	v_bcnt_u32_b32 v13, v13, 0
	ds_store_b32 v76, v13 offset:4
; %bb.26:
	s_wait_alu 0xfffe
	s_or_b32 exec_lo, exec_lo, s8
	v_lshrrev_b32_e32 v75, 8, v68
	; wave barrier
	s_delay_alu instid0(VALU_DEP_1) | instskip(NEXT) | instid1(VALU_DEP_1)
	v_and_b32_e32 v13, s9, v75
	v_and_b32_e32 v14, 1, v13
	v_lshlrev_b32_e32 v15, 30, v13
	v_lshlrev_b32_e32 v16, 29, v13
	;; [unrolled: 1-line block ×4, first 2 shown]
	v_add_co_u32 v14, s8, v14, -1
	s_wait_alu 0xf1ff
	v_cndmask_b32_e64 v18, 0, 1, s8
	v_not_b32_e32 v79, v15
	v_cmp_gt_i32_e64 s8, 0, v15
	v_not_b32_e32 v15, v16
	v_lshlrev_b32_e32 v77, 26, v13
	v_cmp_ne_u32_e32 vcc_lo, 0, v18
	v_ashrrev_i32_e32 v79, 31, v79
	v_lshlrev_b32_e32 v78, 25, v13
	v_ashrrev_i32_e32 v15, 31, v15
	v_lshlrev_b32_e32 v18, 24, v13
	s_wait_alu 0xfffd
	v_xor_b32_e32 v14, vcc_lo, v14
	v_cmp_gt_i32_e32 vcc_lo, 0, v16
	v_not_b32_e32 v16, v17
	s_wait_alu 0xf1ff
	v_xor_b32_e32 v79, s8, v79
	v_cmp_gt_i32_e64 s8, 0, v17
	v_and_b32_e32 v14, exec_lo, v14
	v_not_b32_e32 v17, v19
	v_ashrrev_i32_e32 v16, 31, v16
	s_wait_alu 0xfffd
	v_xor_b32_e32 v15, vcc_lo, v15
	v_cmp_gt_i32_e32 vcc_lo, 0, v19
	v_and_b32_e32 v14, v14, v79
	v_not_b32_e32 v19, v77
	v_ashrrev_i32_e32 v17, 31, v17
	s_wait_alu 0xf1ff
	v_xor_b32_e32 v16, s8, v16
	v_cmp_gt_i32_e64 s8, 0, v77
	v_and_b32_e32 v14, v14, v15
	v_not_b32_e32 v15, v78
	v_ashrrev_i32_e32 v19, 31, v19
	s_wait_alu 0xfffd
	v_xor_b32_e32 v17, vcc_lo, v17
	v_cmp_gt_i32_e32 vcc_lo, 0, v78
	v_and_b32_e32 v14, v14, v16
	v_not_b32_e32 v16, v18
	v_ashrrev_i32_e32 v15, 31, v15
	s_wait_alu 0xf1ff
	v_xor_b32_e32 v19, s8, v19
	v_and_b32_e32 v13, 0xff, v13
	v_and_b32_e32 v14, v14, v17
	v_cmp_gt_i32_e64 s8, 0, v18
	v_ashrrev_i32_e32 v16, 31, v16
	s_wait_alu 0xfffd
	v_xor_b32_e32 v15, vcc_lo, v15
	v_lshl_add_u32 v79, v13, 2, v12
	v_and_b32_e32 v14, v14, v19
	s_wait_alu 0xf1ff
	v_xor_b32_e32 v13, s8, v16
	ds_load_b32 v77, v79 offset:4
	v_and_b32_e32 v14, v14, v15
	; wave barrier
	s_delay_alu instid0(VALU_DEP_1) | instskip(NEXT) | instid1(VALU_DEP_1)
	v_and_b32_e32 v13, v14, v13
	v_mbcnt_lo_u32_b32 v78, v13, 0
	v_cmp_ne_u32_e64 s8, 0, v13
	s_delay_alu instid0(VALU_DEP_2)
	v_cmp_eq_u32_e32 vcc_lo, 0, v78
	s_and_b32 s11, s8, vcc_lo
	s_wait_alu 0xfffe
	s_and_saveexec_b32 s8, s11
	s_cbranch_execz .LBB113_28
; %bb.27:
	s_wait_dscnt 0x0
	v_bcnt_u32_b32 v13, v13, v77
	ds_store_b32 v79, v13 offset:4
.LBB113_28:
	s_wait_alu 0xfffe
	s_or_b32 exec_lo, exec_lo, s8
	v_lshrrev_b32_e32 v80, 16, v68
	; wave barrier
	s_delay_alu instid0(VALU_DEP_1) | instskip(NEXT) | instid1(VALU_DEP_1)
	v_and_b32_e32 v13, s9, v80
	v_and_b32_e32 v14, 1, v13
	v_lshlrev_b32_e32 v15, 30, v13
	v_lshlrev_b32_e32 v16, 29, v13
	;; [unrolled: 1-line block ×4, first 2 shown]
	v_add_co_u32 v14, s8, v14, -1
	s_wait_alu 0xf1ff
	v_cndmask_b32_e64 v18, 0, 1, s8
	v_not_b32_e32 v83, v15
	v_cmp_gt_i32_e64 s8, 0, v15
	v_not_b32_e32 v15, v16
	v_lshlrev_b32_e32 v81, 26, v13
	v_cmp_ne_u32_e32 vcc_lo, 0, v18
	v_ashrrev_i32_e32 v83, 31, v83
	v_lshlrev_b32_e32 v82, 25, v13
	v_ashrrev_i32_e32 v15, 31, v15
	v_lshlrev_b32_e32 v18, 24, v13
	s_wait_alu 0xfffd
	v_xor_b32_e32 v14, vcc_lo, v14
	v_cmp_gt_i32_e32 vcc_lo, 0, v16
	v_not_b32_e32 v16, v17
	s_wait_alu 0xf1ff
	v_xor_b32_e32 v83, s8, v83
	v_cmp_gt_i32_e64 s8, 0, v17
	v_and_b32_e32 v14, exec_lo, v14
	v_not_b32_e32 v17, v19
	v_ashrrev_i32_e32 v16, 31, v16
	s_wait_alu 0xfffd
	v_xor_b32_e32 v15, vcc_lo, v15
	v_cmp_gt_i32_e32 vcc_lo, 0, v19
	v_and_b32_e32 v14, v14, v83
	v_not_b32_e32 v19, v81
	v_ashrrev_i32_e32 v17, 31, v17
	s_wait_alu 0xf1ff
	v_xor_b32_e32 v16, s8, v16
	v_cmp_gt_i32_e64 s8, 0, v81
	v_and_b32_e32 v14, v14, v15
	v_not_b32_e32 v15, v82
	v_ashrrev_i32_e32 v19, 31, v19
	s_wait_alu 0xfffd
	v_xor_b32_e32 v17, vcc_lo, v17
	v_cmp_gt_i32_e32 vcc_lo, 0, v82
	v_and_b32_e32 v14, v14, v16
	v_not_b32_e32 v16, v18
	v_ashrrev_i32_e32 v15, 31, v15
	s_wait_alu 0xf1ff
	v_xor_b32_e32 v19, s8, v19
	v_and_b32_e32 v13, 0xff, v13
	v_and_b32_e32 v14, v14, v17
	v_cmp_gt_i32_e64 s8, 0, v18
	v_ashrrev_i32_e32 v16, 31, v16
	s_wait_alu 0xfffd
	v_xor_b32_e32 v15, vcc_lo, v15
	v_lshl_add_u32 v83, v13, 2, v12
	v_and_b32_e32 v14, v14, v19
	s_wait_alu 0xf1ff
	v_xor_b32_e32 v13, s8, v16
	ds_load_b32 v81, v83 offset:4
	v_and_b32_e32 v14, v14, v15
	; wave barrier
	s_delay_alu instid0(VALU_DEP_1) | instskip(NEXT) | instid1(VALU_DEP_1)
	v_and_b32_e32 v13, v14, v13
	v_mbcnt_lo_u32_b32 v82, v13, 0
	v_cmp_ne_u32_e64 s8, 0, v13
	s_delay_alu instid0(VALU_DEP_2)
	v_cmp_eq_u32_e32 vcc_lo, 0, v82
	s_and_b32 s11, s8, vcc_lo
	s_wait_alu 0xfffe
	s_and_saveexec_b32 s8, s11
	s_cbranch_execz .LBB113_30
; %bb.29:
	s_wait_dscnt 0x0
	v_bcnt_u32_b32 v13, v13, v81
	ds_store_b32 v83, v13 offset:4
.LBB113_30:
	s_wait_alu 0xfffe
	s_or_b32 exec_lo, exec_lo, s8
	v_lshrrev_b32_e32 v84, 24, v68
	; wave barrier
	s_delay_alu instid0(VALU_DEP_1) | instskip(NEXT) | instid1(VALU_DEP_1)
	v_and_b32_e32 v13, s9, v84
	v_and_b32_e32 v14, 1, v13
	v_lshlrev_b32_e32 v15, 30, v13
	v_lshlrev_b32_e32 v16, 29, v13
	;; [unrolled: 1-line block ×4, first 2 shown]
	v_add_co_u32 v14, s8, v14, -1
	s_wait_alu 0xf1ff
	v_cndmask_b32_e64 v18, 0, 1, s8
	v_not_b32_e32 v87, v15
	v_cmp_gt_i32_e64 s8, 0, v15
	v_not_b32_e32 v15, v16
	v_lshlrev_b32_e32 v85, 26, v13
	v_cmp_ne_u32_e32 vcc_lo, 0, v18
	v_ashrrev_i32_e32 v87, 31, v87
	v_lshlrev_b32_e32 v86, 25, v13
	v_ashrrev_i32_e32 v15, 31, v15
	v_lshlrev_b32_e32 v18, 24, v13
	s_wait_alu 0xfffd
	v_xor_b32_e32 v14, vcc_lo, v14
	v_cmp_gt_i32_e32 vcc_lo, 0, v16
	v_not_b32_e32 v16, v17
	s_wait_alu 0xf1ff
	v_xor_b32_e32 v87, s8, v87
	v_cmp_gt_i32_e64 s8, 0, v17
	v_and_b32_e32 v14, exec_lo, v14
	v_not_b32_e32 v17, v19
	v_ashrrev_i32_e32 v16, 31, v16
	s_wait_alu 0xfffd
	v_xor_b32_e32 v15, vcc_lo, v15
	v_cmp_gt_i32_e32 vcc_lo, 0, v19
	v_and_b32_e32 v14, v14, v87
	v_not_b32_e32 v19, v85
	v_ashrrev_i32_e32 v17, 31, v17
	s_wait_alu 0xf1ff
	v_xor_b32_e32 v16, s8, v16
	v_cmp_gt_i32_e64 s8, 0, v85
	v_and_b32_e32 v14, v14, v15
	v_not_b32_e32 v15, v86
	v_ashrrev_i32_e32 v19, 31, v19
	s_wait_alu 0xfffd
	v_xor_b32_e32 v17, vcc_lo, v17
	v_cmp_gt_i32_e32 vcc_lo, 0, v86
	v_and_b32_e32 v14, v14, v16
	v_not_b32_e32 v16, v18
	v_ashrrev_i32_e32 v15, 31, v15
	s_wait_alu 0xf1ff
	v_xor_b32_e32 v19, s8, v19
	v_cmp_gt_i32_e64 s8, 0, v18
	v_and_b32_e32 v14, v14, v17
	v_ashrrev_i32_e32 v16, 31, v16
	s_wait_alu 0xfffd
	v_xor_b32_e32 v15, vcc_lo, v15
	v_lshl_add_u32 v87, v13, 2, v12
	v_and_b32_e32 v14, v14, v19
	s_wait_alu 0xf1ff
	v_xor_b32_e32 v12, s8, v16
	ds_load_b32 v85, v87 offset:4
	v_and_b32_e32 v13, v14, v15
	; wave barrier
	s_delay_alu instid0(VALU_DEP_1) | instskip(NEXT) | instid1(VALU_DEP_1)
	v_and_b32_e32 v12, v13, v12
	v_mbcnt_lo_u32_b32 v86, v12, 0
	v_cmp_ne_u32_e64 s8, 0, v12
	s_delay_alu instid0(VALU_DEP_2)
	v_cmp_eq_u32_e32 vcc_lo, 0, v86
	s_and_b32 s9, s8, vcc_lo
	s_wait_alu 0xfffe
	s_and_saveexec_b32 s8, s9
	s_cbranch_execz .LBB113_32
; %bb.31:
	s_wait_dscnt 0x0
	v_bcnt_u32_b32 v12, v12, v85
	ds_store_b32 v87, v12 offset:4
.LBB113_32:
	s_wait_alu 0xfffe
	s_or_b32 exec_lo, exec_lo, s8
	; wave barrier
	; wave barrier
	s_wait_loadcnt_dscnt 0x0
	global_inv scope:SCOPE_SE
	ds_load_2addr_b32 v[18:19], v33 offset0:1 offset1:2
	ds_load_2addr_b32 v[16:17], v33 offset0:3 offset1:4
	;; [unrolled: 1-line block ×4, first 2 shown]
	s_mov_b32 s8, exec_lo
	s_wait_dscnt 0x3
	v_add_nc_u32_e32 v88, v19, v18
	s_wait_dscnt 0x2
	s_delay_alu instid0(VALU_DEP_1) | instskip(SKIP_1) | instid1(VALU_DEP_1)
	v_add3_u32 v88, v88, v16, v17
	s_wait_dscnt 0x1
	v_add3_u32 v88, v88, v14, v15
	s_wait_dscnt 0x0
	s_delay_alu instid0(VALU_DEP_1) | instskip(SKIP_1) | instid1(VALU_DEP_2)
	v_add3_u32 v13, v88, v12, v13
	v_and_b32_e32 v88, 15, v32
	v_mov_b32_dpp v89, v13 row_shr:1 row_mask:0xf bank_mask:0xf
	s_delay_alu instid0(VALU_DEP_2) | instskip(SKIP_1) | instid1(VALU_DEP_2)
	v_cmp_ne_u32_e32 vcc_lo, 0, v88
	s_wait_alu 0xfffd
	v_cndmask_b32_e32 v89, 0, v89, vcc_lo
	v_cmp_lt_u32_e32 vcc_lo, 1, v88
	s_delay_alu instid0(VALU_DEP_2) | instskip(NEXT) | instid1(VALU_DEP_1)
	v_add_nc_u32_e32 v13, v89, v13
	v_mov_b32_dpp v89, v13 row_shr:2 row_mask:0xf bank_mask:0xf
	s_wait_alu 0xfffd
	s_delay_alu instid0(VALU_DEP_1) | instskip(SKIP_1) | instid1(VALU_DEP_2)
	v_cndmask_b32_e32 v89, 0, v89, vcc_lo
	v_cmp_lt_u32_e32 vcc_lo, 3, v88
	v_add_nc_u32_e32 v13, v13, v89
	s_delay_alu instid0(VALU_DEP_1) | instskip(SKIP_1) | instid1(VALU_DEP_1)
	v_mov_b32_dpp v89, v13 row_shr:4 row_mask:0xf bank_mask:0xf
	s_wait_alu 0xfffd
	v_cndmask_b32_e32 v89, 0, v89, vcc_lo
	v_cmp_lt_u32_e32 vcc_lo, 7, v88
	s_delay_alu instid0(VALU_DEP_2) | instskip(NEXT) | instid1(VALU_DEP_1)
	v_add_nc_u32_e32 v13, v13, v89
	v_mov_b32_dpp v89, v13 row_shr:8 row_mask:0xf bank_mask:0xf
	s_wait_alu 0xfffd
	s_delay_alu instid0(VALU_DEP_1) | instskip(SKIP_1) | instid1(VALU_DEP_2)
	v_cndmask_b32_e32 v88, 0, v89, vcc_lo
	v_bfe_i32 v89, v32, 4, 1
	v_add_nc_u32_e32 v13, v13, v88
	ds_swizzle_b32 v88, v13 offset:swizzle(BROADCAST,32,15)
	s_wait_dscnt 0x0
	v_and_b32_e32 v88, v89, v88
	s_delay_alu instid0(VALU_DEP_1)
	v_add_nc_u32_e32 v13, v13, v88
	v_cmpx_eq_u32_e32 31, v11
; %bb.33:
	v_mov_b32_e32 v88, 0
	ds_store_b32 v88, v13
; %bb.34:
	s_wait_alu 0xfffe
	s_or_b32 exec_lo, exec_lo, s8
	v_sub_co_u32 v88, s8, v32, 1
	; wave barrier
	s_wait_loadcnt_dscnt 0x0
	global_inv scope:SCOPE_SE
	v_cmp_gt_i32_e32 vcc_lo, 0, v88
	s_wait_alu 0xfffd
	v_cndmask_b32_e32 v88, v88, v32, vcc_lo
	v_cmp_eq_u32_e32 vcc_lo, 0, v11
	s_delay_alu instid0(VALU_DEP_2)
	v_lshlrev_b32_e32 v88, 2, v88
	s_or_b32 s8, vcc_lo, s8
	ds_bpermute_b32 v13, v88, v13
	s_wait_dscnt 0x0
	s_wait_alu 0xfffe
	v_cndmask_b32_e64 v13, v13, 0, s8
	s_mov_b32 s8, 0
	s_delay_alu instid0(VALU_DEP_1) | instskip(NEXT) | instid1(VALU_DEP_1)
	v_add_nc_u32_e32 v18, v13, v18
	v_add_nc_u32_e32 v19, v18, v19
	s_delay_alu instid0(VALU_DEP_1) | instskip(NEXT) | instid1(VALU_DEP_1)
	v_add_nc_u32_e32 v16, v19, v16
	v_add_nc_u32_e32 v17, v16, v17
	;; [unrolled: 3-line block ×3, first 2 shown]
	s_delay_alu instid0(VALU_DEP_1)
	v_add_nc_u32_e32 v12, v15, v12
	ds_store_2addr_b32 v33, v13, v18 offset0:1 offset1:2
	ds_store_2addr_b32 v33, v19, v16 offset0:3 offset1:4
	;; [unrolled: 1-line block ×4, first 2 shown]
	; wave barrier
	s_wait_loadcnt_dscnt 0x0
	global_inv scope:SCOPE_SE
	ds_load_b32 v12, v76 offset:4
	ds_load_b32 v13, v79 offset:4
	;; [unrolled: 1-line block ×4, first 2 shown]
	v_cndmask_b32_e64 v17, 0, v48, s6
	v_cndmask_b32_e64 v16, 0, v49, s6
	; wave barrier
	s_wait_loadcnt_dscnt 0x0
	global_inv scope:SCOPE_SE
	v_cndmask_b32_e64 v18, 0, v65, s6
	v_cndmask_b32_e64 v17, v17, v47, s5
	;; [unrolled: 1-line block ×3, first 2 shown]
	v_add_nc_u32_e32 v47, v12, v74
	v_add3_u32 v48, v78, v77, v13
	v_add3_u32 v49, v82, v81, v14
	;; [unrolled: 1-line block ×3, first 2 shown]
	ds_store_b8 v47, v68
	ds_store_b8 v48, v75
	;; [unrolled: 1-line block ×4, first 2 shown]
	; wave barrier
	s_wait_loadcnt_dscnt 0x0
	global_inv scope:SCOPE_SE
	ds_load_b32 v19, v31
	v_cndmask_b32_e64 v12, 0, v45, s6
	v_cndmask_b32_e64 v13, v16, v44, s1
	;; [unrolled: 1-line block ×19, first 2 shown]
	s_wait_dscnt 0x0
	v_lshrrev_b32_e32 v42, 16, v19
	v_xor_b32_e32 v16, 0x80, v19
	v_and_b32_e32 v19, 0xffffff00, v19
	v_cndmask_b32_e64 v41, v41, v73, s5
	v_cndmask_b32_e64 v43, v43, v70, s1
	v_xor_b32_e32 v44, 0x80, v42
	v_and_b32_e32 v45, 0xff, v16
	v_and_b32_e32 v42, 0xffffff00, v42
	v_cndmask_b32_e64 v41, v41, v72, s1
	v_cndmask_b32_e64 v16, v18, v46, s7
	v_and_b32_e32 v44, 0xff, v44
	v_or_b32_e32 v45, v45, v19
	v_cndmask_b32_e64 v18, v43, v69, s7
	v_cndmask_b32_e64 v15, v15, v55, s1
	;; [unrolled: 1-line block ×3, first 2 shown]
	v_or_b32_e32 v42, v44, v42
	v_add_nc_u16 v43, 0x8000, v45
	v_lshlrev_b32_e32 v41, 3, v47
	v_cndmask_b32_e64 v15, v15, v56, s7
	v_lshlrev_b32_e32 v44, 3, v48
	v_add_nc_u16 v42, 0x8000, v42
	v_and_b32_e32 v43, 0xffff, v43
	v_lshlrev_b32_e32 v45, 3, v49
	s_wait_loadcnt 0x0
	; wave barrier
	global_inv scope:SCOPE_SE
	v_lshlrev_b32_e32 v42, 16, v42
	ds_store_b64 v41, v[12:13]
	ds_store_b64 v44, v[14:15]
	v_lshlrev_b32_e32 v46, 3, v50
	ds_store_b64 v45, v[16:17]
	ds_store_b64 v46, v[18:19]
	v_or_b32_e32 v12, v43, v42
	; wave barrier
	s_wait_loadcnt_dscnt 0x0
	global_inv scope:SCOPE_SE
.LBB113_35:
	s_wait_alu 0xfffe
	s_and_b32 vcc_lo, exec_lo, s8
	s_wait_alu 0xfffe
	s_cbranch_vccz .LBB113_47
; %bb.36:
	v_xor_b32_e32 v12, 0x7f, v36
	v_xor_b32_e32 v13, 0x7f, v40
	;; [unrolled: 1-line block ×3, first 2 shown]
	v_cmp_eq_u32_e32 vcc_lo, 3, v37
	v_xor_b32_e32 v17, 0x7f, v38
	v_and_b32_e32 v12, 0xff, v12
	v_and_b32_e32 v13, 0xff, v13
	;; [unrolled: 1-line block ×3, first 2 shown]
	s_getpc_b64 s[8:9]
	s_wait_alu 0xfffe
	s_sext_i32_i16 s9, s9
	s_add_co_u32 s8, s8, _ZN7rocprim17ROCPRIM_400000_NS16block_radix_sortIaLj32ELj4ElLj1ELj1ELj0ELNS0_26block_radix_rank_algorithmE1ELNS0_18block_padding_hintE2ELNS0_4arch9wavefront6targetE0EE19radix_bits_per_passE@rel32@lo+12
	s_wait_alu 0xfffe
	s_add_co_ci_u32 s9, s9, _ZN7rocprim17ROCPRIM_400000_NS16block_radix_sortIaLj32ELj4ElLj1ELj1ELj0ELNS0_26block_radix_rank_algorithmE1ELNS0_18block_padding_hintE2ELNS0_4arch9wavefront6targetE0EE19radix_bits_per_passE@rel32@hi+24
	v_and_b32_e32 v17, 0xffff, v17
	ds_bpermute_b32 v15, v34, v12
	ds_bpermute_b32 v16, v34, v13
	;; [unrolled: 1-line block ×3, first 2 shown]
	ds_bpermute_b32 v36, v34, v12 offset:32
	ds_bpermute_b32 v19, v34, v17
	s_load_b32 s7, s[8:9], 0x0
	; wave barrier
	s_wait_loadcnt_dscnt 0x0
	global_inv scope:SCOPE_SE
	s_load_b32 s8, s[18:19], 0xc
	ds_bpermute_b32 v40, v34, v5 offset:32
	ds_bpermute_b32 v52, v34, v5 offset:64
	;; [unrolled: 1-line block ×3, first 2 shown]
	ds_bpermute_b32 v37, v34, v6
	ds_bpermute_b32 v49, v34, v6 offset:32
	ds_bpermute_b32 v53, v34, v6 offset:64
	;; [unrolled: 1-line block ×7, first 2 shown]
	v_and_b32_e32 v15, 0xff, v15
	v_and_b32_e32 v16, 0xff, v16
	;; [unrolled: 1-line block ×3, first 2 shown]
	ds_bpermute_b32 v43, v34, v8 offset:32
	ds_bpermute_b32 v39, v34, v2 offset:32
	v_cndmask_b32_e64 v15, 0, v15, s6
	s_wait_kmcnt 0x0
	s_min_u32 s7, s7, 8
	ds_bpermute_b32 v48, v34, v8 offset:64
	s_wait_alu 0xfffe
	s_lshl_b32 s7, -1, s7
	s_and_b32 s11, s8, 0xffff
	v_cndmask_b32_e64 v15, v15, v16, s5
	s_wait_alu 0xfffe
	s_not_b32 s9, s7
	s_lshr_b32 s7, s8, 16
	ds_bpermute_b32 v46, v34, v2 offset:64
	s_wait_alu 0xfffe
	v_mad_u32_u24 v0, v0, s7, v35
	v_cndmask_b32_e64 v15, v15, v18, s1
	v_lshlrev_b16 v18, 8, v36
	ds_bpermute_b32 v36, v34, v5
	ds_bpermute_b32 v44, v34, v4 offset:64
	v_perm_b32 v16, v19, v15, 0x3020104
	s_delay_alu instid0(VALU_DEP_1) | instskip(SKIP_2) | instid1(VALU_DEP_1)
	v_cndmask_b32_e32 v15, v15, v16, vcc_lo
	ds_bpermute_b32 v16, v34, v13 offset:32
	v_and_b32_e32 v19, 0xff, v15
	v_or_b32_e32 v18, v19, v18
	ds_bpermute_b32 v19, v34, v14 offset:32
	v_and_b32_e32 v18, 0xffff, v18
	s_delay_alu instid0(VALU_DEP_1) | instskip(SKIP_2) | instid1(VALU_DEP_2)
	v_cndmask_b32_e64 v15, v15, v18, s6
	s_wait_dscnt 0x1
	v_lshlrev_b16 v16, 8, v16
	v_and_b32_e32 v18, 0xff, v15
	s_delay_alu instid0(VALU_DEP_1) | instskip(NEXT) | instid1(VALU_DEP_1)
	v_or_b32_e32 v16, v18, v16
	v_and_b32_e32 v16, 0xffff, v16
	s_delay_alu instid0(VALU_DEP_1) | instskip(NEXT) | instid1(VALU_DEP_1)
	v_and_or_b32 v16, 0xffff0000, v15, v16
	v_cndmask_b32_e64 v15, v15, v16, s5
	s_wait_dscnt 0x0
	v_lshlrev_b16 v16, 8, v19
	ds_bpermute_b32 v19, v34, v17 offset:32
	v_and_b32_e32 v18, 0xff, v15
	s_delay_alu instid0(VALU_DEP_1) | instskip(NEXT) | instid1(VALU_DEP_1)
	v_or_b32_e32 v16, v18, v16
	v_and_b32_e32 v16, 0xffff, v16
	s_delay_alu instid0(VALU_DEP_1) | instskip(NEXT) | instid1(VALU_DEP_1)
	v_and_or_b32 v16, 0xffff0000, v15, v16
	v_cndmask_b32_e64 v15, v15, v16, s1
	s_wait_dscnt 0x0
	v_lshlrev_b16 v16, 8, v19
	ds_bpermute_b32 v19, v34, v12 offset:64
	ds_bpermute_b32 v12, v34, v12 offset:96
	v_and_b32_e32 v18, 0xff, v15
	s_delay_alu instid0(VALU_DEP_1) | instskip(NEXT) | instid1(VALU_DEP_1)
	v_or_b32_e32 v16, v18, v16
	v_and_b32_e32 v16, 0xffff, v16
	s_delay_alu instid0(VALU_DEP_1) | instskip(SKIP_2) | instid1(VALU_DEP_2)
	v_and_or_b32 v16, 0xffff0000, v15, v16
	s_wait_dscnt 0x0
	v_lshlrev_b16 v12, 8, v12
	v_cndmask_b32_e32 v15, v15, v16, vcc_lo
	ds_bpermute_b32 v16, v34, v13 offset:64
	ds_bpermute_b32 v13, v34, v13 offset:96
	v_perm_b32 v18, v19, v15, 0xc0c0304
	s_delay_alu instid0(VALU_DEP_1) | instskip(NEXT) | instid1(VALU_DEP_1)
	v_lshlrev_b32_e32 v18, 16, v18
	v_and_or_b32 v18, 0xffff, v15, v18
	s_delay_alu instid0(VALU_DEP_1)
	v_cndmask_b32_e64 v15, v15, v18, s6
	ds_bpermute_b32 v18, v34, v14 offset:64
	s_wait_dscnt 0x1
	v_lshlrev_b16 v13, 8, v13
	ds_bpermute_b32 v14, v34, v14 offset:96
	v_perm_b32 v16, v16, v15, 0xc0c0304
	s_delay_alu instid0(VALU_DEP_1) | instskip(NEXT) | instid1(VALU_DEP_1)
	v_lshlrev_b32_e32 v16, 16, v16
	v_and_or_b32 v16, 0xffff, v15, v16
	s_delay_alu instid0(VALU_DEP_1) | instskip(SKIP_4) | instid1(VALU_DEP_1)
	v_cndmask_b32_e64 v15, v15, v16, s5
	ds_bpermute_b32 v16, v34, v17 offset:64
	s_wait_dscnt 0x1
	v_lshlrev_b16 v14, 8, v14
	v_perm_b32 v18, v18, v15, 0xc0c0304
	v_lshlrev_b32_e32 v18, 16, v18
	s_delay_alu instid0(VALU_DEP_1) | instskip(NEXT) | instid1(VALU_DEP_1)
	v_and_or_b32 v18, 0xffff, v15, v18
	v_cndmask_b32_e64 v15, v15, v18, s1
	ds_bpermute_b32 v18, v34, v17 offset:96
	ds_bpermute_b32 v17, v34, v8
	s_wait_dscnt 0x2
	v_perm_b32 v16, v16, v15, 0xc0c0304
	s_delay_alu instid0(VALU_DEP_1) | instskip(NEXT) | instid1(VALU_DEP_1)
	v_lshlrev_b32_e32 v16, 16, v16
	v_and_or_b32 v16, 0xffff, v15, v16
	s_delay_alu instid0(VALU_DEP_1) | instskip(SKIP_2) | instid1(VALU_DEP_2)
	v_cndmask_b32_e32 v15, v15, v16, vcc_lo
	s_wait_dscnt 0x1
	v_lshlrev_b16 v18, 8, v18
	v_lshrrev_b32_e32 v16, 16, v15
	s_delay_alu instid0(VALU_DEP_1) | instskip(NEXT) | instid1(VALU_DEP_1)
	v_and_b32_e32 v16, 0xff, v16
	v_or_b32_e32 v12, v16, v12
	ds_bpermute_b32 v16, v34, v7
	v_lshlrev_b32_e32 v12, 16, v12
	s_delay_alu instid0(VALU_DEP_1) | instskip(NEXT) | instid1(VALU_DEP_1)
	v_and_or_b32 v12, 0xffff, v15, v12
	v_cndmask_b32_e64 v12, v15, v12, s6
	s_delay_alu instid0(VALU_DEP_1) | instskip(NEXT) | instid1(VALU_DEP_1)
	v_lshrrev_b32_e32 v15, 16, v12
	v_and_b32_e32 v15, 0xff, v15
	s_delay_alu instid0(VALU_DEP_1) | instskip(SKIP_2) | instid1(VALU_DEP_1)
	v_or_b32_e32 v13, v15, v13
	ds_bpermute_b32 v15, v34, v2
	v_lshlrev_b32_e32 v13, 16, v13
	v_and_or_b32 v13, 0xffff, v12, v13
	s_delay_alu instid0(VALU_DEP_1) | instskip(NEXT) | instid1(VALU_DEP_1)
	v_cndmask_b32_e64 v13, v12, v13, s5
	v_lshrrev_b32_e32 v12, 16, v13
	s_delay_alu instid0(VALU_DEP_1) | instskip(NEXT) | instid1(VALU_DEP_1)
	v_and_b32_e32 v12, 0xff, v12
	v_or_b32_e32 v12, v12, v14
	ds_bpermute_b32 v14, v34, v1
	v_lshlrev_b32_e32 v12, 16, v12
	s_delay_alu instid0(VALU_DEP_1) | instskip(SKIP_4) | instid1(VALU_DEP_1)
	v_and_or_b32 v19, 0xffff, v13, v12
	ds_bpermute_b32 v12, v34, v3
	v_cndmask_b32_e64 v50, v13, v19, s1
	ds_bpermute_b32 v13, v34, v4
	v_lshrrev_b32_e32 v19, 16, v50
	v_and_b32_e32 v41, 0xff, v19
	ds_bpermute_b32 v19, v34, v3 offset:32
	v_or_b32_e32 v18, v41, v18
	ds_bpermute_b32 v41, v34, v4 offset:32
	v_lshlrev_b32_e32 v18, 16, v18
	s_delay_alu instid0(VALU_DEP_1) | instskip(SKIP_4) | instid1(VALU_DEP_1)
	v_and_or_b32 v51, 0xffff, v50, v18
	ds_bpermute_b32 v18, v34, v3 offset:64
	v_cndmask_b32_e32 v50, v50, v51, vcc_lo
	ds_bpermute_b32 v51, v34, v7 offset:96
	v_and_b32_e32 v58, s9, v50
	v_and_b32_e32 v5, 1, v58
	v_lshlrev_b32_e32 v6, 30, v58
	v_lshlrev_b32_e32 v7, 29, v58
	;; [unrolled: 1-line block ×4, first 2 shown]
	v_add_co_u32 v5, s7, v5, -1
	s_wait_alu 0xf1ff
	v_cndmask_b32_e64 v56, 0, 1, s7
	v_not_b32_e32 v61, v6
	v_cmp_gt_i32_e64 s8, 0, v6
	v_not_b32_e32 v6, v7
	v_lshlrev_b32_e32 v59, 26, v58
	v_cmp_ne_u32_e64 s7, 0, v56
	v_ashrrev_i32_e32 v61, 31, v61
	v_lshlrev_b32_e32 v60, 25, v58
	v_ashrrev_i32_e32 v6, 31, v6
	v_lshlrev_b32_e32 v56, 24, v58
	s_wait_alu 0xf1ff
	v_xor_b32_e32 v5, s7, v5
	v_cmp_gt_i32_e64 s7, 0, v7
	v_not_b32_e32 v7, v35
	v_xor_b32_e32 v61, s8, v61
	v_cmp_gt_i32_e64 s8, 0, v35
	v_and_b32_e32 v5, exec_lo, v5
	v_not_b32_e32 v35, v57
	v_ashrrev_i32_e32 v7, 31, v7
	s_wait_alu 0xf1ff
	v_xor_b32_e32 v6, s7, v6
	v_cmp_gt_i32_e64 s7, 0, v57
	v_and_b32_e32 v5, v5, v61
	v_not_b32_e32 v57, v59
	v_ashrrev_i32_e32 v35, 31, v35
	v_xor_b32_e32 v7, s8, v7
	v_cmp_gt_i32_e64 s8, 0, v59
	v_and_b32_e32 v5, v5, v6
	v_not_b32_e32 v6, v60
	v_ashrrev_i32_e32 v57, 31, v57
	s_wait_alu 0xf1ff
	v_xor_b32_e32 v35, s7, v35
	v_cmp_gt_i32_e64 s7, 0, v60
	v_and_b32_e32 v5, v5, v7
	v_not_b32_e32 v7, v56
	v_ashrrev_i32_e32 v59, 31, v6
	v_xor_b32_e32 v57, s8, v57
	v_cmp_gt_i32_e64 s8, 0, v56
	v_and_b32_e32 v35, v5, v35
	s_wait_dscnt 0x5
	v_mad_co_u64_u32 v[5:6], null, v0, s11, v[11:12]
	v_ashrrev_i32_e32 v0, 31, v7
	s_wait_alu 0xf1ff
	v_xor_b32_e32 v6, s7, v59
	v_and_b32_e32 v7, v35, v57
	ds_bpermute_b32 v35, v34, v1 offset:96
	ds_bpermute_b32 v57, v34, v8 offset:96
	v_xor_b32_e32 v0, s8, v0
	ds_bpermute_b32 v56, v34, v2 offset:96
	v_and_b32_e32 v1, v7, v6
	ds_bpermute_b32 v8, v34, v3 offset:96
	ds_bpermute_b32 v34, v34, v4 offset:96
	v_lshrrev_b32_e32 v2, 3, v5
	v_mov_b32_e32 v3, 0
	v_and_b32_e32 v1, v1, v0
	ds_store_2addr_b32 v33, v3, v3 offset0:1 offset1:2
	ds_store_2addr_b32 v33, v3, v3 offset0:3 offset1:4
	;; [unrolled: 1-line block ×4, first 2 shown]
	v_and_b32_e32 v0, 0x1ffffffc, v2
	v_and_b32_e32 v2, 0xff, v58
	v_mbcnt_lo_u32_b32 v58, v1, 0
	v_cmp_ne_u32_e64 s8, 0, v1
	; wave barrier
	s_wait_loadcnt_dscnt 0x0
	global_inv scope:SCOPE_SE
	v_lshl_add_u32 v60, v2, 2, v0
	v_cmp_eq_u32_e64 s7, 0, v58
	; wave barrier
	s_and_b32 s8, s8, s7
	s_wait_alu 0xfffe
	s_and_saveexec_b32 s7, s8
; %bb.37:
	v_bcnt_u32_b32 v1, v1, 0
	ds_store_b32 v60, v1 offset:4
; %bb.38:
	s_wait_alu 0xfffe
	s_or_b32 exec_lo, exec_lo, s7
	v_lshrrev_b32_e32 v59, 8, v50
	; wave barrier
	s_delay_alu instid0(VALU_DEP_1) | instskip(NEXT) | instid1(VALU_DEP_1)
	v_and_b32_e32 v1, s9, v59
	v_and_b32_e32 v2, 1, v1
	v_lshlrev_b32_e32 v3, 30, v1
	v_lshlrev_b32_e32 v4, 29, v1
	;; [unrolled: 1-line block ×4, first 2 shown]
	v_add_co_u32 v2, s7, v2, -1
	s_wait_alu 0xf1ff
	v_cndmask_b32_e64 v6, 0, 1, s7
	v_not_b32_e32 v63, v3
	v_cmp_gt_i32_e64 s8, 0, v3
	v_not_b32_e32 v3, v4
	v_lshlrev_b32_e32 v61, 26, v1
	v_cmp_ne_u32_e64 s7, 0, v6
	v_ashrrev_i32_e32 v63, 31, v63
	v_lshlrev_b32_e32 v62, 25, v1
	v_ashrrev_i32_e32 v3, 31, v3
	v_lshlrev_b32_e32 v6, 24, v1
	s_wait_alu 0xf1ff
	v_xor_b32_e32 v2, s7, v2
	v_cmp_gt_i32_e64 s7, 0, v4
	v_not_b32_e32 v4, v5
	v_xor_b32_e32 v63, s8, v63
	v_cmp_gt_i32_e64 s8, 0, v5
	v_and_b32_e32 v2, exec_lo, v2
	v_not_b32_e32 v5, v7
	v_ashrrev_i32_e32 v4, 31, v4
	s_wait_alu 0xf1ff
	v_xor_b32_e32 v3, s7, v3
	v_cmp_gt_i32_e64 s7, 0, v7
	v_and_b32_e32 v2, v2, v63
	v_not_b32_e32 v7, v61
	v_ashrrev_i32_e32 v5, 31, v5
	v_xor_b32_e32 v4, s8, v4
	v_cmp_gt_i32_e64 s8, 0, v61
	v_and_b32_e32 v2, v2, v3
	v_not_b32_e32 v3, v62
	v_ashrrev_i32_e32 v7, 31, v7
	s_wait_alu 0xf1ff
	v_xor_b32_e32 v5, s7, v5
	v_cmp_gt_i32_e64 s7, 0, v62
	v_and_b32_e32 v2, v2, v4
	v_not_b32_e32 v4, v6
	v_ashrrev_i32_e32 v3, 31, v3
	v_xor_b32_e32 v7, s8, v7
	v_and_b32_e32 v1, 0xff, v1
	v_and_b32_e32 v2, v2, v5
	v_cmp_gt_i32_e64 s8, 0, v6
	v_ashrrev_i32_e32 v4, 31, v4
	s_wait_alu 0xf1ff
	v_xor_b32_e32 v3, s7, v3
	v_lshl_add_u32 v63, v1, 2, v0
	v_and_b32_e32 v2, v2, v7
	v_xor_b32_e32 v1, s8, v4
	ds_load_b32 v61, v63 offset:4
	v_and_b32_e32 v2, v2, v3
	; wave barrier
	s_delay_alu instid0(VALU_DEP_1) | instskip(NEXT) | instid1(VALU_DEP_1)
	v_and_b32_e32 v1, v2, v1
	v_mbcnt_lo_u32_b32 v62, v1, 0
	v_cmp_ne_u32_e64 s8, 0, v1
	s_delay_alu instid0(VALU_DEP_2)
	v_cmp_eq_u32_e64 s7, 0, v62
	s_and_b32 s8, s8, s7
	s_wait_alu 0xfffe
	s_and_saveexec_b32 s7, s8
	s_cbranch_execz .LBB113_40
; %bb.39:
	s_wait_dscnt 0x0
	v_bcnt_u32_b32 v1, v1, v61
	ds_store_b32 v63, v1 offset:4
.LBB113_40:
	s_wait_alu 0xfffe
	s_or_b32 exec_lo, exec_lo, s7
	v_lshrrev_b32_e32 v64, 16, v50
	; wave barrier
	s_delay_alu instid0(VALU_DEP_1) | instskip(NEXT) | instid1(VALU_DEP_1)
	v_and_b32_e32 v1, s9, v64
	v_and_b32_e32 v2, 1, v1
	v_lshlrev_b32_e32 v3, 30, v1
	v_lshlrev_b32_e32 v4, 29, v1
	;; [unrolled: 1-line block ×4, first 2 shown]
	v_add_co_u32 v2, s7, v2, -1
	s_wait_alu 0xf1ff
	v_cndmask_b32_e64 v6, 0, 1, s7
	v_not_b32_e32 v67, v3
	v_cmp_gt_i32_e64 s8, 0, v3
	v_not_b32_e32 v3, v4
	v_lshlrev_b32_e32 v65, 26, v1
	v_cmp_ne_u32_e64 s7, 0, v6
	v_ashrrev_i32_e32 v67, 31, v67
	v_lshlrev_b32_e32 v66, 25, v1
	v_ashrrev_i32_e32 v3, 31, v3
	v_lshlrev_b32_e32 v6, 24, v1
	s_wait_alu 0xf1ff
	v_xor_b32_e32 v2, s7, v2
	v_cmp_gt_i32_e64 s7, 0, v4
	v_not_b32_e32 v4, v5
	v_xor_b32_e32 v67, s8, v67
	v_cmp_gt_i32_e64 s8, 0, v5
	v_and_b32_e32 v2, exec_lo, v2
	v_not_b32_e32 v5, v7
	v_ashrrev_i32_e32 v4, 31, v4
	s_wait_alu 0xf1ff
	v_xor_b32_e32 v3, s7, v3
	v_cmp_gt_i32_e64 s7, 0, v7
	v_and_b32_e32 v2, v2, v67
	v_not_b32_e32 v7, v65
	v_ashrrev_i32_e32 v5, 31, v5
	v_xor_b32_e32 v4, s8, v4
	v_cmp_gt_i32_e64 s8, 0, v65
	v_and_b32_e32 v2, v2, v3
	v_not_b32_e32 v3, v66
	v_ashrrev_i32_e32 v7, 31, v7
	s_wait_alu 0xf1ff
	v_xor_b32_e32 v5, s7, v5
	v_cmp_gt_i32_e64 s7, 0, v66
	v_and_b32_e32 v2, v2, v4
	v_not_b32_e32 v4, v6
	v_ashrrev_i32_e32 v3, 31, v3
	v_xor_b32_e32 v7, s8, v7
	v_and_b32_e32 v1, 0xff, v1
	v_and_b32_e32 v2, v2, v5
	v_cmp_gt_i32_e64 s8, 0, v6
	v_ashrrev_i32_e32 v4, 31, v4
	s_wait_alu 0xf1ff
	v_xor_b32_e32 v3, s7, v3
	v_lshl_add_u32 v67, v1, 2, v0
	v_and_b32_e32 v2, v2, v7
	v_xor_b32_e32 v1, s8, v4
	ds_load_b32 v65, v67 offset:4
	v_and_b32_e32 v2, v2, v3
	; wave barrier
	s_delay_alu instid0(VALU_DEP_1) | instskip(NEXT) | instid1(VALU_DEP_1)
	v_and_b32_e32 v1, v2, v1
	v_mbcnt_lo_u32_b32 v66, v1, 0
	v_cmp_ne_u32_e64 s8, 0, v1
	s_delay_alu instid0(VALU_DEP_2)
	v_cmp_eq_u32_e64 s7, 0, v66
	s_and_b32 s8, s8, s7
	s_wait_alu 0xfffe
	s_and_saveexec_b32 s7, s8
	s_cbranch_execz .LBB113_42
; %bb.41:
	s_wait_dscnt 0x0
	v_bcnt_u32_b32 v1, v1, v65
	ds_store_b32 v67, v1 offset:4
.LBB113_42:
	s_wait_alu 0xfffe
	s_or_b32 exec_lo, exec_lo, s7
	v_lshrrev_b32_e32 v68, 24, v50
	; wave barrier
	s_delay_alu instid0(VALU_DEP_1) | instskip(NEXT) | instid1(VALU_DEP_1)
	v_and_b32_e32 v1, s9, v68
	v_and_b32_e32 v2, 1, v1
	v_lshlrev_b32_e32 v3, 30, v1
	v_lshlrev_b32_e32 v4, 29, v1
	;; [unrolled: 1-line block ×4, first 2 shown]
	v_add_co_u32 v2, s7, v2, -1
	s_wait_alu 0xf1ff
	v_cndmask_b32_e64 v6, 0, 1, s7
	v_not_b32_e32 v71, v3
	v_cmp_gt_i32_e64 s8, 0, v3
	v_not_b32_e32 v3, v4
	v_lshlrev_b32_e32 v69, 26, v1
	v_cmp_ne_u32_e64 s7, 0, v6
	v_ashrrev_i32_e32 v71, 31, v71
	v_lshlrev_b32_e32 v70, 25, v1
	v_ashrrev_i32_e32 v3, 31, v3
	v_lshlrev_b32_e32 v6, 24, v1
	s_wait_alu 0xf1ff
	v_xor_b32_e32 v2, s7, v2
	v_cmp_gt_i32_e64 s7, 0, v4
	v_not_b32_e32 v4, v5
	v_xor_b32_e32 v71, s8, v71
	v_cmp_gt_i32_e64 s8, 0, v5
	v_and_b32_e32 v2, exec_lo, v2
	v_not_b32_e32 v5, v7
	v_ashrrev_i32_e32 v4, 31, v4
	s_wait_alu 0xf1ff
	v_xor_b32_e32 v3, s7, v3
	v_cmp_gt_i32_e64 s7, 0, v7
	v_and_b32_e32 v2, v2, v71
	v_not_b32_e32 v7, v69
	v_ashrrev_i32_e32 v5, 31, v5
	v_xor_b32_e32 v4, s8, v4
	v_cmp_gt_i32_e64 s8, 0, v69
	v_and_b32_e32 v2, v2, v3
	v_not_b32_e32 v3, v70
	v_ashrrev_i32_e32 v7, 31, v7
	s_wait_alu 0xf1ff
	v_xor_b32_e32 v5, s7, v5
	v_cmp_gt_i32_e64 s7, 0, v70
	v_and_b32_e32 v2, v2, v4
	v_not_b32_e32 v4, v6
	v_ashrrev_i32_e32 v3, 31, v3
	v_xor_b32_e32 v7, s8, v7
	v_cmp_gt_i32_e64 s8, 0, v6
	v_and_b32_e32 v2, v2, v5
	v_ashrrev_i32_e32 v4, 31, v4
	s_wait_alu 0xf1ff
	v_xor_b32_e32 v3, s7, v3
	v_lshl_add_u32 v71, v1, 2, v0
	v_and_b32_e32 v2, v2, v7
	v_xor_b32_e32 v0, s8, v4
	ds_load_b32 v69, v71 offset:4
	v_and_b32_e32 v1, v2, v3
	; wave barrier
	s_delay_alu instid0(VALU_DEP_1) | instskip(NEXT) | instid1(VALU_DEP_1)
	v_and_b32_e32 v0, v1, v0
	v_mbcnt_lo_u32_b32 v70, v0, 0
	v_cmp_ne_u32_e64 s8, 0, v0
	s_delay_alu instid0(VALU_DEP_2)
	v_cmp_eq_u32_e64 s7, 0, v70
	s_and_b32 s8, s8, s7
	s_wait_alu 0xfffe
	s_and_saveexec_b32 s7, s8
	s_cbranch_execz .LBB113_44
; %bb.43:
	s_wait_dscnt 0x0
	v_bcnt_u32_b32 v0, v0, v69
	ds_store_b32 v71, v0 offset:4
.LBB113_44:
	s_wait_alu 0xfffe
	s_or_b32 exec_lo, exec_lo, s7
	; wave barrier
	; wave barrier
	s_wait_loadcnt_dscnt 0x0
	global_inv scope:SCOPE_SE
	ds_load_2addr_b32 v[6:7], v33 offset0:1 offset1:2
	ds_load_2addr_b32 v[4:5], v33 offset0:3 offset1:4
	ds_load_2addr_b32 v[2:3], v33 offset0:5 offset1:6
	ds_load_2addr_b32 v[0:1], v33 offset0:7 offset1:8
	s_mov_b32 s8, exec_lo
	s_wait_dscnt 0x3
	v_add_nc_u32_e32 v72, v7, v6
	s_wait_dscnt 0x2
	s_delay_alu instid0(VALU_DEP_1) | instskip(SKIP_1) | instid1(VALU_DEP_1)
	v_add3_u32 v72, v72, v4, v5
	s_wait_dscnt 0x1
	v_add3_u32 v72, v72, v2, v3
	s_wait_dscnt 0x0
	s_delay_alu instid0(VALU_DEP_1) | instskip(SKIP_1) | instid1(VALU_DEP_2)
	v_add3_u32 v1, v72, v0, v1
	v_and_b32_e32 v72, 15, v32
	v_mov_b32_dpp v73, v1 row_shr:1 row_mask:0xf bank_mask:0xf
	s_delay_alu instid0(VALU_DEP_2) | instskip(SKIP_1) | instid1(VALU_DEP_1)
	v_cmp_ne_u32_e64 s7, 0, v72
	s_wait_alu 0xf1ff
	v_cndmask_b32_e64 v73, 0, v73, s7
	v_cmp_lt_u32_e64 s7, 1, v72
	s_delay_alu instid0(VALU_DEP_2) | instskip(NEXT) | instid1(VALU_DEP_1)
	v_add_nc_u32_e32 v1, v73, v1
	v_mov_b32_dpp v73, v1 row_shr:2 row_mask:0xf bank_mask:0xf
	s_wait_alu 0xf1ff
	s_delay_alu instid0(VALU_DEP_1) | instskip(SKIP_1) | instid1(VALU_DEP_2)
	v_cndmask_b32_e64 v73, 0, v73, s7
	v_cmp_lt_u32_e64 s7, 3, v72
	v_add_nc_u32_e32 v1, v1, v73
	s_delay_alu instid0(VALU_DEP_1) | instskip(SKIP_1) | instid1(VALU_DEP_1)
	v_mov_b32_dpp v73, v1 row_shr:4 row_mask:0xf bank_mask:0xf
	s_wait_alu 0xf1ff
	v_cndmask_b32_e64 v73, 0, v73, s7
	v_cmp_lt_u32_e64 s7, 7, v72
	s_delay_alu instid0(VALU_DEP_2) | instskip(NEXT) | instid1(VALU_DEP_1)
	v_add_nc_u32_e32 v1, v1, v73
	v_mov_b32_dpp v73, v1 row_shr:8 row_mask:0xf bank_mask:0xf
	s_wait_alu 0xf1ff
	s_delay_alu instid0(VALU_DEP_1) | instskip(SKIP_1) | instid1(VALU_DEP_2)
	v_cndmask_b32_e64 v72, 0, v73, s7
	v_bfe_i32 v73, v32, 4, 1
	v_add_nc_u32_e32 v1, v1, v72
	ds_swizzle_b32 v72, v1 offset:swizzle(BROADCAST,32,15)
	s_wait_dscnt 0x0
	v_and_b32_e32 v72, v73, v72
	s_delay_alu instid0(VALU_DEP_1)
	v_add_nc_u32_e32 v1, v1, v72
	v_cmpx_eq_u32_e32 31, v11
; %bb.45:
	v_mov_b32_e32 v72, 0
	ds_store_b32 v72, v1
; %bb.46:
	s_wait_alu 0xfffe
	s_or_b32 exec_lo, exec_lo, s8
	v_sub_co_u32 v72, s8, v32, 1
	; wave barrier
	s_wait_loadcnt_dscnt 0x0
	global_inv scope:SCOPE_SE
	v_cmp_gt_i32_e64 s7, 0, v72
	s_wait_alu 0xf1ff
	s_delay_alu instid0(VALU_DEP_1) | instskip(SKIP_2) | instid1(VALU_DEP_3)
	v_cndmask_b32_e64 v32, v72, v32, s7
	v_cmp_eq_u32_e64 s7, 0, v11
	v_cndmask_b32_e64 v11, 0, v52, s6
	v_lshlrev_b32_e32 v32, 2, v32
	s_or_b32 s7, s7, s8
	ds_bpermute_b32 v1, v32, v1
	v_cndmask_b32_e64 v32, 0, v53, s6
	s_wait_dscnt 0x0
	s_wait_alu 0xfffe
	v_cndmask_b32_e64 v1, v1, 0, s7
	s_delay_alu instid0(VALU_DEP_1) | instskip(NEXT) | instid1(VALU_DEP_1)
	v_add_nc_u32_e32 v6, v1, v6
	v_add_nc_u32_e32 v7, v6, v7
	s_delay_alu instid0(VALU_DEP_1) | instskip(NEXT) | instid1(VALU_DEP_1)
	v_add_nc_u32_e32 v4, v7, v4
	v_add_nc_u32_e32 v5, v4, v5
	;; [unrolled: 3-line block ×3, first 2 shown]
	s_delay_alu instid0(VALU_DEP_1)
	v_add_nc_u32_e32 v0, v3, v0
	ds_store_2addr_b32 v33, v1, v6 offset0:1 offset1:2
	ds_store_2addr_b32 v33, v7, v4 offset0:3 offset1:4
	;; [unrolled: 1-line block ×4, first 2 shown]
	; wave barrier
	s_wait_loadcnt_dscnt 0x0
	global_inv scope:SCOPE_SE
	ds_load_b32 v0, v60 offset:4
	ds_load_b32 v1, v63 offset:4
	;; [unrolled: 1-line block ×4, first 2 shown]
	v_cndmask_b32_e64 v5, 0, v37, s6
	v_cndmask_b32_e64 v6, 0, v40, s6
	;; [unrolled: 1-line block ×3, first 2 shown]
	; wave barrier
	s_wait_loadcnt_dscnt 0x0
	global_inv scope:SCOPE_SE
	v_cndmask_b32_e64 v4, 0, v36, s6
	v_cndmask_b32_e64 v33, 0, v54, s6
	;; [unrolled: 1-line block ×3, first 2 shown]
	v_add_nc_u32_e32 v37, v0, v58
	v_add3_u32 v40, v62, v61, v1
	v_add3_u32 v49, v66, v65, v2
	;; [unrolled: 1-line block ×3, first 2 shown]
	ds_store_b8 v37, v50
	ds_store_b8 v40, v59
	;; [unrolled: 1-line block ×4, first 2 shown]
	; wave barrier
	s_wait_loadcnt_dscnt 0x0
	global_inv scope:SCOPE_SE
	ds_load_b32 v31, v31
	v_cndmask_b32_e64 v0, v5, v17, s5
	v_cndmask_b32_e64 v1, v4, v16, s5
	;; [unrolled: 1-line block ×13, first 2 shown]
	v_dual_cndmask_b32 v1, v0, v13 :: v_dual_cndmask_b32 v0, v11, v12
	v_cndmask_b32_e64 v4, v32, v48, s5
	s_delay_alu instid0(VALU_DEP_4)
	v_cndmask_b32_e32 v3, v2, v41, vcc_lo
	v_cndmask_b32_e32 v2, v14, v19, vcc_lo
	v_cndmask_b32_e64 v15, v5, v45, s1
	s_wait_dscnt 0x0
	v_lshrrev_b32_e32 v7, 16, v31
	v_and_b32_e32 v11, 0xffffff00, v31
	v_xor_b32_e32 v12, 0x7f, v31
	v_cndmask_b32_e64 v4, v4, v46, s1
	s_wait_loadcnt 0x0
	v_and_b32_e32 v13, 0xffffff00, v7
	v_xor_b32_e32 v7, 0x7f, v7
	v_and_b32_e32 v12, 0xff, v12
	v_dual_cndmask_b32 v5, v4, v44 :: v_dual_cndmask_b32 v4, v15, v18
	s_delay_alu instid0(VALU_DEP_4) | instskip(NEXT) | instid1(VALU_DEP_4)
	v_xor_b32_e32 v13, 0x7f00, v13
	v_dual_cndmask_b32 v7, v6, v34 :: v_dual_and_b32 v14, 0xff, v7
	v_cndmask_b32_e32 v6, v16, v8, vcc_lo
	v_xor_b32_e32 v11, 0x7f00, v11
	v_lshlrev_b32_e32 v8, 3, v37
	v_lshlrev_b32_e32 v15, 3, v52
	; wave barrier
	global_inv scope:SCOPE_SE
	v_or_b32_e32 v11, v12, v11
	v_or_b32_e32 v12, v14, v13
	v_lshlrev_b32_e32 v14, 3, v49
	v_lshlrev_b32_e32 v13, 3, v40
	ds_store_b64 v8, v[0:1]
	ds_store_b64 v13, v[2:3]
	v_and_b32_e32 v11, 0xffff, v11
	v_lshlrev_b32_e32 v12, 16, v12
	ds_store_b64 v14, v[4:5]
	ds_store_b64 v15, v[6:7]
	; wave barrier
	s_wait_loadcnt_dscnt 0x0
	global_inv scope:SCOPE_SE
	v_or_b32_e32 v12, v11, v12
.LBB113_47:
	ds_load_b128 v[0:3], v10
	ds_load_b128 v[4:7], v10 offset:16
	; wave barrier
	s_wait_loadcnt_dscnt 0x0
	global_inv scope:SCOPE_SE
	ds_store_b32 v25, v12
	; wave barrier
	s_wait_loadcnt_dscnt 0x0
	global_inv scope:SCOPE_SE
	ds_load_u8 v13, v22 offset:32
	ds_load_u8 v12, v23 offset:64
	ds_load_u8 v8, v24 offset:96
	v_add_co_u32 v10, s1, s14, v20
	s_wait_alu 0xf1ff
	v_add_co_ci_u32_e64 v11, null, s15, 0, s1
	s_and_saveexec_b32 s1, s2
	s_cbranch_execnz .LBB113_58
; %bb.48:
	s_wait_alu 0xfffe
	s_or_b32 exec_lo, exec_lo, s1
	s_and_saveexec_b32 s1, s4
	s_cbranch_execnz .LBB113_59
.LBB113_49:
	s_wait_alu 0xfffe
	s_or_b32 exec_lo, exec_lo, s1
	s_and_saveexec_b32 s1, s3
	s_cbranch_execnz .LBB113_60
.LBB113_50:
	s_wait_alu 0xfffe
	s_or_b32 exec_lo, exec_lo, s1
	s_and_saveexec_b32 s1, s0
	s_cbranch_execz .LBB113_52
.LBB113_51:
	s_mul_i32 s5, s10, 0x60
	s_wait_alu 0xfffe
	v_add_co_u32 v10, vcc_lo, v10, s5
	s_wait_alu 0xfffd
	v_add_co_ci_u32_e64 v11, null, 0, v11, vcc_lo
	s_wait_dscnt 0x0
	global_store_b8 v[10:11], v8, off
.LBB113_52:
	s_wait_alu 0xfffe
	s_or_b32 exec_lo, exec_lo, s1
	s_wait_storecnt 0x0
	; wave barrier
	s_wait_loadcnt_dscnt 0x0
	global_inv scope:SCOPE_SE
	ds_store_2addr_b64 v30, v[0:1], v[2:3] offset1:1
	ds_store_2addr_b64 v30, v[4:5], v[6:7] offset0:2 offset1:3
	; wave barrier
	s_wait_loadcnt_dscnt 0x0
	global_inv scope:SCOPE_SE
	ds_load_b64 v[6:7], v27 offset:256
	ds_load_b64 v[4:5], v28 offset:512
	;; [unrolled: 1-line block ×3, first 2 shown]
	v_mov_b32_e32 v10, 0
	s_delay_alu instid0(VALU_DEP_1) | instskip(NEXT) | instid1(VALU_DEP_1)
	v_lshlrev_b64_e32 v[2:3], 3, v[9:10]
	v_add_co_u32 v2, vcc_lo, s16, v2
	s_wait_alu 0xfffd
	s_delay_alu instid0(VALU_DEP_2)
	v_add_co_ci_u32_e64 v3, null, s17, v3, vcc_lo
	s_and_saveexec_b32 s1, s2
	s_cbranch_execnz .LBB113_61
; %bb.53:
	s_wait_alu 0xfffe
	s_or_b32 exec_lo, exec_lo, s1
	s_and_saveexec_b32 s1, s4
	s_cbranch_execnz .LBB113_62
.LBB113_54:
	s_wait_alu 0xfffe
	s_or_b32 exec_lo, exec_lo, s1
	s_and_saveexec_b32 s1, s3
	s_cbranch_execnz .LBB113_63
.LBB113_55:
	s_wait_alu 0xfffe
	s_or_b32 exec_lo, exec_lo, s1
	s_and_saveexec_b32 s1, s0
	s_cbranch_execz .LBB113_57
.LBB113_56:
	s_mul_i32 s0, s12, 0x60
	s_mov_b32 s1, 0
	s_wait_alu 0xfffe
	s_lshl_b64 s[0:1], s[0:1], 3
	s_wait_alu 0xfffe
	v_add_co_u32 v2, vcc_lo, v2, s0
	s_wait_alu 0xfffd
	v_add_co_ci_u32_e64 v3, null, s1, v3, vcc_lo
	s_wait_dscnt 0x0
	global_store_b64 v[2:3], v[0:1], off
.LBB113_57:
	s_endpgm
.LBB113_58:
	ds_load_u8 v14, v21
	s_wait_dscnt 0x0
	global_store_b8 v[10:11], v14, off
	s_wait_alu 0xfffe
	s_or_b32 exec_lo, exec_lo, s1
	s_and_saveexec_b32 s1, s4
	s_cbranch_execz .LBB113_49
.LBB113_59:
	s_lshl_b32 s5, s10, 5
	s_wait_alu 0xfffe
	v_add_co_u32 v14, vcc_lo, v10, s5
	s_wait_alu 0xfffd
	v_add_co_ci_u32_e64 v15, null, 0, v11, vcc_lo
	s_wait_dscnt 0x2
	global_store_b8 v[14:15], v13, off
	s_or_b32 exec_lo, exec_lo, s1
	s_and_saveexec_b32 s1, s3
	s_cbranch_execz .LBB113_50
.LBB113_60:
	s_lshl_b32 s5, s10, 6
	s_wait_dscnt 0x2
	s_wait_alu 0xfffe
	v_add_co_u32 v13, vcc_lo, v10, s5
	s_wait_alu 0xfffd
	v_add_co_ci_u32_e64 v14, null, 0, v11, vcc_lo
	s_wait_dscnt 0x1
	global_store_b8 v[13:14], v12, off
	s_or_b32 exec_lo, exec_lo, s1
	s_and_saveexec_b32 s1, s0
	s_cbranch_execnz .LBB113_51
	s_branch .LBB113_52
.LBB113_61:
	ds_load_b64 v[8:9], v26
	s_wait_dscnt 0x0
	global_store_b64 v[2:3], v[8:9], off
	s_wait_alu 0xfffe
	s_or_b32 exec_lo, exec_lo, s1
	s_and_saveexec_b32 s1, s4
	s_cbranch_execz .LBB113_54
.LBB113_62:
	s_lshl_b32 s4, s12, 5
	s_mov_b32 s5, 0
	s_wait_alu 0xfffe
	s_lshl_b64 s[4:5], s[4:5], 3
	s_wait_alu 0xfffe
	v_add_co_u32 v8, vcc_lo, v2, s4
	s_wait_alu 0xfffd
	v_add_co_ci_u32_e64 v9, null, s5, v3, vcc_lo
	s_wait_dscnt 0x2
	global_store_b64 v[8:9], v[6:7], off
	s_or_b32 exec_lo, exec_lo, s1
	s_and_saveexec_b32 s1, s3
	s_cbranch_execz .LBB113_55
.LBB113_63:
	s_lshl_b32 s2, s12, 6
	s_mov_b32 s3, 0
	s_wait_alu 0xfffe
	s_lshl_b64 s[2:3], s[2:3], 3
	s_wait_dscnt 0x2
	s_wait_alu 0xfffe
	v_add_co_u32 v6, vcc_lo, v2, s2
	s_wait_alu 0xfffd
	v_add_co_ci_u32_e64 v7, null, s3, v3, vcc_lo
	s_wait_dscnt 0x1
	global_store_b64 v[6:7], v[4:5], off
	s_or_b32 exec_lo, exec_lo, s1
	s_and_saveexec_b32 s1, s0
	s_cbranch_execnz .LBB113_56
	s_branch .LBB113_57
	.section	.rodata,"a",@progbits
	.p2align	6, 0x0
	.amdhsa_kernel _ZN2at6native18radixSortKVInPlaceILin1ELin1ELi32ELi4EaljEEvNS_4cuda6detail10TensorInfoIT3_T5_EES6_S6_S6_NS4_IT4_S6_EES6_b
		.amdhsa_group_segment_fixed_size 1056
		.amdhsa_private_segment_fixed_size 0
		.amdhsa_kernarg_size 712
		.amdhsa_user_sgpr_count 2
		.amdhsa_user_sgpr_dispatch_ptr 0
		.amdhsa_user_sgpr_queue_ptr 0
		.amdhsa_user_sgpr_kernarg_segment_ptr 1
		.amdhsa_user_sgpr_dispatch_id 0
		.amdhsa_user_sgpr_private_segment_size 0
		.amdhsa_wavefront_size32 1
		.amdhsa_uses_dynamic_stack 0
		.amdhsa_enable_private_segment 0
		.amdhsa_system_sgpr_workgroup_id_x 1
		.amdhsa_system_sgpr_workgroup_id_y 1
		.amdhsa_system_sgpr_workgroup_id_z 1
		.amdhsa_system_sgpr_workgroup_info 0
		.amdhsa_system_vgpr_workitem_id 2
		.amdhsa_next_free_vgpr 90
		.amdhsa_next_free_sgpr 20
		.amdhsa_reserve_vcc 1
		.amdhsa_float_round_mode_32 0
		.amdhsa_float_round_mode_16_64 0
		.amdhsa_float_denorm_mode_32 3
		.amdhsa_float_denorm_mode_16_64 3
		.amdhsa_fp16_overflow 0
		.amdhsa_workgroup_processor_mode 1
		.amdhsa_memory_ordered 1
		.amdhsa_forward_progress 1
		.amdhsa_inst_pref_size 79
		.amdhsa_round_robin_scheduling 0
		.amdhsa_exception_fp_ieee_invalid_op 0
		.amdhsa_exception_fp_denorm_src 0
		.amdhsa_exception_fp_ieee_div_zero 0
		.amdhsa_exception_fp_ieee_overflow 0
		.amdhsa_exception_fp_ieee_underflow 0
		.amdhsa_exception_fp_ieee_inexact 0
		.amdhsa_exception_int_div_zero 0
	.end_amdhsa_kernel
	.section	.text._ZN2at6native18radixSortKVInPlaceILin1ELin1ELi32ELi4EaljEEvNS_4cuda6detail10TensorInfoIT3_T5_EES6_S6_S6_NS4_IT4_S6_EES6_b,"axG",@progbits,_ZN2at6native18radixSortKVInPlaceILin1ELin1ELi32ELi4EaljEEvNS_4cuda6detail10TensorInfoIT3_T5_EES6_S6_S6_NS4_IT4_S6_EES6_b,comdat
.Lfunc_end113:
	.size	_ZN2at6native18radixSortKVInPlaceILin1ELin1ELi32ELi4EaljEEvNS_4cuda6detail10TensorInfoIT3_T5_EES6_S6_S6_NS4_IT4_S6_EES6_b, .Lfunc_end113-_ZN2at6native18radixSortKVInPlaceILin1ELin1ELi32ELi4EaljEEvNS_4cuda6detail10TensorInfoIT3_T5_EES6_S6_S6_NS4_IT4_S6_EES6_b
                                        ; -- End function
	.set _ZN2at6native18radixSortKVInPlaceILin1ELin1ELi32ELi4EaljEEvNS_4cuda6detail10TensorInfoIT3_T5_EES6_S6_S6_NS4_IT4_S6_EES6_b.num_vgpr, 90
	.set _ZN2at6native18radixSortKVInPlaceILin1ELin1ELi32ELi4EaljEEvNS_4cuda6detail10TensorInfoIT3_T5_EES6_S6_S6_NS4_IT4_S6_EES6_b.num_agpr, 0
	.set _ZN2at6native18radixSortKVInPlaceILin1ELin1ELi32ELi4EaljEEvNS_4cuda6detail10TensorInfoIT3_T5_EES6_S6_S6_NS4_IT4_S6_EES6_b.numbered_sgpr, 20
	.set _ZN2at6native18radixSortKVInPlaceILin1ELin1ELi32ELi4EaljEEvNS_4cuda6detail10TensorInfoIT3_T5_EES6_S6_S6_NS4_IT4_S6_EES6_b.num_named_barrier, 0
	.set _ZN2at6native18radixSortKVInPlaceILin1ELin1ELi32ELi4EaljEEvNS_4cuda6detail10TensorInfoIT3_T5_EES6_S6_S6_NS4_IT4_S6_EES6_b.private_seg_size, 0
	.set _ZN2at6native18radixSortKVInPlaceILin1ELin1ELi32ELi4EaljEEvNS_4cuda6detail10TensorInfoIT3_T5_EES6_S6_S6_NS4_IT4_S6_EES6_b.uses_vcc, 1
	.set _ZN2at6native18radixSortKVInPlaceILin1ELin1ELi32ELi4EaljEEvNS_4cuda6detail10TensorInfoIT3_T5_EES6_S6_S6_NS4_IT4_S6_EES6_b.uses_flat_scratch, 0
	.set _ZN2at6native18radixSortKVInPlaceILin1ELin1ELi32ELi4EaljEEvNS_4cuda6detail10TensorInfoIT3_T5_EES6_S6_S6_NS4_IT4_S6_EES6_b.has_dyn_sized_stack, 0
	.set _ZN2at6native18radixSortKVInPlaceILin1ELin1ELi32ELi4EaljEEvNS_4cuda6detail10TensorInfoIT3_T5_EES6_S6_S6_NS4_IT4_S6_EES6_b.has_recursion, 0
	.set _ZN2at6native18radixSortKVInPlaceILin1ELin1ELi32ELi4EaljEEvNS_4cuda6detail10TensorInfoIT3_T5_EES6_S6_S6_NS4_IT4_S6_EES6_b.has_indirect_call, 0
	.section	.AMDGPU.csdata,"",@progbits
; Kernel info:
; codeLenInByte = 10088
; TotalNumSgprs: 22
; NumVgprs: 90
; ScratchSize: 0
; MemoryBound: 0
; FloatMode: 240
; IeeeMode: 1
; LDSByteSize: 1056 bytes/workgroup (compile time only)
; SGPRBlocks: 0
; VGPRBlocks: 11
; NumSGPRsForWavesPerEU: 22
; NumVGPRsForWavesPerEU: 90
; Occupancy: 16
; WaveLimiterHint : 1
; COMPUTE_PGM_RSRC2:SCRATCH_EN: 0
; COMPUTE_PGM_RSRC2:USER_SGPR: 2
; COMPUTE_PGM_RSRC2:TRAP_HANDLER: 0
; COMPUTE_PGM_RSRC2:TGID_X_EN: 1
; COMPUTE_PGM_RSRC2:TGID_Y_EN: 1
; COMPUTE_PGM_RSRC2:TGID_Z_EN: 1
; COMPUTE_PGM_RSRC2:TIDIG_COMP_CNT: 2
	.section	.text._ZN2at6native18radixSortKVInPlaceILin1ELin1ELi16ELi2EaljEEvNS_4cuda6detail10TensorInfoIT3_T5_EES6_S6_S6_NS4_IT4_S6_EES6_b,"axG",@progbits,_ZN2at6native18radixSortKVInPlaceILin1ELin1ELi16ELi2EaljEEvNS_4cuda6detail10TensorInfoIT3_T5_EES6_S6_S6_NS4_IT4_S6_EES6_b,comdat
	.protected	_ZN2at6native18radixSortKVInPlaceILin1ELin1ELi16ELi2EaljEEvNS_4cuda6detail10TensorInfoIT3_T5_EES6_S6_S6_NS4_IT4_S6_EES6_b ; -- Begin function _ZN2at6native18radixSortKVInPlaceILin1ELin1ELi16ELi2EaljEEvNS_4cuda6detail10TensorInfoIT3_T5_EES6_S6_S6_NS4_IT4_S6_EES6_b
	.globl	_ZN2at6native18radixSortKVInPlaceILin1ELin1ELi16ELi2EaljEEvNS_4cuda6detail10TensorInfoIT3_T5_EES6_S6_S6_NS4_IT4_S6_EES6_b
	.p2align	8
	.type	_ZN2at6native18radixSortKVInPlaceILin1ELin1ELi16ELi2EaljEEvNS_4cuda6detail10TensorInfoIT3_T5_EES6_S6_S6_NS4_IT4_S6_EES6_b,@function
_ZN2at6native18radixSortKVInPlaceILin1ELin1ELi16ELi2EaljEEvNS_4cuda6detail10TensorInfoIT3_T5_EES6_S6_S6_NS4_IT4_S6_EES6_b: ; @_ZN2at6native18radixSortKVInPlaceILin1ELin1ELi16ELi2EaljEEvNS_4cuda6detail10TensorInfoIT3_T5_EES6_S6_S6_NS4_IT4_S6_EES6_b
; %bb.0:
	s_clause 0x1
	s_load_b64 s[2:3], s[0:1], 0x1c8
	s_load_b96 s[8:10], s[0:1], 0xd8
	s_lshr_b32 s4, ttmp7, 16
	s_wait_kmcnt 0x0
	s_mul_i32 s3, s3, s4
	s_and_b32 s4, ttmp7, 0xffff
	s_delay_alu instid0(SALU_CYCLE_1) | instskip(NEXT) | instid1(SALU_CYCLE_1)
	s_add_co_i32 s3, s3, s4
	s_mul_i32 s2, s3, s2
	s_delay_alu instid0(SALU_CYCLE_1) | instskip(NEXT) | instid1(SALU_CYCLE_1)
	s_add_co_i32 s11, s2, ttmp9
	s_cmp_ge_u32 s11, s8
	s_cbranch_scc1 .LBB114_71
; %bb.1:
	s_load_b32 s4, s[0:1], 0xd0
	s_mov_b32 s3, 0
	s_mov_b32 s2, s11
	s_wait_kmcnt 0x0
	s_cmp_lt_i32 s4, 2
	s_cbranch_scc1 .LBB114_4
; %bb.2:
	s_add_co_i32 s2, s4, -1
	s_delay_alu instid0(SALU_CYCLE_1)
	s_lshl_b64 s[6:7], s[2:3], 2
	s_mov_b32 s2, s11
	s_add_nc_u64 s[12:13], s[0:1], s[6:7]
	s_add_co_i32 s6, s4, 1
	s_add_nc_u64 s[4:5], s[12:13], 8
.LBB114_3:                              ; =>This Inner Loop Header: Depth=1
	s_clause 0x1
	s_load_b32 s7, s[4:5], 0x0
	s_load_b32 s8, s[4:5], 0x64
	s_mov_b32 s14, s2
	s_add_nc_u64 s[4:5], s[4:5], -4
	s_wait_kmcnt 0x0
	s_cvt_f32_u32 s12, s7
	s_sub_co_i32 s13, 0, s7
	s_wait_alu 0xfffe
	s_delay_alu instid0(SALU_CYCLE_1) | instskip(NEXT) | instid1(TRANS32_DEP_1)
	v_rcp_iflag_f32_e32 v1, s12
	v_readfirstlane_b32 s12, v1
	s_mul_f32 s12, s12, 0x4f7ffffe
	s_wait_alu 0xfffe
	s_delay_alu instid0(SALU_CYCLE_2) | instskip(SKIP_1) | instid1(SALU_CYCLE_2)
	s_cvt_u32_f32 s12, s12
	s_wait_alu 0xfffe
	s_mul_i32 s13, s13, s12
	s_wait_alu 0xfffe
	s_mul_hi_u32 s13, s12, s13
	s_wait_alu 0xfffe
	s_add_co_i32 s12, s12, s13
	s_wait_alu 0xfffe
	s_mul_hi_u32 s2, s2, s12
	s_delay_alu instid0(SALU_CYCLE_1)
	s_mul_i32 s12, s2, s7
	s_add_co_i32 s13, s2, 1
	s_wait_alu 0xfffe
	s_sub_co_i32 s12, s14, s12
	s_wait_alu 0xfffe
	s_sub_co_i32 s15, s12, s7
	s_cmp_ge_u32 s12, s7
	s_cselect_b32 s2, s13, s2
	s_cselect_b32 s12, s15, s12
	s_add_co_i32 s13, s2, 1
	s_wait_alu 0xfffe
	s_cmp_ge_u32 s12, s7
	s_cselect_b32 s2, s13, s2
	s_add_co_i32 s6, s6, -1
	s_mul_i32 s7, s2, s7
	s_delay_alu instid0(SALU_CYCLE_1) | instskip(NEXT) | instid1(SALU_CYCLE_1)
	s_sub_co_i32 s7, s14, s7
	s_mul_i32 s7, s8, s7
	s_delay_alu instid0(SALU_CYCLE_1)
	s_add_co_i32 s3, s7, s3
	s_cmp_gt_u32 s6, 2
	s_cbranch_scc1 .LBB114_3
.LBB114_4:
	s_load_b32 s6, s[0:1], 0x1b8
	s_mov_b32 s5, 0
	s_wait_kmcnt 0x0
	s_cmp_lt_i32 s6, 2
	s_cbranch_scc1 .LBB114_7
; %bb.5:
	s_add_co_i32 s4, s6, -1
	s_delay_alu instid0(SALU_CYCLE_1)
	s_lshl_b64 s[12:13], s[4:5], 2
	s_add_co_i32 s4, s6, 1
	s_wait_alu 0xfffe
	s_add_nc_u64 s[12:13], s[0:1], s[12:13]
	s_wait_alu 0xfffe
	s_add_nc_u64 s[6:7], s[12:13], 0xf0
.LBB114_6:                              ; =>This Inner Loop Header: Depth=1
	s_clause 0x1
	s_load_b32 s8, s[6:7], 0x0
	s_load_b32 s12, s[6:7], 0x64
	s_mov_b32 s15, s11
	s_add_nc_u64 s[6:7], s[6:7], -4
	s_wait_kmcnt 0x0
	s_cvt_f32_u32 s13, s8
	s_sub_co_i32 s14, 0, s8
	s_wait_alu 0xfffe
	s_delay_alu instid0(SALU_CYCLE_1) | instskip(NEXT) | instid1(TRANS32_DEP_1)
	v_rcp_iflag_f32_e32 v1, s13
	v_readfirstlane_b32 s13, v1
	s_mul_f32 s13, s13, 0x4f7ffffe
	s_wait_alu 0xfffe
	s_delay_alu instid0(SALU_CYCLE_2) | instskip(SKIP_1) | instid1(SALU_CYCLE_2)
	s_cvt_u32_f32 s13, s13
	s_wait_alu 0xfffe
	s_mul_i32 s14, s14, s13
	s_delay_alu instid0(SALU_CYCLE_1) | instskip(NEXT) | instid1(SALU_CYCLE_1)
	s_mul_hi_u32 s14, s13, s14
	s_add_co_i32 s13, s13, s14
	s_wait_alu 0xfffe
	s_mul_hi_u32 s11, s11, s13
	s_delay_alu instid0(SALU_CYCLE_1)
	s_mul_i32 s13, s11, s8
	s_add_co_i32 s14, s11, 1
	s_wait_alu 0xfffe
	s_sub_co_i32 s13, s15, s13
	s_wait_alu 0xfffe
	s_sub_co_i32 s16, s13, s8
	s_cmp_ge_u32 s13, s8
	s_cselect_b32 s11, s14, s11
	s_cselect_b32 s13, s16, s13
	s_add_co_i32 s14, s11, 1
	s_wait_alu 0xfffe
	s_cmp_ge_u32 s13, s8
	s_cselect_b32 s11, s14, s11
	s_add_co_i32 s4, s4, -1
	s_mul_i32 s8, s11, s8
	s_delay_alu instid0(SALU_CYCLE_1) | instskip(NEXT) | instid1(SALU_CYCLE_1)
	s_sub_co_i32 s8, s15, s8
	s_mul_i32 s8, s12, s8
	s_delay_alu instid0(SALU_CYCLE_1)
	s_add_co_i32 s5, s8, s5
	s_cmp_gt_u32 s4, 2
	s_cbranch_scc1 .LBB114_6
.LBB114_7:
	s_clause 0x2
	s_load_b32 s4, s[0:1], 0x6c
	s_load_b64 s[12:13], s[0:1], 0x1c0
	s_load_b64 s[6:7], s[0:1], 0x0
	s_movk_i32 s8, 0x80
	v_mul_lo_u32 v20, s10, v0
	s_mov_b32 s15, 0
	s_wait_kmcnt 0x0
	s_mul_i32 s2, s4, s2
	s_mov_b32 s4, 0xff80
	s_add_co_i32 s14, s2, s3
	s_bitcmp1_b32 s13, 0
	s_movk_i32 s2, 0x8000
	s_cselect_b32 s3, -1, 0
	s_add_nc_u64 s[14:15], s[6:7], s[14:15]
	s_and_b32 s13, s3, exec_lo
	s_cselect_b32 s2, s2, 0x7f00
	s_cselect_b32 s8, s8, 0x7f
	;; [unrolled: 1-line block ×3, first 2 shown]
	s_or_b32 s2, s8, s2
	s_wait_alu 0xfffe
	v_mov_b32_e32 v1, s13
	s_and_b32 s4, s2, 0xffff
	v_cmp_gt_u32_e64 s2, s9, v0
	v_mov_b32_e32 v2, s4
	s_and_saveexec_b32 s6, s2
	s_cbranch_execz .LBB114_9
; %bb.8:
	global_load_u8 v1, v20, s[14:15]
	s_wait_loadcnt 0x0
	v_perm_b32 v2, v1, s4, 0xc0c0104
.LBB114_9:
	s_or_b32 exec_lo, exec_lo, s6
	s_clause 0x1
	s_load_b32 s4, s[0:1], 0x154
	s_load_b64 s[6:7], s[0:1], 0xe8
	v_or_b32_e32 v3, 16, v0
	s_delay_alu instid0(VALU_DEP_1)
	v_cmp_gt_u32_e64 s0, s9, v3
	s_and_saveexec_b32 s1, s0
	s_cbranch_execz .LBB114_11
; %bb.10:
	v_mul_lo_u32 v4, s10, v3
	global_load_u8 v4, v4, s[14:15]
	s_wait_loadcnt 0x0
	v_perm_b32 v2, v2, v4, 0xc0c0004
.LBB114_11:
	s_or_b32 exec_lo, exec_lo, s1
	v_dual_mov_b32 v18, 0 :: v_dual_lshlrev_b32 v21, 1, v0
	s_delay_alu instid0(VALU_DEP_2)
	v_lshrrev_b16 v2, 8, v2
	s_wait_kmcnt 0x0
	s_mul_i32 s1, s4, s11
	ds_store_b8 v0, v1
	ds_store_b8 v0, v2 offset:16
	s_wait_dscnt 0x0
	; wave barrier
	global_inv scope:SCOPE_SE
	ds_load_u16 v26, v21
	v_mul_lo_u32 v17, s12, v0
	s_add_co_i32 s4, s1, s5
	s_mov_b32 s5, 0
	v_mov_b32_e32 v1, 0
	v_dual_mov_b32 v2, 0 :: v_dual_mov_b32 v19, v18
	s_wait_alu 0xfffe
	s_lshl_b64 s[4:5], s[4:5], 3
	s_wait_loadcnt_dscnt 0x0
	s_wait_alu 0xfffe
	s_add_nc_u64 s[8:9], s[6:7], s[4:5]
	; wave barrier
	global_inv scope:SCOPE_SE
	s_and_saveexec_b32 s1, s2
	s_cbranch_execz .LBB114_13
; %bb.12:
	v_lshlrev_b64_e32 v[1:2], 3, v[17:18]
	v_mov_b32_e32 v19, v18
	s_wait_alu 0xfffe
	s_delay_alu instid0(VALU_DEP_2) | instskip(NEXT) | instid1(VALU_DEP_1)
	v_add_co_u32 v1, vcc_lo, s8, v1
	v_add_co_ci_u32_e64 v2, null, s9, v2, vcc_lo
	global_load_b64 v[1:2], v[1:2], off
.LBB114_13:
	s_or_b32 exec_lo, exec_lo, s1
	s_xor_b32 s16, s3, -1
	s_and_saveexec_b32 s1, s0
	s_cbranch_execz .LBB114_15
; %bb.14:
	v_mul_lo_u32 v3, s12, v3
	v_mov_b32_e32 v4, 0
	s_delay_alu instid0(VALU_DEP_1) | instskip(SKIP_1) | instid1(VALU_DEP_1)
	v_lshlrev_b64_e32 v[3:4], 3, v[3:4]
	s_wait_alu 0xfffe
	v_add_co_u32 v3, vcc_lo, s8, v3
	s_wait_alu 0xfffd
	s_delay_alu instid0(VALU_DEP_2)
	v_add_co_ci_u32_e64 v4, null, s9, v4, vcc_lo
	global_load_b64 v[18:19], v[3:4], off
.LBB114_15:
	s_or_b32 exec_lo, exec_lo, s1
	v_mbcnt_lo_u32_b32 v5, -1, 0
	v_lshlrev_b32_e32 v23, 3, v21
	s_getpc_b64 s[4:5]
	s_wait_alu 0xfffe
	s_sext_i32_i16 s5, s5
	s_add_co_u32 s4, s4, _ZN7rocprim17ROCPRIM_400000_NS16block_radix_sortIaLj16ELj2ElLj1ELj1ELj0ELNS0_26block_radix_rank_algorithmE1ELNS0_18block_padding_hintE2ELNS0_4arch9wavefront6targetE0EE19radix_bits_per_passE@rel32@lo+12
	s_wait_alu 0xfffe
	s_add_co_ci_u32 s5, s5, _ZN7rocprim17ROCPRIM_400000_NS16block_radix_sortIaLj16ELj2ElLj1ELj1ELj0ELNS0_26block_radix_rank_algorithmE1ELNS0_18block_padding_hintE2ELNS0_4arch9wavefront6targetE0EE19radix_bits_per_passE@rel32@hi+24
	v_lshlrev_b32_e32 v24, 5, v0
	s_load_b32 s13, s[4:5], 0x0
	v_sub_co_u32 v7, s11, v5, 1
	v_and_b32_e32 v8, 16, v5
	v_and_b32_e32 v6, 15, v5
	v_lshrrev_b16 v27, 8, v26
	v_cmp_gt_u32_e64 s7, 0x80, v0
	v_cmp_eq_u32_e64 s1, 15, v0
	v_cmp_lt_i32_e32 vcc_lo, v7, v8
	v_lshlrev_b32_e32 v22, 3, v0
	v_cmp_eq_u32_e64 s5, 0, v6
	v_cmp_lt_u32_e64 s3, 1, v6
	v_cmp_lt_u32_e64 s6, 3, v6
	s_wait_alu 0xfffd
	v_cndmask_b32_e32 v5, v7, v5, vcc_lo
	s_wait_loadcnt 0x0
	ds_store_2addr_b64 v22, v[1:2], v[18:19] offset1:16
	s_wait_dscnt 0x0
	; wave barrier
	global_inv scope:SCOPE_SE
	ds_load_2addr_b64 v[1:4], v23 offset1:1
	v_mad_i32_i24 v19, 0xffffffe2, v0, v24
	v_cmp_lt_u32_e64 s4, 7, v6
	v_lshlrev_b32_e32 v25, 2, v5
	s_mov_b32 s17, -1
	s_and_b32 vcc_lo, exec_lo, s16
	v_mad_u32_u24 v18, v0, 14, v19
	s_wait_kmcnt 0x0
	s_min_u32 s16, s13, 8
	; wave barrier
	s_wait_loadcnt_dscnt 0x0
	global_inv scope:SCOPE_SE
	s_wait_alu 0xfffe
	s_cbranch_vccz .LBB114_39
; %bb.16:
	s_and_saveexec_b32 s17, s7
	s_cbranch_execz .LBB114_25
; %bb.17:
	v_dual_mov_b32 v6, 0 :: v_dual_lshlrev_b32 v5, 2, v0
	v_cmp_gt_u32_e32 vcc_lo, 0x70, v0
	ds_store_b32 v5, v6
	s_and_b32 exec_lo, exec_lo, vcc_lo
	s_cbranch_execz .LBB114_25
; %bb.18:
	v_cmp_gt_u32_e32 vcc_lo, 0x60, v0
	ds_store_b32 v5, v6 offset:64
	s_and_b32 exec_lo, exec_lo, vcc_lo
	s_cbranch_execz .LBB114_25
; %bb.19:
	v_mov_b32_e32 v6, 0
	v_cmp_gt_u32_e32 vcc_lo, 0x50, v0
	ds_store_b32 v5, v6 offset:128
	s_and_b32 exec_lo, exec_lo, vcc_lo
	s_cbranch_execz .LBB114_25
; %bb.20:
	v_cmp_gt_u32_e32 vcc_lo, 64, v0
	ds_store_b32 v5, v6 offset:192
	s_and_b32 exec_lo, exec_lo, vcc_lo
	s_cbranch_execz .LBB114_25
; %bb.21:
	v_mov_b32_e32 v6, 0
	v_cmp_gt_u32_e32 vcc_lo, 48, v0
	ds_store_b32 v5, v6 offset:256
	s_and_b32 exec_lo, exec_lo, vcc_lo
	s_cbranch_execz .LBB114_25
; %bb.22:
	v_cmp_gt_u32_e32 vcc_lo, 32, v0
	ds_store_b32 v5, v6 offset:320
	s_and_b32 exec_lo, exec_lo, vcc_lo
	s_cbranch_execz .LBB114_25
; %bb.23:
	v_mov_b32_e32 v6, 0
	v_cmp_gt_u32_e32 vcc_lo, 16, v0
	ds_store_b32 v5, v6 offset:384
	s_and_b32 exec_lo, exec_lo, vcc_lo
; %bb.24:
	ds_store_b32 v5, v6 offset:448
.LBB114_25:
	s_or_b32 exec_lo, exec_lo, s17
	v_xor_b32_e32 v13, 0xffffff80, v26
	s_lshl_b32 s17, -1, s16
	v_xor_b32_e32 v14, 0xffffff80, v27
	s_not_b32 s17, s17
	s_delay_alu instid0(VALU_DEP_2) | instid1(SALU_CYCLE_1)
	v_and_b32_e32 v5, s17, v13
	s_delay_alu instid0(VALU_DEP_1) | instskip(SKIP_1) | instid1(VALU_DEP_2)
	v_lshlrev_b32_e32 v6, 4, v5
	v_lshrrev_b32_e32 v5, 2, v5
	v_and_or_b32 v6, 0x70, v6, v0
	s_delay_alu instid0(VALU_DEP_2) | instskip(NEXT) | instid1(VALU_DEP_1)
	v_and_b32_e32 v5, 62, v5
	v_lshl_add_u32 v16, v6, 2, v5
	v_and_b32_e32 v5, s17, v14
	ds_load_u16 v15, v16
	v_lshlrev_b32_e32 v6, 4, v5
	v_lshrrev_b32_e32 v5, 2, v5
	s_delay_alu instid0(VALU_DEP_2) | instskip(NEXT) | instid1(VALU_DEP_2)
	v_and_or_b32 v6, 0x70, v6, v0
	v_and_b32_e32 v5, 62, v5
	s_delay_alu instid0(VALU_DEP_1)
	v_lshl_add_u32 v28, v6, 2, v5
	s_wait_dscnt 0x0
	v_add_nc_u16 v7, v15, 1
	ds_store_b16 v16, v7
	ds_load_u16 v30, v28
	s_wait_dscnt 0x0
	v_add_nc_u16 v5, v30, 1
	ds_store_b16 v28, v5
	; wave barrier
	s_wait_loadcnt_dscnt 0x0
	global_inv scope:SCOPE_SE
	ds_load_b128 v[9:12], v24
	ds_load_b128 v[5:8], v24 offset:16
	s_wait_dscnt 0x1
	v_add_nc_u32_e32 v29, v10, v9
	s_delay_alu instid0(VALU_DEP_1) | instskip(SKIP_1) | instid1(VALU_DEP_1)
	v_add3_u32 v29, v29, v11, v12
	s_wait_dscnt 0x0
	v_add3_u32 v29, v29, v5, v6
	s_delay_alu instid0(VALU_DEP_1) | instskip(NEXT) | instid1(VALU_DEP_1)
	v_add3_u32 v8, v29, v7, v8
	v_mov_b32_dpp v29, v8 row_shr:1 row_mask:0xf bank_mask:0xf
	s_delay_alu instid0(VALU_DEP_1) | instskip(NEXT) | instid1(VALU_DEP_1)
	v_cndmask_b32_e64 v29, v29, 0, s5
	v_add_nc_u32_e32 v8, v29, v8
	s_delay_alu instid0(VALU_DEP_1) | instskip(NEXT) | instid1(VALU_DEP_1)
	v_mov_b32_dpp v29, v8 row_shr:2 row_mask:0xf bank_mask:0xf
	v_cndmask_b32_e64 v29, 0, v29, s3
	s_delay_alu instid0(VALU_DEP_1) | instskip(NEXT) | instid1(VALU_DEP_1)
	v_add_nc_u32_e32 v8, v8, v29
	v_mov_b32_dpp v29, v8 row_shr:4 row_mask:0xf bank_mask:0xf
	s_delay_alu instid0(VALU_DEP_1) | instskip(NEXT) | instid1(VALU_DEP_1)
	v_cndmask_b32_e64 v29, 0, v29, s6
	v_add_nc_u32_e32 v8, v8, v29
	s_delay_alu instid0(VALU_DEP_1) | instskip(NEXT) | instid1(VALU_DEP_1)
	v_mov_b32_dpp v29, v8 row_shr:8 row_mask:0xf bank_mask:0xf
	v_cndmask_b32_e64 v29, 0, v29, s4
	s_delay_alu instid0(VALU_DEP_1)
	v_add_nc_u32_e32 v8, v8, v29
	s_and_saveexec_b32 s17, s1
; %bb.26:
	v_mov_b32_e32 v29, 0
	ds_store_b32 v29, v8 offset:512
; %bb.27:
	s_wait_alu 0xfffe
	s_or_b32 exec_lo, exec_lo, s17
	ds_bpermute_b32 v8, v25, v8
	v_mov_b32_e32 v29, 0
	; wave barrier
	s_wait_loadcnt_dscnt 0x0
	global_inv scope:SCOPE_SE
	ds_load_b32 v31, v29 offset:512
	v_cndmask_b32_e64 v8, v8, 0, s11
	s_wait_dscnt 0x0
	s_delay_alu instid0(VALU_DEP_1) | instskip(NEXT) | instid1(VALU_DEP_1)
	v_lshl_add_u32 v8, v31, 16, v8
	v_add_nc_u32_e32 v9, v8, v9
	s_delay_alu instid0(VALU_DEP_1) | instskip(NEXT) | instid1(VALU_DEP_1)
	v_add_nc_u32_e32 v10, v9, v10
	v_add_nc_u32_e32 v11, v10, v11
	s_delay_alu instid0(VALU_DEP_1) | instskip(NEXT) | instid1(VALU_DEP_1)
	v_add_nc_u32_e32 v31, v11, v12
	;; [unrolled: 3-line block ×3, first 2 shown]
	v_add_nc_u32_e32 v34, v33, v7
	v_and_b32_e32 v7, 0xffff, v15
	ds_store_b128 v24, v[8:11]
	ds_store_b128 v24, v[31:34] offset:16
	; wave barrier
	s_wait_loadcnt_dscnt 0x0
	global_inv scope:SCOPE_SE
	ds_load_u16 v5, v16
	ds_load_u16 v6, v28
	v_and_b32_e32 v8, 0xffff, v30
	; wave barrier
	s_wait_loadcnt_dscnt 0x0
	global_inv scope:SCOPE_SE
	v_add_nc_u32_e32 v5, v5, v7
	v_add_nc_u32_e32 v6, v6, v8
	ds_store_b8 v5, v13
	ds_store_b8 v6, v14
	v_lshlrev_b32_e32 v5, 3, v5
	v_lshlrev_b32_e32 v6, 3, v6
	; wave barrier
	s_wait_loadcnt_dscnt 0x0
	global_inv scope:SCOPE_SE
	ds_load_u16 v28, v19
	; wave barrier
	s_wait_loadcnt_dscnt 0x0
	global_inv scope:SCOPE_SE
	ds_store_b64 v5, v[1:2]
	ds_store_b64 v6, v[3:4]
	; wave barrier
	s_wait_loadcnt_dscnt 0x0
	global_inv scope:SCOPE_SE
	ds_load_b128 v[5:8], v18
	; wave barrier
	s_wait_loadcnt_dscnt 0x0
	global_inv scope:SCOPE_SE
	s_and_saveexec_b32 s17, s7
	s_cbranch_execz .LBB114_36
; %bb.28:
	v_lshlrev_b32_e32 v9, 2, v0
	v_cmp_gt_u32_e32 vcc_lo, 0x70, v0
	ds_store_b32 v9, v29
	s_and_b32 exec_lo, exec_lo, vcc_lo
	s_cbranch_execz .LBB114_36
; %bb.29:
	v_mov_b32_e32 v10, 0
	v_cmp_gt_u32_e32 vcc_lo, 0x60, v0
	ds_store_b32 v9, v10 offset:64
	s_and_b32 exec_lo, exec_lo, vcc_lo
	s_cbranch_execz .LBB114_36
; %bb.30:
	v_cmp_gt_u32_e32 vcc_lo, 0x50, v0
	ds_store_b32 v9, v10 offset:128
	s_and_b32 exec_lo, exec_lo, vcc_lo
	s_cbranch_execz .LBB114_36
; %bb.31:
	v_mov_b32_e32 v10, 0
	v_cmp_gt_u32_e32 vcc_lo, 64, v0
	ds_store_b32 v9, v10 offset:192
	s_and_b32 exec_lo, exec_lo, vcc_lo
	s_cbranch_execz .LBB114_36
; %bb.32:
	v_cmp_gt_u32_e32 vcc_lo, 48, v0
	ds_store_b32 v9, v10 offset:256
	;; [unrolled: 11-line block ×3, first 2 shown]
	s_and_b32 exec_lo, exec_lo, vcc_lo
; %bb.35:
	v_mov_b32_e32 v10, 0
	ds_store_b32 v9, v10 offset:448
.LBB114_36:
	s_wait_alu 0xfffe
	s_or_b32 exec_lo, exec_lo, s17
	v_lshrrev_b16 v9, 4, v28
	s_min_u32 s17, s13, 4
	s_wait_alu 0xfffe
	s_lshl_b32 s17, -1, s17
	s_wait_alu 0xfffe
	s_not_b32 s17, s17
	v_and_b32_e32 v9, 15, v9
	s_delay_alu instid0(VALU_DEP_1) | instskip(SKIP_1) | instid1(VALU_DEP_1)
	v_and_b32_e32 v9, 0xffff, v9
	s_wait_alu 0xfffe
	v_and_b32_e32 v9, s17, v9
	s_delay_alu instid0(VALU_DEP_1) | instskip(SKIP_1) | instid1(VALU_DEP_2)
	v_lshlrev_b32_e32 v10, 4, v9
	v_lshrrev_b32_e32 v9, 2, v9
	v_and_or_b32 v10, 0x70, v10, v0
	s_delay_alu instid0(VALU_DEP_2) | instskip(NEXT) | instid1(VALU_DEP_1)
	v_and_b32_e32 v9, 2, v9
	v_lshl_or_b32 v29, v10, 2, v9
	v_lshrrev_b16 v9, 12, v28
	ds_load_u16 v30, v29
	v_and_b32_e32 v9, 0xffff, v9
	s_delay_alu instid0(VALU_DEP_1) | instskip(SKIP_1) | instid1(VALU_DEP_1)
	v_and_b32_e32 v9, s17, v9
	s_mov_b32 s17, 0
	v_lshlrev_b32_e32 v10, 4, v9
	v_lshrrev_b32_e32 v9, 2, v9
	s_delay_alu instid0(VALU_DEP_2) | instskip(NEXT) | instid1(VALU_DEP_2)
	v_and_or_b32 v10, 0x70, v10, v0
	v_and_b32_e32 v9, 2, v9
	s_wait_dscnt 0x0
	v_add_nc_u16 v11, v30, 1
	s_delay_alu instid0(VALU_DEP_2)
	v_lshl_or_b32 v31, v10, 2, v9
	ds_store_b16 v29, v11
	ds_load_u16 v32, v31
	s_wait_dscnt 0x0
	v_add_nc_u16 v9, v32, 1
	ds_store_b16 v31, v9
	; wave barrier
	s_wait_loadcnt_dscnt 0x0
	global_inv scope:SCOPE_SE
	ds_load_b128 v[13:16], v24
	ds_load_b128 v[9:12], v24 offset:16
	s_wait_dscnt 0x1
	v_add_nc_u32_e32 v33, v14, v13
	s_delay_alu instid0(VALU_DEP_1) | instskip(SKIP_1) | instid1(VALU_DEP_1)
	v_add3_u32 v33, v33, v15, v16
	s_wait_dscnt 0x0
	v_add3_u32 v33, v33, v9, v10
	s_delay_alu instid0(VALU_DEP_1) | instskip(NEXT) | instid1(VALU_DEP_1)
	v_add3_u32 v12, v33, v11, v12
	v_mov_b32_dpp v33, v12 row_shr:1 row_mask:0xf bank_mask:0xf
	s_delay_alu instid0(VALU_DEP_1) | instskip(NEXT) | instid1(VALU_DEP_1)
	v_cndmask_b32_e64 v33, v33, 0, s5
	v_add_nc_u32_e32 v12, v33, v12
	s_delay_alu instid0(VALU_DEP_1) | instskip(NEXT) | instid1(VALU_DEP_1)
	v_mov_b32_dpp v33, v12 row_shr:2 row_mask:0xf bank_mask:0xf
	v_cndmask_b32_e64 v33, 0, v33, s3
	s_delay_alu instid0(VALU_DEP_1) | instskip(NEXT) | instid1(VALU_DEP_1)
	v_add_nc_u32_e32 v12, v12, v33
	v_mov_b32_dpp v33, v12 row_shr:4 row_mask:0xf bank_mask:0xf
	s_delay_alu instid0(VALU_DEP_1) | instskip(NEXT) | instid1(VALU_DEP_1)
	v_cndmask_b32_e64 v33, 0, v33, s6
	v_add_nc_u32_e32 v33, v12, v33
	s_delay_alu instid0(VALU_DEP_1) | instskip(NEXT) | instid1(VALU_DEP_1)
	v_mov_b32_dpp v12, v33 row_shr:8 row_mask:0xf bank_mask:0xf
	v_cndmask_b32_e64 v34, 0, v12, s4
	v_lshrrev_b16 v12, 8, v28
	s_delay_alu instid0(VALU_DEP_2)
	v_add_nc_u32_e32 v33, v33, v34
	s_and_saveexec_b32 s18, s1
; %bb.37:
	v_mov_b32_e32 v34, 0
	ds_store_b32 v34, v33 offset:512
; %bb.38:
	s_or_b32 exec_lo, exec_lo, s18
	ds_bpermute_b32 v33, v25, v33
	v_mov_b32_e32 v34, 0
	; wave barrier
	s_wait_loadcnt_dscnt 0x0
	global_inv scope:SCOPE_SE
	ds_load_b32 v34, v34 offset:512
	v_cndmask_b32_e64 v33, v33, 0, s11
	s_wait_dscnt 0x0
	s_delay_alu instid0(VALU_DEP_1) | instskip(NEXT) | instid1(VALU_DEP_1)
	v_lshl_add_u32 v33, v34, 16, v33
	v_add_nc_u32_e32 v34, v33, v13
	s_delay_alu instid0(VALU_DEP_1) | instskip(NEXT) | instid1(VALU_DEP_1)
	v_add_nc_u32_e32 v35, v34, v14
	v_add_nc_u32_e32 v36, v35, v15
	s_delay_alu instid0(VALU_DEP_1) | instskip(NEXT) | instid1(VALU_DEP_1)
	v_add_nc_u32_e32 v13, v36, v16
	;; [unrolled: 3-line block ×3, first 2 shown]
	v_add_nc_u32_e32 v16, v15, v11
	v_and_b32_e32 v11, 0xffff, v30
	ds_store_b128 v24, v[33:36]
	ds_store_b128 v24, v[13:16] offset:16
	; wave barrier
	s_wait_loadcnt_dscnt 0x0
	global_inv scope:SCOPE_SE
	ds_load_u16 v9, v29
	ds_load_u16 v10, v31
	v_and_b32_e32 v13, 0xffff, v32
	; wave barrier
	s_wait_loadcnt_dscnt 0x0
	global_inv scope:SCOPE_SE
	v_add_nc_u32_e32 v9, v9, v11
	v_add_nc_u32_e32 v10, v10, v13
	ds_store_b8 v9, v28
	ds_store_b8 v10, v12
	; wave barrier
	s_wait_loadcnt_dscnt 0x0
	global_inv scope:SCOPE_SE
	ds_load_u16 v11, v19
	v_lshlrev_b32_e32 v9, 3, v9
	v_lshlrev_b32_e32 v10, 3, v10
	; wave barrier
	s_wait_loadcnt_dscnt 0x0
	global_inv scope:SCOPE_SE
	ds_store_b64 v9, v[5:6]
	ds_store_b64 v10, v[7:8]
	; wave barrier
	s_wait_loadcnt_dscnt 0x0
	global_inv scope:SCOPE_SE
	ds_load_b128 v[5:8], v18
	v_xor_b32_e32 v9, 0x80, v11
	v_and_b32_e32 v10, 0xffffff00, v11
	s_delay_alu instid0(VALU_DEP_2) | instskip(NEXT) | instid1(VALU_DEP_1)
	v_and_b32_e32 v9, 0xff, v9
	v_or_b32_e32 v9, v9, v10
	s_delay_alu instid0(VALU_DEP_1) | instskip(NEXT) | instid1(VALU_DEP_1)
	v_add_nc_u16 v9, 0x8000, v9
	v_and_b32_e32 v9, 0xffff, v9
	s_wait_alu 0xfffe
	s_and_b32 vcc_lo, exec_lo, s17
	s_wait_alu 0xfffe
	s_cbranch_vccnz .LBB114_40
	s_branch .LBB114_63
.LBB114_39:
                                        ; implicit-def: $vgpr7_vgpr8
                                        ; implicit-def: $vgpr9
	s_and_b32 vcc_lo, exec_lo, s17
	s_wait_alu 0xfffe
	s_cbranch_vccz .LBB114_63
.LBB114_40:
	s_and_saveexec_b32 s17, s7
	s_cbranch_execz .LBB114_49
; %bb.41:
	s_wait_dscnt 0x0
	v_mad_i32_i24 v5, v0, -12, v18
	v_mov_b32_e32 v6, 0
	v_cmp_gt_u32_e32 vcc_lo, 0x70, v0
	ds_store_b32 v5, v6
	s_and_b32 exec_lo, exec_lo, vcc_lo
	s_cbranch_execz .LBB114_49
; %bb.42:
	v_mul_i32_i24_e32 v5, -12, v0
	v_cmp_gt_u32_e32 vcc_lo, 0x60, v0
	s_delay_alu instid0(VALU_DEP_2)
	v_add_nc_u32_e32 v5, v18, v5
	ds_store_b32 v5, v6 offset:64
	s_and_b32 exec_lo, exec_lo, vcc_lo
	s_cbranch_execz .LBB114_49
; %bb.43:
	v_mov_b32_e32 v6, 0
	v_cmp_gt_u32_e32 vcc_lo, 0x50, v0
	ds_store_b32 v5, v6 offset:128
	s_and_b32 exec_lo, exec_lo, vcc_lo
	s_cbranch_execz .LBB114_49
; %bb.44:
	v_cmp_gt_u32_e32 vcc_lo, 64, v0
	ds_store_b32 v5, v6 offset:192
	s_and_b32 exec_lo, exec_lo, vcc_lo
	s_cbranch_execz .LBB114_49
; %bb.45:
	v_mov_b32_e32 v6, 0
	v_cmp_gt_u32_e32 vcc_lo, 48, v0
	ds_store_b32 v5, v6 offset:256
	s_and_b32 exec_lo, exec_lo, vcc_lo
	s_cbranch_execz .LBB114_49
; %bb.46:
	v_cmp_gt_u32_e32 vcc_lo, 32, v0
	ds_store_b32 v5, v6 offset:320
	s_and_b32 exec_lo, exec_lo, vcc_lo
	s_cbranch_execz .LBB114_49
; %bb.47:
	v_mov_b32_e32 v6, 0
	v_cmp_gt_u32_e32 vcc_lo, 16, v0
	ds_store_b32 v5, v6 offset:384
	s_and_b32 exec_lo, exec_lo, vcc_lo
; %bb.48:
	ds_store_b32 v5, v6 offset:448
.LBB114_49:
	s_wait_alu 0xfffe
	s_or_b32 exec_lo, exec_lo, s17
	v_xor_b32_e32 v13, 0x7f, v26
	s_lshl_b32 s16, -1, s16
	v_xor_b32_e32 v14, 0x7f, v27
	s_wait_alu 0xfffe
	s_not_b32 s16, s16
	s_wait_dscnt 0x0
	s_wait_alu 0xfffe
	v_and_b32_e32 v5, s16, v13
	s_delay_alu instid0(VALU_DEP_1) | instskip(SKIP_1) | instid1(VALU_DEP_2)
	v_lshlrev_b32_e32 v6, 4, v5
	v_lshrrev_b32_e32 v5, 2, v5
	v_and_or_b32 v6, 0x70, v6, v0
	s_delay_alu instid0(VALU_DEP_2) | instskip(NEXT) | instid1(VALU_DEP_1)
	v_and_b32_e32 v5, 62, v5
	v_lshl_add_u32 v16, v6, 2, v5
	v_and_b32_e32 v5, 0xffff, v14
	ds_load_u16 v15, v16
	v_and_b32_e32 v5, s16, v5
	s_delay_alu instid0(VALU_DEP_1) | instskip(SKIP_1) | instid1(VALU_DEP_2)
	v_lshlrev_b32_e32 v6, 4, v5
	v_lshrrev_b32_e32 v5, 2, v5
	v_and_or_b32 v6, 0x70, v6, v0
	s_delay_alu instid0(VALU_DEP_2) | instskip(NEXT) | instid1(VALU_DEP_1)
	v_and_b32_e32 v5, 62, v5
	v_lshl_add_u32 v26, v6, 2, v5
	s_wait_dscnt 0x0
	v_add_nc_u16 v7, v15, 1
	ds_store_b16 v16, v7
	ds_load_u16 v27, v26
	s_wait_dscnt 0x0
	v_add_nc_u16 v5, v27, 1
	ds_store_b16 v26, v5
	; wave barrier
	s_wait_loadcnt_dscnt 0x0
	global_inv scope:SCOPE_SE
	ds_load_b128 v[9:12], v24
	ds_load_b128 v[5:8], v24 offset:16
	s_wait_dscnt 0x1
	v_add_nc_u32_e32 v28, v10, v9
	s_delay_alu instid0(VALU_DEP_1) | instskip(SKIP_1) | instid1(VALU_DEP_1)
	v_add3_u32 v28, v28, v11, v12
	s_wait_dscnt 0x0
	v_add3_u32 v28, v28, v5, v6
	s_delay_alu instid0(VALU_DEP_1) | instskip(NEXT) | instid1(VALU_DEP_1)
	v_add3_u32 v8, v28, v7, v8
	v_mov_b32_dpp v28, v8 row_shr:1 row_mask:0xf bank_mask:0xf
	s_delay_alu instid0(VALU_DEP_1) | instskip(NEXT) | instid1(VALU_DEP_1)
	v_cndmask_b32_e64 v28, v28, 0, s5
	v_add_nc_u32_e32 v8, v28, v8
	s_delay_alu instid0(VALU_DEP_1) | instskip(NEXT) | instid1(VALU_DEP_1)
	v_mov_b32_dpp v28, v8 row_shr:2 row_mask:0xf bank_mask:0xf
	v_cndmask_b32_e64 v28, 0, v28, s3
	s_delay_alu instid0(VALU_DEP_1) | instskip(NEXT) | instid1(VALU_DEP_1)
	v_add_nc_u32_e32 v8, v8, v28
	v_mov_b32_dpp v28, v8 row_shr:4 row_mask:0xf bank_mask:0xf
	s_delay_alu instid0(VALU_DEP_1) | instskip(NEXT) | instid1(VALU_DEP_1)
	v_cndmask_b32_e64 v28, 0, v28, s6
	v_add_nc_u32_e32 v8, v8, v28
	s_delay_alu instid0(VALU_DEP_1) | instskip(NEXT) | instid1(VALU_DEP_1)
	v_mov_b32_dpp v28, v8 row_shr:8 row_mask:0xf bank_mask:0xf
	v_cndmask_b32_e64 v28, 0, v28, s4
	s_delay_alu instid0(VALU_DEP_1)
	v_add_nc_u32_e32 v8, v8, v28
	s_and_saveexec_b32 s16, s1
; %bb.50:
	v_mov_b32_e32 v28, 0
	ds_store_b32 v28, v8 offset:512
; %bb.51:
	s_wait_alu 0xfffe
	s_or_b32 exec_lo, exec_lo, s16
	ds_bpermute_b32 v28, v25, v8
	v_mov_b32_e32 v8, 0
	; wave barrier
	s_wait_loadcnt_dscnt 0x0
	global_inv scope:SCOPE_SE
	ds_load_b32 v29, v8 offset:512
	v_cndmask_b32_e64 v28, v28, 0, s11
	s_wait_dscnt 0x0
	s_delay_alu instid0(VALU_DEP_1) | instskip(NEXT) | instid1(VALU_DEP_1)
	v_lshl_add_u32 v28, v29, 16, v28
	v_add_nc_u32_e32 v29, v28, v9
	s_delay_alu instid0(VALU_DEP_1) | instskip(NEXT) | instid1(VALU_DEP_1)
	v_add_nc_u32_e32 v30, v29, v10
	v_add_nc_u32_e32 v31, v30, v11
	s_delay_alu instid0(VALU_DEP_1) | instskip(NEXT) | instid1(VALU_DEP_1)
	v_add_nc_u32_e32 v9, v31, v12
	v_add_nc_u32_e32 v10, v9, v5
	s_delay_alu instid0(VALU_DEP_1) | instskip(NEXT) | instid1(VALU_DEP_1)
	v_add_nc_u32_e32 v11, v10, v6
	v_add_nc_u32_e32 v12, v11, v7
	v_and_b32_e32 v7, 0xffff, v15
	ds_store_b128 v24, v[28:31]
	ds_store_b128 v24, v[9:12] offset:16
	; wave barrier
	s_wait_loadcnt_dscnt 0x0
	global_inv scope:SCOPE_SE
	ds_load_u16 v5, v16
	ds_load_u16 v6, v26
	v_and_b32_e32 v9, 0xffff, v27
	; wave barrier
	s_wait_loadcnt_dscnt 0x0
	global_inv scope:SCOPE_SE
	v_add_nc_u32_e32 v5, v5, v7
	v_add_nc_u32_e32 v6, v6, v9
	ds_store_b8 v5, v13
	ds_store_b8 v6, v14
	v_lshlrev_b32_e32 v5, 3, v5
	v_lshlrev_b32_e32 v6, 3, v6
	; wave barrier
	s_wait_loadcnt_dscnt 0x0
	global_inv scope:SCOPE_SE
	ds_load_u16 v13, v19
	; wave barrier
	s_wait_loadcnt_dscnt 0x0
	global_inv scope:SCOPE_SE
	ds_store_b64 v5, v[1:2]
	ds_store_b64 v6, v[3:4]
	; wave barrier
	s_wait_loadcnt_dscnt 0x0
	global_inv scope:SCOPE_SE
	ds_load_b128 v[1:4], v18
	; wave barrier
	s_wait_loadcnt_dscnt 0x0
	global_inv scope:SCOPE_SE
	s_and_saveexec_b32 s16, s7
	s_cbranch_execz .LBB114_60
; %bb.52:
	v_lshlrev_b32_e32 v5, 2, v0
	v_cmp_gt_u32_e32 vcc_lo, 0x70, v0
	ds_store_b32 v5, v8
	s_and_b32 exec_lo, exec_lo, vcc_lo
	s_cbranch_execz .LBB114_60
; %bb.53:
	v_mov_b32_e32 v6, 0
	v_cmp_gt_u32_e32 vcc_lo, 0x60, v0
	ds_store_b32 v5, v6 offset:64
	s_and_b32 exec_lo, exec_lo, vcc_lo
	s_cbranch_execz .LBB114_60
; %bb.54:
	v_cmp_gt_u32_e32 vcc_lo, 0x50, v0
	ds_store_b32 v5, v6 offset:128
	s_and_b32 exec_lo, exec_lo, vcc_lo
	s_cbranch_execz .LBB114_60
; %bb.55:
	v_mov_b32_e32 v6, 0
	v_cmp_gt_u32_e32 vcc_lo, 64, v0
	ds_store_b32 v5, v6 offset:192
	s_and_b32 exec_lo, exec_lo, vcc_lo
	s_cbranch_execz .LBB114_60
; %bb.56:
	v_cmp_gt_u32_e32 vcc_lo, 48, v0
	ds_store_b32 v5, v6 offset:256
	;; [unrolled: 11-line block ×3, first 2 shown]
	s_and_b32 exec_lo, exec_lo, vcc_lo
; %bb.59:
	v_mov_b32_e32 v6, 0
	ds_store_b32 v5, v6 offset:448
.LBB114_60:
	s_wait_alu 0xfffe
	s_or_b32 exec_lo, exec_lo, s16
	v_lshrrev_b16 v5, 4, v13
	s_min_u32 s7, s13, 4
	s_wait_alu 0xfffe
	s_lshl_b32 s7, -1, s7
	s_wait_alu 0xfffe
	s_not_b32 s7, s7
	v_and_b32_e32 v5, 15, v5
	s_delay_alu instid0(VALU_DEP_1) | instskip(SKIP_1) | instid1(VALU_DEP_1)
	v_and_b32_e32 v5, 0xffff, v5
	s_wait_alu 0xfffe
	v_and_b32_e32 v5, s7, v5
	s_delay_alu instid0(VALU_DEP_1) | instskip(SKIP_1) | instid1(VALU_DEP_2)
	v_lshlrev_b32_e32 v6, 4, v5
	v_lshrrev_b32_e32 v5, 2, v5
	v_and_or_b32 v6, 0x70, v6, v0
	s_delay_alu instid0(VALU_DEP_2) | instskip(NEXT) | instid1(VALU_DEP_1)
	v_and_b32_e32 v5, 2, v5
	v_lshl_or_b32 v14, v6, 2, v5
	v_lshrrev_b16 v5, 12, v13
	ds_load_u16 v15, v14
	v_and_b32_e32 v5, 0xffff, v5
	s_delay_alu instid0(VALU_DEP_1) | instskip(NEXT) | instid1(VALU_DEP_1)
	v_and_b32_e32 v5, s7, v5
	v_lshlrev_b32_e32 v6, 4, v5
	v_lshrrev_b32_e32 v5, 2, v5
	s_delay_alu instid0(VALU_DEP_2) | instskip(NEXT) | instid1(VALU_DEP_2)
	v_and_or_b32 v6, 0x70, v6, v0
	v_and_b32_e32 v5, 2, v5
	s_wait_dscnt 0x0
	v_add_nc_u16 v7, v15, 1
	s_delay_alu instid0(VALU_DEP_2)
	v_lshl_or_b32 v16, v6, 2, v5
	ds_store_b16 v14, v7
	ds_load_u16 v26, v16
	s_wait_dscnt 0x0
	v_add_nc_u16 v5, v26, 1
	ds_store_b16 v16, v5
	; wave barrier
	s_wait_loadcnt_dscnt 0x0
	global_inv scope:SCOPE_SE
	ds_load_b128 v[9:12], v24
	ds_load_b128 v[5:8], v24 offset:16
	s_wait_dscnt 0x1
	v_add_nc_u32_e32 v27, v10, v9
	s_delay_alu instid0(VALU_DEP_1) | instskip(SKIP_1) | instid1(VALU_DEP_1)
	v_add3_u32 v27, v27, v11, v12
	s_wait_dscnt 0x0
	v_add3_u32 v27, v27, v5, v6
	s_delay_alu instid0(VALU_DEP_1) | instskip(NEXT) | instid1(VALU_DEP_1)
	v_add3_u32 v8, v27, v7, v8
	v_mov_b32_dpp v27, v8 row_shr:1 row_mask:0xf bank_mask:0xf
	s_delay_alu instid0(VALU_DEP_1) | instskip(NEXT) | instid1(VALU_DEP_1)
	v_cndmask_b32_e64 v27, v27, 0, s5
	v_add_nc_u32_e32 v8, v27, v8
	s_delay_alu instid0(VALU_DEP_1) | instskip(NEXT) | instid1(VALU_DEP_1)
	v_mov_b32_dpp v27, v8 row_shr:2 row_mask:0xf bank_mask:0xf
	v_cndmask_b32_e64 v27, 0, v27, s3
	s_delay_alu instid0(VALU_DEP_1) | instskip(NEXT) | instid1(VALU_DEP_1)
	v_add_nc_u32_e32 v8, v8, v27
	v_mov_b32_dpp v27, v8 row_shr:4 row_mask:0xf bank_mask:0xf
	s_delay_alu instid0(VALU_DEP_1) | instskip(NEXT) | instid1(VALU_DEP_1)
	v_cndmask_b32_e64 v27, 0, v27, s6
	v_add_nc_u32_e32 v27, v8, v27
	s_delay_alu instid0(VALU_DEP_1) | instskip(NEXT) | instid1(VALU_DEP_1)
	v_mov_b32_dpp v8, v27 row_shr:8 row_mask:0xf bank_mask:0xf
	v_cndmask_b32_e64 v28, 0, v8, s4
	v_lshrrev_b16 v8, 8, v13
	s_delay_alu instid0(VALU_DEP_2)
	v_add_nc_u32_e32 v27, v27, v28
	s_and_saveexec_b32 s3, s1
; %bb.61:
	v_mov_b32_e32 v28, 0
	ds_store_b32 v28, v27 offset:512
; %bb.62:
	s_wait_alu 0xfffe
	s_or_b32 exec_lo, exec_lo, s3
	ds_bpermute_b32 v25, v25, v27
	v_mov_b32_e32 v27, 0
	; wave barrier
	s_wait_loadcnt_dscnt 0x0
	global_inv scope:SCOPE_SE
	ds_load_b32 v27, v27 offset:512
	v_cndmask_b32_e64 v25, v25, 0, s11
	s_wait_dscnt 0x0
	s_delay_alu instid0(VALU_DEP_1) | instskip(NEXT) | instid1(VALU_DEP_1)
	v_lshl_add_u32 v27, v27, 16, v25
	v_add_nc_u32_e32 v28, v27, v9
	s_delay_alu instid0(VALU_DEP_1) | instskip(NEXT) | instid1(VALU_DEP_1)
	v_add_nc_u32_e32 v29, v28, v10
	v_add_nc_u32_e32 v30, v29, v11
	s_delay_alu instid0(VALU_DEP_1) | instskip(NEXT) | instid1(VALU_DEP_1)
	v_add_nc_u32_e32 v9, v30, v12
	;; [unrolled: 3-line block ×3, first 2 shown]
	v_add_nc_u32_e32 v12, v11, v7
	v_and_b32_e32 v7, 0xffff, v15
	ds_store_b128 v24, v[27:30]
	ds_store_b128 v24, v[9:12] offset:16
	; wave barrier
	s_wait_loadcnt_dscnt 0x0
	global_inv scope:SCOPE_SE
	ds_load_u16 v5, v14
	ds_load_u16 v6, v16
	v_and_b32_e32 v9, 0xffff, v26
	; wave barrier
	s_wait_loadcnt_dscnt 0x0
	global_inv scope:SCOPE_SE
	v_add_nc_u32_e32 v5, v5, v7
	v_add_nc_u32_e32 v6, v6, v9
	ds_store_b8 v5, v13
	ds_store_b8 v6, v8
	; wave barrier
	s_wait_loadcnt_dscnt 0x0
	global_inv scope:SCOPE_SE
	ds_load_u16 v9, v19
	v_lshlrev_b32_e32 v5, 3, v5
	v_lshlrev_b32_e32 v6, 3, v6
	; wave barrier
	s_wait_loadcnt_dscnt 0x0
	global_inv scope:SCOPE_SE
	ds_store_b64 v5, v[1:2]
	ds_store_b64 v6, v[3:4]
	; wave barrier
	s_wait_loadcnt_dscnt 0x0
	global_inv scope:SCOPE_SE
	ds_load_b128 v[5:8], v18
	v_and_b32_e32 v1, 0xffffff00, v9
	v_xor_b32_e32 v2, 0x7f, v9
	s_delay_alu instid0(VALU_DEP_2) | instskip(NEXT) | instid1(VALU_DEP_2)
	v_xor_b32_e32 v1, 0x7f00, v1
	v_and_b32_e32 v2, 0xff, v2
	s_delay_alu instid0(VALU_DEP_1) | instskip(NEXT) | instid1(VALU_DEP_1)
	v_or_b32_e32 v1, v2, v1
	v_and_b32_e32 v9, 0xffff, v1
.LBB114_63:
	; wave barrier
	s_wait_loadcnt_dscnt 0x0
	global_inv scope:SCOPE_SE
	ds_store_b16 v21, v9
	; wave barrier
	s_wait_loadcnt_dscnt 0x0
	global_inv scope:SCOPE_SE
	ds_load_u8 v3, v0 offset:16
	v_add_co_u32 v1, s1, s14, v20
	s_delay_alu instid0(VALU_DEP_1)
	v_add_co_ci_u32_e64 v2, null, s15, 0, s1
	s_and_saveexec_b32 s1, s2
	s_cbranch_execz .LBB114_65
; %bb.64:
	ds_load_u8 v0, v0
	s_wait_dscnt 0x0
	global_store_b8 v[1:2], v0, off
.LBB114_65:
	s_wait_alu 0xfffe
	s_or_b32 exec_lo, exec_lo, s1
	s_and_saveexec_b32 s1, s0
	s_cbranch_execz .LBB114_67
; %bb.66:
	s_lshl_b32 s3, s10, 4
	s_wait_alu 0xfffe
	v_add_co_u32 v0, vcc_lo, v1, s3
	s_wait_alu 0xfffd
	v_add_co_ci_u32_e64 v1, null, 0, v2, vcc_lo
	s_wait_dscnt 0x0
	global_store_b8 v[0:1], v3, off
.LBB114_67:
	s_wait_alu 0xfffe
	s_or_b32 exec_lo, exec_lo, s1
	s_wait_storecnt 0x0
	; wave barrier
	s_wait_loadcnt_dscnt 0x0
	global_inv scope:SCOPE_SE
	ds_store_2addr_b64 v23, v[5:6], v[7:8] offset1:1
	; wave barrier
	s_wait_loadcnt_dscnt 0x0
	global_inv scope:SCOPE_SE
	ds_load_b64 v[0:1], v22 offset:128
	v_mov_b32_e32 v18, 0
	s_delay_alu instid0(VALU_DEP_1) | instskip(NEXT) | instid1(VALU_DEP_1)
	v_lshlrev_b64_e32 v[2:3], 3, v[17:18]
	v_add_co_u32 v2, vcc_lo, s8, v2
	s_wait_alu 0xfffd
	s_delay_alu instid0(VALU_DEP_2)
	v_add_co_ci_u32_e64 v3, null, s9, v3, vcc_lo
	s_and_saveexec_b32 s1, s2
	s_cbranch_execz .LBB114_69
; %bb.68:
	ds_load_b64 v[4:5], v22
	s_wait_dscnt 0x0
	global_store_b64 v[2:3], v[4:5], off
.LBB114_69:
	s_wait_alu 0xfffe
	s_or_b32 exec_lo, exec_lo, s1
	s_and_saveexec_b32 s1, s0
	s_cbranch_execz .LBB114_71
; %bb.70:
	s_lshl_b32 s0, s12, 4
	s_mov_b32 s1, 0
	s_wait_alu 0xfffe
	s_lshl_b64 s[0:1], s[0:1], 3
	s_wait_alu 0xfffe
	v_add_co_u32 v2, vcc_lo, v2, s0
	s_wait_alu 0xfffd
	v_add_co_ci_u32_e64 v3, null, s1, v3, vcc_lo
	s_wait_dscnt 0x0
	global_store_b64 v[2:3], v[0:1], off
.LBB114_71:
	s_endpgm
	.section	.rodata,"a",@progbits
	.p2align	6, 0x0
	.amdhsa_kernel _ZN2at6native18radixSortKVInPlaceILin1ELin1ELi16ELi2EaljEEvNS_4cuda6detail10TensorInfoIT3_T5_EES6_S6_S6_NS4_IT4_S6_EES6_b
		.amdhsa_group_segment_fixed_size 528
		.amdhsa_private_segment_fixed_size 0
		.amdhsa_kernarg_size 712
		.amdhsa_user_sgpr_count 2
		.amdhsa_user_sgpr_dispatch_ptr 0
		.amdhsa_user_sgpr_queue_ptr 0
		.amdhsa_user_sgpr_kernarg_segment_ptr 1
		.amdhsa_user_sgpr_dispatch_id 0
		.amdhsa_user_sgpr_private_segment_size 0
		.amdhsa_wavefront_size32 1
		.amdhsa_uses_dynamic_stack 0
		.amdhsa_enable_private_segment 0
		.amdhsa_system_sgpr_workgroup_id_x 1
		.amdhsa_system_sgpr_workgroup_id_y 1
		.amdhsa_system_sgpr_workgroup_id_z 1
		.amdhsa_system_sgpr_workgroup_info 0
		.amdhsa_system_vgpr_workitem_id 0
		.amdhsa_next_free_vgpr 37
		.amdhsa_next_free_sgpr 19
		.amdhsa_reserve_vcc 1
		.amdhsa_float_round_mode_32 0
		.amdhsa_float_round_mode_16_64 0
		.amdhsa_float_denorm_mode_32 3
		.amdhsa_float_denorm_mode_16_64 3
		.amdhsa_fp16_overflow 0
		.amdhsa_workgroup_processor_mode 1
		.amdhsa_memory_ordered 1
		.amdhsa_forward_progress 1
		.amdhsa_inst_pref_size 43
		.amdhsa_round_robin_scheduling 0
		.amdhsa_exception_fp_ieee_invalid_op 0
		.amdhsa_exception_fp_denorm_src 0
		.amdhsa_exception_fp_ieee_div_zero 0
		.amdhsa_exception_fp_ieee_overflow 0
		.amdhsa_exception_fp_ieee_underflow 0
		.amdhsa_exception_fp_ieee_inexact 0
		.amdhsa_exception_int_div_zero 0
	.end_amdhsa_kernel
	.section	.text._ZN2at6native18radixSortKVInPlaceILin1ELin1ELi16ELi2EaljEEvNS_4cuda6detail10TensorInfoIT3_T5_EES6_S6_S6_NS4_IT4_S6_EES6_b,"axG",@progbits,_ZN2at6native18radixSortKVInPlaceILin1ELin1ELi16ELi2EaljEEvNS_4cuda6detail10TensorInfoIT3_T5_EES6_S6_S6_NS4_IT4_S6_EES6_b,comdat
.Lfunc_end114:
	.size	_ZN2at6native18radixSortKVInPlaceILin1ELin1ELi16ELi2EaljEEvNS_4cuda6detail10TensorInfoIT3_T5_EES6_S6_S6_NS4_IT4_S6_EES6_b, .Lfunc_end114-_ZN2at6native18radixSortKVInPlaceILin1ELin1ELi16ELi2EaljEEvNS_4cuda6detail10TensorInfoIT3_T5_EES6_S6_S6_NS4_IT4_S6_EES6_b
                                        ; -- End function
	.set _ZN2at6native18radixSortKVInPlaceILin1ELin1ELi16ELi2EaljEEvNS_4cuda6detail10TensorInfoIT3_T5_EES6_S6_S6_NS4_IT4_S6_EES6_b.num_vgpr, 37
	.set _ZN2at6native18radixSortKVInPlaceILin1ELin1ELi16ELi2EaljEEvNS_4cuda6detail10TensorInfoIT3_T5_EES6_S6_S6_NS4_IT4_S6_EES6_b.num_agpr, 0
	.set _ZN2at6native18radixSortKVInPlaceILin1ELin1ELi16ELi2EaljEEvNS_4cuda6detail10TensorInfoIT3_T5_EES6_S6_S6_NS4_IT4_S6_EES6_b.numbered_sgpr, 19
	.set _ZN2at6native18radixSortKVInPlaceILin1ELin1ELi16ELi2EaljEEvNS_4cuda6detail10TensorInfoIT3_T5_EES6_S6_S6_NS4_IT4_S6_EES6_b.num_named_barrier, 0
	.set _ZN2at6native18radixSortKVInPlaceILin1ELin1ELi16ELi2EaljEEvNS_4cuda6detail10TensorInfoIT3_T5_EES6_S6_S6_NS4_IT4_S6_EES6_b.private_seg_size, 0
	.set _ZN2at6native18radixSortKVInPlaceILin1ELin1ELi16ELi2EaljEEvNS_4cuda6detail10TensorInfoIT3_T5_EES6_S6_S6_NS4_IT4_S6_EES6_b.uses_vcc, 1
	.set _ZN2at6native18radixSortKVInPlaceILin1ELin1ELi16ELi2EaljEEvNS_4cuda6detail10TensorInfoIT3_T5_EES6_S6_S6_NS4_IT4_S6_EES6_b.uses_flat_scratch, 0
	.set _ZN2at6native18radixSortKVInPlaceILin1ELin1ELi16ELi2EaljEEvNS_4cuda6detail10TensorInfoIT3_T5_EES6_S6_S6_NS4_IT4_S6_EES6_b.has_dyn_sized_stack, 0
	.set _ZN2at6native18radixSortKVInPlaceILin1ELin1ELi16ELi2EaljEEvNS_4cuda6detail10TensorInfoIT3_T5_EES6_S6_S6_NS4_IT4_S6_EES6_b.has_recursion, 0
	.set _ZN2at6native18radixSortKVInPlaceILin1ELin1ELi16ELi2EaljEEvNS_4cuda6detail10TensorInfoIT3_T5_EES6_S6_S6_NS4_IT4_S6_EES6_b.has_indirect_call, 0
	.section	.AMDGPU.csdata,"",@progbits
; Kernel info:
; codeLenInByte = 5456
; TotalNumSgprs: 21
; NumVgprs: 37
; ScratchSize: 0
; MemoryBound: 0
; FloatMode: 240
; IeeeMode: 1
; LDSByteSize: 528 bytes/workgroup (compile time only)
; SGPRBlocks: 0
; VGPRBlocks: 4
; NumSGPRsForWavesPerEU: 21
; NumVGPRsForWavesPerEU: 37
; Occupancy: 16
; WaveLimiterHint : 1
; COMPUTE_PGM_RSRC2:SCRATCH_EN: 0
; COMPUTE_PGM_RSRC2:USER_SGPR: 2
; COMPUTE_PGM_RSRC2:TRAP_HANDLER: 0
; COMPUTE_PGM_RSRC2:TGID_X_EN: 1
; COMPUTE_PGM_RSRC2:TGID_Y_EN: 1
; COMPUTE_PGM_RSRC2:TGID_Z_EN: 1
; COMPUTE_PGM_RSRC2:TIDIG_COMP_CNT: 0
	.section	.text._ZN2at6native18radixSortKVInPlaceILin1ELin1ELi512ELi8EalmEEvNS_4cuda6detail10TensorInfoIT3_T5_EES6_S6_S6_NS4_IT4_S6_EES6_b,"axG",@progbits,_ZN2at6native18radixSortKVInPlaceILin1ELin1ELi512ELi8EalmEEvNS_4cuda6detail10TensorInfoIT3_T5_EES6_S6_S6_NS4_IT4_S6_EES6_b,comdat
	.protected	_ZN2at6native18radixSortKVInPlaceILin1ELin1ELi512ELi8EalmEEvNS_4cuda6detail10TensorInfoIT3_T5_EES6_S6_S6_NS4_IT4_S6_EES6_b ; -- Begin function _ZN2at6native18radixSortKVInPlaceILin1ELin1ELi512ELi8EalmEEvNS_4cuda6detail10TensorInfoIT3_T5_EES6_S6_S6_NS4_IT4_S6_EES6_b
	.globl	_ZN2at6native18radixSortKVInPlaceILin1ELin1ELi512ELi8EalmEEvNS_4cuda6detail10TensorInfoIT3_T5_EES6_S6_S6_NS4_IT4_S6_EES6_b
	.p2align	8
	.type	_ZN2at6native18radixSortKVInPlaceILin1ELin1ELi512ELi8EalmEEvNS_4cuda6detail10TensorInfoIT3_T5_EES6_S6_S6_NS4_IT4_S6_EES6_b,@function
_ZN2at6native18radixSortKVInPlaceILin1ELin1ELi512ELi8EalmEEvNS_4cuda6detail10TensorInfoIT3_T5_EES6_S6_S6_NS4_IT4_S6_EES6_b: ; @_ZN2at6native18radixSortKVInPlaceILin1ELin1ELi512ELi8EalmEEvNS_4cuda6detail10TensorInfoIT3_T5_EES6_S6_S6_NS4_IT4_S6_EES6_b
; %bb.0:
	s_clause 0x1
	s_load_b64 s[2:3], s[0:1], 0x368
	s_load_b128 s[8:11], s[0:1], 0x1a0
	s_lshr_b32 s4, ttmp7, 16
	s_and_b32 s5, ttmp7, 0xffff
	s_wait_kmcnt 0x0
	s_mul_i32 s3, s3, s4
	s_delay_alu instid0(SALU_CYCLE_1) | instskip(NEXT) | instid1(SALU_CYCLE_1)
	s_add_co_i32 s3, s3, s5
	s_mul_i32 s2, s3, s2
	s_mov_b32 s3, 0
	s_add_co_i32 s2, s2, ttmp9
	s_delay_alu instid0(SALU_CYCLE_1)
	v_cmp_le_u64_e64 s4, s[8:9], s[2:3]
	s_and_b32 vcc_lo, exec_lo, s4
	s_cbranch_vccnz .LBB115_116
; %bb.1:
	s_clause 0x1
	s_load_b32 s9, s[0:1], 0x198
	s_load_b64 s[16:17], s[0:1], 0x1b0
	s_mov_b64 s[4:5], 0
	s_mov_b64 s[6:7], s[2:3]
	s_wait_kmcnt 0x0
	s_cmp_lt_i32 s9, 2
	s_cbranch_scc1 .LBB115_9
; %bb.2:
	s_mov_b32 s8, 0
	s_add_co_i32 s4, s9, -1
	s_wait_alu 0xfffe
	s_mov_b32 s5, s8
	s_add_co_i32 s11, s9, 1
	s_lshl_b64 s[4:5], s[4:5], 3
	s_mov_b64 s[14:15], s[2:3]
	s_add_nc_u64 s[6:7], s[0:1], s[4:5]
	s_mov_b64 s[4:5], 0
	s_add_nc_u64 s[12:13], s[6:7], 8
.LBB115_3:                              ; =>This Inner Loop Header: Depth=1
	s_load_b64 s[18:19], s[12:13], 0x0
	s_wait_kmcnt 0x0
	s_or_b64 s[6:7], s[14:15], s[18:19]
	s_wait_alu 0xfffe
	s_mov_b32 s9, s7
                                        ; implicit-def: $sgpr6_sgpr7
	s_wait_alu 0xfffe
	s_cmp_lg_u64 s[8:9], 0
	s_mov_b32 s9, -1
	s_cbranch_scc0 .LBB115_5
; %bb.4:                                ;   in Loop: Header=BB115_3 Depth=1
	s_cvt_f32_u32 s6, s18
	s_cvt_f32_u32 s7, s19
	s_sub_nc_u64 s[20:21], 0, s[18:19]
	s_mov_b32 s23, s8
	s_mov_b32 s27, s8
	s_wait_alu 0xfffe
	s_fmamk_f32 s6, s7, 0x4f800000, s6
	s_wait_alu 0xfffe
	s_delay_alu instid0(SALU_CYCLE_2) | instskip(NEXT) | instid1(TRANS32_DEP_1)
	v_s_rcp_f32 s6, s6
	s_mul_f32 s6, s6, 0x5f7ffffc
	s_wait_alu 0xfffe
	s_delay_alu instid0(SALU_CYCLE_2) | instskip(SKIP_1) | instid1(SALU_CYCLE_2)
	s_mul_f32 s7, s6, 0x2f800000
	s_wait_alu 0xfffe
	s_trunc_f32 s7, s7
	s_wait_alu 0xfffe
	s_delay_alu instid0(SALU_CYCLE_2) | instskip(SKIP_2) | instid1(SALU_CYCLE_1)
	s_fmamk_f32 s6, s7, 0xcf800000, s6
	s_cvt_u32_f32 s7, s7
	s_wait_alu 0xfffe
	s_cvt_u32_f32 s6, s6
	s_wait_alu 0xfffe
	s_delay_alu instid0(SALU_CYCLE_2) | instskip(NEXT) | instid1(SALU_CYCLE_1)
	s_mul_u64 s[24:25], s[20:21], s[6:7]
	s_mul_hi_u32 s29, s6, s25
	s_mul_i32 s28, s6, s25
	s_mul_hi_u32 s22, s6, s24
	s_mul_i32 s26, s7, s24
	s_add_nc_u64 s[22:23], s[22:23], s[28:29]
	s_mul_hi_u32 s9, s7, s24
	s_mul_hi_u32 s30, s7, s25
	s_add_co_u32 s22, s22, s26
	s_wait_alu 0xfffe
	s_add_co_ci_u32 s26, s23, s9
	s_mul_i32 s24, s7, s25
	s_add_co_ci_u32 s25, s30, 0
	s_delay_alu instid0(SALU_CYCLE_1)
	s_add_nc_u64 s[22:23], s[26:27], s[24:25]
	s_mov_b32 s25, s8
	s_add_co_u32 s6, s6, s22
	s_cselect_b32 s9, -1, 0
	s_wait_alu 0xfffe
	s_cmp_lg_u32 s9, 0
	s_add_co_ci_u32 s7, s7, s23
	s_mov_b32 s23, s8
	s_wait_alu 0xfffe
	s_mul_u64 s[20:21], s[20:21], s[6:7]
	s_delay_alu instid0(SALU_CYCLE_1)
	s_mul_hi_u32 s27, s6, s21
	s_mul_i32 s26, s6, s21
	s_mul_hi_u32 s22, s6, s20
	s_mul_i32 s24, s7, s20
	s_add_nc_u64 s[22:23], s[22:23], s[26:27]
	s_mul_hi_u32 s9, s7, s20
	s_mul_hi_u32 s28, s7, s21
	s_mul_i32 s20, s7, s21
	s_add_co_u32 s21, s22, s24
	s_wait_alu 0xfffe
	s_add_co_ci_u32 s24, s23, s9
	s_add_co_ci_u32 s21, s28, 0
	s_mov_b32 s23, s8
	s_add_nc_u64 s[20:21], s[24:25], s[20:21]
	s_delay_alu instid0(SALU_CYCLE_1)
	s_add_co_u32 s6, s6, s20
	s_cselect_b32 s9, -1, 0
	s_wait_alu 0xfffe
	s_mul_hi_u32 s22, s14, s6
	s_cmp_lg_u32 s9, 0
	s_mul_hi_u32 s9, s15, s6
	s_add_co_ci_u32 s20, s7, s21
	s_mul_i32 s21, s15, s6
	s_mul_hi_u32 s7, s14, s20
	s_mul_i32 s6, s14, s20
	s_mul_hi_u32 s26, s15, s20
	s_wait_alu 0xfffe
	s_add_nc_u64 s[6:7], s[22:23], s[6:7]
	s_mul_i32 s20, s15, s20
	s_wait_alu 0xfffe
	s_add_co_u32 s6, s6, s21
	s_add_co_ci_u32 s24, s7, s9
	s_add_co_ci_u32 s21, s26, 0
	s_delay_alu instid0(SALU_CYCLE_1) | instskip(SKIP_2) | instid1(SALU_CYCLE_1)
	s_add_nc_u64 s[6:7], s[24:25], s[20:21]
	s_wait_alu 0xfffe
	s_mul_u64 s[20:21], s[18:19], s[6:7]
	s_sub_co_u32 s9, s14, s20
	s_cselect_b32 s20, -1, 0
	s_sub_co_i32 s22, s15, s21
	s_cmp_lg_u32 s20, 0
	s_sub_co_ci_u32 s22, s22, s19
	s_wait_alu 0xfffe
	s_sub_co_u32 s23, s9, s18
	s_cselect_b32 s24, -1, 0
	s_delay_alu instid0(SALU_CYCLE_1) | instskip(SKIP_1) | instid1(SALU_CYCLE_1)
	s_cmp_lg_u32 s24, 0
	s_sub_co_ci_u32 s22, s22, 0
	s_cmp_ge_u32 s22, s19
	s_cselect_b32 s24, -1, 0
	s_cmp_ge_u32 s23, s18
	s_cselect_b32 s25, -1, 0
	s_cmp_eq_u32 s22, s19
	s_add_nc_u64 s[22:23], s[6:7], 1
	s_cselect_b32 s26, s25, s24
	s_add_nc_u64 s[24:25], s[6:7], 2
	s_cmp_lg_u32 s26, 0
	s_cselect_b32 s22, s24, s22
	s_cselect_b32 s23, s25, s23
	s_cmp_lg_u32 s20, 0
	s_sub_co_ci_u32 s20, s15, s21
	s_delay_alu instid0(SALU_CYCLE_1)
	s_cmp_ge_u32 s20, s19
	s_cselect_b32 s21, -1, 0
	s_cmp_ge_u32 s9, s18
	s_cselect_b32 s9, -1, 0
	s_cmp_eq_u32 s20, s19
	s_wait_alu 0xfffe
	s_cselect_b32 s9, s9, s21
	s_wait_alu 0xfffe
	s_cmp_lg_u32 s9, 0
	s_mov_b32 s9, 0
	s_cselect_b32 s7, s23, s7
	s_cselect_b32 s6, s22, s6
.LBB115_5:                              ;   in Loop: Header=BB115_3 Depth=1
	s_wait_alu 0xfffe
	s_and_not1_b32 vcc_lo, exec_lo, s9
	s_cbranch_vccnz .LBB115_7
; %bb.6:                                ;   in Loop: Header=BB115_3 Depth=1
	v_cvt_f32_u32_e32 v1, s18
	s_sub_co_i32 s7, 0, s18
	s_delay_alu instid0(VALU_DEP_1) | instskip(NEXT) | instid1(TRANS32_DEP_1)
	v_rcp_iflag_f32_e32 v1, v1
	v_mul_f32_e32 v1, 0x4f7ffffe, v1
	s_delay_alu instid0(VALU_DEP_1) | instskip(NEXT) | instid1(VALU_DEP_1)
	v_cvt_u32_f32_e32 v1, v1
	v_readfirstlane_b32 s6, v1
	s_wait_alu 0xfffe
	s_mul_i32 s7, s7, s6
	s_wait_alu 0xfffe
	s_mul_hi_u32 s7, s6, s7
	s_wait_alu 0xfffe
	s_add_co_i32 s6, s6, s7
	s_wait_alu 0xfffe
	s_mul_hi_u32 s6, s14, s6
	s_wait_alu 0xfffe
	s_mul_i32 s7, s6, s18
	s_add_co_i32 s9, s6, 1
	s_wait_alu 0xfffe
	s_sub_co_i32 s7, s14, s7
	s_wait_alu 0xfffe
	s_sub_co_i32 s20, s7, s18
	s_cmp_ge_u32 s7, s18
	s_cselect_b32 s6, s9, s6
	s_cselect_b32 s7, s20, s7
	s_wait_alu 0xfffe
	s_add_co_i32 s9, s6, 1
	s_cmp_ge_u32 s7, s18
	s_mov_b32 s7, s8
	s_wait_alu 0xfffe
	s_cselect_b32 s6, s9, s6
.LBB115_7:                              ;   in Loop: Header=BB115_3 Depth=1
	s_load_b64 s[20:21], s[12:13], 0xc8
	s_mul_u64 s[18:19], s[6:7], s[18:19]
	s_add_co_i32 s11, s11, -1
	s_wait_alu 0xfffe
	s_sub_nc_u64 s[14:15], s[14:15], s[18:19]
	s_cmp_gt_u32 s11, 2
	s_add_nc_u64 s[12:13], s[12:13], -8
	s_wait_kmcnt 0x0
	s_mul_u64 s[14:15], s[20:21], s[14:15]
	s_delay_alu instid0(SALU_CYCLE_1)
	s_add_nc_u64 s[4:5], s[14:15], s[4:5]
	s_cbranch_scc0 .LBB115_9
; %bb.8:                                ;   in Loop: Header=BB115_3 Depth=1
	s_mov_b64 s[14:15], s[6:7]
	s_branch .LBB115_3
.LBB115_9:
	s_load_b32 s9, s[0:1], 0x350
	s_add_nc_u64 s[24:25], s[0:1], 0x368
	s_mov_b64 s[12:13], 0
	s_wait_kmcnt 0x0
	s_cmp_lt_i32 s9, 2
	s_cbranch_scc1 .LBB115_17
; %bb.10:
	s_mov_b32 s8, 0
	s_add_co_i32 s12, s9, -1
	s_wait_alu 0xfffe
	s_mov_b32 s13, s8
	s_add_co_i32 s11, s9, 1
	s_lshl_b64 s[12:13], s[12:13], 3
	s_delay_alu instid0(SALU_CYCLE_1) | instskip(NEXT) | instid1(SALU_CYCLE_1)
	s_add_nc_u64 s[12:13], s[0:1], s[12:13]
	s_add_nc_u64 s[18:19], s[12:13], 0x1c0
	s_mov_b64 s[12:13], 0
.LBB115_11:                             ; =>This Inner Loop Header: Depth=1
	s_load_b64 s[20:21], s[18:19], 0x0
	s_wait_kmcnt 0x0
	s_or_b64 s[14:15], s[2:3], s[20:21]
	s_delay_alu instid0(SALU_CYCLE_1)
	s_mov_b32 s9, s15
                                        ; implicit-def: $sgpr14_sgpr15
	s_wait_alu 0xfffe
	s_cmp_lg_u64 s[8:9], 0
	s_mov_b32 s9, -1
	s_cbranch_scc0 .LBB115_13
; %bb.12:                               ;   in Loop: Header=BB115_11 Depth=1
	s_cvt_f32_u32 s9, s20
	s_cvt_f32_u32 s14, s21
	s_sub_nc_u64 s[22:23], 0, s[20:21]
	s_mov_b32 s27, s8
	s_mov_b32 s31, s8
	s_wait_alu 0xfffe
	s_fmamk_f32 s9, s14, 0x4f800000, s9
	s_wait_alu 0xfffe
	s_delay_alu instid0(SALU_CYCLE_2) | instskip(NEXT) | instid1(TRANS32_DEP_1)
	v_s_rcp_f32 s9, s9
	s_mul_f32 s9, s9, 0x5f7ffffc
	s_wait_alu 0xfffe
	s_delay_alu instid0(SALU_CYCLE_2) | instskip(NEXT) | instid1(SALU_CYCLE_3)
	s_mul_f32 s14, s9, 0x2f800000
	s_trunc_f32 s14, s14
	s_delay_alu instid0(SALU_CYCLE_3) | instskip(SKIP_2) | instid1(SALU_CYCLE_1)
	s_fmamk_f32 s9, s14, 0xcf800000, s9
	s_cvt_u32_f32 s15, s14
	s_wait_alu 0xfffe
	s_cvt_u32_f32 s14, s9
	s_delay_alu instid0(SALU_CYCLE_3) | instskip(NEXT) | instid1(SALU_CYCLE_1)
	s_mul_u64 s[28:29], s[22:23], s[14:15]
	s_mul_hi_u32 s35, s14, s29
	s_mul_i32 s34, s14, s29
	s_mul_hi_u32 s26, s14, s28
	s_mul_i32 s30, s15, s28
	s_add_nc_u64 s[26:27], s[26:27], s[34:35]
	s_mul_hi_u32 s9, s15, s28
	s_mul_hi_u32 s33, s15, s29
	s_add_co_u32 s26, s26, s30
	s_wait_alu 0xfffe
	s_add_co_ci_u32 s30, s27, s9
	s_mul_i32 s28, s15, s29
	s_add_co_ci_u32 s29, s33, 0
	s_delay_alu instid0(SALU_CYCLE_1)
	s_add_nc_u64 s[26:27], s[30:31], s[28:29]
	s_mov_b32 s29, s8
	s_add_co_u32 s14, s14, s26
	s_cselect_b32 s9, -1, 0
	s_wait_alu 0xfffe
	s_cmp_lg_u32 s9, 0
	s_add_co_ci_u32 s15, s15, s27
	s_mov_b32 s27, s8
	s_mul_u64 s[22:23], s[22:23], s[14:15]
	s_delay_alu instid0(SALU_CYCLE_1)
	s_mul_hi_u32 s31, s14, s23
	s_mul_i32 s30, s14, s23
	s_mul_hi_u32 s26, s14, s22
	s_mul_i32 s28, s15, s22
	s_add_nc_u64 s[26:27], s[26:27], s[30:31]
	s_mul_hi_u32 s9, s15, s22
	s_mul_hi_u32 s33, s15, s23
	s_mul_i32 s22, s15, s23
	s_add_co_u32 s23, s26, s28
	s_wait_alu 0xfffe
	s_add_co_ci_u32 s28, s27, s9
	s_add_co_ci_u32 s23, s33, 0
	s_mov_b32 s27, s8
	s_add_nc_u64 s[22:23], s[28:29], s[22:23]
	s_delay_alu instid0(SALU_CYCLE_1)
	s_add_co_u32 s9, s14, s22
	s_cselect_b32 s14, -1, 0
	s_wait_alu 0xfffe
	s_mul_hi_u32 s26, s2, s9
	s_cmp_lg_u32 s14, 0
	s_mul_hi_u32 s28, s3, s9
	s_add_co_ci_u32 s22, s15, s23
	s_mul_i32 s9, s3, s9
	s_mul_hi_u32 s15, s2, s22
	s_mul_i32 s14, s2, s22
	s_mul_hi_u32 s23, s3, s22
	s_add_nc_u64 s[14:15], s[26:27], s[14:15]
	s_mul_i32 s22, s3, s22
	s_wait_alu 0xfffe
	s_add_co_u32 s9, s14, s9
	s_add_co_ci_u32 s28, s15, s28
	s_add_co_ci_u32 s23, s23, 0
	s_delay_alu instid0(SALU_CYCLE_1) | instskip(NEXT) | instid1(SALU_CYCLE_1)
	s_add_nc_u64 s[14:15], s[28:29], s[22:23]
	s_mul_u64 s[22:23], s[20:21], s[14:15]
	s_delay_alu instid0(SALU_CYCLE_1)
	s_sub_co_u32 s9, s2, s22
	s_cselect_b32 s22, -1, 0
	s_sub_co_i32 s26, s3, s23
	s_cmp_lg_u32 s22, 0
	s_sub_co_ci_u32 s26, s26, s21
	s_wait_alu 0xfffe
	s_sub_co_u32 s27, s9, s20
	s_cselect_b32 s28, -1, 0
	s_delay_alu instid0(SALU_CYCLE_1) | instskip(SKIP_1) | instid1(SALU_CYCLE_1)
	s_cmp_lg_u32 s28, 0
	s_sub_co_ci_u32 s26, s26, 0
	s_cmp_ge_u32 s26, s21
	s_cselect_b32 s28, -1, 0
	s_cmp_ge_u32 s27, s20
	s_cselect_b32 s29, -1, 0
	s_cmp_eq_u32 s26, s21
	s_add_nc_u64 s[26:27], s[14:15], 1
	s_cselect_b32 s30, s29, s28
	s_add_nc_u64 s[28:29], s[14:15], 2
	s_cmp_lg_u32 s30, 0
	s_cselect_b32 s26, s28, s26
	s_cselect_b32 s27, s29, s27
	s_cmp_lg_u32 s22, 0
	s_sub_co_ci_u32 s22, s3, s23
	s_delay_alu instid0(SALU_CYCLE_1)
	s_cmp_ge_u32 s22, s21
	s_cselect_b32 s23, -1, 0
	s_cmp_ge_u32 s9, s20
	s_cselect_b32 s9, -1, 0
	s_cmp_eq_u32 s22, s21
	s_wait_alu 0xfffe
	s_cselect_b32 s9, s9, s23
	s_wait_alu 0xfffe
	s_cmp_lg_u32 s9, 0
	s_mov_b32 s9, 0
	s_cselect_b32 s15, s27, s15
	s_cselect_b32 s14, s26, s14
.LBB115_13:                             ;   in Loop: Header=BB115_11 Depth=1
	s_wait_alu 0xfffe
	s_and_not1_b32 vcc_lo, exec_lo, s9
	s_cbranch_vccnz .LBB115_15
; %bb.14:                               ;   in Loop: Header=BB115_11 Depth=1
	v_cvt_f32_u32_e32 v1, s20
	s_sub_co_i32 s14, 0, s20
	s_delay_alu instid0(VALU_DEP_1) | instskip(NEXT) | instid1(TRANS32_DEP_1)
	v_rcp_iflag_f32_e32 v1, v1
	v_mul_f32_e32 v1, 0x4f7ffffe, v1
	s_delay_alu instid0(VALU_DEP_1) | instskip(NEXT) | instid1(VALU_DEP_1)
	v_cvt_u32_f32_e32 v1, v1
	v_readfirstlane_b32 s9, v1
	s_mul_i32 s14, s14, s9
	s_delay_alu instid0(SALU_CYCLE_1) | instskip(NEXT) | instid1(SALU_CYCLE_1)
	s_mul_hi_u32 s14, s9, s14
	s_add_co_i32 s9, s9, s14
	s_wait_alu 0xfffe
	s_mul_hi_u32 s9, s2, s9
	s_wait_alu 0xfffe
	s_mul_i32 s14, s9, s20
	s_add_co_i32 s15, s9, 1
	s_sub_co_i32 s14, s2, s14
	s_delay_alu instid0(SALU_CYCLE_1)
	s_sub_co_i32 s22, s14, s20
	s_cmp_ge_u32 s14, s20
	s_cselect_b32 s9, s15, s9
	s_cselect_b32 s14, s22, s14
	s_wait_alu 0xfffe
	s_add_co_i32 s15, s9, 1
	s_cmp_ge_u32 s14, s20
	s_cselect_b32 s14, s15, s9
	s_mov_b32 s15, s8
.LBB115_15:                             ;   in Loop: Header=BB115_11 Depth=1
	s_load_b64 s[22:23], s[18:19], 0xc8
	s_mul_u64 s[20:21], s[14:15], s[20:21]
	s_add_co_i32 s11, s11, -1
	s_wait_alu 0xfffe
	s_sub_nc_u64 s[2:3], s[2:3], s[20:21]
	s_cmp_gt_u32 s11, 2
	s_add_nc_u64 s[18:19], s[18:19], -8
	s_wait_kmcnt 0x0
	s_wait_alu 0xfffe
	s_mul_u64 s[2:3], s[22:23], s[2:3]
	s_wait_alu 0xfffe
	s_add_nc_u64 s[12:13], s[2:3], s[12:13]
	s_cbranch_scc0 .LBB115_18
; %bb.16:                               ;   in Loop: Header=BB115_11 Depth=1
	s_mov_b64 s[2:3], s[14:15]
	s_branch .LBB115_11
.LBB115_17:
	s_mov_b64 s[14:15], s[2:3]
.LBB115_18:
	s_clause 0x2
	s_load_b64 s[2:3], s[0:1], 0xd0
	s_load_b32 s8, s[0:1], 0x360
	s_load_b64 s[18:19], s[0:1], 0x0
	s_movk_i32 s20, 0x8000
	s_mov_b32 s9, 0xff80
	s_wait_kmcnt 0x0
	s_mul_u64 s[6:7], s[2:3], s[6:7]
	s_bitcmp1_b32 s8, 0
	s_movk_i32 s8, 0x80
	s_cselect_b32 s11, -1, 0
	s_wait_alu 0xfffe
	s_add_nc_u64 s[6:7], s[18:19], s[6:7]
	s_and_b32 s21, s11, exec_lo
	s_cselect_b32 s8, s8, 0x7f
	s_cselect_b32 s20, s20, 0x7f00
	;; [unrolled: 1-line block ×3, first 2 shown]
	s_wait_alu 0xfffe
	s_or_b32 s8, s8, s20
	v_mov_b32_e32 v3, s21
	s_wait_alu 0xfffe
	s_and_b32 s9, s8, 0xffff
	s_lshl_b32 s8, s8, 16
	s_add_nc_u64 s[20:21], s[6:7], s[4:5]
	s_wait_alu 0xfffe
	s_or_b32 s8, s9, s8
	s_wait_alu 0xfffe
	s_mov_b32 s9, s8
	v_and_b32_e32 v41, 0x3ff, v0
	s_wait_alu 0xfffe
	v_dual_mov_b32 v1, s8 :: v_dual_mov_b32 v2, s9
	s_delay_alu instid0(VALU_DEP_2)
	v_cmp_gt_u32_e64 s2, s10, v41
	s_and_saveexec_b32 s3, s2
	s_cbranch_execz .LBB115_20
; %bb.19:
	v_mad_co_u64_u32 v[1:2], null, s16, v41, s[20:21]
	s_delay_alu instid0(VALU_DEP_1)
	v_mad_co_u64_u32 v[2:3], null, s17, v41, v[2:3]
	global_load_u8 v3, v[1:2], off
	v_mov_b32_e32 v2, s8
	s_wait_loadcnt 0x0
	v_perm_b32 v1, v3, s8, 0x3020104
.LBB115_20:
	s_wait_alu 0xfffe
	s_or_b32 exec_lo, exec_lo, s3
	v_add_nc_u32_e32 v24, 0x200, v41
	s_delay_alu instid0(VALU_DEP_1)
	v_cmp_gt_u32_e64 s3, s10, v24
	s_and_saveexec_b32 s4, s3
	s_cbranch_execz .LBB115_22
; %bb.21:
	v_mad_co_u64_u32 v[4:5], null, s16, v24, s[20:21]
	s_delay_alu instid0(VALU_DEP_1)
	v_mad_co_u64_u32 v[5:6], null, s17, v24, v[5:6]
	global_load_u8 v4, v[4:5], off
	s_wait_loadcnt 0x0
	v_perm_b32 v1, v1, v4, 0x7060004
.LBB115_22:
	s_or_b32 exec_lo, exec_lo, s4
	v_or_b32_e32 v22, 0x400, v41
	s_delay_alu instid0(VALU_DEP_1)
	v_cmp_gt_u32_e64 s4, s10, v22
	s_and_saveexec_b32 s5, s4
	s_cbranch_execz .LBB115_24
; %bb.23:
	v_mad_co_u64_u32 v[4:5], null, s16, v22, s[20:21]
	s_delay_alu instid0(VALU_DEP_1) | instskip(SKIP_3) | instid1(VALU_DEP_1)
	v_mad_co_u64_u32 v[5:6], null, s17, v22, v[5:6]
	global_load_u8 v4, v[4:5], off
	s_wait_loadcnt 0x0
	v_perm_b32 v4, v4, v1, 0xc0c0304
	v_lshlrev_b32_e32 v4, 16, v4
	s_delay_alu instid0(VALU_DEP_1)
	v_and_or_b32 v1, 0xffff, v1, v4
.LBB115_24:
	s_or_b32 exec_lo, exec_lo, s5
	v_add_nc_u32_e32 v21, 0x600, v41
	s_delay_alu instid0(VALU_DEP_1)
	v_cmp_gt_u32_e64 s5, s10, v21
	s_and_saveexec_b32 s6, s5
	s_cbranch_execz .LBB115_26
; %bb.25:
	v_mad_co_u64_u32 v[4:5], null, s16, v21, s[20:21]
	s_delay_alu instid0(VALU_DEP_1) | instskip(SKIP_3) | instid1(VALU_DEP_1)
	v_mad_co_u64_u32 v[5:6], null, s17, v21, v[5:6]
	global_load_u8 v4, v[4:5], off
	s_wait_loadcnt 0x0
	v_perm_b32 v4, v1, v4, 0xc0c0006
	v_lshlrev_b32_e32 v4, 16, v4
	s_delay_alu instid0(VALU_DEP_1)
	v_and_or_b32 v1, 0xffff, v1, v4
.LBB115_26:
	s_wait_alu 0xfffe
	s_or_b32 exec_lo, exec_lo, s6
	v_or_b32_e32 v20, 0x800, v41
	s_delay_alu instid0(VALU_DEP_1)
	v_cmp_gt_u32_e64 s6, s10, v20
	s_and_saveexec_b32 s7, s6
	s_cbranch_execz .LBB115_28
; %bb.27:
	v_mad_co_u64_u32 v[4:5], null, s16, v20, s[20:21]
	s_delay_alu instid0(VALU_DEP_1)
	v_mad_co_u64_u32 v[5:6], null, s17, v20, v[5:6]
	global_load_u8 v4, v[4:5], off
	s_wait_loadcnt 0x0
	v_perm_b32 v2, v4, v2, 0x3020104
.LBB115_28:
	s_wait_alu 0xfffe
	s_or_b32 exec_lo, exec_lo, s7
	v_add_nc_u32_e32 v19, 0xa00, v41
	s_delay_alu instid0(VALU_DEP_1)
	v_cmp_gt_u32_e64 s7, s10, v19
	s_and_saveexec_b32 s8, s7
	s_cbranch_execz .LBB115_30
; %bb.29:
	v_mad_co_u64_u32 v[4:5], null, s16, v19, s[20:21]
	s_delay_alu instid0(VALU_DEP_1)
	v_mad_co_u64_u32 v[5:6], null, s17, v19, v[5:6]
	global_load_u8 v4, v[4:5], off
	s_wait_loadcnt 0x0
	v_perm_b32 v2, v2, v4, 0x7060004
.LBB115_30:
	s_wait_alu 0xfffe
	s_or_b32 exec_lo, exec_lo, s8
	v_or_b32_e32 v18, 0xc00, v41
	s_delay_alu instid0(VALU_DEP_1)
	v_cmp_gt_u32_e64 s8, s10, v18
	s_and_saveexec_b32 s9, s8
	s_cbranch_execz .LBB115_32
; %bb.31:
	v_mad_co_u64_u32 v[4:5], null, s16, v18, s[20:21]
	s_delay_alu instid0(VALU_DEP_1)
	v_mad_co_u64_u32 v[5:6], null, s17, v18, v[5:6]
	global_load_u8 v4, v[4:5], off
	s_wait_loadcnt 0x0
	v_perm_b32 v2, v2, v4, 0x7000504
.LBB115_32:
	s_wait_alu 0xfffe
	s_or_b32 exec_lo, exec_lo, s9
	s_clause 0x1
	s_load_b64 s[18:19], s[0:1], 0x288
	s_load_b64 s[22:23], s[0:1], 0x1b8
	v_add_nc_u32_e32 v17, 0xe00, v41
	s_delay_alu instid0(VALU_DEP_1)
	v_cmp_gt_u32_e64 s9, s10, v17
	s_and_saveexec_b32 s10, s9
	s_cbranch_execz .LBB115_34
; %bb.33:
	v_mad_co_u64_u32 v[4:5], null, s16, v17, s[20:21]
	s_delay_alu instid0(VALU_DEP_1)
	v_mad_co_u64_u32 v[5:6], null, s17, v17, v[5:6]
	global_load_u8 v4, v[4:5], off
	s_wait_loadcnt 0x0
	v_perm_b32 v2, v2, v4, 0x60504
.LBB115_34:
	s_wait_alu 0xfffe
	s_or_b32 exec_lo, exec_lo, s10
	v_lshrrev_b32_e32 v63, 5, v41
	v_lshrrev_b32_e32 v25, 5, v22
	;; [unrolled: 1-line block ×5, first 2 shown]
	v_and_b32_e32 v4, 28, v63
	v_lshrrev_b32_e32 v29, 5, v18
	v_and_b32_e32 v7, 0x5c, v26
	v_lshrrev_b32_e32 v28, 5, v19
	v_lshrrev_b32_e32 v30, 5, v17
	v_add_nc_u32_e32 v44, v4, v41
	v_and_b32_e32 v4, 60, v25
	v_and_b32_e32 v5, 60, v23
	v_add_nc_u32_e32 v48, v7, v41
	v_and_b32_e32 v7, 0x7c, v29
	v_and_b32_e32 v9, 0xfc, v30
	v_add_nc_u32_e32 v46, v4, v41
	v_and_b32_e32 v4, 0x7c, v27
	v_lshrrev_b32_e32 v31, 2, v41
	v_lshrrev_b32_e32 v6, 8, v1
	v_add_nc_u32_e32 v45, v5, v41
	v_lshrrev_b32_e32 v5, 24, v1
	v_add_nc_u32_e32 v47, v4, v41
	v_and_b32_e32 v4, 0x7c, v28
	v_dual_mov_b32 v11, 0 :: v_dual_add_nc_u32 v50, v7, v41
	v_lshrrev_b32_e32 v8, 8, v2
	v_add_nc_u32_e32 v51, v9, v41
	s_delay_alu instid0(VALU_DEP_4)
	v_add_nc_u32_e32 v49, v4, v41
	v_lshrrev_b32_e32 v4, 24, v2
	v_dual_mov_b32 v12, 0 :: v_dual_and_b32 v7, 0xfc, v31
	ds_store_b8 v44, v3
	ds_store_b8 v45, v6 offset:512
	ds_store_b8_d16_hi v46, v1 offset:1024
	ds_store_b8 v47, v5 offset:1536
	ds_store_b8 v48, v2 offset:2048
	;; [unrolled: 1-line block ×3, first 2 shown]
	ds_store_b8_d16_hi v50, v2 offset:3072
	ds_store_b8 v51, v4 offset:3584
	v_mov_b32_e32 v1, 0
	v_lshlrev_b32_e32 v61, 3, v41
	s_wait_kmcnt 0x0
	s_mul_u64 s[14:15], s[18:19], s[14:15]
	s_load_b64 s[18:19], s[0:1], 0x358
	s_wait_dscnt 0x0
	v_mov_b32_e32 v10, v1
	v_add_nc_u32_e32 v52, v7, v61
	s_barrier_signal -1
	s_barrier_wait -1
	global_inv scope:SCOPE_SE
	s_lshl_b64 s[14:15], s[14:15], 3
	ds_load_2addr_b32 v[42:43], v52 offset1:1
	v_dual_mov_b32 v2, v1 :: v_dual_mov_b32 v13, v1
	v_dual_mov_b32 v14, v1 :: v_dual_mov_b32 v15, v1
	;; [unrolled: 1-line block ×6, first 2 shown]
	s_lshl_b64 s[12:13], s[12:13], 3
	s_add_nc_u64 s[0:1], s[22:23], s[14:15]
	s_wait_loadcnt_dscnt 0x0
	s_add_nc_u64 s[22:23], s[0:1], s[12:13]
	s_barrier_signal -1
	s_barrier_wait -1
	global_inv scope:SCOPE_SE
	s_and_saveexec_b32 s0, s2
	s_cbranch_execnz .LBB115_67
; %bb.35:
	s_or_b32 exec_lo, exec_lo, s0
	s_and_saveexec_b32 s0, s3
	s_cbranch_execnz .LBB115_68
.LBB115_36:
	s_or_b32 exec_lo, exec_lo, s0
	s_and_saveexec_b32 s0, s4
	s_cbranch_execnz .LBB115_69
.LBB115_37:
	s_or_b32 exec_lo, exec_lo, s0
	s_and_saveexec_b32 s0, s5
	s_cbranch_execnz .LBB115_70
.LBB115_38:
	s_or_b32 exec_lo, exec_lo, s0
	s_and_saveexec_b32 s0, s6
	s_cbranch_execnz .LBB115_71
.LBB115_39:
	s_or_b32 exec_lo, exec_lo, s0
	s_and_saveexec_b32 s0, s7
	s_cbranch_execnz .LBB115_72
.LBB115_40:
	s_or_b32 exec_lo, exec_lo, s0
	s_and_saveexec_b32 s0, s8
	s_cbranch_execnz .LBB115_73
.LBB115_41:
	s_or_b32 exec_lo, exec_lo, s0
	s_xor_b32 s0, s11, -1
	s_and_saveexec_b32 s1, s9
	s_cbranch_execz .LBB115_43
.LBB115_42:
	s_wait_kmcnt 0x0
	v_mad_co_u64_u32 v[9:10], null, s18, v17, 0
	s_wait_loadcnt 0x0
	s_delay_alu instid0(VALU_DEP_1) | instskip(NEXT) | instid1(VALU_DEP_1)
	v_mad_co_u64_u32 v[17:18], null, s19, v17, v[10:11]
	v_mov_b32_e32 v10, v17
	s_delay_alu instid0(VALU_DEP_1) | instskip(NEXT) | instid1(VALU_DEP_1)
	v_lshlrev_b64_e32 v[9:10], 3, v[9:10]
	v_add_co_u32 v9, vcc_lo, s22, v9
	s_wait_alu 0xfffd
	s_delay_alu instid0(VALU_DEP_2)
	v_add_co_ci_u32_e64 v10, null, s23, v10, vcc_lo
	global_load_b64 v[9:10], v[9:10], off
.LBB115_43:
	s_or_b32 exec_lo, exec_lo, s1
	v_lshl_add_u32 v53, v63, 3, v61
	v_lshl_add_u32 v54, v23, 3, v61
	;; [unrolled: 1-line block ×5, first 2 shown]
	s_wait_loadcnt 0x0
	ds_store_b64 v53, v[11:12]
	ds_store_b64 v54, v[1:2] offset:4096
	ds_store_b64 v55, v[13:14] offset:8192
	;; [unrolled: 1-line block ×3, first 2 shown]
	v_lshlrev_b32_e32 v1, 3, v61
	v_lshl_add_u32 v58, v28, 3, v61
	v_lshl_add_u32 v59, v29, 3, v61
	;; [unrolled: 1-line block ×3, first 2 shown]
	ds_store_b64 v57, v[3:4] offset:16384
	ds_store_b64 v58, v[5:6] offset:20480
	;; [unrolled: 1-line block ×4, first 2 shown]
	v_lshl_add_u32 v62, v31, 3, v1
	s_wait_dscnt 0x0
	s_barrier_signal -1
	s_barrier_wait -1
	global_inv scope:SCOPE_SE
	ds_load_2addr_b64 v[13:16], v62 offset1:1
	ds_load_2addr_b64 v[9:12], v62 offset0:2 offset1:3
	ds_load_2addr_b64 v[5:8], v62 offset0:4 offset1:5
	;; [unrolled: 1-line block ×3, first 2 shown]
	v_mbcnt_lo_u32_b32 v65, -1, 0
	v_and_b32_e32 v66, 0x3e0, v41
	v_lshrrev_b32_e32 v72, 24, v43
	v_lshrrev_b32_e32 v73, 16, v43
	;; [unrolled: 1-line block ×3, first 2 shown]
	v_and_or_b32 v71, 0x1f00, v61, v65
	v_or_b32_e32 v17, v65, v66
	v_lshrrev_b32_e32 v75, 24, v42
	v_lshrrev_b32_e32 v76, 16, v42
	;; [unrolled: 1-line block ×3, first 2 shown]
	v_bfe_u32 v67, v0, 10, 10
	v_lshlrev_b32_e32 v70, 3, v17
	v_bfe_u32 v68, v0, 20, 10
	v_mad_u32_u24 v69, v71, 7, v71
	v_lshlrev_b32_e32 v64, 2, v61
	s_mov_b32 s12, 0
	s_and_b32 vcc_lo, exec_lo, s0
	s_mov_b32 s0, -1
	s_wait_loadcnt_dscnt 0x0
	s_barrier_signal -1
	s_barrier_wait -1
	global_inv scope:SCOPE_SE
	s_wait_alu 0xfffe
	s_cbranch_vccz .LBB115_74
; %bb.44:
	v_xor_b32_e32 v0, 0x80, v42
	v_xor_b32_e32 v17, 0x80, v77
	;; [unrolled: 1-line block ×8, first 2 shown]
	v_lshlrev_b16 v17, 8, v17
	v_lshlrev_b16 v19, 8, v19
	v_and_b32_e32 v20, 0xff, v20
	v_lshlrev_b16 v21, 8, v21
	v_and_b32_e32 v22, 0xff, v22
	v_lshlrev_b16 v23, 8, v23
	s_mov_b32 s13, s12
	s_mov_b32 s14, s12
	;; [unrolled: 1-line block ×3, first 2 shown]
	v_and_b32_e32 v0, 0xff, v0
	v_and_b32_e32 v18, 0xff, v18
	s_getpc_b64 s[0:1]
	s_sext_i32_i16 s1, s1
	s_add_co_u32 s0, s0, _ZN7rocprim17ROCPRIM_400000_NS16block_radix_sortIaLj512ELj8ElLj1ELj1ELj0ELNS0_26block_radix_rank_algorithmE1ELNS0_18block_padding_hintE2ELNS0_4arch9wavefront6targetE0EE19radix_bits_per_passE@rel32@lo+8
	s_add_co_ci_u32 s1, s1, _ZN7rocprim17ROCPRIM_400000_NS16block_radix_sortIaLj512ELj8ElLj1ELj1ELj0ELNS0_26block_radix_rank_algorithmE1ELNS0_18block_padding_hintE2ELNS0_4arch9wavefront6targetE0EE19radix_bits_per_passE@rel32@hi+16
	s_load_b32 s0, s[0:1], 0x0
	v_or_b32_e32 v0, v0, v17
	v_or_b32_e32 v17, v18, v19
	;; [unrolled: 1-line block ×4, first 2 shown]
	s_delay_alu instid0(VALU_DEP_4) | instskip(NEXT) | instid1(VALU_DEP_4)
	v_and_b32_e32 v0, 0xffff, v0
	v_lshlrev_b32_e32 v17, 16, v17
	s_delay_alu instid0(VALU_DEP_4) | instskip(NEXT) | instid1(VALU_DEP_4)
	v_and_b32_e32 v18, 0xffff, v18
	v_lshlrev_b32_e32 v19, 16, v19
	s_delay_alu instid0(VALU_DEP_3) | instskip(NEXT) | instid1(VALU_DEP_2)
	v_or_b32_e32 v17, v0, v17
	v_or_b32_e32 v18, v18, v19
	ds_store_b64 v70, v[17:18]
	; wave barrier
	ds_load_u8 v0, v71
	ds_load_u8 v78, v71 offset:32
	ds_load_u8 v79, v71 offset:64
	;; [unrolled: 1-line block ×7, first 2 shown]
	s_wait_kmcnt 0x0
	s_min_u32 s0, s0, 8
	v_lshlrev_b32_e32 v17, 3, v70
	s_lshl_b32 s0, -1, s0
	s_wait_loadcnt_dscnt 0x0
	s_not_b32 s1, s0
	s_barrier_signal -1
	s_barrier_wait -1
	global_inv scope:SCOPE_SE
	ds_store_b128 v17, v[13:16]
	ds_store_b128 v17, v[9:12] offset:16
	ds_store_b128 v17, v[5:8] offset:32
	;; [unrolled: 1-line block ×3, first 2 shown]
	; wave barrier
	ds_load_2addr_b64 v[21:24], v69 offset1:32
	ds_load_2addr_b64 v[17:20], v69 offset0:64 offset1:96
	v_and_b32_e32 v39, s1, v0
	ds_load_2addr_b64 v[29:32], v69 offset0:192 offset1:224
	v_and_b32_e32 v25, 1, v39
	v_lshlrev_b32_e32 v35, 30, v39
	v_lshlrev_b32_e32 v36, 29, v39
	;; [unrolled: 1-line block ×3, first 2 shown]
	s_delay_alu instid0(VALU_DEP_4)
	v_add_co_u32 v33, s0, v25, -1
	s_wait_alu 0xf1ff
	v_cndmask_b32_e64 v34, 0, 1, s0
	ds_load_2addr_b64 v[25:28], v69 offset0:128 offset1:160
	s_wait_loadcnt_dscnt 0x0
	s_barrier_signal -1
	s_barrier_wait -1
	v_cmp_ne_u32_e32 vcc_lo, 0, v34
	v_not_b32_e32 v34, v35
	global_inv scope:SCOPE_SE
	s_load_b32 s0, s[24:25], 0xc
	v_xor_b32_e32 v33, vcc_lo, v33
	v_cmp_gt_i32_e32 vcc_lo, 0, v35
	v_ashrrev_i32_e32 v34, 31, v34
	v_not_b32_e32 v35, v36
	s_delay_alu instid0(VALU_DEP_4) | instskip(SKIP_1) | instid1(VALU_DEP_3)
	v_and_b32_e32 v33, exec_lo, v33
	s_wait_alu 0xfffd
	v_xor_b32_e32 v34, vcc_lo, v34
	v_cmp_gt_i32_e32 vcc_lo, 0, v36
	v_ashrrev_i32_e32 v35, 31, v35
	v_not_b32_e32 v36, v37
	s_delay_alu instid0(VALU_DEP_4)
	v_and_b32_e32 v33, v33, v34
	v_lshlrev_b32_e32 v34, 27, v39
	s_wait_alu 0xfffd
	v_xor_b32_e32 v35, vcc_lo, v35
	v_cmp_gt_i32_e32 vcc_lo, 0, v37
	v_ashrrev_i32_e32 v36, 31, v36
	v_not_b32_e32 v37, v34
	s_delay_alu instid0(VALU_DEP_4)
	v_and_b32_e32 v33, v33, v35
	v_lshlrev_b32_e32 v35, 26, v39
	s_wait_alu 0xfffd
	v_xor_b32_e32 v36, vcc_lo, v36
	v_cmp_gt_i32_e32 vcc_lo, 0, v34
	v_ashrrev_i32_e32 v34, 31, v37
	s_wait_kmcnt 0x0
	s_lshr_b32 s10, s0, 16
	v_not_b32_e32 v37, v35
	v_and_b32_e32 v33, v33, v36
	v_lshlrev_b32_e32 v36, 25, v39
	s_wait_alu 0xfffd
	v_xor_b32_e32 v34, vcc_lo, v34
	v_cmp_gt_i32_e32 vcc_lo, 0, v35
	v_ashrrev_i32_e32 v35, 31, v37
	s_wait_alu 0xfffe
	v_mad_u32_u24 v38, v68, s10, v67
	v_not_b32_e32 v37, v36
	v_and_b32_e32 v33, v33, v34
	v_lshlrev_b32_e32 v34, 24, v39
	s_wait_alu 0xfffd
	v_xor_b32_e32 v35, vcc_lo, v35
	v_cmp_gt_i32_e32 vcc_lo, 0, v36
	v_ashrrev_i32_e32 v36, 31, v37
	s_and_b32 s0, s0, 0xffff
	v_not_b32_e32 v37, v34
	v_and_b32_e32 v35, v33, v35
	v_and_b32_e32 v39, 0xff, v39
	s_wait_alu 0xfffd
	v_xor_b32_e32 v36, vcc_lo, v36
	v_cmp_gt_i32_e32 vcc_lo, 0, v34
	v_ashrrev_i32_e32 v37, 31, v37
	s_wait_alu 0xfffe
	v_mad_co_u64_u32 v[33:34], null, v38, s0, v[41:42]
	v_and_b32_e32 v34, v35, v36
	s_wait_alu 0xfffd
	v_xor_b32_e32 v40, vcc_lo, v37
	v_dual_mov_b32 v38, s15 :: v_dual_mov_b32 v37, s14
	v_dual_mov_b32 v36, s13 :: v_dual_mov_b32 v35, s12
	s_delay_alu instid0(VALU_DEP_3)
	v_and_b32_e32 v34, v34, v40
	v_lshrrev_b32_e32 v33, 3, v33
	ds_store_b128 v64, v[35:38] offset:64
	ds_store_b128 v64, v[35:38] offset:80
	v_mbcnt_lo_u32_b32 v85, v34, 0
	v_and_b32_e32 v33, 0x1ffffffc, v33
	v_lshlrev_b32_e32 v35, 6, v39
	v_cmp_ne_u32_e64 s0, 0, v34
	s_wait_loadcnt_dscnt 0x0
	v_cmp_eq_u32_e32 vcc_lo, 0, v85
	s_barrier_signal -1
	v_add_nc_u32_e32 v86, v33, v35
	s_barrier_wait -1
	global_inv scope:SCOPE_SE
	s_and_b32 s10, s0, vcc_lo
	; wave barrier
	s_wait_alu 0xfffe
	s_and_saveexec_b32 s0, s10
; %bb.45:
	v_bcnt_u32_b32 v34, v34, 0
	ds_store_b32 v86, v34 offset:64
; %bb.46:
	s_wait_alu 0xfffe
	s_or_b32 exec_lo, exec_lo, s0
	v_and_b32_e32 v34, s1, v78
	; wave barrier
	s_delay_alu instid0(VALU_DEP_1)
	v_and_b32_e32 v36, 1, v34
	v_lshlrev_b32_e32 v37, 30, v34
	v_lshlrev_b32_e32 v38, 29, v34
	;; [unrolled: 1-line block ×4, first 2 shown]
	v_add_co_u32 v36, s0, v36, -1
	s_wait_alu 0xf1ff
	v_cndmask_b32_e64 v40, 0, 1, s0
	v_not_b32_e32 v90, v37
	v_cmp_gt_i32_e64 s0, 0, v37
	v_not_b32_e32 v37, v38
	v_lshlrev_b32_e32 v88, 26, v34
	v_cmp_ne_u32_e32 vcc_lo, 0, v40
	v_ashrrev_i32_e32 v40, 31, v90
	v_lshlrev_b32_e32 v89, 25, v34
	v_ashrrev_i32_e32 v37, 31, v37
	v_and_b32_e32 v35, 0xff, v34
	s_wait_alu 0xfffd
	v_xor_b32_e32 v36, vcc_lo, v36
	v_cmp_gt_i32_e32 vcc_lo, 0, v38
	v_not_b32_e32 v38, v39
	s_wait_alu 0xf1ff
	v_xor_b32_e32 v40, s0, v40
	v_cmp_gt_i32_e64 s0, 0, v39
	v_and_b32_e32 v36, exec_lo, v36
	v_not_b32_e32 v39, v87
	v_ashrrev_i32_e32 v38, 31, v38
	s_wait_alu 0xfffd
	v_xor_b32_e32 v37, vcc_lo, v37
	v_cmp_gt_i32_e32 vcc_lo, 0, v87
	v_and_b32_e32 v36, v36, v40
	v_not_b32_e32 v40, v88
	v_ashrrev_i32_e32 v39, 31, v39
	s_wait_alu 0xf1ff
	v_xor_b32_e32 v38, s0, v38
	v_lshlrev_b32_e32 v34, 24, v34
	v_and_b32_e32 v36, v36, v37
	v_cmp_gt_i32_e64 s0, 0, v88
	v_not_b32_e32 v37, v89
	v_ashrrev_i32_e32 v40, 31, v40
	s_wait_alu 0xfffd
	v_xor_b32_e32 v39, vcc_lo, v39
	v_and_b32_e32 v36, v36, v38
	v_cmp_gt_i32_e32 vcc_lo, 0, v89
	v_not_b32_e32 v38, v34
	v_ashrrev_i32_e32 v37, 31, v37
	s_wait_alu 0xf1ff
	v_xor_b32_e32 v40, s0, v40
	v_and_b32_e32 v36, v36, v39
	v_lshlrev_b32_e32 v35, 6, v35
	v_cmp_gt_i32_e64 s0, 0, v34
	v_ashrrev_i32_e32 v34, 31, v38
	s_wait_alu 0xfffd
	v_xor_b32_e32 v37, vcc_lo, v37
	v_and_b32_e32 v36, v36, v40
	v_add_nc_u32_e32 v89, v33, v35
	s_wait_alu 0xf1ff
	v_xor_b32_e32 v34, s0, v34
	s_delay_alu instid0(VALU_DEP_3) | instskip(SKIP_2) | instid1(VALU_DEP_1)
	v_and_b32_e32 v35, v36, v37
	ds_load_b32 v87, v89 offset:64
	; wave barrier
	v_and_b32_e32 v34, v35, v34
	v_mbcnt_lo_u32_b32 v88, v34, 0
	v_cmp_ne_u32_e64 s0, 0, v34
	s_delay_alu instid0(VALU_DEP_2)
	v_cmp_eq_u32_e32 vcc_lo, 0, v88
	s_and_b32 s10, s0, vcc_lo
	s_wait_alu 0xfffe
	s_and_saveexec_b32 s0, s10
	s_cbranch_execz .LBB115_48
; %bb.47:
	s_wait_dscnt 0x0
	v_bcnt_u32_b32 v34, v34, v87
	ds_store_b32 v89, v34 offset:64
.LBB115_48:
	s_wait_alu 0xfffe
	s_or_b32 exec_lo, exec_lo, s0
	v_and_b32_e32 v34, s1, v79
	; wave barrier
	s_delay_alu instid0(VALU_DEP_1)
	v_and_b32_e32 v36, 1, v34
	v_lshlrev_b32_e32 v37, 30, v34
	v_lshlrev_b32_e32 v38, 29, v34
	;; [unrolled: 1-line block ×4, first 2 shown]
	v_add_co_u32 v36, s0, v36, -1
	s_wait_alu 0xf1ff
	v_cndmask_b32_e64 v40, 0, 1, s0
	v_not_b32_e32 v93, v37
	v_cmp_gt_i32_e64 s0, 0, v37
	v_not_b32_e32 v37, v38
	v_lshlrev_b32_e32 v91, 26, v34
	v_cmp_ne_u32_e32 vcc_lo, 0, v40
	v_ashrrev_i32_e32 v40, 31, v93
	v_lshlrev_b32_e32 v92, 25, v34
	v_ashrrev_i32_e32 v37, 31, v37
	v_and_b32_e32 v35, 0xff, v34
	s_wait_alu 0xfffd
	v_xor_b32_e32 v36, vcc_lo, v36
	v_cmp_gt_i32_e32 vcc_lo, 0, v38
	v_not_b32_e32 v38, v39
	s_wait_alu 0xf1ff
	v_xor_b32_e32 v40, s0, v40
	v_cmp_gt_i32_e64 s0, 0, v39
	v_and_b32_e32 v36, exec_lo, v36
	v_not_b32_e32 v39, v90
	v_ashrrev_i32_e32 v38, 31, v38
	s_wait_alu 0xfffd
	v_xor_b32_e32 v37, vcc_lo, v37
	v_cmp_gt_i32_e32 vcc_lo, 0, v90
	v_and_b32_e32 v36, v36, v40
	v_not_b32_e32 v40, v91
	v_ashrrev_i32_e32 v39, 31, v39
	s_wait_alu 0xf1ff
	v_xor_b32_e32 v38, s0, v38
	v_lshlrev_b32_e32 v34, 24, v34
	v_and_b32_e32 v36, v36, v37
	v_cmp_gt_i32_e64 s0, 0, v91
	v_not_b32_e32 v37, v92
	v_ashrrev_i32_e32 v40, 31, v40
	s_wait_alu 0xfffd
	v_xor_b32_e32 v39, vcc_lo, v39
	v_and_b32_e32 v36, v36, v38
	v_cmp_gt_i32_e32 vcc_lo, 0, v92
	v_not_b32_e32 v38, v34
	v_ashrrev_i32_e32 v37, 31, v37
	s_wait_alu 0xf1ff
	v_xor_b32_e32 v40, s0, v40
	v_and_b32_e32 v36, v36, v39
	v_lshlrev_b32_e32 v35, 6, v35
	v_cmp_gt_i32_e64 s0, 0, v34
	v_ashrrev_i32_e32 v34, 31, v38
	s_wait_alu 0xfffd
	v_xor_b32_e32 v37, vcc_lo, v37
	v_and_b32_e32 v36, v36, v40
	v_add_nc_u32_e32 v92, v33, v35
	s_wait_alu 0xf1ff
	v_xor_b32_e32 v34, s0, v34
	s_delay_alu instid0(VALU_DEP_3) | instskip(SKIP_2) | instid1(VALU_DEP_1)
	v_and_b32_e32 v35, v36, v37
	ds_load_b32 v90, v92 offset:64
	; wave barrier
	v_and_b32_e32 v34, v35, v34
	v_mbcnt_lo_u32_b32 v91, v34, 0
	v_cmp_ne_u32_e64 s0, 0, v34
	s_delay_alu instid0(VALU_DEP_2)
	v_cmp_eq_u32_e32 vcc_lo, 0, v91
	s_and_b32 s10, s0, vcc_lo
	s_wait_alu 0xfffe
	s_and_saveexec_b32 s0, s10
	s_cbranch_execz .LBB115_50
; %bb.49:
	s_wait_dscnt 0x0
	v_bcnt_u32_b32 v34, v34, v90
	ds_store_b32 v92, v34 offset:64
.LBB115_50:
	s_wait_alu 0xfffe
	s_or_b32 exec_lo, exec_lo, s0
	v_and_b32_e32 v34, s1, v80
	; wave barrier
	s_delay_alu instid0(VALU_DEP_1)
	v_and_b32_e32 v36, 1, v34
	v_lshlrev_b32_e32 v37, 30, v34
	v_lshlrev_b32_e32 v38, 29, v34
	;; [unrolled: 1-line block ×4, first 2 shown]
	v_add_co_u32 v36, s0, v36, -1
	s_wait_alu 0xf1ff
	v_cndmask_b32_e64 v40, 0, 1, s0
	v_not_b32_e32 v96, v37
	v_cmp_gt_i32_e64 s0, 0, v37
	v_not_b32_e32 v37, v38
	v_lshlrev_b32_e32 v94, 26, v34
	v_cmp_ne_u32_e32 vcc_lo, 0, v40
	v_ashrrev_i32_e32 v40, 31, v96
	v_lshlrev_b32_e32 v95, 25, v34
	v_ashrrev_i32_e32 v37, 31, v37
	v_and_b32_e32 v35, 0xff, v34
	s_wait_alu 0xfffd
	v_xor_b32_e32 v36, vcc_lo, v36
	v_cmp_gt_i32_e32 vcc_lo, 0, v38
	v_not_b32_e32 v38, v39
	s_wait_alu 0xf1ff
	v_xor_b32_e32 v40, s0, v40
	v_cmp_gt_i32_e64 s0, 0, v39
	v_and_b32_e32 v36, exec_lo, v36
	v_not_b32_e32 v39, v93
	v_ashrrev_i32_e32 v38, 31, v38
	s_wait_alu 0xfffd
	v_xor_b32_e32 v37, vcc_lo, v37
	v_cmp_gt_i32_e32 vcc_lo, 0, v93
	v_and_b32_e32 v36, v36, v40
	v_not_b32_e32 v40, v94
	v_ashrrev_i32_e32 v39, 31, v39
	s_wait_alu 0xf1ff
	v_xor_b32_e32 v38, s0, v38
	v_lshlrev_b32_e32 v34, 24, v34
	v_and_b32_e32 v36, v36, v37
	v_cmp_gt_i32_e64 s0, 0, v94
	v_not_b32_e32 v37, v95
	v_ashrrev_i32_e32 v40, 31, v40
	s_wait_alu 0xfffd
	v_xor_b32_e32 v39, vcc_lo, v39
	v_and_b32_e32 v36, v36, v38
	v_cmp_gt_i32_e32 vcc_lo, 0, v95
	v_not_b32_e32 v38, v34
	v_ashrrev_i32_e32 v37, 31, v37
	s_wait_alu 0xf1ff
	v_xor_b32_e32 v40, s0, v40
	v_and_b32_e32 v36, v36, v39
	v_lshlrev_b32_e32 v35, 6, v35
	v_cmp_gt_i32_e64 s0, 0, v34
	v_ashrrev_i32_e32 v34, 31, v38
	s_wait_alu 0xfffd
	v_xor_b32_e32 v37, vcc_lo, v37
	v_and_b32_e32 v36, v36, v40
	v_add_nc_u32_e32 v95, v33, v35
	s_wait_alu 0xf1ff
	v_xor_b32_e32 v34, s0, v34
	s_delay_alu instid0(VALU_DEP_3) | instskip(SKIP_2) | instid1(VALU_DEP_1)
	v_and_b32_e32 v35, v36, v37
	ds_load_b32 v93, v95 offset:64
	; wave barrier
	v_and_b32_e32 v34, v35, v34
	v_mbcnt_lo_u32_b32 v94, v34, 0
	v_cmp_ne_u32_e64 s0, 0, v34
	s_delay_alu instid0(VALU_DEP_2)
	v_cmp_eq_u32_e32 vcc_lo, 0, v94
	s_and_b32 s10, s0, vcc_lo
	s_wait_alu 0xfffe
	s_and_saveexec_b32 s0, s10
	s_cbranch_execz .LBB115_52
; %bb.51:
	s_wait_dscnt 0x0
	v_bcnt_u32_b32 v34, v34, v93
	ds_store_b32 v95, v34 offset:64
.LBB115_52:
	s_wait_alu 0xfffe
	s_or_b32 exec_lo, exec_lo, s0
	v_and_b32_e32 v34, s1, v81
	; wave barrier
	s_delay_alu instid0(VALU_DEP_1)
	v_and_b32_e32 v36, 1, v34
	v_lshlrev_b32_e32 v37, 30, v34
	v_lshlrev_b32_e32 v38, 29, v34
	;; [unrolled: 1-line block ×4, first 2 shown]
	v_add_co_u32 v36, s0, v36, -1
	s_wait_alu 0xf1ff
	v_cndmask_b32_e64 v40, 0, 1, s0
	v_not_b32_e32 v99, v37
	v_cmp_gt_i32_e64 s0, 0, v37
	v_not_b32_e32 v37, v38
	v_lshlrev_b32_e32 v97, 26, v34
	v_cmp_ne_u32_e32 vcc_lo, 0, v40
	v_ashrrev_i32_e32 v40, 31, v99
	v_lshlrev_b32_e32 v98, 25, v34
	v_ashrrev_i32_e32 v37, 31, v37
	v_and_b32_e32 v35, 0xff, v34
	s_wait_alu 0xfffd
	v_xor_b32_e32 v36, vcc_lo, v36
	v_cmp_gt_i32_e32 vcc_lo, 0, v38
	v_not_b32_e32 v38, v39
	s_wait_alu 0xf1ff
	v_xor_b32_e32 v40, s0, v40
	v_cmp_gt_i32_e64 s0, 0, v39
	v_and_b32_e32 v36, exec_lo, v36
	v_not_b32_e32 v39, v96
	v_ashrrev_i32_e32 v38, 31, v38
	s_wait_alu 0xfffd
	v_xor_b32_e32 v37, vcc_lo, v37
	v_cmp_gt_i32_e32 vcc_lo, 0, v96
	v_and_b32_e32 v36, v36, v40
	v_not_b32_e32 v40, v97
	v_ashrrev_i32_e32 v39, 31, v39
	s_wait_alu 0xf1ff
	v_xor_b32_e32 v38, s0, v38
	v_lshlrev_b32_e32 v34, 24, v34
	v_and_b32_e32 v36, v36, v37
	v_cmp_gt_i32_e64 s0, 0, v97
	v_not_b32_e32 v37, v98
	v_ashrrev_i32_e32 v40, 31, v40
	s_wait_alu 0xfffd
	v_xor_b32_e32 v39, vcc_lo, v39
	v_and_b32_e32 v36, v36, v38
	v_cmp_gt_i32_e32 vcc_lo, 0, v98
	v_not_b32_e32 v38, v34
	v_ashrrev_i32_e32 v37, 31, v37
	s_wait_alu 0xf1ff
	v_xor_b32_e32 v40, s0, v40
	v_and_b32_e32 v36, v36, v39
	v_lshlrev_b32_e32 v35, 6, v35
	v_cmp_gt_i32_e64 s0, 0, v34
	v_ashrrev_i32_e32 v34, 31, v38
	s_wait_alu 0xfffd
	v_xor_b32_e32 v37, vcc_lo, v37
	v_and_b32_e32 v36, v36, v40
	v_add_nc_u32_e32 v98, v33, v35
	s_wait_alu 0xf1ff
	v_xor_b32_e32 v34, s0, v34
	s_delay_alu instid0(VALU_DEP_3) | instskip(SKIP_2) | instid1(VALU_DEP_1)
	v_and_b32_e32 v35, v36, v37
	ds_load_b32 v96, v98 offset:64
	; wave barrier
	v_and_b32_e32 v34, v35, v34
	v_mbcnt_lo_u32_b32 v97, v34, 0
	v_cmp_ne_u32_e64 s0, 0, v34
	s_delay_alu instid0(VALU_DEP_2)
	v_cmp_eq_u32_e32 vcc_lo, 0, v97
	s_and_b32 s10, s0, vcc_lo
	s_wait_alu 0xfffe
	s_and_saveexec_b32 s0, s10
	s_cbranch_execz .LBB115_54
; %bb.53:
	s_wait_dscnt 0x0
	v_bcnt_u32_b32 v34, v34, v96
	ds_store_b32 v98, v34 offset:64
.LBB115_54:
	s_wait_alu 0xfffe
	s_or_b32 exec_lo, exec_lo, s0
	v_and_b32_e32 v34, s1, v82
	; wave barrier
	s_delay_alu instid0(VALU_DEP_1)
	v_and_b32_e32 v36, 1, v34
	v_lshlrev_b32_e32 v37, 30, v34
	v_lshlrev_b32_e32 v38, 29, v34
	;; [unrolled: 1-line block ×4, first 2 shown]
	v_add_co_u32 v36, s0, v36, -1
	s_wait_alu 0xf1ff
	v_cndmask_b32_e64 v40, 0, 1, s0
	v_not_b32_e32 v102, v37
	v_cmp_gt_i32_e64 s0, 0, v37
	v_not_b32_e32 v37, v38
	v_lshlrev_b32_e32 v100, 26, v34
	v_cmp_ne_u32_e32 vcc_lo, 0, v40
	v_ashrrev_i32_e32 v40, 31, v102
	v_lshlrev_b32_e32 v101, 25, v34
	v_ashrrev_i32_e32 v37, 31, v37
	v_and_b32_e32 v35, 0xff, v34
	s_wait_alu 0xfffd
	v_xor_b32_e32 v36, vcc_lo, v36
	v_cmp_gt_i32_e32 vcc_lo, 0, v38
	v_not_b32_e32 v38, v39
	s_wait_alu 0xf1ff
	v_xor_b32_e32 v40, s0, v40
	v_cmp_gt_i32_e64 s0, 0, v39
	v_and_b32_e32 v36, exec_lo, v36
	v_not_b32_e32 v39, v99
	v_ashrrev_i32_e32 v38, 31, v38
	s_wait_alu 0xfffd
	v_xor_b32_e32 v37, vcc_lo, v37
	v_cmp_gt_i32_e32 vcc_lo, 0, v99
	v_and_b32_e32 v36, v36, v40
	v_not_b32_e32 v40, v100
	v_ashrrev_i32_e32 v39, 31, v39
	s_wait_alu 0xf1ff
	v_xor_b32_e32 v38, s0, v38
	v_lshlrev_b32_e32 v34, 24, v34
	v_and_b32_e32 v36, v36, v37
	v_cmp_gt_i32_e64 s0, 0, v100
	v_not_b32_e32 v37, v101
	v_ashrrev_i32_e32 v40, 31, v40
	s_wait_alu 0xfffd
	v_xor_b32_e32 v39, vcc_lo, v39
	v_and_b32_e32 v36, v36, v38
	v_cmp_gt_i32_e32 vcc_lo, 0, v101
	v_not_b32_e32 v38, v34
	v_ashrrev_i32_e32 v37, 31, v37
	s_wait_alu 0xf1ff
	v_xor_b32_e32 v40, s0, v40
	v_and_b32_e32 v36, v36, v39
	v_lshlrev_b32_e32 v35, 6, v35
	v_cmp_gt_i32_e64 s0, 0, v34
	v_ashrrev_i32_e32 v34, 31, v38
	s_wait_alu 0xfffd
	v_xor_b32_e32 v37, vcc_lo, v37
	v_and_b32_e32 v36, v36, v40
	v_add_nc_u32_e32 v101, v33, v35
	s_wait_alu 0xf1ff
	v_xor_b32_e32 v34, s0, v34
	s_delay_alu instid0(VALU_DEP_3) | instskip(SKIP_2) | instid1(VALU_DEP_1)
	v_and_b32_e32 v35, v36, v37
	ds_load_b32 v99, v101 offset:64
	; wave barrier
	v_and_b32_e32 v34, v35, v34
	v_mbcnt_lo_u32_b32 v100, v34, 0
	v_cmp_ne_u32_e64 s0, 0, v34
	s_delay_alu instid0(VALU_DEP_2)
	v_cmp_eq_u32_e32 vcc_lo, 0, v100
	s_and_b32 s10, s0, vcc_lo
	s_wait_alu 0xfffe
	s_and_saveexec_b32 s0, s10
	s_cbranch_execz .LBB115_56
; %bb.55:
	s_wait_dscnt 0x0
	v_bcnt_u32_b32 v34, v34, v99
	ds_store_b32 v101, v34 offset:64
.LBB115_56:
	s_wait_alu 0xfffe
	s_or_b32 exec_lo, exec_lo, s0
	v_and_b32_e32 v34, s1, v83
	; wave barrier
	s_delay_alu instid0(VALU_DEP_1)
	v_and_b32_e32 v36, 1, v34
	v_lshlrev_b32_e32 v37, 30, v34
	v_lshlrev_b32_e32 v38, 29, v34
	;; [unrolled: 1-line block ×4, first 2 shown]
	v_add_co_u32 v36, s0, v36, -1
	s_wait_alu 0xf1ff
	v_cndmask_b32_e64 v40, 0, 1, s0
	v_not_b32_e32 v105, v37
	v_cmp_gt_i32_e64 s0, 0, v37
	v_not_b32_e32 v37, v38
	v_lshlrev_b32_e32 v103, 26, v34
	v_cmp_ne_u32_e32 vcc_lo, 0, v40
	v_ashrrev_i32_e32 v40, 31, v105
	v_lshlrev_b32_e32 v104, 25, v34
	v_ashrrev_i32_e32 v37, 31, v37
	v_and_b32_e32 v35, 0xff, v34
	s_wait_alu 0xfffd
	v_xor_b32_e32 v36, vcc_lo, v36
	v_cmp_gt_i32_e32 vcc_lo, 0, v38
	v_not_b32_e32 v38, v39
	s_wait_alu 0xf1ff
	v_xor_b32_e32 v40, s0, v40
	v_cmp_gt_i32_e64 s0, 0, v39
	v_and_b32_e32 v36, exec_lo, v36
	v_not_b32_e32 v39, v102
	v_ashrrev_i32_e32 v38, 31, v38
	s_wait_alu 0xfffd
	v_xor_b32_e32 v37, vcc_lo, v37
	v_cmp_gt_i32_e32 vcc_lo, 0, v102
	v_and_b32_e32 v36, v36, v40
	v_not_b32_e32 v40, v103
	v_ashrrev_i32_e32 v39, 31, v39
	s_wait_alu 0xf1ff
	v_xor_b32_e32 v38, s0, v38
	v_lshlrev_b32_e32 v34, 24, v34
	v_and_b32_e32 v36, v36, v37
	v_cmp_gt_i32_e64 s0, 0, v103
	v_not_b32_e32 v37, v104
	v_ashrrev_i32_e32 v40, 31, v40
	s_wait_alu 0xfffd
	v_xor_b32_e32 v39, vcc_lo, v39
	v_and_b32_e32 v36, v36, v38
	v_cmp_gt_i32_e32 vcc_lo, 0, v104
	v_not_b32_e32 v38, v34
	v_ashrrev_i32_e32 v37, 31, v37
	s_wait_alu 0xf1ff
	v_xor_b32_e32 v40, s0, v40
	v_and_b32_e32 v36, v36, v39
	v_lshlrev_b32_e32 v35, 6, v35
	v_cmp_gt_i32_e64 s0, 0, v34
	v_ashrrev_i32_e32 v34, 31, v38
	s_wait_alu 0xfffd
	v_xor_b32_e32 v37, vcc_lo, v37
	v_and_b32_e32 v36, v36, v40
	v_add_nc_u32_e32 v104, v33, v35
	s_wait_alu 0xf1ff
	v_xor_b32_e32 v34, s0, v34
	s_delay_alu instid0(VALU_DEP_3) | instskip(SKIP_2) | instid1(VALU_DEP_1)
	v_and_b32_e32 v35, v36, v37
	ds_load_b32 v102, v104 offset:64
	; wave barrier
	v_and_b32_e32 v34, v35, v34
	v_mbcnt_lo_u32_b32 v103, v34, 0
	v_cmp_ne_u32_e64 s0, 0, v34
	s_delay_alu instid0(VALU_DEP_2)
	v_cmp_eq_u32_e32 vcc_lo, 0, v103
	s_and_b32 s10, s0, vcc_lo
	s_wait_alu 0xfffe
	s_and_saveexec_b32 s0, s10
	s_cbranch_execz .LBB115_58
; %bb.57:
	s_wait_dscnt 0x0
	v_bcnt_u32_b32 v34, v34, v102
	ds_store_b32 v104, v34 offset:64
.LBB115_58:
	s_wait_alu 0xfffe
	s_or_b32 exec_lo, exec_lo, s0
	v_and_b32_e32 v34, s1, v84
	; wave barrier
	s_delay_alu instid0(VALU_DEP_1)
	v_and_b32_e32 v36, 1, v34
	v_lshlrev_b32_e32 v37, 30, v34
	v_lshlrev_b32_e32 v38, 29, v34
	;; [unrolled: 1-line block ×4, first 2 shown]
	v_add_co_u32 v36, s0, v36, -1
	s_wait_alu 0xf1ff
	v_cndmask_b32_e64 v40, 0, 1, s0
	v_not_b32_e32 v108, v37
	v_cmp_gt_i32_e64 s0, 0, v37
	v_not_b32_e32 v37, v38
	v_lshlrev_b32_e32 v106, 26, v34
	v_cmp_ne_u32_e32 vcc_lo, 0, v40
	v_ashrrev_i32_e32 v40, 31, v108
	v_lshlrev_b32_e32 v107, 25, v34
	v_ashrrev_i32_e32 v37, 31, v37
	v_and_b32_e32 v35, 0xff, v34
	s_wait_alu 0xfffd
	v_xor_b32_e32 v36, vcc_lo, v36
	v_cmp_gt_i32_e32 vcc_lo, 0, v38
	v_not_b32_e32 v38, v39
	s_wait_alu 0xf1ff
	v_xor_b32_e32 v40, s0, v40
	v_cmp_gt_i32_e64 s0, 0, v39
	v_and_b32_e32 v36, exec_lo, v36
	v_not_b32_e32 v39, v105
	v_ashrrev_i32_e32 v38, 31, v38
	s_wait_alu 0xfffd
	v_xor_b32_e32 v37, vcc_lo, v37
	v_cmp_gt_i32_e32 vcc_lo, 0, v105
	v_and_b32_e32 v36, v36, v40
	v_not_b32_e32 v40, v106
	v_ashrrev_i32_e32 v39, 31, v39
	s_wait_alu 0xf1ff
	v_xor_b32_e32 v38, s0, v38
	v_lshlrev_b32_e32 v34, 24, v34
	v_and_b32_e32 v36, v36, v37
	v_cmp_gt_i32_e64 s0, 0, v106
	v_not_b32_e32 v37, v107
	v_ashrrev_i32_e32 v40, 31, v40
	s_wait_alu 0xfffd
	v_xor_b32_e32 v39, vcc_lo, v39
	v_and_b32_e32 v36, v36, v38
	v_cmp_gt_i32_e32 vcc_lo, 0, v107
	v_not_b32_e32 v38, v34
	v_ashrrev_i32_e32 v37, 31, v37
	s_wait_alu 0xf1ff
	v_xor_b32_e32 v40, s0, v40
	v_and_b32_e32 v36, v36, v39
	v_lshlrev_b32_e32 v35, 6, v35
	v_cmp_gt_i32_e64 s0, 0, v34
	v_ashrrev_i32_e32 v34, 31, v38
	s_wait_alu 0xfffd
	v_xor_b32_e32 v37, vcc_lo, v37
	v_and_b32_e32 v36, v36, v40
	v_add_nc_u32_e32 v107, v33, v35
	s_wait_alu 0xf1ff
	v_xor_b32_e32 v33, s0, v34
	s_delay_alu instid0(VALU_DEP_3) | instskip(SKIP_2) | instid1(VALU_DEP_1)
	v_and_b32_e32 v34, v36, v37
	ds_load_b32 v105, v107 offset:64
	; wave barrier
	v_and_b32_e32 v33, v34, v33
	v_mbcnt_lo_u32_b32 v106, v33, 0
	v_cmp_ne_u32_e64 s0, 0, v33
	s_delay_alu instid0(VALU_DEP_2)
	v_cmp_eq_u32_e32 vcc_lo, 0, v106
	s_and_b32 s1, s0, vcc_lo
	s_wait_alu 0xfffe
	s_and_saveexec_b32 s0, s1
	s_cbranch_execz .LBB115_60
; %bb.59:
	s_wait_dscnt 0x0
	v_bcnt_u32_b32 v33, v33, v105
	ds_store_b32 v107, v33 offset:64
.LBB115_60:
	s_wait_alu 0xfffe
	s_or_b32 exec_lo, exec_lo, s0
	; wave barrier
	s_wait_loadcnt_dscnt 0x0
	s_barrier_signal -1
	s_barrier_wait -1
	global_inv scope:SCOPE_SE
	ds_load_b128 v[37:40], v64 offset:64
	ds_load_b128 v[33:36], v64 offset:80
	v_min_u32_e32 v110, 0x1e0, v66
	s_mov_b32 s12, exec_lo
	s_wait_dscnt 0x1
	v_add_nc_u32_e32 v108, v38, v37
	s_delay_alu instid0(VALU_DEP_1) | instskip(SKIP_1) | instid1(VALU_DEP_1)
	v_add3_u32 v108, v108, v39, v40
	s_wait_dscnt 0x0
	v_add3_u32 v108, v108, v33, v34
	s_delay_alu instid0(VALU_DEP_1) | instskip(SKIP_1) | instid1(VALU_DEP_2)
	v_add3_u32 v36, v108, v35, v36
	v_and_b32_e32 v108, 15, v65
	v_mov_b32_dpp v109, v36 row_shr:1 row_mask:0xf bank_mask:0xf
	s_delay_alu instid0(VALU_DEP_2)
	v_cmp_eq_u32_e32 vcc_lo, 0, v108
	v_cmp_lt_u32_e64 s0, 1, v108
	v_cmp_lt_u32_e64 s1, 3, v108
	;; [unrolled: 1-line block ×3, first 2 shown]
	s_wait_alu 0xfffd
	v_cndmask_b32_e64 v109, v109, 0, vcc_lo
	s_delay_alu instid0(VALU_DEP_1) | instskip(NEXT) | instid1(VALU_DEP_1)
	v_add_nc_u32_e32 v36, v109, v36
	v_mov_b32_dpp v109, v36 row_shr:2 row_mask:0xf bank_mask:0xf
	s_wait_alu 0xf1ff
	s_delay_alu instid0(VALU_DEP_1) | instskip(NEXT) | instid1(VALU_DEP_1)
	v_cndmask_b32_e64 v109, 0, v109, s0
	v_add_nc_u32_e32 v36, v36, v109
	s_delay_alu instid0(VALU_DEP_1) | instskip(NEXT) | instid1(VALU_DEP_1)
	v_mov_b32_dpp v109, v36 row_shr:4 row_mask:0xf bank_mask:0xf
	v_cndmask_b32_e64 v109, 0, v109, s1
	s_delay_alu instid0(VALU_DEP_1) | instskip(NEXT) | instid1(VALU_DEP_1)
	v_add_nc_u32_e32 v36, v36, v109
	v_mov_b32_dpp v109, v36 row_shr:8 row_mask:0xf bank_mask:0xf
	s_delay_alu instid0(VALU_DEP_1) | instskip(SKIP_1) | instid1(VALU_DEP_2)
	v_cndmask_b32_e64 v108, 0, v109, s10
	v_bfe_i32 v109, v65, 4, 1
	v_add_nc_u32_e32 v36, v36, v108
	ds_swizzle_b32 v108, v36 offset:swizzle(BROADCAST,32,15)
	s_wait_dscnt 0x0
	v_and_b32_e32 v108, v109, v108
	v_or_b32_e32 v109, 31, v110
	s_delay_alu instid0(VALU_DEP_2) | instskip(NEXT) | instid1(VALU_DEP_2)
	v_add_nc_u32_e32 v36, v36, v108
	v_cmpx_eq_u32_e64 v41, v109
; %bb.61:
	v_lshlrev_b32_e32 v108, 2, v63
	ds_store_b32 v108, v36
; %bb.62:
	s_wait_alu 0xfffe
	s_or_b32 exec_lo, exec_lo, s12
	s_delay_alu instid0(SALU_CYCLE_1)
	s_mov_b32 s12, exec_lo
	s_wait_loadcnt_dscnt 0x0
	s_barrier_signal -1
	s_barrier_wait -1
	global_inv scope:SCOPE_SE
	v_cmpx_gt_u32_e32 16, v41
	s_cbranch_execz .LBB115_64
; %bb.63:
	v_lshlrev_b32_e32 v108, 2, v41
	ds_load_b32 v109, v108
	s_wait_dscnt 0x0
	v_mov_b32_dpp v110, v109 row_shr:1 row_mask:0xf bank_mask:0xf
	s_delay_alu instid0(VALU_DEP_1) | instskip(NEXT) | instid1(VALU_DEP_1)
	v_cndmask_b32_e64 v110, v110, 0, vcc_lo
	v_add_nc_u32_e32 v109, v110, v109
	s_delay_alu instid0(VALU_DEP_1) | instskip(NEXT) | instid1(VALU_DEP_1)
	v_mov_b32_dpp v110, v109 row_shr:2 row_mask:0xf bank_mask:0xf
	v_cndmask_b32_e64 v110, 0, v110, s0
	s_delay_alu instid0(VALU_DEP_1) | instskip(NEXT) | instid1(VALU_DEP_1)
	v_add_nc_u32_e32 v109, v109, v110
	v_mov_b32_dpp v110, v109 row_shr:4 row_mask:0xf bank_mask:0xf
	s_delay_alu instid0(VALU_DEP_1) | instskip(NEXT) | instid1(VALU_DEP_1)
	v_cndmask_b32_e64 v110, 0, v110, s1
	v_add_nc_u32_e32 v109, v109, v110
	s_delay_alu instid0(VALU_DEP_1) | instskip(NEXT) | instid1(VALU_DEP_1)
	v_mov_b32_dpp v110, v109 row_shr:8 row_mask:0xf bank_mask:0xf
	v_cndmask_b32_e64 v110, 0, v110, s10
	s_delay_alu instid0(VALU_DEP_1)
	v_add_nc_u32_e32 v109, v109, v110
	ds_store_b32 v108, v109
.LBB115_64:
	s_wait_alu 0xfffe
	s_or_b32 exec_lo, exec_lo, s12
	v_mov_b32_e32 v108, 0
	s_mov_b32 s0, exec_lo
	s_wait_loadcnt_dscnt 0x0
	s_barrier_signal -1
	s_barrier_wait -1
	global_inv scope:SCOPE_SE
	v_cmpx_lt_u32_e32 31, v41
; %bb.65:
	v_lshl_add_u32 v108, v63, 2, -4
	ds_load_b32 v108, v108
; %bb.66:
	s_wait_alu 0xfffe
	s_or_b32 exec_lo, exec_lo, s0
	v_sub_co_u32 v109, vcc_lo, v65, 1
	s_wait_dscnt 0x0
	v_add_nc_u32_e32 v36, v108, v36
	s_delay_alu instid0(VALU_DEP_2) | instskip(SKIP_1) | instid1(VALU_DEP_1)
	v_cmp_gt_i32_e64 s0, 0, v109
	s_wait_alu 0xf1ff
	v_cndmask_b32_e64 v109, v109, v65, s0
	s_delay_alu instid0(VALU_DEP_1)
	v_lshlrev_b32_e32 v109, 2, v109
	ds_bpermute_b32 v36, v109, v36
	s_wait_dscnt 0x0
	s_wait_alu 0xfffd
	v_cndmask_b32_e32 v36, v36, v108, vcc_lo
	v_cmp_ne_u32_e32 vcc_lo, 0, v41
	s_wait_alu 0xfffd
	s_delay_alu instid0(VALU_DEP_2) | instskip(NEXT) | instid1(VALU_DEP_1)
	v_cndmask_b32_e32 v36, 0, v36, vcc_lo
	v_add_nc_u32_e32 v37, v36, v37
	s_delay_alu instid0(VALU_DEP_1) | instskip(NEXT) | instid1(VALU_DEP_1)
	v_add_nc_u32_e32 v38, v37, v38
	v_add_nc_u32_e32 v39, v38, v39
	s_delay_alu instid0(VALU_DEP_1) | instskip(NEXT) | instid1(VALU_DEP_1)
	v_add_nc_u32_e32 v108, v39, v40
	v_add_nc_u32_e32 v109, v108, v33
	s_delay_alu instid0(VALU_DEP_1) | instskip(NEXT) | instid1(VALU_DEP_1)
	v_add_nc_u32_e32 v110, v109, v34
	v_add_nc_u32_e32 v111, v110, v35
	ds_store_b128 v64, v[36:39] offset:64
	ds_store_b128 v64, v[108:111] offset:80
	s_wait_loadcnt_dscnt 0x0
	s_barrier_signal -1
	s_barrier_wait -1
	global_inv scope:SCOPE_SE
	ds_load_b32 v33, v86 offset:64
	ds_load_b32 v34, v89 offset:64
	;; [unrolled: 1-line block ×8, first 2 shown]
	s_wait_loadcnt_dscnt 0x0
	s_barrier_signal -1
	s_barrier_wait -1
	global_inv scope:SCOPE_SE
	v_mad_u32_u24 v86, v41, 56, v61
	v_add_nc_u32_e32 v33, v33, v85
	v_add3_u32 v34, v88, v87, v34
	v_add3_u32 v35, v91, v90, v35
	;; [unrolled: 1-line block ×7, first 2 shown]
	ds_store_b8 v33, v0
	ds_store_b8 v34, v78
	;; [unrolled: 1-line block ×8, first 2 shown]
	s_wait_loadcnt_dscnt 0x0
	s_barrier_signal -1
	s_barrier_wait -1
	global_inv scope:SCOPE_SE
	v_lshlrev_b32_e32 v0, 3, v33
	v_lshlrev_b32_e32 v78, 3, v34
	ds_load_b64 v[33:34], v61
	v_lshlrev_b32_e32 v35, 3, v35
	v_lshlrev_b32_e32 v36, 3, v36
	;; [unrolled: 1-line block ×6, first 2 shown]
	s_wait_loadcnt_dscnt 0x0
	s_barrier_signal -1
	s_barrier_wait -1
	global_inv scope:SCOPE_SE
	ds_store_b64 v0, v[21:22]
	ds_store_b64 v78, v[23:24]
	;; [unrolled: 1-line block ×8, first 2 shown]
	s_wait_loadcnt_dscnt 0x0
	s_barrier_signal -1
	s_barrier_wait -1
	global_inv scope:SCOPE_SE
	ds_load_b128 v[21:24], v86
	ds_load_b128 v[17:20], v86 offset:16
	v_lshrrev_b32_e32 v0, 16, v33
	v_xor_b32_e32 v25, 0x80, v33
	v_lshrrev_b32_e32 v26, 16, v34
	v_and_b32_e32 v35, 0xffffff00, v34
	v_xor_b32_e32 v27, 0x80, v34
	v_and_b32_e32 v33, 0xffffff00, v33
	v_and_b32_e32 v34, 0xff, v25
	v_xor_b32_e32 v25, 0x80, v0
	v_xor_b32_e32 v28, 0x80, v26
	v_and_b32_e32 v0, 0xffffff00, v0
	v_and_b32_e32 v36, 0xff, v27
	;; [unrolled: 1-line block ×5, first 2 shown]
	ds_load_b128 v[29:32], v86 offset:32
	ds_load_b128 v[25:28], v86 offset:48
	v_or_b32_e32 v33, v34, v33
	v_or_b32_e32 v34, v36, v35
	v_or_b32_e32 v0, v38, v0
	v_or_b32_e32 v35, v39, v37
	s_delay_alu instid0(VALU_DEP_4) | instskip(NEXT) | instid1(VALU_DEP_4)
	v_add_nc_u16 v33, 0x8000, v33
	v_add_nc_u16 v34, 0x8000, v34
	s_delay_alu instid0(VALU_DEP_4) | instskip(NEXT) | instid1(VALU_DEP_4)
	v_add_nc_u16 v0, 0x8000, v0
	v_add_nc_u16 v35, 0x8000, v35
	s_delay_alu instid0(VALU_DEP_4) | instskip(NEXT) | instid1(VALU_DEP_4)
	v_and_b32_e32 v33, 0xffff, v33
	v_and_b32_e32 v34, 0xffff, v34
	s_delay_alu instid0(VALU_DEP_4) | instskip(NEXT) | instid1(VALU_DEP_4)
	v_lshlrev_b32_e32 v0, 16, v0
	v_lshlrev_b32_e32 v35, 16, v35
	s_delay_alu instid0(VALU_DEP_2) | instskip(NEXT) | instid1(VALU_DEP_2)
	v_or_b32_e32 v0, v33, v0
	v_or_b32_e32 v33, v34, v35
	s_branch .LBB115_98
.LBB115_67:
	s_wait_kmcnt 0x0
	v_mad_co_u64_u32 v[2:3], null, s18, v41, 0
	v_dual_mov_b32 v14, v1 :: v_dual_mov_b32 v15, v1
	v_mov_b32_e32 v16, v1
	v_dual_mov_b32 v6, v1 :: v_dual_mov_b32 v7, v1
	v_dual_mov_b32 v8, v1 :: v_dual_mov_b32 v9, v1
	v_mad_co_u64_u32 v[3:4], null, s19, v41, v[3:4]
	v_dual_mov_b32 v4, v1 :: v_dual_mov_b32 v5, v1
	v_dual_mov_b32 v10, v1 :: v_dual_mov_b32 v13, v1
	s_delay_alu instid0(VALU_DEP_3) | instskip(NEXT) | instid1(VALU_DEP_1)
	v_lshlrev_b64_e32 v[2:3], 3, v[2:3]
	v_add_co_u32 v2, vcc_lo, s22, v2
	s_delay_alu instid0(VALU_DEP_1)
	v_add_co_ci_u32_e64 v3, null, s23, v3, vcc_lo
	global_load_b64 v[11:12], v[2:3], off
	v_dual_mov_b32 v2, v1 :: v_dual_mov_b32 v3, v1
	s_or_b32 exec_lo, exec_lo, s0
	s_and_saveexec_b32 s0, s3
	s_cbranch_execz .LBB115_36
.LBB115_68:
	s_wait_kmcnt 0x0
	v_mad_co_u64_u32 v[1:2], null, s18, v24, 0
	s_delay_alu instid0(VALU_DEP_1) | instskip(NEXT) | instid1(VALU_DEP_1)
	v_mad_co_u64_u32 v[32:33], null, s19, v24, v[2:3]
	v_mov_b32_e32 v2, v32
	s_delay_alu instid0(VALU_DEP_1) | instskip(NEXT) | instid1(VALU_DEP_1)
	v_lshlrev_b64_e32 v[1:2], 3, v[1:2]
	v_add_co_u32 v1, vcc_lo, s22, v1
	s_wait_alu 0xfffd
	s_delay_alu instid0(VALU_DEP_2)
	v_add_co_ci_u32_e64 v2, null, s23, v2, vcc_lo
	global_load_b64 v[1:2], v[1:2], off
	s_or_b32 exec_lo, exec_lo, s0
	s_and_saveexec_b32 s0, s4
	s_cbranch_execz .LBB115_37
.LBB115_69:
	s_wait_kmcnt 0x0
	v_mad_co_u64_u32 v[13:14], null, s18, v22, 0
	s_delay_alu instid0(VALU_DEP_1) | instskip(NEXT) | instid1(VALU_DEP_1)
	v_mad_co_u64_u32 v[32:33], null, s19, v22, v[14:15]
	v_mov_b32_e32 v14, v32
	s_delay_alu instid0(VALU_DEP_1) | instskip(NEXT) | instid1(VALU_DEP_1)
	v_lshlrev_b64_e32 v[13:14], 3, v[13:14]
	v_add_co_u32 v13, vcc_lo, s22, v13
	s_wait_alu 0xfffd
	s_delay_alu instid0(VALU_DEP_2)
	v_add_co_ci_u32_e64 v14, null, s23, v14, vcc_lo
	global_load_b64 v[13:14], v[13:14], off
	s_or_b32 exec_lo, exec_lo, s0
	s_and_saveexec_b32 s0, s5
	s_cbranch_execz .LBB115_38
.LBB115_70:
	s_wait_kmcnt 0x0
	v_mad_co_u64_u32 v[15:16], null, s18, v21, 0
	s_delay_alu instid0(VALU_DEP_1) | instskip(NEXT) | instid1(VALU_DEP_1)
	v_mad_co_u64_u32 v[21:22], null, s19, v21, v[16:17]
	v_mov_b32_e32 v16, v21
	s_delay_alu instid0(VALU_DEP_1) | instskip(NEXT) | instid1(VALU_DEP_1)
	v_lshlrev_b64_e32 v[15:16], 3, v[15:16]
	v_add_co_u32 v15, vcc_lo, s22, v15
	s_wait_alu 0xfffd
	s_delay_alu instid0(VALU_DEP_2)
	v_add_co_ci_u32_e64 v16, null, s23, v16, vcc_lo
	global_load_b64 v[15:16], v[15:16], off
	s_or_b32 exec_lo, exec_lo, s0
	s_and_saveexec_b32 s0, s6
	s_cbranch_execz .LBB115_39
.LBB115_71:
	s_wait_kmcnt 0x0
	v_mad_co_u64_u32 v[3:4], null, s18, v20, 0
	s_delay_alu instid0(VALU_DEP_1) | instskip(NEXT) | instid1(VALU_DEP_1)
	v_mad_co_u64_u32 v[20:21], null, s19, v20, v[4:5]
	v_mov_b32_e32 v4, v20
	s_delay_alu instid0(VALU_DEP_1) | instskip(NEXT) | instid1(VALU_DEP_1)
	v_lshlrev_b64_e32 v[3:4], 3, v[3:4]
	v_add_co_u32 v3, vcc_lo, s22, v3
	s_wait_alu 0xfffd
	s_delay_alu instid0(VALU_DEP_2)
	v_add_co_ci_u32_e64 v4, null, s23, v4, vcc_lo
	global_load_b64 v[3:4], v[3:4], off
	s_or_b32 exec_lo, exec_lo, s0
	s_and_saveexec_b32 s0, s7
	s_cbranch_execz .LBB115_40
.LBB115_72:
	s_wait_kmcnt 0x0
	v_mad_co_u64_u32 v[5:6], null, s18, v19, 0
	s_delay_alu instid0(VALU_DEP_1) | instskip(NEXT) | instid1(VALU_DEP_1)
	v_mad_co_u64_u32 v[19:20], null, s19, v19, v[6:7]
	v_mov_b32_e32 v6, v19
	s_delay_alu instid0(VALU_DEP_1) | instskip(NEXT) | instid1(VALU_DEP_1)
	v_lshlrev_b64_e32 v[5:6], 3, v[5:6]
	v_add_co_u32 v5, vcc_lo, s22, v5
	s_wait_alu 0xfffd
	s_delay_alu instid0(VALU_DEP_2)
	v_add_co_ci_u32_e64 v6, null, s23, v6, vcc_lo
	global_load_b64 v[5:6], v[5:6], off
	s_or_b32 exec_lo, exec_lo, s0
	s_and_saveexec_b32 s0, s8
	s_cbranch_execz .LBB115_41
.LBB115_73:
	s_wait_kmcnt 0x0
	v_mad_co_u64_u32 v[7:8], null, s18, v18, 0
	s_delay_alu instid0(VALU_DEP_1) | instskip(NEXT) | instid1(VALU_DEP_1)
	v_mad_co_u64_u32 v[18:19], null, s19, v18, v[8:9]
	v_mov_b32_e32 v8, v18
	s_delay_alu instid0(VALU_DEP_1) | instskip(NEXT) | instid1(VALU_DEP_1)
	v_lshlrev_b64_e32 v[7:8], 3, v[7:8]
	v_add_co_u32 v7, vcc_lo, s22, v7
	s_wait_alu 0xfffd
	s_delay_alu instid0(VALU_DEP_2)
	v_add_co_ci_u32_e64 v8, null, s23, v8, vcc_lo
	global_load_b64 v[7:8], v[7:8], off
	s_or_b32 exec_lo, exec_lo, s0
	s_xor_b32 s0, s11, -1
	s_and_saveexec_b32 s1, s9
	s_cbranch_execnz .LBB115_42
	s_branch .LBB115_43
.LBB115_74:
                                        ; implicit-def: $vgpr27_vgpr28
                                        ; implicit-def: $vgpr31_vgpr32
                                        ; implicit-def: $vgpr19_vgpr20
                                        ; implicit-def: $vgpr23_vgpr24
                                        ; implicit-def: $vgpr33
                                        ; implicit-def: $vgpr0
	s_and_b32 vcc_lo, exec_lo, s0
	s_wait_alu 0xfffe
	s_cbranch_vccz .LBB115_98
; %bb.75:
	v_xor_b32_e32 v0, 0x7f, v42
	s_wait_dscnt 0x2
	v_xor_b32_e32 v17, 0x7f, v77
	v_xor_b32_e32 v18, 0x7f, v76
	;; [unrolled: 1-line block ×7, first 2 shown]
	s_mov_b32 s12, 0
	v_lshlrev_b16 v17, 8, v17
	v_lshlrev_b16 v19, 8, v19
	v_and_b32_e32 v20, 0xff, v20
	v_lshlrev_b16 v21, 8, v21
	v_and_b32_e32 v22, 0xff, v22
	v_lshlrev_b16 v23, 8, v23
	s_mov_b32 s13, s12
	s_mov_b32 s14, s12
	;; [unrolled: 1-line block ×3, first 2 shown]
	v_and_b32_e32 v0, 0xff, v0
	v_and_b32_e32 v18, 0xff, v18
	s_getpc_b64 s[0:1]
	s_sext_i32_i16 s1, s1
	s_add_co_u32 s0, s0, _ZN7rocprim17ROCPRIM_400000_NS16block_radix_sortIaLj512ELj8ElLj1ELj1ELj0ELNS0_26block_radix_rank_algorithmE1ELNS0_18block_padding_hintE2ELNS0_4arch9wavefront6targetE0EE19radix_bits_per_passE@rel32@lo+8
	s_add_co_ci_u32 s1, s1, _ZN7rocprim17ROCPRIM_400000_NS16block_radix_sortIaLj512ELj8ElLj1ELj1ELj0ELNS0_26block_radix_rank_algorithmE1ELNS0_18block_padding_hintE2ELNS0_4arch9wavefront6targetE0EE19radix_bits_per_passE@rel32@hi+16
	s_load_b32 s0, s[0:1], 0x0
	v_or_b32_e32 v0, v0, v17
	v_or_b32_e32 v17, v18, v19
	;; [unrolled: 1-line block ×4, first 2 shown]
	s_delay_alu instid0(VALU_DEP_4) | instskip(NEXT) | instid1(VALU_DEP_4)
	v_and_b32_e32 v0, 0xffff, v0
	v_lshlrev_b32_e32 v17, 16, v17
	s_delay_alu instid0(VALU_DEP_4) | instskip(NEXT) | instid1(VALU_DEP_4)
	v_and_b32_e32 v18, 0xffff, v18
	v_lshlrev_b32_e32 v19, 16, v19
	s_delay_alu instid0(VALU_DEP_3) | instskip(SKIP_1) | instid1(VALU_DEP_3)
	v_or_b32_e32 v17, v0, v17
	v_mad_u32_u24 v0, v70, 7, v70
	v_or_b32_e32 v18, v18, v19
	ds_store_b64 v70, v[17:18]
	; wave barrier
	ds_load_u8 v24, v71
	s_wait_dscnt 0x2
	ds_load_u8 v25, v71 offset:32
	ds_load_u8 v26, v71 offset:64
	;; [unrolled: 1-line block ×7, first 2 shown]
	s_wait_kmcnt 0x0
	s_min_u32 s0, s0, 8
	s_wait_loadcnt_dscnt 0x0
	s_lshl_b32 s0, -1, s0
	s_barrier_signal -1
	s_not_b32 s1, s0
	s_barrier_wait -1
	global_inv scope:SCOPE_SE
	ds_store_b128 v0, v[13:16]
	ds_store_b128 v0, v[9:12] offset:16
	ds_store_b128 v0, v[5:8] offset:32
	;; [unrolled: 1-line block ×3, first 2 shown]
	; wave barrier
	ds_load_2addr_b64 v[12:15], v69 offset1:32
	ds_load_2addr_b64 v[4:7], v69 offset0:64 offset1:96
	ds_load_2addr_b64 v[0:3], v69 offset0:128 offset1:160
	v_and_b32_e32 v22, s1, v24
	s_delay_alu instid0(VALU_DEP_1) | instskip(SKIP_3) | instid1(VALU_DEP_4)
	v_and_b32_e32 v8, 1, v22
	v_lshlrev_b32_e32 v18, 30, v22
	v_lshlrev_b32_e32 v19, 29, v22
	;; [unrolled: 1-line block ×3, first 2 shown]
	v_add_co_u32 v16, s0, v8, -1
	s_wait_alu 0xf1ff
	v_cndmask_b32_e64 v17, 0, 1, s0
	ds_load_2addr_b64 v[8:11], v69 offset0:192 offset1:224
	s_wait_loadcnt_dscnt 0x0
	s_barrier_signal -1
	s_barrier_wait -1
	v_cmp_ne_u32_e32 vcc_lo, 0, v17
	v_not_b32_e32 v17, v18
	global_inv scope:SCOPE_SE
	s_load_b32 s0, s[24:25], 0xc
	v_xor_b32_e32 v16, vcc_lo, v16
	v_cmp_gt_i32_e32 vcc_lo, 0, v18
	v_ashrrev_i32_e32 v17, 31, v17
	v_not_b32_e32 v18, v19
	s_delay_alu instid0(VALU_DEP_4) | instskip(SKIP_1) | instid1(VALU_DEP_3)
	v_and_b32_e32 v16, exec_lo, v16
	s_wait_alu 0xfffd
	v_xor_b32_e32 v17, vcc_lo, v17
	v_cmp_gt_i32_e32 vcc_lo, 0, v19
	v_ashrrev_i32_e32 v18, 31, v18
	v_not_b32_e32 v19, v20
	s_delay_alu instid0(VALU_DEP_4)
	v_and_b32_e32 v16, v16, v17
	v_lshlrev_b32_e32 v17, 27, v22
	s_wait_alu 0xfffd
	v_xor_b32_e32 v18, vcc_lo, v18
	v_cmp_gt_i32_e32 vcc_lo, 0, v20
	v_ashrrev_i32_e32 v19, 31, v19
	v_not_b32_e32 v20, v17
	s_delay_alu instid0(VALU_DEP_4)
	v_and_b32_e32 v16, v16, v18
	v_lshlrev_b32_e32 v18, 26, v22
	s_wait_alu 0xfffd
	v_xor_b32_e32 v19, vcc_lo, v19
	v_cmp_gt_i32_e32 vcc_lo, 0, v17
	v_ashrrev_i32_e32 v17, 31, v20
	s_wait_kmcnt 0x0
	s_lshr_b32 s10, s0, 16
	v_not_b32_e32 v20, v18
	v_and_b32_e32 v16, v16, v19
	v_lshlrev_b32_e32 v19, 25, v22
	s_wait_alu 0xfffd
	v_xor_b32_e32 v17, vcc_lo, v17
	v_cmp_gt_i32_e32 vcc_lo, 0, v18
	v_ashrrev_i32_e32 v18, 31, v20
	s_and_b32 s0, s0, 0xffff
	v_not_b32_e32 v20, v19
	v_and_b32_e32 v16, v16, v17
	v_lshlrev_b32_e32 v17, 24, v22
	s_wait_alu 0xfffd
	v_xor_b32_e32 v18, vcc_lo, v18
	v_cmp_gt_i32_e32 vcc_lo, 0, v19
	v_ashrrev_i32_e32 v19, 31, v20
	s_wait_alu 0xfffe
	v_mad_u32_u24 v20, v68, s10, v67
	v_not_b32_e32 v21, v17
	v_and_b32_e32 v18, v16, v18
	v_and_b32_e32 v22, 0xff, v22
	s_wait_alu 0xfffd
	v_xor_b32_e32 v19, vcc_lo, v19
	v_cmp_gt_i32_e32 vcc_lo, 0, v17
	v_ashrrev_i32_e32 v21, 31, v21
	v_mad_co_u64_u32 v[16:17], null, v20, s0, v[41:42]
	s_delay_alu instid0(VALU_DEP_4) | instskip(SKIP_1) | instid1(VALU_DEP_3)
	v_and_b32_e32 v17, v18, v19
	s_wait_alu 0xfffd
	v_xor_b32_e32 v23, vcc_lo, v21
	v_dual_mov_b32 v21, s15 :: v_dual_mov_b32 v20, s14
	v_dual_mov_b32 v19, s13 :: v_dual_mov_b32 v18, s12
	s_delay_alu instid0(VALU_DEP_3)
	v_and_b32_e32 v17, v17, v23
	v_lshrrev_b32_e32 v16, 3, v16
	ds_store_b128 v64, v[18:21] offset:64
	ds_store_b128 v64, v[18:21] offset:80
	v_mbcnt_lo_u32_b32 v32, v17, 0
	v_and_b32_e32 v16, 0x1ffffffc, v16
	v_lshlrev_b32_e32 v18, 6, v22
	v_cmp_ne_u32_e64 s0, 0, v17
	s_wait_loadcnt_dscnt 0x0
	v_cmp_eq_u32_e32 vcc_lo, 0, v32
	s_barrier_signal -1
	v_add_nc_u32_e32 v33, v16, v18
	s_barrier_wait -1
	global_inv scope:SCOPE_SE
	s_and_b32 s10, s0, vcc_lo
	; wave barrier
	s_wait_alu 0xfffe
	s_and_saveexec_b32 s0, s10
; %bb.76:
	v_bcnt_u32_b32 v17, v17, 0
	ds_store_b32 v33, v17 offset:64
; %bb.77:
	s_wait_alu 0xfffe
	s_or_b32 exec_lo, exec_lo, s0
	v_and_b32_e32 v17, s1, v25
	; wave barrier
	s_delay_alu instid0(VALU_DEP_1)
	v_and_b32_e32 v19, 1, v17
	v_lshlrev_b32_e32 v20, 30, v17
	v_lshlrev_b32_e32 v21, 29, v17
	;; [unrolled: 1-line block ×4, first 2 shown]
	v_add_co_u32 v19, s0, v19, -1
	s_wait_alu 0xf1ff
	v_cndmask_b32_e64 v23, 0, 1, s0
	v_not_b32_e32 v37, v20
	v_cmp_gt_i32_e64 s0, 0, v20
	v_not_b32_e32 v20, v21
	v_lshlrev_b32_e32 v35, 26, v17
	v_cmp_ne_u32_e32 vcc_lo, 0, v23
	v_ashrrev_i32_e32 v23, 31, v37
	v_lshlrev_b32_e32 v36, 25, v17
	v_ashrrev_i32_e32 v20, 31, v20
	v_and_b32_e32 v18, 0xff, v17
	s_wait_alu 0xfffd
	v_xor_b32_e32 v19, vcc_lo, v19
	v_cmp_gt_i32_e32 vcc_lo, 0, v21
	v_not_b32_e32 v21, v22
	s_wait_alu 0xf1ff
	v_xor_b32_e32 v23, s0, v23
	v_cmp_gt_i32_e64 s0, 0, v22
	v_and_b32_e32 v19, exec_lo, v19
	v_not_b32_e32 v22, v34
	v_ashrrev_i32_e32 v21, 31, v21
	s_wait_alu 0xfffd
	v_xor_b32_e32 v20, vcc_lo, v20
	v_cmp_gt_i32_e32 vcc_lo, 0, v34
	v_and_b32_e32 v19, v19, v23
	v_not_b32_e32 v23, v35
	v_ashrrev_i32_e32 v22, 31, v22
	s_wait_alu 0xf1ff
	v_xor_b32_e32 v21, s0, v21
	v_lshlrev_b32_e32 v17, 24, v17
	v_and_b32_e32 v19, v19, v20
	v_cmp_gt_i32_e64 s0, 0, v35
	v_not_b32_e32 v20, v36
	v_ashrrev_i32_e32 v23, 31, v23
	s_wait_alu 0xfffd
	v_xor_b32_e32 v22, vcc_lo, v22
	v_and_b32_e32 v19, v19, v21
	v_cmp_gt_i32_e32 vcc_lo, 0, v36
	v_not_b32_e32 v21, v17
	v_ashrrev_i32_e32 v20, 31, v20
	s_wait_alu 0xf1ff
	v_xor_b32_e32 v23, s0, v23
	v_and_b32_e32 v19, v19, v22
	v_lshlrev_b32_e32 v18, 6, v18
	v_cmp_gt_i32_e64 s0, 0, v17
	v_ashrrev_i32_e32 v17, 31, v21
	s_wait_alu 0xfffd
	v_xor_b32_e32 v20, vcc_lo, v20
	v_and_b32_e32 v19, v19, v23
	v_add_nc_u32_e32 v36, v16, v18
	s_wait_alu 0xf1ff
	v_xor_b32_e32 v17, s0, v17
	s_delay_alu instid0(VALU_DEP_3) | instskip(SKIP_2) | instid1(VALU_DEP_1)
	v_and_b32_e32 v18, v19, v20
	ds_load_b32 v34, v36 offset:64
	; wave barrier
	v_and_b32_e32 v17, v18, v17
	v_mbcnt_lo_u32_b32 v35, v17, 0
	v_cmp_ne_u32_e64 s0, 0, v17
	s_delay_alu instid0(VALU_DEP_2)
	v_cmp_eq_u32_e32 vcc_lo, 0, v35
	s_and_b32 s10, s0, vcc_lo
	s_wait_alu 0xfffe
	s_and_saveexec_b32 s0, s10
	s_cbranch_execz .LBB115_79
; %bb.78:
	s_wait_dscnt 0x0
	v_bcnt_u32_b32 v17, v17, v34
	ds_store_b32 v36, v17 offset:64
.LBB115_79:
	s_wait_alu 0xfffe
	s_or_b32 exec_lo, exec_lo, s0
	v_and_b32_e32 v17, s1, v26
	; wave barrier
	s_delay_alu instid0(VALU_DEP_1)
	v_and_b32_e32 v19, 1, v17
	v_lshlrev_b32_e32 v20, 30, v17
	v_lshlrev_b32_e32 v21, 29, v17
	;; [unrolled: 1-line block ×4, first 2 shown]
	v_add_co_u32 v19, s0, v19, -1
	s_wait_alu 0xf1ff
	v_cndmask_b32_e64 v23, 0, 1, s0
	v_not_b32_e32 v40, v20
	v_cmp_gt_i32_e64 s0, 0, v20
	v_not_b32_e32 v20, v21
	v_lshlrev_b32_e32 v38, 26, v17
	v_cmp_ne_u32_e32 vcc_lo, 0, v23
	v_ashrrev_i32_e32 v23, 31, v40
	v_lshlrev_b32_e32 v39, 25, v17
	v_ashrrev_i32_e32 v20, 31, v20
	v_and_b32_e32 v18, 0xff, v17
	s_wait_alu 0xfffd
	v_xor_b32_e32 v19, vcc_lo, v19
	v_cmp_gt_i32_e32 vcc_lo, 0, v21
	v_not_b32_e32 v21, v22
	s_wait_alu 0xf1ff
	v_xor_b32_e32 v23, s0, v23
	v_cmp_gt_i32_e64 s0, 0, v22
	v_and_b32_e32 v19, exec_lo, v19
	v_not_b32_e32 v22, v37
	v_ashrrev_i32_e32 v21, 31, v21
	s_wait_alu 0xfffd
	v_xor_b32_e32 v20, vcc_lo, v20
	v_cmp_gt_i32_e32 vcc_lo, 0, v37
	v_and_b32_e32 v19, v19, v23
	v_not_b32_e32 v23, v38
	v_ashrrev_i32_e32 v22, 31, v22
	s_wait_alu 0xf1ff
	v_xor_b32_e32 v21, s0, v21
	v_lshlrev_b32_e32 v17, 24, v17
	v_and_b32_e32 v19, v19, v20
	v_cmp_gt_i32_e64 s0, 0, v38
	v_not_b32_e32 v20, v39
	v_ashrrev_i32_e32 v23, 31, v23
	s_wait_alu 0xfffd
	v_xor_b32_e32 v22, vcc_lo, v22
	v_and_b32_e32 v19, v19, v21
	v_cmp_gt_i32_e32 vcc_lo, 0, v39
	v_not_b32_e32 v21, v17
	v_ashrrev_i32_e32 v20, 31, v20
	s_wait_alu 0xf1ff
	v_xor_b32_e32 v23, s0, v23
	v_and_b32_e32 v19, v19, v22
	v_lshlrev_b32_e32 v18, 6, v18
	v_cmp_gt_i32_e64 s0, 0, v17
	v_ashrrev_i32_e32 v17, 31, v21
	s_wait_alu 0xfffd
	v_xor_b32_e32 v20, vcc_lo, v20
	v_and_b32_e32 v19, v19, v23
	v_add_nc_u32_e32 v39, v16, v18
	s_wait_alu 0xf1ff
	v_xor_b32_e32 v17, s0, v17
	s_delay_alu instid0(VALU_DEP_3) | instskip(SKIP_2) | instid1(VALU_DEP_1)
	v_and_b32_e32 v18, v19, v20
	ds_load_b32 v37, v39 offset:64
	; wave barrier
	v_and_b32_e32 v17, v18, v17
	v_mbcnt_lo_u32_b32 v38, v17, 0
	v_cmp_ne_u32_e64 s0, 0, v17
	s_delay_alu instid0(VALU_DEP_2)
	v_cmp_eq_u32_e32 vcc_lo, 0, v38
	s_and_b32 s10, s0, vcc_lo
	s_wait_alu 0xfffe
	s_and_saveexec_b32 s0, s10
	s_cbranch_execz .LBB115_81
; %bb.80:
	s_wait_dscnt 0x0
	v_bcnt_u32_b32 v17, v17, v37
	ds_store_b32 v39, v17 offset:64
.LBB115_81:
	s_wait_alu 0xfffe
	s_or_b32 exec_lo, exec_lo, s0
	v_and_b32_e32 v17, s1, v27
	; wave barrier
	s_delay_alu instid0(VALU_DEP_1)
	v_and_b32_e32 v19, 1, v17
	v_lshlrev_b32_e32 v20, 30, v17
	v_lshlrev_b32_e32 v21, 29, v17
	;; [unrolled: 1-line block ×4, first 2 shown]
	v_add_co_u32 v19, s0, v19, -1
	s_wait_alu 0xf1ff
	v_cndmask_b32_e64 v23, 0, 1, s0
	v_not_b32_e32 v67, v20
	v_cmp_gt_i32_e64 s0, 0, v20
	v_not_b32_e32 v20, v21
	v_lshlrev_b32_e32 v42, 26, v17
	v_cmp_ne_u32_e32 vcc_lo, 0, v23
	v_ashrrev_i32_e32 v23, 31, v67
	v_lshlrev_b32_e32 v43, 25, v17
	v_ashrrev_i32_e32 v20, 31, v20
	v_and_b32_e32 v18, 0xff, v17
	s_wait_alu 0xfffd
	v_xor_b32_e32 v19, vcc_lo, v19
	v_cmp_gt_i32_e32 vcc_lo, 0, v21
	v_not_b32_e32 v21, v22
	s_wait_alu 0xf1ff
	v_xor_b32_e32 v23, s0, v23
	v_cmp_gt_i32_e64 s0, 0, v22
	v_and_b32_e32 v19, exec_lo, v19
	v_not_b32_e32 v22, v40
	v_ashrrev_i32_e32 v21, 31, v21
	s_wait_alu 0xfffd
	v_xor_b32_e32 v20, vcc_lo, v20
	v_cmp_gt_i32_e32 vcc_lo, 0, v40
	v_and_b32_e32 v19, v19, v23
	v_not_b32_e32 v23, v42
	v_ashrrev_i32_e32 v22, 31, v22
	s_wait_alu 0xf1ff
	v_xor_b32_e32 v21, s0, v21
	v_lshlrev_b32_e32 v17, 24, v17
	v_and_b32_e32 v19, v19, v20
	v_cmp_gt_i32_e64 s0, 0, v42
	v_not_b32_e32 v20, v43
	v_ashrrev_i32_e32 v23, 31, v23
	s_wait_alu 0xfffd
	v_xor_b32_e32 v22, vcc_lo, v22
	v_and_b32_e32 v19, v19, v21
	v_cmp_gt_i32_e32 vcc_lo, 0, v43
	v_not_b32_e32 v21, v17
	v_ashrrev_i32_e32 v20, 31, v20
	s_wait_alu 0xf1ff
	v_xor_b32_e32 v23, s0, v23
	v_and_b32_e32 v19, v19, v22
	v_lshlrev_b32_e32 v18, 6, v18
	v_cmp_gt_i32_e64 s0, 0, v17
	v_ashrrev_i32_e32 v17, 31, v21
	s_wait_alu 0xfffd
	v_xor_b32_e32 v20, vcc_lo, v20
	v_and_b32_e32 v19, v19, v23
	v_add_nc_u32_e32 v43, v16, v18
	s_wait_alu 0xf1ff
	v_xor_b32_e32 v17, s0, v17
	s_delay_alu instid0(VALU_DEP_3) | instskip(SKIP_2) | instid1(VALU_DEP_1)
	v_and_b32_e32 v18, v19, v20
	ds_load_b32 v40, v43 offset:64
	; wave barrier
	v_and_b32_e32 v17, v18, v17
	v_mbcnt_lo_u32_b32 v42, v17, 0
	v_cmp_ne_u32_e64 s0, 0, v17
	s_delay_alu instid0(VALU_DEP_2)
	v_cmp_eq_u32_e32 vcc_lo, 0, v42
	s_and_b32 s10, s0, vcc_lo
	s_wait_alu 0xfffe
	s_and_saveexec_b32 s0, s10
	s_cbranch_execz .LBB115_83
; %bb.82:
	s_wait_dscnt 0x0
	v_bcnt_u32_b32 v17, v17, v40
	ds_store_b32 v43, v17 offset:64
.LBB115_83:
	s_wait_alu 0xfffe
	s_or_b32 exec_lo, exec_lo, s0
	v_and_b32_e32 v17, s1, v28
	; wave barrier
	s_delay_alu instid0(VALU_DEP_1)
	v_and_b32_e32 v19, 1, v17
	v_lshlrev_b32_e32 v20, 30, v17
	v_lshlrev_b32_e32 v21, 29, v17
	;; [unrolled: 1-line block ×4, first 2 shown]
	v_add_co_u32 v19, s0, v19, -1
	s_wait_alu 0xf1ff
	v_cndmask_b32_e64 v23, 0, 1, s0
	v_not_b32_e32 v70, v20
	v_cmp_gt_i32_e64 s0, 0, v20
	v_not_b32_e32 v20, v21
	v_lshlrev_b32_e32 v68, 26, v17
	v_cmp_ne_u32_e32 vcc_lo, 0, v23
	v_ashrrev_i32_e32 v23, 31, v70
	v_lshlrev_b32_e32 v69, 25, v17
	v_ashrrev_i32_e32 v20, 31, v20
	v_and_b32_e32 v18, 0xff, v17
	s_wait_alu 0xfffd
	v_xor_b32_e32 v19, vcc_lo, v19
	v_cmp_gt_i32_e32 vcc_lo, 0, v21
	v_not_b32_e32 v21, v22
	s_wait_alu 0xf1ff
	v_xor_b32_e32 v23, s0, v23
	v_cmp_gt_i32_e64 s0, 0, v22
	v_and_b32_e32 v19, exec_lo, v19
	v_not_b32_e32 v22, v67
	v_ashrrev_i32_e32 v21, 31, v21
	s_wait_alu 0xfffd
	v_xor_b32_e32 v20, vcc_lo, v20
	v_cmp_gt_i32_e32 vcc_lo, 0, v67
	v_and_b32_e32 v19, v19, v23
	v_not_b32_e32 v23, v68
	v_ashrrev_i32_e32 v22, 31, v22
	s_wait_alu 0xf1ff
	v_xor_b32_e32 v21, s0, v21
	v_lshlrev_b32_e32 v17, 24, v17
	v_and_b32_e32 v19, v19, v20
	v_cmp_gt_i32_e64 s0, 0, v68
	v_not_b32_e32 v20, v69
	v_ashrrev_i32_e32 v23, 31, v23
	s_wait_alu 0xfffd
	v_xor_b32_e32 v22, vcc_lo, v22
	v_and_b32_e32 v19, v19, v21
	v_cmp_gt_i32_e32 vcc_lo, 0, v69
	v_not_b32_e32 v21, v17
	v_ashrrev_i32_e32 v20, 31, v20
	s_wait_alu 0xf1ff
	v_xor_b32_e32 v23, s0, v23
	v_and_b32_e32 v19, v19, v22
	v_lshlrev_b32_e32 v18, 6, v18
	v_cmp_gt_i32_e64 s0, 0, v17
	v_ashrrev_i32_e32 v17, 31, v21
	s_wait_alu 0xfffd
	v_xor_b32_e32 v20, vcc_lo, v20
	v_and_b32_e32 v19, v19, v23
	v_add_nc_u32_e32 v69, v16, v18
	s_wait_alu 0xf1ff
	v_xor_b32_e32 v17, s0, v17
	s_delay_alu instid0(VALU_DEP_3) | instskip(SKIP_2) | instid1(VALU_DEP_1)
	v_and_b32_e32 v18, v19, v20
	ds_load_b32 v67, v69 offset:64
	; wave barrier
	v_and_b32_e32 v17, v18, v17
	v_mbcnt_lo_u32_b32 v68, v17, 0
	v_cmp_ne_u32_e64 s0, 0, v17
	s_delay_alu instid0(VALU_DEP_2)
	v_cmp_eq_u32_e32 vcc_lo, 0, v68
	s_and_b32 s10, s0, vcc_lo
	s_wait_alu 0xfffe
	s_and_saveexec_b32 s0, s10
	s_cbranch_execz .LBB115_85
; %bb.84:
	s_wait_dscnt 0x0
	v_bcnt_u32_b32 v17, v17, v67
	ds_store_b32 v69, v17 offset:64
.LBB115_85:
	s_wait_alu 0xfffe
	s_or_b32 exec_lo, exec_lo, s0
	v_and_b32_e32 v17, s1, v29
	; wave barrier
	s_delay_alu instid0(VALU_DEP_1)
	v_and_b32_e32 v19, 1, v17
	v_lshlrev_b32_e32 v20, 30, v17
	v_lshlrev_b32_e32 v21, 29, v17
	;; [unrolled: 1-line block ×4, first 2 shown]
	v_add_co_u32 v19, s0, v19, -1
	s_wait_alu 0xf1ff
	v_cndmask_b32_e64 v23, 0, 1, s0
	v_not_b32_e32 v73, v20
	v_cmp_gt_i32_e64 s0, 0, v20
	v_not_b32_e32 v20, v21
	v_lshlrev_b32_e32 v71, 26, v17
	v_cmp_ne_u32_e32 vcc_lo, 0, v23
	v_ashrrev_i32_e32 v23, 31, v73
	v_lshlrev_b32_e32 v72, 25, v17
	v_ashrrev_i32_e32 v20, 31, v20
	v_and_b32_e32 v18, 0xff, v17
	s_wait_alu 0xfffd
	v_xor_b32_e32 v19, vcc_lo, v19
	v_cmp_gt_i32_e32 vcc_lo, 0, v21
	v_not_b32_e32 v21, v22
	s_wait_alu 0xf1ff
	v_xor_b32_e32 v23, s0, v23
	v_cmp_gt_i32_e64 s0, 0, v22
	v_and_b32_e32 v19, exec_lo, v19
	v_not_b32_e32 v22, v70
	v_ashrrev_i32_e32 v21, 31, v21
	s_wait_alu 0xfffd
	v_xor_b32_e32 v20, vcc_lo, v20
	v_cmp_gt_i32_e32 vcc_lo, 0, v70
	v_and_b32_e32 v19, v19, v23
	v_not_b32_e32 v23, v71
	v_ashrrev_i32_e32 v22, 31, v22
	s_wait_alu 0xf1ff
	v_xor_b32_e32 v21, s0, v21
	v_lshlrev_b32_e32 v17, 24, v17
	v_and_b32_e32 v19, v19, v20
	v_cmp_gt_i32_e64 s0, 0, v71
	v_not_b32_e32 v20, v72
	v_ashrrev_i32_e32 v23, 31, v23
	s_wait_alu 0xfffd
	v_xor_b32_e32 v22, vcc_lo, v22
	v_and_b32_e32 v19, v19, v21
	v_cmp_gt_i32_e32 vcc_lo, 0, v72
	v_not_b32_e32 v21, v17
	v_ashrrev_i32_e32 v20, 31, v20
	s_wait_alu 0xf1ff
	v_xor_b32_e32 v23, s0, v23
	v_and_b32_e32 v19, v19, v22
	v_lshlrev_b32_e32 v18, 6, v18
	v_cmp_gt_i32_e64 s0, 0, v17
	v_ashrrev_i32_e32 v17, 31, v21
	s_wait_alu 0xfffd
	v_xor_b32_e32 v20, vcc_lo, v20
	v_and_b32_e32 v19, v19, v23
	v_add_nc_u32_e32 v72, v16, v18
	s_wait_alu 0xf1ff
	v_xor_b32_e32 v17, s0, v17
	s_delay_alu instid0(VALU_DEP_3) | instskip(SKIP_2) | instid1(VALU_DEP_1)
	v_and_b32_e32 v18, v19, v20
	ds_load_b32 v70, v72 offset:64
	; wave barrier
	v_and_b32_e32 v17, v18, v17
	v_mbcnt_lo_u32_b32 v71, v17, 0
	v_cmp_ne_u32_e64 s0, 0, v17
	s_delay_alu instid0(VALU_DEP_2)
	v_cmp_eq_u32_e32 vcc_lo, 0, v71
	s_and_b32 s10, s0, vcc_lo
	s_wait_alu 0xfffe
	s_and_saveexec_b32 s0, s10
	s_cbranch_execz .LBB115_87
; %bb.86:
	s_wait_dscnt 0x0
	v_bcnt_u32_b32 v17, v17, v70
	ds_store_b32 v72, v17 offset:64
.LBB115_87:
	s_wait_alu 0xfffe
	s_or_b32 exec_lo, exec_lo, s0
	v_and_b32_e32 v17, s1, v30
	; wave barrier
	s_delay_alu instid0(VALU_DEP_1)
	v_and_b32_e32 v19, 1, v17
	v_lshlrev_b32_e32 v20, 30, v17
	v_lshlrev_b32_e32 v21, 29, v17
	;; [unrolled: 1-line block ×4, first 2 shown]
	v_add_co_u32 v19, s0, v19, -1
	s_wait_alu 0xf1ff
	v_cndmask_b32_e64 v23, 0, 1, s0
	v_not_b32_e32 v76, v20
	v_cmp_gt_i32_e64 s0, 0, v20
	v_not_b32_e32 v20, v21
	v_lshlrev_b32_e32 v74, 26, v17
	v_cmp_ne_u32_e32 vcc_lo, 0, v23
	v_ashrrev_i32_e32 v23, 31, v76
	v_lshlrev_b32_e32 v75, 25, v17
	v_ashrrev_i32_e32 v20, 31, v20
	v_and_b32_e32 v18, 0xff, v17
	s_wait_alu 0xfffd
	v_xor_b32_e32 v19, vcc_lo, v19
	v_cmp_gt_i32_e32 vcc_lo, 0, v21
	v_not_b32_e32 v21, v22
	s_wait_alu 0xf1ff
	v_xor_b32_e32 v23, s0, v23
	v_cmp_gt_i32_e64 s0, 0, v22
	v_and_b32_e32 v19, exec_lo, v19
	v_not_b32_e32 v22, v73
	v_ashrrev_i32_e32 v21, 31, v21
	s_wait_alu 0xfffd
	v_xor_b32_e32 v20, vcc_lo, v20
	v_cmp_gt_i32_e32 vcc_lo, 0, v73
	v_and_b32_e32 v19, v19, v23
	v_not_b32_e32 v23, v74
	v_ashrrev_i32_e32 v22, 31, v22
	s_wait_alu 0xf1ff
	v_xor_b32_e32 v21, s0, v21
	v_lshlrev_b32_e32 v17, 24, v17
	v_and_b32_e32 v19, v19, v20
	v_cmp_gt_i32_e64 s0, 0, v74
	v_not_b32_e32 v20, v75
	v_ashrrev_i32_e32 v23, 31, v23
	s_wait_alu 0xfffd
	v_xor_b32_e32 v22, vcc_lo, v22
	v_and_b32_e32 v19, v19, v21
	v_cmp_gt_i32_e32 vcc_lo, 0, v75
	v_not_b32_e32 v21, v17
	v_ashrrev_i32_e32 v20, 31, v20
	s_wait_alu 0xf1ff
	v_xor_b32_e32 v23, s0, v23
	v_and_b32_e32 v19, v19, v22
	v_lshlrev_b32_e32 v18, 6, v18
	v_cmp_gt_i32_e64 s0, 0, v17
	v_ashrrev_i32_e32 v17, 31, v21
	s_wait_alu 0xfffd
	v_xor_b32_e32 v20, vcc_lo, v20
	v_and_b32_e32 v19, v19, v23
	v_add_nc_u32_e32 v75, v16, v18
	s_wait_alu 0xf1ff
	v_xor_b32_e32 v17, s0, v17
	s_delay_alu instid0(VALU_DEP_3) | instskip(SKIP_2) | instid1(VALU_DEP_1)
	v_and_b32_e32 v18, v19, v20
	ds_load_b32 v73, v75 offset:64
	; wave barrier
	v_and_b32_e32 v17, v18, v17
	v_mbcnt_lo_u32_b32 v74, v17, 0
	v_cmp_ne_u32_e64 s0, 0, v17
	s_delay_alu instid0(VALU_DEP_2)
	v_cmp_eq_u32_e32 vcc_lo, 0, v74
	s_and_b32 s10, s0, vcc_lo
	s_wait_alu 0xfffe
	s_and_saveexec_b32 s0, s10
	s_cbranch_execz .LBB115_89
; %bb.88:
	s_wait_dscnt 0x0
	v_bcnt_u32_b32 v17, v17, v73
	ds_store_b32 v75, v17 offset:64
.LBB115_89:
	s_wait_alu 0xfffe
	s_or_b32 exec_lo, exec_lo, s0
	v_and_b32_e32 v17, s1, v31
	; wave barrier
	s_delay_alu instid0(VALU_DEP_1)
	v_and_b32_e32 v19, 1, v17
	v_lshlrev_b32_e32 v20, 30, v17
	v_lshlrev_b32_e32 v21, 29, v17
	;; [unrolled: 1-line block ×4, first 2 shown]
	v_add_co_u32 v19, s0, v19, -1
	s_wait_alu 0xf1ff
	v_cndmask_b32_e64 v23, 0, 1, s0
	v_not_b32_e32 v79, v20
	v_cmp_gt_i32_e64 s0, 0, v20
	v_not_b32_e32 v20, v21
	v_lshlrev_b32_e32 v77, 26, v17
	v_cmp_ne_u32_e32 vcc_lo, 0, v23
	v_ashrrev_i32_e32 v23, 31, v79
	v_lshlrev_b32_e32 v78, 25, v17
	v_ashrrev_i32_e32 v20, 31, v20
	v_and_b32_e32 v18, 0xff, v17
	s_wait_alu 0xfffd
	v_xor_b32_e32 v19, vcc_lo, v19
	v_cmp_gt_i32_e32 vcc_lo, 0, v21
	v_not_b32_e32 v21, v22
	s_wait_alu 0xf1ff
	v_xor_b32_e32 v23, s0, v23
	v_cmp_gt_i32_e64 s0, 0, v22
	v_and_b32_e32 v19, exec_lo, v19
	v_not_b32_e32 v22, v76
	v_ashrrev_i32_e32 v21, 31, v21
	s_wait_alu 0xfffd
	v_xor_b32_e32 v20, vcc_lo, v20
	v_cmp_gt_i32_e32 vcc_lo, 0, v76
	v_and_b32_e32 v19, v19, v23
	v_not_b32_e32 v23, v77
	v_ashrrev_i32_e32 v22, 31, v22
	s_wait_alu 0xf1ff
	v_xor_b32_e32 v21, s0, v21
	v_lshlrev_b32_e32 v17, 24, v17
	v_and_b32_e32 v19, v19, v20
	v_cmp_gt_i32_e64 s0, 0, v77
	v_not_b32_e32 v20, v78
	v_ashrrev_i32_e32 v23, 31, v23
	s_wait_alu 0xfffd
	v_xor_b32_e32 v22, vcc_lo, v22
	v_and_b32_e32 v19, v19, v21
	v_cmp_gt_i32_e32 vcc_lo, 0, v78
	v_not_b32_e32 v21, v17
	v_ashrrev_i32_e32 v20, 31, v20
	s_wait_alu 0xf1ff
	v_xor_b32_e32 v23, s0, v23
	v_and_b32_e32 v19, v19, v22
	v_lshlrev_b32_e32 v18, 6, v18
	v_cmp_gt_i32_e64 s0, 0, v17
	v_ashrrev_i32_e32 v17, 31, v21
	s_wait_alu 0xfffd
	v_xor_b32_e32 v20, vcc_lo, v20
	v_and_b32_e32 v19, v19, v23
	v_add_nc_u32_e32 v78, v16, v18
	s_wait_alu 0xf1ff
	v_xor_b32_e32 v16, s0, v17
	s_delay_alu instid0(VALU_DEP_3) | instskip(SKIP_2) | instid1(VALU_DEP_1)
	v_and_b32_e32 v17, v19, v20
	ds_load_b32 v76, v78 offset:64
	; wave barrier
	v_and_b32_e32 v16, v17, v16
	v_mbcnt_lo_u32_b32 v77, v16, 0
	v_cmp_ne_u32_e64 s0, 0, v16
	s_delay_alu instid0(VALU_DEP_2)
	v_cmp_eq_u32_e32 vcc_lo, 0, v77
	s_and_b32 s1, s0, vcc_lo
	s_wait_alu 0xfffe
	s_and_saveexec_b32 s0, s1
	s_cbranch_execz .LBB115_91
; %bb.90:
	s_wait_dscnt 0x0
	v_bcnt_u32_b32 v16, v16, v76
	ds_store_b32 v78, v16 offset:64
.LBB115_91:
	s_wait_alu 0xfffe
	s_or_b32 exec_lo, exec_lo, s0
	; wave barrier
	s_wait_loadcnt_dscnt 0x0
	s_barrier_signal -1
	s_barrier_wait -1
	global_inv scope:SCOPE_SE
	ds_load_b128 v[20:23], v64 offset:64
	ds_load_b128 v[16:19], v64 offset:80
	v_min_u32_e32 v66, 0x1e0, v66
	s_mov_b32 s12, exec_lo
	s_delay_alu instid0(VALU_DEP_1) | instskip(SKIP_2) | instid1(VALU_DEP_1)
	v_or_b32_e32 v66, 31, v66
	s_wait_dscnt 0x1
	v_add_nc_u32_e32 v79, v21, v20
	v_add3_u32 v79, v79, v22, v23
	s_wait_dscnt 0x0
	s_delay_alu instid0(VALU_DEP_1) | instskip(NEXT) | instid1(VALU_DEP_1)
	v_add3_u32 v79, v79, v16, v17
	v_add3_u32 v19, v79, v18, v19
	v_and_b32_e32 v79, 15, v65
	s_delay_alu instid0(VALU_DEP_2) | instskip(NEXT) | instid1(VALU_DEP_2)
	v_mov_b32_dpp v80, v19 row_shr:1 row_mask:0xf bank_mask:0xf
	v_cmp_eq_u32_e32 vcc_lo, 0, v79
	v_cmp_lt_u32_e64 s0, 1, v79
	v_cmp_lt_u32_e64 s1, 3, v79
	;; [unrolled: 1-line block ×3, first 2 shown]
	s_wait_alu 0xfffd
	v_cndmask_b32_e64 v80, v80, 0, vcc_lo
	s_delay_alu instid0(VALU_DEP_1) | instskip(NEXT) | instid1(VALU_DEP_1)
	v_add_nc_u32_e32 v19, v80, v19
	v_mov_b32_dpp v80, v19 row_shr:2 row_mask:0xf bank_mask:0xf
	s_wait_alu 0xf1ff
	s_delay_alu instid0(VALU_DEP_1) | instskip(NEXT) | instid1(VALU_DEP_1)
	v_cndmask_b32_e64 v80, 0, v80, s0
	v_add_nc_u32_e32 v19, v19, v80
	s_delay_alu instid0(VALU_DEP_1) | instskip(NEXT) | instid1(VALU_DEP_1)
	v_mov_b32_dpp v80, v19 row_shr:4 row_mask:0xf bank_mask:0xf
	v_cndmask_b32_e64 v80, 0, v80, s1
	s_delay_alu instid0(VALU_DEP_1) | instskip(NEXT) | instid1(VALU_DEP_1)
	v_add_nc_u32_e32 v19, v19, v80
	v_mov_b32_dpp v80, v19 row_shr:8 row_mask:0xf bank_mask:0xf
	s_delay_alu instid0(VALU_DEP_1) | instskip(SKIP_1) | instid1(VALU_DEP_2)
	v_cndmask_b32_e64 v79, 0, v80, s10
	v_bfe_i32 v80, v65, 4, 1
	v_add_nc_u32_e32 v19, v19, v79
	ds_swizzle_b32 v79, v19 offset:swizzle(BROADCAST,32,15)
	s_wait_dscnt 0x0
	v_and_b32_e32 v79, v80, v79
	s_delay_alu instid0(VALU_DEP_1)
	v_add_nc_u32_e32 v19, v19, v79
	v_cmpx_eq_u32_e64 v41, v66
; %bb.92:
	v_lshlrev_b32_e32 v66, 2, v63
	ds_store_b32 v66, v19
; %bb.93:
	s_wait_alu 0xfffe
	s_or_b32 exec_lo, exec_lo, s12
	s_delay_alu instid0(SALU_CYCLE_1)
	s_mov_b32 s12, exec_lo
	s_wait_loadcnt_dscnt 0x0
	s_barrier_signal -1
	s_barrier_wait -1
	global_inv scope:SCOPE_SE
	v_cmpx_gt_u32_e32 16, v41
	s_cbranch_execz .LBB115_95
; %bb.94:
	v_lshlrev_b32_e32 v66, 2, v41
	ds_load_b32 v79, v66
	s_wait_dscnt 0x0
	v_mov_b32_dpp v80, v79 row_shr:1 row_mask:0xf bank_mask:0xf
	s_delay_alu instid0(VALU_DEP_1) | instskip(NEXT) | instid1(VALU_DEP_1)
	v_cndmask_b32_e64 v80, v80, 0, vcc_lo
	v_add_nc_u32_e32 v79, v80, v79
	s_delay_alu instid0(VALU_DEP_1) | instskip(NEXT) | instid1(VALU_DEP_1)
	v_mov_b32_dpp v80, v79 row_shr:2 row_mask:0xf bank_mask:0xf
	v_cndmask_b32_e64 v80, 0, v80, s0
	s_delay_alu instid0(VALU_DEP_1) | instskip(NEXT) | instid1(VALU_DEP_1)
	v_add_nc_u32_e32 v79, v79, v80
	v_mov_b32_dpp v80, v79 row_shr:4 row_mask:0xf bank_mask:0xf
	s_delay_alu instid0(VALU_DEP_1) | instskip(NEXT) | instid1(VALU_DEP_1)
	v_cndmask_b32_e64 v80, 0, v80, s1
	v_add_nc_u32_e32 v79, v79, v80
	s_delay_alu instid0(VALU_DEP_1) | instskip(NEXT) | instid1(VALU_DEP_1)
	v_mov_b32_dpp v80, v79 row_shr:8 row_mask:0xf bank_mask:0xf
	v_cndmask_b32_e64 v80, 0, v80, s10
	s_delay_alu instid0(VALU_DEP_1)
	v_add_nc_u32_e32 v79, v79, v80
	ds_store_b32 v66, v79
.LBB115_95:
	s_wait_alu 0xfffe
	s_or_b32 exec_lo, exec_lo, s12
	v_mov_b32_e32 v66, 0
	s_mov_b32 s0, exec_lo
	s_wait_loadcnt_dscnt 0x0
	s_barrier_signal -1
	s_barrier_wait -1
	global_inv scope:SCOPE_SE
	v_cmpx_lt_u32_e32 31, v41
; %bb.96:
	v_lshl_add_u32 v63, v63, 2, -4
	ds_load_b32 v66, v63
; %bb.97:
	s_wait_alu 0xfffe
	s_or_b32 exec_lo, exec_lo, s0
	v_sub_co_u32 v63, vcc_lo, v65, 1
	s_wait_dscnt 0x0
	v_add_nc_u32_e32 v19, v66, v19
	s_delay_alu instid0(VALU_DEP_2) | instskip(SKIP_1) | instid1(VALU_DEP_1)
	v_cmp_gt_i32_e64 s0, 0, v63
	s_wait_alu 0xf1ff
	v_cndmask_b32_e64 v63, v63, v65, s0
	s_delay_alu instid0(VALU_DEP_1)
	v_lshlrev_b32_e32 v63, 2, v63
	ds_bpermute_b32 v19, v63, v19
	s_wait_dscnt 0x0
	s_wait_alu 0xfffd
	v_cndmask_b32_e32 v19, v19, v66, vcc_lo
	v_cmp_ne_u32_e32 vcc_lo, 0, v41
	s_wait_alu 0xfffd
	s_delay_alu instid0(VALU_DEP_2) | instskip(NEXT) | instid1(VALU_DEP_1)
	v_cndmask_b32_e32 v19, 0, v19, vcc_lo
	v_add_nc_u32_e32 v20, v19, v20
	s_delay_alu instid0(VALU_DEP_1) | instskip(NEXT) | instid1(VALU_DEP_1)
	v_add_nc_u32_e32 v21, v20, v21
	v_add_nc_u32_e32 v22, v21, v22
	s_delay_alu instid0(VALU_DEP_1) | instskip(NEXT) | instid1(VALU_DEP_1)
	v_add_nc_u32_e32 v79, v22, v23
	v_add_nc_u32_e32 v80, v79, v16
	s_delay_alu instid0(VALU_DEP_1) | instskip(NEXT) | instid1(VALU_DEP_1)
	v_add_nc_u32_e32 v81, v80, v17
	v_add_nc_u32_e32 v82, v81, v18
	ds_store_b128 v64, v[19:22] offset:64
	ds_store_b128 v64, v[79:82] offset:80
	s_wait_loadcnt_dscnt 0x0
	s_barrier_signal -1
	s_barrier_wait -1
	global_inv scope:SCOPE_SE
	ds_load_b32 v16, v33 offset:64
	ds_load_b32 v17, v36 offset:64
	;; [unrolled: 1-line block ×8, first 2 shown]
	s_wait_loadcnt_dscnt 0x0
	s_barrier_signal -1
	s_barrier_wait -1
	global_inv scope:SCOPE_SE
	v_mad_u32_u24 v36, v41, 56, v61
	v_add_nc_u32_e32 v16, v16, v32
	v_add3_u32 v17, v35, v34, v17
	v_add3_u32 v18, v38, v37, v18
	;; [unrolled: 1-line block ×7, first 2 shown]
	ds_store_b8 v16, v24
	ds_store_b8 v17, v25
	ds_store_b8 v18, v26
	ds_store_b8 v19, v27
	ds_store_b8 v20, v28
	ds_store_b8 v21, v29
	ds_store_b8 v22, v30
	ds_store_b8 v23, v31
	s_wait_loadcnt_dscnt 0x0
	s_barrier_signal -1
	s_barrier_wait -1
	global_inv scope:SCOPE_SE
	ds_load_b64 v[33:34], v61
	v_lshlrev_b32_e32 v16, 3, v16
	v_lshlrev_b32_e32 v17, 3, v17
	;; [unrolled: 1-line block ×8, first 2 shown]
	s_wait_loadcnt_dscnt 0x0
	s_barrier_signal -1
	s_barrier_wait -1
	global_inv scope:SCOPE_SE
	ds_store_b64 v16, v[12:13]
	ds_store_b64 v17, v[14:15]
	;; [unrolled: 1-line block ×8, first 2 shown]
	s_wait_loadcnt_dscnt 0x0
	s_barrier_signal -1
	s_barrier_wait -1
	global_inv scope:SCOPE_SE
	ds_load_b128 v[21:24], v36
	ds_load_b128 v[17:20], v36 offset:16
	ds_load_b128 v[29:32], v36 offset:32
	;; [unrolled: 1-line block ×3, first 2 shown]
	v_lshrrev_b32_e32 v0, 16, v33
	v_lshrrev_b32_e32 v3, 16, v34
	v_and_b32_e32 v1, 0xffffff00, v33
	v_xor_b32_e32 v2, 0x7f, v33
	v_and_b32_e32 v4, 0xffffff00, v34
	v_xor_b32_e32 v5, 0x7f, v34
	;; [unrolled: 2-line block ×4, first 2 shown]
	v_xor_b32_e32 v1, 0x7f00, v1
	v_and_b32_e32 v2, 0xff, v2
	v_xor_b32_e32 v4, 0x7f00, v4
	v_and_b32_e32 v5, 0xff, v5
	;; [unrolled: 2-line block ×4, first 2 shown]
	v_or_b32_e32 v1, v2, v1
	v_or_b32_e32 v2, v5, v4
	;; [unrolled: 1-line block ×3, first 2 shown]
	s_delay_alu instid0(VALU_DEP_4) | instskip(NEXT) | instid1(VALU_DEP_4)
	v_or_b32_e32 v3, v3, v7
	v_and_b32_e32 v1, 0xffff, v1
	s_delay_alu instid0(VALU_DEP_4) | instskip(NEXT) | instid1(VALU_DEP_4)
	v_and_b32_e32 v2, 0xffff, v2
	v_lshlrev_b32_e32 v0, 16, v0
	s_delay_alu instid0(VALU_DEP_4) | instskip(NEXT) | instid1(VALU_DEP_2)
	v_lshlrev_b32_e32 v3, 16, v3
	v_or_b32_e32 v0, v1, v0
	s_delay_alu instid0(VALU_DEP_2)
	v_or_b32_e32 v33, v2, v3
.LBB115_98:
	s_wait_loadcnt_dscnt 0x0
	s_barrier_signal -1
	s_barrier_wait -1
	global_inv scope:SCOPE_SE
	ds_store_2addr_b32 v52, v0, v33 offset1:1
	s_wait_loadcnt_dscnt 0x0
	s_barrier_signal -1
	s_barrier_wait -1
	global_inv scope:SCOPE_SE
	ds_load_u8 v8, v45 offset:512
	ds_load_u8 v7, v46 offset:1024
	;; [unrolled: 1-line block ×7, first 2 shown]
	v_mad_co_u64_u32 v[0:1], null, s16, v41, s[20:21]
	s_wait_dscnt 0x0
	s_delay_alu instid0(VALU_DEP_1) | instskip(NEXT) | instid1(VALU_DEP_1)
	v_mad_co_u64_u32 v[9:10], null, s17, v41, v[1:2]
	v_mov_b32_e32 v1, v9
	s_and_saveexec_b32 s0, s2
	s_cbranch_execnz .LBB115_117
; %bb.99:
	s_wait_alu 0xfffe
	s_or_b32 exec_lo, exec_lo, s0
	s_and_saveexec_b32 s0, s3
	s_cbranch_execnz .LBB115_118
.LBB115_100:
	s_wait_alu 0xfffe
	s_or_b32 exec_lo, exec_lo, s0
	s_and_saveexec_b32 s0, s4
	s_cbranch_execnz .LBB115_119
.LBB115_101:
	s_wait_alu 0xfffe
	s_or_b32 exec_lo, exec_lo, s0
	s_and_saveexec_b32 s0, s5
	s_cbranch_execnz .LBB115_120
.LBB115_102:
	s_wait_alu 0xfffe
	s_or_b32 exec_lo, exec_lo, s0
	s_and_saveexec_b32 s0, s6
	s_cbranch_execnz .LBB115_121
.LBB115_103:
	s_wait_alu 0xfffe
	s_or_b32 exec_lo, exec_lo, s0
	s_and_saveexec_b32 s0, s7
	s_cbranch_execnz .LBB115_122
.LBB115_104:
	s_wait_alu 0xfffe
	s_or_b32 exec_lo, exec_lo, s0
	s_and_saveexec_b32 s0, s8
	s_cbranch_execnz .LBB115_123
.LBB115_105:
	s_wait_alu 0xfffe
	s_or_b32 exec_lo, exec_lo, s0
	s_and_saveexec_b32 s0, s9
	s_cbranch_execz .LBB115_107
.LBB115_106:
	v_mad_co_u64_u32 v[0:1], null, 0xe00, s16, v[0:1]
	s_delay_alu instid0(VALU_DEP_1) | instskip(NEXT) | instid1(VALU_DEP_1)
	v_mad_co_u64_u32 v[3:4], null, 0xe00, s17, v[1:2]
	v_mov_b32_e32 v1, v3
	global_store_b8 v[0:1], v2, off
.LBB115_107:
	s_wait_alu 0xfffe
	s_or_b32 exec_lo, exec_lo, s0
	s_wait_kmcnt 0x0
	v_mad_co_u64_u32 v[2:3], null, s18, v41, 0
	s_wait_loadcnt 0x0
	s_wait_storecnt 0x0
	s_barrier_signal -1
	s_barrier_wait -1
	global_inv scope:SCOPE_SE
	ds_store_2addr_b64 v62, v[21:22], v[23:24] offset1:1
	ds_store_2addr_b64 v62, v[17:18], v[19:20] offset0:2 offset1:3
	ds_store_2addr_b64 v62, v[29:30], v[31:32] offset0:4 offset1:5
	;; [unrolled: 1-line block ×3, first 2 shown]
	s_wait_loadcnt_dscnt 0x0
	v_mov_b32_e32 v0, v3
	s_barrier_signal -1
	s_barrier_wait -1
	global_inv scope:SCOPE_SE
	v_mad_co_u64_u32 v[3:4], null, s19, v41, v[0:1]
	ds_load_b64 v[14:15], v54 offset:4096
	ds_load_b64 v[12:13], v55 offset:8192
	;; [unrolled: 1-line block ×7, first 2 shown]
	v_lshlrev_b64_e32 v[2:3], 3, v[2:3]
	s_delay_alu instid0(VALU_DEP_1) | instskip(SKIP_1) | instid1(VALU_DEP_2)
	v_add_co_u32 v2, vcc_lo, s22, v2
	s_wait_alu 0xfffd
	v_add_co_ci_u32_e64 v3, null, s23, v3, vcc_lo
	s_and_saveexec_b32 s0, s2
	s_cbranch_execnz .LBB115_124
; %bb.108:
	s_wait_alu 0xfffe
	s_or_b32 exec_lo, exec_lo, s0
	s_and_saveexec_b32 s0, s3
	s_cbranch_execnz .LBB115_125
.LBB115_109:
	s_wait_alu 0xfffe
	s_or_b32 exec_lo, exec_lo, s0
	s_and_saveexec_b32 s0, s4
	s_cbranch_execnz .LBB115_126
.LBB115_110:
	s_wait_alu 0xfffe
	s_or_b32 exec_lo, exec_lo, s0
	s_and_saveexec_b32 s0, s5
	s_cbranch_execnz .LBB115_127
.LBB115_111:
	s_wait_alu 0xfffe
	s_or_b32 exec_lo, exec_lo, s0
	s_and_saveexec_b32 s0, s6
	s_cbranch_execnz .LBB115_128
.LBB115_112:
	s_wait_alu 0xfffe
	s_or_b32 exec_lo, exec_lo, s0
	s_and_saveexec_b32 s0, s7
	s_cbranch_execnz .LBB115_129
.LBB115_113:
	s_wait_alu 0xfffe
	s_or_b32 exec_lo, exec_lo, s0
	s_and_saveexec_b32 s0, s8
	s_cbranch_execnz .LBB115_130
.LBB115_114:
	s_wait_alu 0xfffe
	s_or_b32 exec_lo, exec_lo, s0
	s_and_saveexec_b32 s0, s9
	s_cbranch_execz .LBB115_116
.LBB115_115:
	v_mad_co_u64_u32 v[2:3], null, 0x7000, s18, v[2:3]
	s_wait_dscnt 0x1
	s_delay_alu instid0(VALU_DEP_1)
	v_mad_co_u64_u32 v[3:4], null, 0x7000, s19, v[3:4]
	s_wait_dscnt 0x0
	global_store_b64 v[2:3], v[0:1], off
.LBB115_116:
	s_nop 0
	s_sendmsg sendmsg(MSG_DEALLOC_VGPRS)
	s_endpgm
.LBB115_117:
	ds_load_u8 v9, v44
	s_wait_dscnt 0x0
	global_store_b8 v[0:1], v9, off
	s_wait_alu 0xfffe
	s_or_b32 exec_lo, exec_lo, s0
	s_and_saveexec_b32 s0, s3
	s_cbranch_execz .LBB115_100
.LBB115_118:
	s_lshl_b64 s[10:11], s[16:17], 9
	s_wait_alu 0xfffe
	v_add_co_u32 v9, vcc_lo, v0, s10
	s_wait_alu 0xfffd
	v_add_co_ci_u32_e64 v10, null, s11, v1, vcc_lo
	global_store_b8 v[9:10], v8, off
	s_or_b32 exec_lo, exec_lo, s0
	s_and_saveexec_b32 s0, s4
	s_cbranch_execz .LBB115_101
.LBB115_119:
	s_lshl_b64 s[10:11], s[16:17], 10
	s_wait_alu 0xfffe
	v_add_co_u32 v8, vcc_lo, v0, s10
	s_wait_alu 0xfffd
	v_add_co_ci_u32_e64 v9, null, s11, v1, vcc_lo
	global_store_b8 v[8:9], v7, off
	s_or_b32 exec_lo, exec_lo, s0
	s_and_saveexec_b32 s0, s5
	s_cbranch_execz .LBB115_102
.LBB115_120:
	v_mad_co_u64_u32 v[7:8], null, 0x600, s16, v[0:1]
	s_delay_alu instid0(VALU_DEP_1)
	v_mad_co_u64_u32 v[8:9], null, 0x600, s17, v[8:9]
	global_store_b8 v[7:8], v6, off
	s_wait_alu 0xfffe
	s_or_b32 exec_lo, exec_lo, s0
	s_and_saveexec_b32 s0, s6
	s_cbranch_execz .LBB115_103
.LBB115_121:
	s_lshl_b64 s[10:11], s[16:17], 11
	s_wait_alu 0xfffe
	v_add_co_u32 v6, vcc_lo, v0, s10
	s_wait_alu 0xfffd
	v_add_co_ci_u32_e64 v7, null, s11, v1, vcc_lo
	global_store_b8 v[6:7], v5, off
	s_or_b32 exec_lo, exec_lo, s0
	s_and_saveexec_b32 s0, s7
	s_cbranch_execz .LBB115_104
.LBB115_122:
	v_mad_co_u64_u32 v[5:6], null, 0xa00, s16, v[0:1]
	s_delay_alu instid0(VALU_DEP_1)
	v_mad_co_u64_u32 v[6:7], null, 0xa00, s17, v[6:7]
	global_store_b8 v[5:6], v4, off
	s_wait_alu 0xfffe
	s_or_b32 exec_lo, exec_lo, s0
	s_and_saveexec_b32 s0, s8
	s_cbranch_execz .LBB115_105
.LBB115_123:
	v_mad_co_u64_u32 v[4:5], null, 0xc00, s16, v[0:1]
	s_delay_alu instid0(VALU_DEP_1)
	v_mad_co_u64_u32 v[5:6], null, 0xc00, s17, v[5:6]
	global_store_b8 v[4:5], v3, off
	s_wait_alu 0xfffe
	s_or_b32 exec_lo, exec_lo, s0
	s_and_saveexec_b32 s0, s9
	s_cbranch_execnz .LBB115_106
	s_branch .LBB115_107
.LBB115_124:
	ds_load_b64 v[16:17], v53
	s_wait_dscnt 0x0
	global_store_b64 v[2:3], v[16:17], off
	s_wait_alu 0xfffe
	s_or_b32 exec_lo, exec_lo, s0
	s_and_saveexec_b32 s0, s3
	s_cbranch_execz .LBB115_109
.LBB115_125:
	s_lshl_b64 s[2:3], s[18:19], 12
	s_wait_alu 0xfffe
	v_add_co_u32 v16, vcc_lo, v2, s2
	s_wait_alu 0xfffd
	v_add_co_ci_u32_e64 v17, null, s3, v3, vcc_lo
	s_wait_dscnt 0x6
	global_store_b64 v[16:17], v[14:15], off
	s_or_b32 exec_lo, exec_lo, s0
	s_and_saveexec_b32 s0, s4
	s_cbranch_execz .LBB115_110
.LBB115_126:
	s_lshl_b64 s[2:3], s[18:19], 13
	s_wait_dscnt 0x6
	s_wait_alu 0xfffe
	v_add_co_u32 v14, vcc_lo, v2, s2
	s_wait_alu 0xfffd
	v_add_co_ci_u32_e64 v15, null, s3, v3, vcc_lo
	s_wait_dscnt 0x5
	global_store_b64 v[14:15], v[12:13], off
	s_or_b32 exec_lo, exec_lo, s0
	s_and_saveexec_b32 s0, s5
	s_cbranch_execz .LBB115_111
.LBB115_127:
	s_wait_dscnt 0x5
	v_mad_co_u64_u32 v[12:13], null, 0x3000, s18, v[2:3]
	s_delay_alu instid0(VALU_DEP_1)
	v_mad_co_u64_u32 v[13:14], null, 0x3000, s19, v[13:14]
	s_wait_dscnt 0x4
	global_store_b64 v[12:13], v[10:11], off
	s_wait_alu 0xfffe
	s_or_b32 exec_lo, exec_lo, s0
	s_and_saveexec_b32 s0, s6
	s_cbranch_execz .LBB115_112
.LBB115_128:
	s_lshl_b64 s[2:3], s[18:19], 14
	s_wait_dscnt 0x4
	s_wait_alu 0xfffe
	v_add_co_u32 v10, vcc_lo, v2, s2
	s_wait_alu 0xfffd
	v_add_co_ci_u32_e64 v11, null, s3, v3, vcc_lo
	s_wait_dscnt 0x3
	global_store_b64 v[10:11], v[8:9], off
	s_or_b32 exec_lo, exec_lo, s0
	s_and_saveexec_b32 s0, s7
	s_cbranch_execz .LBB115_113
.LBB115_129:
	s_wait_dscnt 0x3
	v_mad_co_u64_u32 v[8:9], null, 0x5000, s18, v[2:3]
	s_delay_alu instid0(VALU_DEP_1)
	v_mad_co_u64_u32 v[9:10], null, 0x5000, s19, v[9:10]
	s_wait_dscnt 0x2
	global_store_b64 v[8:9], v[6:7], off
	s_wait_alu 0xfffe
	s_or_b32 exec_lo, exec_lo, s0
	s_and_saveexec_b32 s0, s8
	s_cbranch_execz .LBB115_114
.LBB115_130:
	s_wait_dscnt 0x2
	v_mad_co_u64_u32 v[6:7], null, 0x6000, s18, v[2:3]
	s_delay_alu instid0(VALU_DEP_1)
	v_mad_co_u64_u32 v[7:8], null, 0x6000, s19, v[7:8]
	s_wait_dscnt 0x1
	global_store_b64 v[6:7], v[4:5], off
	s_wait_alu 0xfffe
	s_or_b32 exec_lo, exec_lo, s0
	s_and_saveexec_b32 s0, s9
	s_cbranch_execnz .LBB115_115
	s_branch .LBB115_116
	.section	.rodata,"a",@progbits
	.p2align	6, 0x0
	.amdhsa_kernel _ZN2at6native18radixSortKVInPlaceILin1ELin1ELi512ELi8EalmEEvNS_4cuda6detail10TensorInfoIT3_T5_EES6_S6_S6_NS4_IT4_S6_EES6_b
		.amdhsa_group_segment_fixed_size 33792
		.amdhsa_private_segment_fixed_size 0
		.amdhsa_kernarg_size 1128
		.amdhsa_user_sgpr_count 2
		.amdhsa_user_sgpr_dispatch_ptr 0
		.amdhsa_user_sgpr_queue_ptr 0
		.amdhsa_user_sgpr_kernarg_segment_ptr 1
		.amdhsa_user_sgpr_dispatch_id 0
		.amdhsa_user_sgpr_private_segment_size 0
		.amdhsa_wavefront_size32 1
		.amdhsa_uses_dynamic_stack 0
		.amdhsa_enable_private_segment 0
		.amdhsa_system_sgpr_workgroup_id_x 1
		.amdhsa_system_sgpr_workgroup_id_y 1
		.amdhsa_system_sgpr_workgroup_id_z 1
		.amdhsa_system_sgpr_workgroup_info 0
		.amdhsa_system_vgpr_workitem_id 2
		.amdhsa_next_free_vgpr 112
		.amdhsa_next_free_sgpr 36
		.amdhsa_reserve_vcc 1
		.amdhsa_float_round_mode_32 0
		.amdhsa_float_round_mode_16_64 0
		.amdhsa_float_denorm_mode_32 3
		.amdhsa_float_denorm_mode_16_64 3
		.amdhsa_fp16_overflow 0
		.amdhsa_workgroup_processor_mode 1
		.amdhsa_memory_ordered 1
		.amdhsa_forward_progress 1
		.amdhsa_inst_pref_size 118
		.amdhsa_round_robin_scheduling 0
		.amdhsa_exception_fp_ieee_invalid_op 0
		.amdhsa_exception_fp_denorm_src 0
		.amdhsa_exception_fp_ieee_div_zero 0
		.amdhsa_exception_fp_ieee_overflow 0
		.amdhsa_exception_fp_ieee_underflow 0
		.amdhsa_exception_fp_ieee_inexact 0
		.amdhsa_exception_int_div_zero 0
	.end_amdhsa_kernel
	.section	.text._ZN2at6native18radixSortKVInPlaceILin1ELin1ELi512ELi8EalmEEvNS_4cuda6detail10TensorInfoIT3_T5_EES6_S6_S6_NS4_IT4_S6_EES6_b,"axG",@progbits,_ZN2at6native18radixSortKVInPlaceILin1ELin1ELi512ELi8EalmEEvNS_4cuda6detail10TensorInfoIT3_T5_EES6_S6_S6_NS4_IT4_S6_EES6_b,comdat
.Lfunc_end115:
	.size	_ZN2at6native18radixSortKVInPlaceILin1ELin1ELi512ELi8EalmEEvNS_4cuda6detail10TensorInfoIT3_T5_EES6_S6_S6_NS4_IT4_S6_EES6_b, .Lfunc_end115-_ZN2at6native18radixSortKVInPlaceILin1ELin1ELi512ELi8EalmEEvNS_4cuda6detail10TensorInfoIT3_T5_EES6_S6_S6_NS4_IT4_S6_EES6_b
                                        ; -- End function
	.set _ZN2at6native18radixSortKVInPlaceILin1ELin1ELi512ELi8EalmEEvNS_4cuda6detail10TensorInfoIT3_T5_EES6_S6_S6_NS4_IT4_S6_EES6_b.num_vgpr, 112
	.set _ZN2at6native18radixSortKVInPlaceILin1ELin1ELi512ELi8EalmEEvNS_4cuda6detail10TensorInfoIT3_T5_EES6_S6_S6_NS4_IT4_S6_EES6_b.num_agpr, 0
	.set _ZN2at6native18radixSortKVInPlaceILin1ELin1ELi512ELi8EalmEEvNS_4cuda6detail10TensorInfoIT3_T5_EES6_S6_S6_NS4_IT4_S6_EES6_b.numbered_sgpr, 36
	.set _ZN2at6native18radixSortKVInPlaceILin1ELin1ELi512ELi8EalmEEvNS_4cuda6detail10TensorInfoIT3_T5_EES6_S6_S6_NS4_IT4_S6_EES6_b.num_named_barrier, 0
	.set _ZN2at6native18radixSortKVInPlaceILin1ELin1ELi512ELi8EalmEEvNS_4cuda6detail10TensorInfoIT3_T5_EES6_S6_S6_NS4_IT4_S6_EES6_b.private_seg_size, 0
	.set _ZN2at6native18radixSortKVInPlaceILin1ELin1ELi512ELi8EalmEEvNS_4cuda6detail10TensorInfoIT3_T5_EES6_S6_S6_NS4_IT4_S6_EES6_b.uses_vcc, 1
	.set _ZN2at6native18radixSortKVInPlaceILin1ELin1ELi512ELi8EalmEEvNS_4cuda6detail10TensorInfoIT3_T5_EES6_S6_S6_NS4_IT4_S6_EES6_b.uses_flat_scratch, 0
	.set _ZN2at6native18radixSortKVInPlaceILin1ELin1ELi512ELi8EalmEEvNS_4cuda6detail10TensorInfoIT3_T5_EES6_S6_S6_NS4_IT4_S6_EES6_b.has_dyn_sized_stack, 0
	.set _ZN2at6native18radixSortKVInPlaceILin1ELin1ELi512ELi8EalmEEvNS_4cuda6detail10TensorInfoIT3_T5_EES6_S6_S6_NS4_IT4_S6_EES6_b.has_recursion, 0
	.set _ZN2at6native18radixSortKVInPlaceILin1ELin1ELi512ELi8EalmEEvNS_4cuda6detail10TensorInfoIT3_T5_EES6_S6_S6_NS4_IT4_S6_EES6_b.has_indirect_call, 0
	.section	.AMDGPU.csdata,"",@progbits
; Kernel info:
; codeLenInByte = 15044
; TotalNumSgprs: 38
; NumVgprs: 112
; ScratchSize: 0
; MemoryBound: 0
; FloatMode: 240
; IeeeMode: 1
; LDSByteSize: 33792 bytes/workgroup (compile time only)
; SGPRBlocks: 0
; VGPRBlocks: 13
; NumSGPRsForWavesPerEU: 38
; NumVGPRsForWavesPerEU: 112
; Occupancy: 12
; WaveLimiterHint : 1
; COMPUTE_PGM_RSRC2:SCRATCH_EN: 0
; COMPUTE_PGM_RSRC2:USER_SGPR: 2
; COMPUTE_PGM_RSRC2:TRAP_HANDLER: 0
; COMPUTE_PGM_RSRC2:TGID_X_EN: 1
; COMPUTE_PGM_RSRC2:TGID_Y_EN: 1
; COMPUTE_PGM_RSRC2:TGID_Z_EN: 1
; COMPUTE_PGM_RSRC2:TIDIG_COMP_CNT: 2
	.section	.text._ZN2at6native18radixSortKVInPlaceILin1ELin1ELi256ELi8EalmEEvNS_4cuda6detail10TensorInfoIT3_T5_EES6_S6_S6_NS4_IT4_S6_EES6_b,"axG",@progbits,_ZN2at6native18radixSortKVInPlaceILin1ELin1ELi256ELi8EalmEEvNS_4cuda6detail10TensorInfoIT3_T5_EES6_S6_S6_NS4_IT4_S6_EES6_b,comdat
	.protected	_ZN2at6native18radixSortKVInPlaceILin1ELin1ELi256ELi8EalmEEvNS_4cuda6detail10TensorInfoIT3_T5_EES6_S6_S6_NS4_IT4_S6_EES6_b ; -- Begin function _ZN2at6native18radixSortKVInPlaceILin1ELin1ELi256ELi8EalmEEvNS_4cuda6detail10TensorInfoIT3_T5_EES6_S6_S6_NS4_IT4_S6_EES6_b
	.globl	_ZN2at6native18radixSortKVInPlaceILin1ELin1ELi256ELi8EalmEEvNS_4cuda6detail10TensorInfoIT3_T5_EES6_S6_S6_NS4_IT4_S6_EES6_b
	.p2align	8
	.type	_ZN2at6native18radixSortKVInPlaceILin1ELin1ELi256ELi8EalmEEvNS_4cuda6detail10TensorInfoIT3_T5_EES6_S6_S6_NS4_IT4_S6_EES6_b,@function
_ZN2at6native18radixSortKVInPlaceILin1ELin1ELi256ELi8EalmEEvNS_4cuda6detail10TensorInfoIT3_T5_EES6_S6_S6_NS4_IT4_S6_EES6_b: ; @_ZN2at6native18radixSortKVInPlaceILin1ELin1ELi256ELi8EalmEEvNS_4cuda6detail10TensorInfoIT3_T5_EES6_S6_S6_NS4_IT4_S6_EES6_b
; %bb.0:
	s_clause 0x1
	s_load_b64 s[2:3], s[0:1], 0x368
	s_load_b128 s[8:11], s[0:1], 0x1a0
	s_lshr_b32 s4, ttmp7, 16
	s_and_b32 s5, ttmp7, 0xffff
	s_wait_kmcnt 0x0
	s_mul_i32 s3, s3, s4
	s_delay_alu instid0(SALU_CYCLE_1) | instskip(NEXT) | instid1(SALU_CYCLE_1)
	s_add_co_i32 s3, s3, s5
	s_mul_i32 s2, s3, s2
	s_mov_b32 s3, 0
	s_add_co_i32 s2, s2, ttmp9
	s_delay_alu instid0(SALU_CYCLE_1)
	v_cmp_le_u64_e64 s4, s[8:9], s[2:3]
	s_and_b32 vcc_lo, exec_lo, s4
	s_cbranch_vccnz .LBB116_116
; %bb.1:
	s_clause 0x1
	s_load_b32 s9, s[0:1], 0x198
	s_load_b64 s[16:17], s[0:1], 0x1b0
	s_mov_b64 s[4:5], 0
	s_mov_b64 s[6:7], s[2:3]
	s_wait_kmcnt 0x0
	s_cmp_lt_i32 s9, 2
	s_cbranch_scc1 .LBB116_9
; %bb.2:
	s_mov_b32 s8, 0
	s_add_co_i32 s4, s9, -1
	s_wait_alu 0xfffe
	s_mov_b32 s5, s8
	s_add_co_i32 s11, s9, 1
	s_lshl_b64 s[4:5], s[4:5], 3
	s_mov_b64 s[14:15], s[2:3]
	s_add_nc_u64 s[6:7], s[0:1], s[4:5]
	s_mov_b64 s[4:5], 0
	s_add_nc_u64 s[12:13], s[6:7], 8
.LBB116_3:                              ; =>This Inner Loop Header: Depth=1
	s_load_b64 s[18:19], s[12:13], 0x0
	s_wait_kmcnt 0x0
	s_or_b64 s[6:7], s[14:15], s[18:19]
	s_wait_alu 0xfffe
	s_mov_b32 s9, s7
                                        ; implicit-def: $sgpr6_sgpr7
	s_wait_alu 0xfffe
	s_cmp_lg_u64 s[8:9], 0
	s_mov_b32 s9, -1
	s_cbranch_scc0 .LBB116_5
; %bb.4:                                ;   in Loop: Header=BB116_3 Depth=1
	s_cvt_f32_u32 s6, s18
	s_cvt_f32_u32 s7, s19
	s_sub_nc_u64 s[20:21], 0, s[18:19]
	s_mov_b32 s23, s8
	s_mov_b32 s27, s8
	s_wait_alu 0xfffe
	s_fmamk_f32 s6, s7, 0x4f800000, s6
	s_wait_alu 0xfffe
	s_delay_alu instid0(SALU_CYCLE_2) | instskip(NEXT) | instid1(TRANS32_DEP_1)
	v_s_rcp_f32 s6, s6
	s_mul_f32 s6, s6, 0x5f7ffffc
	s_wait_alu 0xfffe
	s_delay_alu instid0(SALU_CYCLE_2) | instskip(SKIP_1) | instid1(SALU_CYCLE_2)
	s_mul_f32 s7, s6, 0x2f800000
	s_wait_alu 0xfffe
	s_trunc_f32 s7, s7
	s_wait_alu 0xfffe
	s_delay_alu instid0(SALU_CYCLE_2) | instskip(SKIP_2) | instid1(SALU_CYCLE_1)
	s_fmamk_f32 s6, s7, 0xcf800000, s6
	s_cvt_u32_f32 s7, s7
	s_wait_alu 0xfffe
	s_cvt_u32_f32 s6, s6
	s_wait_alu 0xfffe
	s_delay_alu instid0(SALU_CYCLE_2) | instskip(NEXT) | instid1(SALU_CYCLE_1)
	s_mul_u64 s[24:25], s[20:21], s[6:7]
	s_mul_hi_u32 s29, s6, s25
	s_mul_i32 s28, s6, s25
	s_mul_hi_u32 s22, s6, s24
	s_mul_i32 s26, s7, s24
	s_add_nc_u64 s[22:23], s[22:23], s[28:29]
	s_mul_hi_u32 s9, s7, s24
	s_mul_hi_u32 s30, s7, s25
	s_add_co_u32 s22, s22, s26
	s_wait_alu 0xfffe
	s_add_co_ci_u32 s26, s23, s9
	s_mul_i32 s24, s7, s25
	s_add_co_ci_u32 s25, s30, 0
	s_delay_alu instid0(SALU_CYCLE_1)
	s_add_nc_u64 s[22:23], s[26:27], s[24:25]
	s_mov_b32 s25, s8
	s_add_co_u32 s6, s6, s22
	s_cselect_b32 s9, -1, 0
	s_wait_alu 0xfffe
	s_cmp_lg_u32 s9, 0
	s_add_co_ci_u32 s7, s7, s23
	s_mov_b32 s23, s8
	s_wait_alu 0xfffe
	s_mul_u64 s[20:21], s[20:21], s[6:7]
	s_delay_alu instid0(SALU_CYCLE_1)
	s_mul_hi_u32 s27, s6, s21
	s_mul_i32 s26, s6, s21
	s_mul_hi_u32 s22, s6, s20
	s_mul_i32 s24, s7, s20
	s_add_nc_u64 s[22:23], s[22:23], s[26:27]
	s_mul_hi_u32 s9, s7, s20
	s_mul_hi_u32 s28, s7, s21
	s_mul_i32 s20, s7, s21
	s_add_co_u32 s21, s22, s24
	s_wait_alu 0xfffe
	s_add_co_ci_u32 s24, s23, s9
	s_add_co_ci_u32 s21, s28, 0
	s_mov_b32 s23, s8
	s_add_nc_u64 s[20:21], s[24:25], s[20:21]
	s_delay_alu instid0(SALU_CYCLE_1)
	s_add_co_u32 s6, s6, s20
	s_cselect_b32 s9, -1, 0
	s_wait_alu 0xfffe
	s_mul_hi_u32 s22, s14, s6
	s_cmp_lg_u32 s9, 0
	s_mul_hi_u32 s9, s15, s6
	s_add_co_ci_u32 s20, s7, s21
	s_mul_i32 s21, s15, s6
	s_mul_hi_u32 s7, s14, s20
	s_mul_i32 s6, s14, s20
	s_mul_hi_u32 s26, s15, s20
	s_wait_alu 0xfffe
	s_add_nc_u64 s[6:7], s[22:23], s[6:7]
	s_mul_i32 s20, s15, s20
	s_wait_alu 0xfffe
	s_add_co_u32 s6, s6, s21
	s_add_co_ci_u32 s24, s7, s9
	s_add_co_ci_u32 s21, s26, 0
	s_delay_alu instid0(SALU_CYCLE_1) | instskip(SKIP_2) | instid1(SALU_CYCLE_1)
	s_add_nc_u64 s[6:7], s[24:25], s[20:21]
	s_wait_alu 0xfffe
	s_mul_u64 s[20:21], s[18:19], s[6:7]
	s_sub_co_u32 s9, s14, s20
	s_cselect_b32 s20, -1, 0
	s_sub_co_i32 s22, s15, s21
	s_cmp_lg_u32 s20, 0
	s_sub_co_ci_u32 s22, s22, s19
	s_wait_alu 0xfffe
	s_sub_co_u32 s23, s9, s18
	s_cselect_b32 s24, -1, 0
	s_delay_alu instid0(SALU_CYCLE_1) | instskip(SKIP_1) | instid1(SALU_CYCLE_1)
	s_cmp_lg_u32 s24, 0
	s_sub_co_ci_u32 s22, s22, 0
	s_cmp_ge_u32 s22, s19
	s_cselect_b32 s24, -1, 0
	s_cmp_ge_u32 s23, s18
	s_cselect_b32 s25, -1, 0
	s_cmp_eq_u32 s22, s19
	s_add_nc_u64 s[22:23], s[6:7], 1
	s_cselect_b32 s26, s25, s24
	s_add_nc_u64 s[24:25], s[6:7], 2
	s_cmp_lg_u32 s26, 0
	s_cselect_b32 s22, s24, s22
	s_cselect_b32 s23, s25, s23
	s_cmp_lg_u32 s20, 0
	s_sub_co_ci_u32 s20, s15, s21
	s_delay_alu instid0(SALU_CYCLE_1)
	s_cmp_ge_u32 s20, s19
	s_cselect_b32 s21, -1, 0
	s_cmp_ge_u32 s9, s18
	s_cselect_b32 s9, -1, 0
	s_cmp_eq_u32 s20, s19
	s_wait_alu 0xfffe
	s_cselect_b32 s9, s9, s21
	s_wait_alu 0xfffe
	s_cmp_lg_u32 s9, 0
	s_mov_b32 s9, 0
	s_cselect_b32 s7, s23, s7
	s_cselect_b32 s6, s22, s6
.LBB116_5:                              ;   in Loop: Header=BB116_3 Depth=1
	s_wait_alu 0xfffe
	s_and_not1_b32 vcc_lo, exec_lo, s9
	s_cbranch_vccnz .LBB116_7
; %bb.6:                                ;   in Loop: Header=BB116_3 Depth=1
	v_cvt_f32_u32_e32 v1, s18
	s_sub_co_i32 s7, 0, s18
	s_delay_alu instid0(VALU_DEP_1) | instskip(NEXT) | instid1(TRANS32_DEP_1)
	v_rcp_iflag_f32_e32 v1, v1
	v_mul_f32_e32 v1, 0x4f7ffffe, v1
	s_delay_alu instid0(VALU_DEP_1) | instskip(NEXT) | instid1(VALU_DEP_1)
	v_cvt_u32_f32_e32 v1, v1
	v_readfirstlane_b32 s6, v1
	s_wait_alu 0xfffe
	s_mul_i32 s7, s7, s6
	s_wait_alu 0xfffe
	s_mul_hi_u32 s7, s6, s7
	s_wait_alu 0xfffe
	s_add_co_i32 s6, s6, s7
	s_wait_alu 0xfffe
	s_mul_hi_u32 s6, s14, s6
	s_wait_alu 0xfffe
	s_mul_i32 s7, s6, s18
	s_add_co_i32 s9, s6, 1
	s_wait_alu 0xfffe
	s_sub_co_i32 s7, s14, s7
	s_wait_alu 0xfffe
	s_sub_co_i32 s20, s7, s18
	s_cmp_ge_u32 s7, s18
	s_cselect_b32 s6, s9, s6
	s_cselect_b32 s7, s20, s7
	s_wait_alu 0xfffe
	s_add_co_i32 s9, s6, 1
	s_cmp_ge_u32 s7, s18
	s_mov_b32 s7, s8
	s_wait_alu 0xfffe
	s_cselect_b32 s6, s9, s6
.LBB116_7:                              ;   in Loop: Header=BB116_3 Depth=1
	s_load_b64 s[20:21], s[12:13], 0xc8
	s_mul_u64 s[18:19], s[6:7], s[18:19]
	s_add_co_i32 s11, s11, -1
	s_wait_alu 0xfffe
	s_sub_nc_u64 s[14:15], s[14:15], s[18:19]
	s_cmp_gt_u32 s11, 2
	s_add_nc_u64 s[12:13], s[12:13], -8
	s_wait_kmcnt 0x0
	s_mul_u64 s[14:15], s[20:21], s[14:15]
	s_delay_alu instid0(SALU_CYCLE_1)
	s_add_nc_u64 s[4:5], s[14:15], s[4:5]
	s_cbranch_scc0 .LBB116_9
; %bb.8:                                ;   in Loop: Header=BB116_3 Depth=1
	s_mov_b64 s[14:15], s[6:7]
	s_branch .LBB116_3
.LBB116_9:
	s_load_b32 s9, s[0:1], 0x350
	s_add_nc_u64 s[22:23], s[0:1], 0x368
	s_mov_b64 s[12:13], 0
	s_wait_kmcnt 0x0
	s_cmp_lt_i32 s9, 2
	s_cbranch_scc1 .LBB116_17
; %bb.10:
	s_mov_b32 s8, 0
	s_add_co_i32 s12, s9, -1
	s_wait_alu 0xfffe
	s_mov_b32 s13, s8
	s_add_co_i32 s11, s9, 1
	s_lshl_b64 s[12:13], s[12:13], 3
	s_delay_alu instid0(SALU_CYCLE_1) | instskip(NEXT) | instid1(SALU_CYCLE_1)
	s_add_nc_u64 s[12:13], s[0:1], s[12:13]
	s_add_nc_u64 s[18:19], s[12:13], 0x1c0
	s_mov_b64 s[12:13], 0
.LBB116_11:                             ; =>This Inner Loop Header: Depth=1
	s_load_b64 s[20:21], s[18:19], 0x0
	s_wait_kmcnt 0x0
	s_or_b64 s[14:15], s[2:3], s[20:21]
	s_delay_alu instid0(SALU_CYCLE_1)
	s_mov_b32 s9, s15
                                        ; implicit-def: $sgpr14_sgpr15
	s_wait_alu 0xfffe
	s_cmp_lg_u64 s[8:9], 0
	s_mov_b32 s9, -1
	s_cbranch_scc0 .LBB116_13
; %bb.12:                               ;   in Loop: Header=BB116_11 Depth=1
	s_cvt_f32_u32 s9, s20
	s_cvt_f32_u32 s14, s21
	s_sub_nc_u64 s[24:25], 0, s[20:21]
	s_mov_b32 s27, s8
	s_mov_b32 s31, s8
	s_wait_alu 0xfffe
	s_fmamk_f32 s9, s14, 0x4f800000, s9
	s_wait_alu 0xfffe
	s_delay_alu instid0(SALU_CYCLE_2) | instskip(NEXT) | instid1(TRANS32_DEP_1)
	v_s_rcp_f32 s9, s9
	s_mul_f32 s9, s9, 0x5f7ffffc
	s_wait_alu 0xfffe
	s_delay_alu instid0(SALU_CYCLE_2) | instskip(NEXT) | instid1(SALU_CYCLE_3)
	s_mul_f32 s14, s9, 0x2f800000
	s_trunc_f32 s14, s14
	s_delay_alu instid0(SALU_CYCLE_3) | instskip(SKIP_2) | instid1(SALU_CYCLE_1)
	s_fmamk_f32 s9, s14, 0xcf800000, s9
	s_cvt_u32_f32 s15, s14
	s_wait_alu 0xfffe
	s_cvt_u32_f32 s14, s9
	s_delay_alu instid0(SALU_CYCLE_3) | instskip(NEXT) | instid1(SALU_CYCLE_1)
	s_mul_u64 s[28:29], s[24:25], s[14:15]
	s_mul_hi_u32 s35, s14, s29
	s_mul_i32 s34, s14, s29
	s_mul_hi_u32 s26, s14, s28
	s_mul_i32 s30, s15, s28
	s_add_nc_u64 s[26:27], s[26:27], s[34:35]
	s_mul_hi_u32 s9, s15, s28
	s_mul_hi_u32 s33, s15, s29
	s_add_co_u32 s26, s26, s30
	s_wait_alu 0xfffe
	s_add_co_ci_u32 s30, s27, s9
	s_mul_i32 s28, s15, s29
	s_add_co_ci_u32 s29, s33, 0
	s_delay_alu instid0(SALU_CYCLE_1)
	s_add_nc_u64 s[26:27], s[30:31], s[28:29]
	s_mov_b32 s29, s8
	s_add_co_u32 s14, s14, s26
	s_cselect_b32 s9, -1, 0
	s_wait_alu 0xfffe
	s_cmp_lg_u32 s9, 0
	s_add_co_ci_u32 s15, s15, s27
	s_mov_b32 s27, s8
	s_mul_u64 s[24:25], s[24:25], s[14:15]
	s_delay_alu instid0(SALU_CYCLE_1)
	s_mul_hi_u32 s31, s14, s25
	s_mul_i32 s30, s14, s25
	s_mul_hi_u32 s26, s14, s24
	s_mul_i32 s28, s15, s24
	s_add_nc_u64 s[26:27], s[26:27], s[30:31]
	s_mul_hi_u32 s9, s15, s24
	s_mul_hi_u32 s33, s15, s25
	s_mul_i32 s24, s15, s25
	s_add_co_u32 s25, s26, s28
	s_wait_alu 0xfffe
	s_add_co_ci_u32 s28, s27, s9
	s_add_co_ci_u32 s25, s33, 0
	s_mov_b32 s27, s8
	s_add_nc_u64 s[24:25], s[28:29], s[24:25]
	s_delay_alu instid0(SALU_CYCLE_1)
	s_add_co_u32 s9, s14, s24
	s_cselect_b32 s14, -1, 0
	s_wait_alu 0xfffe
	s_mul_hi_u32 s26, s2, s9
	s_cmp_lg_u32 s14, 0
	s_mul_hi_u32 s28, s3, s9
	s_add_co_ci_u32 s24, s15, s25
	s_mul_i32 s9, s3, s9
	s_mul_hi_u32 s15, s2, s24
	s_mul_i32 s14, s2, s24
	s_mul_hi_u32 s25, s3, s24
	s_add_nc_u64 s[14:15], s[26:27], s[14:15]
	s_mul_i32 s24, s3, s24
	s_wait_alu 0xfffe
	s_add_co_u32 s9, s14, s9
	s_add_co_ci_u32 s28, s15, s28
	s_add_co_ci_u32 s25, s25, 0
	s_delay_alu instid0(SALU_CYCLE_1) | instskip(NEXT) | instid1(SALU_CYCLE_1)
	s_add_nc_u64 s[14:15], s[28:29], s[24:25]
	s_mul_u64 s[24:25], s[20:21], s[14:15]
	s_delay_alu instid0(SALU_CYCLE_1)
	s_sub_co_u32 s9, s2, s24
	s_cselect_b32 s24, -1, 0
	s_sub_co_i32 s26, s3, s25
	s_cmp_lg_u32 s24, 0
	s_sub_co_ci_u32 s26, s26, s21
	s_wait_alu 0xfffe
	s_sub_co_u32 s27, s9, s20
	s_cselect_b32 s28, -1, 0
	s_delay_alu instid0(SALU_CYCLE_1) | instskip(SKIP_1) | instid1(SALU_CYCLE_1)
	s_cmp_lg_u32 s28, 0
	s_sub_co_ci_u32 s26, s26, 0
	s_cmp_ge_u32 s26, s21
	s_cselect_b32 s28, -1, 0
	s_cmp_ge_u32 s27, s20
	s_cselect_b32 s29, -1, 0
	s_cmp_eq_u32 s26, s21
	s_add_nc_u64 s[26:27], s[14:15], 1
	s_cselect_b32 s30, s29, s28
	s_add_nc_u64 s[28:29], s[14:15], 2
	s_cmp_lg_u32 s30, 0
	s_cselect_b32 s26, s28, s26
	s_cselect_b32 s27, s29, s27
	s_cmp_lg_u32 s24, 0
	s_sub_co_ci_u32 s24, s3, s25
	s_delay_alu instid0(SALU_CYCLE_1)
	s_cmp_ge_u32 s24, s21
	s_cselect_b32 s25, -1, 0
	s_cmp_ge_u32 s9, s20
	s_cselect_b32 s9, -1, 0
	s_cmp_eq_u32 s24, s21
	s_wait_alu 0xfffe
	s_cselect_b32 s9, s9, s25
	s_wait_alu 0xfffe
	s_cmp_lg_u32 s9, 0
	s_mov_b32 s9, 0
	s_cselect_b32 s15, s27, s15
	s_cselect_b32 s14, s26, s14
.LBB116_13:                             ;   in Loop: Header=BB116_11 Depth=1
	s_wait_alu 0xfffe
	s_and_not1_b32 vcc_lo, exec_lo, s9
	s_cbranch_vccnz .LBB116_15
; %bb.14:                               ;   in Loop: Header=BB116_11 Depth=1
	v_cvt_f32_u32_e32 v1, s20
	s_sub_co_i32 s14, 0, s20
	s_delay_alu instid0(VALU_DEP_1) | instskip(NEXT) | instid1(TRANS32_DEP_1)
	v_rcp_iflag_f32_e32 v1, v1
	v_mul_f32_e32 v1, 0x4f7ffffe, v1
	s_delay_alu instid0(VALU_DEP_1) | instskip(NEXT) | instid1(VALU_DEP_1)
	v_cvt_u32_f32_e32 v1, v1
	v_readfirstlane_b32 s9, v1
	s_mul_i32 s14, s14, s9
	s_delay_alu instid0(SALU_CYCLE_1) | instskip(NEXT) | instid1(SALU_CYCLE_1)
	s_mul_hi_u32 s14, s9, s14
	s_add_co_i32 s9, s9, s14
	s_wait_alu 0xfffe
	s_mul_hi_u32 s9, s2, s9
	s_wait_alu 0xfffe
	s_mul_i32 s14, s9, s20
	s_add_co_i32 s15, s9, 1
	s_sub_co_i32 s14, s2, s14
	s_delay_alu instid0(SALU_CYCLE_1)
	s_sub_co_i32 s24, s14, s20
	s_cmp_ge_u32 s14, s20
	s_cselect_b32 s9, s15, s9
	s_cselect_b32 s14, s24, s14
	s_wait_alu 0xfffe
	s_add_co_i32 s15, s9, 1
	s_cmp_ge_u32 s14, s20
	s_cselect_b32 s14, s15, s9
	s_mov_b32 s15, s8
.LBB116_15:                             ;   in Loop: Header=BB116_11 Depth=1
	s_load_b64 s[24:25], s[18:19], 0xc8
	s_mul_u64 s[20:21], s[14:15], s[20:21]
	s_add_co_i32 s11, s11, -1
	s_wait_alu 0xfffe
	s_sub_nc_u64 s[2:3], s[2:3], s[20:21]
	s_cmp_gt_u32 s11, 2
	s_add_nc_u64 s[18:19], s[18:19], -8
	s_wait_kmcnt 0x0
	s_wait_alu 0xfffe
	s_mul_u64 s[2:3], s[24:25], s[2:3]
	s_wait_alu 0xfffe
	s_add_nc_u64 s[12:13], s[2:3], s[12:13]
	s_cbranch_scc0 .LBB116_18
; %bb.16:                               ;   in Loop: Header=BB116_11 Depth=1
	s_mov_b64 s[2:3], s[14:15]
	s_branch .LBB116_11
.LBB116_17:
	s_mov_b64 s[14:15], s[2:3]
.LBB116_18:
	s_clause 0x2
	s_load_b64 s[2:3], s[0:1], 0xd0
	s_load_b32 s8, s[0:1], 0x360
	s_load_b64 s[18:19], s[0:1], 0x0
	s_movk_i32 s11, 0x8000
	s_mov_b32 s9, 0xff80
	s_wait_kmcnt 0x0
	s_mul_u64 s[6:7], s[2:3], s[6:7]
	s_bitcmp1_b32 s8, 0
	s_movk_i32 s8, 0x80
	s_cselect_b32 s26, -1, 0
	s_wait_alu 0xfffe
	s_add_nc_u64 s[6:7], s[18:19], s[6:7]
	s_and_b32 s20, s26, exec_lo
	s_cselect_b32 s8, s8, 0x7f
	s_cselect_b32 s11, s11, 0x7f00
	;; [unrolled: 1-line block ×3, first 2 shown]
	s_wait_alu 0xfffe
	s_or_b32 s8, s8, s11
	v_mov_b32_e32 v3, s20
	s_wait_alu 0xfffe
	s_and_b32 s9, s8, 0xffff
	s_lshl_b32 s8, s8, 16
	s_add_nc_u64 s[18:19], s[6:7], s[4:5]
	s_wait_alu 0xfffe
	s_or_b32 s8, s9, s8
	s_wait_alu 0xfffe
	s_mov_b32 s9, s8
	v_and_b32_e32 v41, 0x3ff, v0
	s_wait_alu 0xfffe
	v_dual_mov_b32 v1, s8 :: v_dual_mov_b32 v2, s9
	s_delay_alu instid0(VALU_DEP_2)
	v_cmp_gt_u32_e64 s2, s10, v41
	s_and_saveexec_b32 s3, s2
	s_cbranch_execz .LBB116_20
; %bb.19:
	v_mad_co_u64_u32 v[1:2], null, s16, v41, s[18:19]
	s_delay_alu instid0(VALU_DEP_1)
	v_mad_co_u64_u32 v[2:3], null, s17, v41, v[2:3]
	global_load_u8 v3, v[1:2], off
	v_mov_b32_e32 v2, s8
	s_wait_loadcnt 0x0
	v_perm_b32 v1, v3, s8, 0x3020104
.LBB116_20:
	s_wait_alu 0xfffe
	s_or_b32 exec_lo, exec_lo, s3
	v_add_nc_u32_e32 v24, 0x100, v41
	s_delay_alu instid0(VALU_DEP_1)
	v_cmp_gt_u32_e64 s3, s10, v24
	s_and_saveexec_b32 s4, s3
	s_cbranch_execz .LBB116_22
; %bb.21:
	v_mad_co_u64_u32 v[4:5], null, s16, v24, s[18:19]
	s_delay_alu instid0(VALU_DEP_1)
	v_mad_co_u64_u32 v[5:6], null, s17, v24, v[5:6]
	global_load_u8 v4, v[4:5], off
	s_wait_loadcnt 0x0
	v_perm_b32 v1, v1, v4, 0x7060004
.LBB116_22:
	s_or_b32 exec_lo, exec_lo, s4
	v_add_nc_u32_e32 v22, 0x200, v41
	s_delay_alu instid0(VALU_DEP_1)
	v_cmp_gt_u32_e64 s4, s10, v22
	s_and_saveexec_b32 s5, s4
	s_cbranch_execz .LBB116_24
; %bb.23:
	v_mad_co_u64_u32 v[4:5], null, s16, v22, s[18:19]
	s_delay_alu instid0(VALU_DEP_1) | instskip(SKIP_3) | instid1(VALU_DEP_1)
	v_mad_co_u64_u32 v[5:6], null, s17, v22, v[5:6]
	global_load_u8 v4, v[4:5], off
	s_wait_loadcnt 0x0
	v_perm_b32 v4, v4, v1, 0xc0c0304
	v_lshlrev_b32_e32 v4, 16, v4
	s_delay_alu instid0(VALU_DEP_1)
	v_and_or_b32 v1, 0xffff, v1, v4
.LBB116_24:
	s_or_b32 exec_lo, exec_lo, s5
	v_add_nc_u32_e32 v21, 0x300, v41
	s_delay_alu instid0(VALU_DEP_1)
	v_cmp_gt_u32_e64 s5, s10, v21
	s_and_saveexec_b32 s6, s5
	s_cbranch_execz .LBB116_26
; %bb.25:
	v_mad_co_u64_u32 v[4:5], null, s16, v21, s[18:19]
	s_delay_alu instid0(VALU_DEP_1) | instskip(SKIP_3) | instid1(VALU_DEP_1)
	v_mad_co_u64_u32 v[5:6], null, s17, v21, v[5:6]
	global_load_u8 v4, v[4:5], off
	s_wait_loadcnt 0x0
	v_perm_b32 v4, v1, v4, 0xc0c0006
	v_lshlrev_b32_e32 v4, 16, v4
	s_delay_alu instid0(VALU_DEP_1)
	v_and_or_b32 v1, 0xffff, v1, v4
.LBB116_26:
	s_wait_alu 0xfffe
	s_or_b32 exec_lo, exec_lo, s6
	v_or_b32_e32 v20, 0x400, v41
	s_delay_alu instid0(VALU_DEP_1)
	v_cmp_gt_u32_e64 s6, s10, v20
	s_and_saveexec_b32 s7, s6
	s_cbranch_execz .LBB116_28
; %bb.27:
	v_mad_co_u64_u32 v[4:5], null, s16, v20, s[18:19]
	s_delay_alu instid0(VALU_DEP_1)
	v_mad_co_u64_u32 v[5:6], null, s17, v20, v[5:6]
	global_load_u8 v4, v[4:5], off
	s_wait_loadcnt 0x0
	v_perm_b32 v2, v4, v2, 0x3020104
.LBB116_28:
	s_wait_alu 0xfffe
	s_or_b32 exec_lo, exec_lo, s7
	v_add_nc_u32_e32 v19, 0x500, v41
	s_delay_alu instid0(VALU_DEP_1)
	v_cmp_gt_u32_e64 s7, s10, v19
	s_and_saveexec_b32 s8, s7
	s_cbranch_execz .LBB116_30
; %bb.29:
	v_mad_co_u64_u32 v[4:5], null, s16, v19, s[18:19]
	s_delay_alu instid0(VALU_DEP_1)
	v_mad_co_u64_u32 v[5:6], null, s17, v19, v[5:6]
	global_load_u8 v4, v[4:5], off
	s_wait_loadcnt 0x0
	v_perm_b32 v2, v2, v4, 0x7060004
.LBB116_30:
	s_wait_alu 0xfffe
	s_or_b32 exec_lo, exec_lo, s8
	v_add_nc_u32_e32 v18, 0x600, v41
	s_delay_alu instid0(VALU_DEP_1)
	v_cmp_gt_u32_e64 s8, s10, v18
	s_and_saveexec_b32 s9, s8
	s_cbranch_execz .LBB116_32
; %bb.31:
	v_mad_co_u64_u32 v[4:5], null, s16, v18, s[18:19]
	s_delay_alu instid0(VALU_DEP_1)
	v_mad_co_u64_u32 v[5:6], null, s17, v18, v[5:6]
	global_load_u8 v4, v[4:5], off
	s_wait_loadcnt 0x0
	v_perm_b32 v2, v2, v4, 0x7000504
.LBB116_32:
	s_wait_alu 0xfffe
	s_or_b32 exec_lo, exec_lo, s9
	s_clause 0x1
	s_load_b64 s[24:25], s[0:1], 0x288
	s_load_b64 s[20:21], s[0:1], 0x1b8
	v_add_nc_u32_e32 v17, 0x700, v41
	s_delay_alu instid0(VALU_DEP_1)
	v_cmp_gt_u32_e64 s9, s10, v17
	s_and_saveexec_b32 s10, s9
	s_cbranch_execz .LBB116_34
; %bb.33:
	v_mad_co_u64_u32 v[4:5], null, s16, v17, s[18:19]
	s_delay_alu instid0(VALU_DEP_1)
	v_mad_co_u64_u32 v[5:6], null, s17, v17, v[5:6]
	global_load_u8 v4, v[4:5], off
	s_wait_loadcnt 0x0
	v_perm_b32 v2, v2, v4, 0x60504
.LBB116_34:
	s_wait_alu 0xfffe
	s_or_b32 exec_lo, exec_lo, s10
	v_lshrrev_b32_e32 v63, 5, v41
	v_lshrrev_b32_e32 v25, 5, v22
	;; [unrolled: 1-line block ×5, first 2 shown]
	v_and_b32_e32 v4, 28, v63
	v_lshrrev_b32_e32 v29, 5, v18
	v_and_b32_e32 v7, 60, v26
	v_lshrrev_b32_e32 v28, 5, v19
	v_lshrrev_b32_e32 v30, 5, v17
	v_add_nc_u32_e32 v44, v4, v41
	v_and_b32_e32 v4, 60, v25
	v_and_b32_e32 v5, 60, v23
	v_add_nc_u32_e32 v48, v7, v41
	v_and_b32_e32 v7, 0x7c, v29
	v_and_b32_e32 v9, 0x7c, v30
	v_add_nc_u32_e32 v46, v4, v41
	v_and_b32_e32 v4, 60, v27
	v_lshrrev_b32_e32 v31, 2, v41
	v_lshrrev_b32_e32 v6, 8, v1
	v_add_nc_u32_e32 v45, v5, v41
	v_lshrrev_b32_e32 v5, 24, v1
	v_add_nc_u32_e32 v47, v4, v41
	v_and_b32_e32 v4, 0x7c, v28
	v_dual_mov_b32 v11, 0 :: v_dual_add_nc_u32 v50, v7, v41
	v_lshrrev_b32_e32 v8, 8, v2
	v_add_nc_u32_e32 v51, v9, v41
	s_delay_alu instid0(VALU_DEP_4)
	v_add_nc_u32_e32 v49, v4, v41
	v_lshrrev_b32_e32 v4, 24, v2
	v_dual_mov_b32 v12, 0 :: v_dual_and_b32 v7, 0xfc, v31
	ds_store_b8 v44, v3
	ds_store_b8 v45, v6 offset:256
	ds_store_b8_d16_hi v46, v1 offset:512
	ds_store_b8 v47, v5 offset:768
	ds_store_b8 v48, v2 offset:1024
	;; [unrolled: 1-line block ×3, first 2 shown]
	ds_store_b8_d16_hi v50, v2 offset:1536
	ds_store_b8 v51, v4 offset:1792
	v_mov_b32_e32 v1, 0
	v_lshlrev_b32_e32 v61, 3, v41
	s_wait_kmcnt 0x0
	s_mul_u64 s[10:11], s[24:25], s[14:15]
	s_wait_dscnt 0x0
	s_wait_alu 0xfffe
	s_lshl_b64 s[14:15], s[10:11], 3
	v_mov_b32_e32 v10, v1
	v_add_nc_u32_e32 v52, v7, v61
	s_load_b64 s[10:11], s[0:1], 0x358
	s_barrier_signal -1
	s_barrier_wait -1
	global_inv scope:SCOPE_SE
	ds_load_2addr_b32 v[42:43], v52 offset1:1
	v_dual_mov_b32 v2, v1 :: v_dual_mov_b32 v13, v1
	v_dual_mov_b32 v14, v1 :: v_dual_mov_b32 v15, v1
	;; [unrolled: 1-line block ×6, first 2 shown]
	s_lshl_b64 s[12:13], s[12:13], 3
	s_add_nc_u64 s[0:1], s[20:21], s[14:15]
	s_wait_loadcnt_dscnt 0x0
	s_add_nc_u64 s[20:21], s[0:1], s[12:13]
	s_barrier_signal -1
	s_barrier_wait -1
	global_inv scope:SCOPE_SE
	s_and_saveexec_b32 s0, s2
	s_cbranch_execnz .LBB116_67
; %bb.35:
	s_or_b32 exec_lo, exec_lo, s0
	s_and_saveexec_b32 s0, s3
	s_cbranch_execnz .LBB116_68
.LBB116_36:
	s_or_b32 exec_lo, exec_lo, s0
	s_and_saveexec_b32 s0, s4
	s_cbranch_execnz .LBB116_69
.LBB116_37:
	s_or_b32 exec_lo, exec_lo, s0
	s_and_saveexec_b32 s0, s5
	s_cbranch_execnz .LBB116_70
.LBB116_38:
	s_or_b32 exec_lo, exec_lo, s0
	s_and_saveexec_b32 s0, s6
	s_cbranch_execnz .LBB116_71
.LBB116_39:
	s_or_b32 exec_lo, exec_lo, s0
	s_and_saveexec_b32 s0, s7
	s_cbranch_execnz .LBB116_72
.LBB116_40:
	s_or_b32 exec_lo, exec_lo, s0
	s_and_saveexec_b32 s0, s8
	s_cbranch_execnz .LBB116_73
.LBB116_41:
	s_or_b32 exec_lo, exec_lo, s0
	s_xor_b32 s0, s26, -1
	s_and_saveexec_b32 s1, s9
	s_cbranch_execz .LBB116_43
.LBB116_42:
	s_wait_kmcnt 0x0
	v_mad_co_u64_u32 v[9:10], null, s10, v17, 0
	s_wait_loadcnt 0x0
	s_delay_alu instid0(VALU_DEP_1) | instskip(NEXT) | instid1(VALU_DEP_1)
	v_mad_co_u64_u32 v[17:18], null, s11, v17, v[10:11]
	v_mov_b32_e32 v10, v17
	s_delay_alu instid0(VALU_DEP_1) | instskip(SKIP_1) | instid1(VALU_DEP_1)
	v_lshlrev_b64_e32 v[9:10], 3, v[9:10]
	s_wait_alu 0xfffe
	v_add_co_u32 v9, vcc_lo, s20, v9
	s_wait_alu 0xfffd
	s_delay_alu instid0(VALU_DEP_2)
	v_add_co_ci_u32_e64 v10, null, s21, v10, vcc_lo
	global_load_b64 v[9:10], v[9:10], off
.LBB116_43:
	s_or_b32 exec_lo, exec_lo, s1
	v_lshl_add_u32 v53, v63, 3, v61
	v_lshl_add_u32 v54, v23, 3, v61
	;; [unrolled: 1-line block ×5, first 2 shown]
	s_wait_loadcnt 0x0
	ds_store_b64 v53, v[11:12]
	ds_store_b64 v54, v[1:2] offset:2048
	ds_store_b64 v55, v[13:14] offset:4096
	;; [unrolled: 1-line block ×3, first 2 shown]
	v_lshlrev_b32_e32 v1, 3, v61
	v_lshl_add_u32 v58, v28, 3, v61
	v_lshl_add_u32 v59, v29, 3, v61
	;; [unrolled: 1-line block ×3, first 2 shown]
	ds_store_b64 v57, v[3:4] offset:8192
	ds_store_b64 v58, v[5:6] offset:10240
	;; [unrolled: 1-line block ×4, first 2 shown]
	v_lshl_add_u32 v62, v31, 3, v1
	s_wait_dscnt 0x0
	s_barrier_signal -1
	s_barrier_wait -1
	global_inv scope:SCOPE_SE
	ds_load_2addr_b64 v[13:16], v62 offset1:1
	ds_load_2addr_b64 v[9:12], v62 offset0:2 offset1:3
	ds_load_2addr_b64 v[5:8], v62 offset0:4 offset1:5
	;; [unrolled: 1-line block ×3, first 2 shown]
	v_mbcnt_lo_u32_b32 v65, -1, 0
	v_and_b32_e32 v66, 0x3e0, v41
	v_lshrrev_b32_e32 v72, 24, v43
	v_lshrrev_b32_e32 v73, 16, v43
	;; [unrolled: 1-line block ×3, first 2 shown]
	v_and_or_b32 v71, 0x1f00, v61, v65
	v_or_b32_e32 v17, v65, v66
	v_lshrrev_b32_e32 v75, 24, v42
	v_lshrrev_b32_e32 v76, 16, v42
	;; [unrolled: 1-line block ×3, first 2 shown]
	v_bfe_u32 v67, v0, 10, 10
	v_lshlrev_b32_e32 v70, 3, v17
	v_bfe_u32 v68, v0, 20, 10
	v_mad_u32_u24 v69, v71, 7, v71
	v_lshlrev_b32_e32 v64, 2, v61
	s_mov_b32 s12, 0
	s_and_b32 vcc_lo, exec_lo, s0
	s_mov_b32 s0, -1
	s_wait_loadcnt_dscnt 0x0
	s_barrier_signal -1
	s_barrier_wait -1
	global_inv scope:SCOPE_SE
	s_wait_alu 0xfffe
	s_cbranch_vccz .LBB116_74
; %bb.44:
	v_xor_b32_e32 v0, 0x80, v42
	v_xor_b32_e32 v17, 0x80, v77
	;; [unrolled: 1-line block ×8, first 2 shown]
	v_lshlrev_b16 v17, 8, v17
	v_lshlrev_b16 v19, 8, v19
	v_and_b32_e32 v20, 0xff, v20
	v_lshlrev_b16 v21, 8, v21
	v_and_b32_e32 v22, 0xff, v22
	v_lshlrev_b16 v23, 8, v23
	s_mov_b32 s14, s12
	s_mov_b32 s15, s12
	v_and_b32_e32 v0, 0xff, v0
	v_and_b32_e32 v18, 0xff, v18
	s_getpc_b64 s[0:1]
	s_sext_i32_i16 s1, s1
	s_add_co_u32 s0, s0, _ZN7rocprim17ROCPRIM_400000_NS16block_radix_sortIaLj256ELj8ElLj1ELj1ELj0ELNS0_26block_radix_rank_algorithmE1ELNS0_18block_padding_hintE2ELNS0_4arch9wavefront6targetE0EE19radix_bits_per_passE@rel32@lo+8
	s_add_co_ci_u32 s1, s1, _ZN7rocprim17ROCPRIM_400000_NS16block_radix_sortIaLj256ELj8ElLj1ELj1ELj0ELNS0_26block_radix_rank_algorithmE1ELNS0_18block_padding_hintE2ELNS0_4arch9wavefront6targetE0EE19radix_bits_per_passE@rel32@hi+16
	s_load_b32 s0, s[0:1], 0x0
	v_or_b32_e32 v0, v0, v17
	v_or_b32_e32 v17, v18, v19
	v_or_b32_e32 v18, v20, v21
	v_or_b32_e32 v19, v22, v23
	s_delay_alu instid0(VALU_DEP_4) | instskip(NEXT) | instid1(VALU_DEP_4)
	v_and_b32_e32 v0, 0xffff, v0
	v_lshlrev_b32_e32 v17, 16, v17
	s_delay_alu instid0(VALU_DEP_4) | instskip(NEXT) | instid1(VALU_DEP_4)
	v_and_b32_e32 v18, 0xffff, v18
	v_lshlrev_b32_e32 v19, 16, v19
	s_delay_alu instid0(VALU_DEP_3) | instskip(NEXT) | instid1(VALU_DEP_2)
	v_or_b32_e32 v17, v0, v17
	v_or_b32_e32 v18, v18, v19
	ds_store_b64 v70, v[17:18]
	; wave barrier
	ds_load_u8 v0, v71
	ds_load_u8 v78, v71 offset:32
	ds_load_u8 v79, v71 offset:64
	;; [unrolled: 1-line block ×7, first 2 shown]
	s_wait_kmcnt 0x0
	s_min_u32 s0, s0, 8
	v_lshlrev_b32_e32 v17, 3, v70
	s_lshl_b32 s0, -1, s0
	s_wait_loadcnt_dscnt 0x0
	s_not_b32 s1, s0
	s_barrier_signal -1
	s_barrier_wait -1
	global_inv scope:SCOPE_SE
	ds_store_b128 v17, v[13:16]
	ds_store_b128 v17, v[9:12] offset:16
	ds_store_b128 v17, v[5:8] offset:32
	;; [unrolled: 1-line block ×3, first 2 shown]
	; wave barrier
	ds_load_2addr_b64 v[21:24], v69 offset1:32
	ds_load_2addr_b64 v[17:20], v69 offset0:64 offset1:96
	v_and_b32_e32 v39, s1, v0
	ds_load_2addr_b64 v[29:32], v69 offset0:192 offset1:224
	v_and_b32_e32 v25, 1, v39
	v_lshlrev_b32_e32 v35, 30, v39
	v_lshlrev_b32_e32 v36, 29, v39
	;; [unrolled: 1-line block ×3, first 2 shown]
	s_delay_alu instid0(VALU_DEP_4)
	v_add_co_u32 v33, s0, v25, -1
	s_wait_alu 0xf1ff
	v_cndmask_b32_e64 v34, 0, 1, s0
	ds_load_2addr_b64 v[25:28], v69 offset0:128 offset1:160
	s_wait_loadcnt_dscnt 0x0
	s_barrier_signal -1
	s_barrier_wait -1
	v_cmp_ne_u32_e32 vcc_lo, 0, v34
	v_not_b32_e32 v34, v35
	global_inv scope:SCOPE_SE
	s_load_b32 s0, s[22:23], 0xc
	v_xor_b32_e32 v33, vcc_lo, v33
	v_cmp_gt_i32_e32 vcc_lo, 0, v35
	v_ashrrev_i32_e32 v34, 31, v34
	v_not_b32_e32 v35, v36
	s_delay_alu instid0(VALU_DEP_4) | instskip(SKIP_1) | instid1(VALU_DEP_3)
	v_and_b32_e32 v33, exec_lo, v33
	s_wait_alu 0xfffd
	v_xor_b32_e32 v34, vcc_lo, v34
	v_cmp_gt_i32_e32 vcc_lo, 0, v36
	v_ashrrev_i32_e32 v35, 31, v35
	v_not_b32_e32 v36, v37
	s_delay_alu instid0(VALU_DEP_4)
	v_and_b32_e32 v33, v33, v34
	v_lshlrev_b32_e32 v34, 27, v39
	s_wait_alu 0xfffd
	v_xor_b32_e32 v35, vcc_lo, v35
	v_cmp_gt_i32_e32 vcc_lo, 0, v37
	v_ashrrev_i32_e32 v36, 31, v36
	v_not_b32_e32 v37, v34
	s_delay_alu instid0(VALU_DEP_4)
	v_and_b32_e32 v33, v33, v35
	v_lshlrev_b32_e32 v35, 26, v39
	s_wait_alu 0xfffd
	v_xor_b32_e32 v36, vcc_lo, v36
	v_cmp_gt_i32_e32 vcc_lo, 0, v34
	v_ashrrev_i32_e32 v34, 31, v37
	s_wait_kmcnt 0x0
	s_lshr_b32 s13, s0, 16
	v_not_b32_e32 v37, v35
	v_and_b32_e32 v33, v33, v36
	v_lshlrev_b32_e32 v36, 25, v39
	s_wait_alu 0xfffd
	v_xor_b32_e32 v34, vcc_lo, v34
	v_cmp_gt_i32_e32 vcc_lo, 0, v35
	v_ashrrev_i32_e32 v35, 31, v37
	v_mad_u32_u24 v38, v68, s13, v67
	v_not_b32_e32 v37, v36
	v_and_b32_e32 v33, v33, v34
	v_lshlrev_b32_e32 v34, 24, v39
	s_wait_alu 0xfffd
	v_xor_b32_e32 v35, vcc_lo, v35
	v_cmp_gt_i32_e32 vcc_lo, 0, v36
	v_ashrrev_i32_e32 v36, 31, v37
	s_and_b32 s0, s0, 0xffff
	v_not_b32_e32 v37, v34
	v_and_b32_e32 v35, v33, v35
	s_mov_b32 s13, s12
	s_wait_alu 0xfffd
	v_xor_b32_e32 v36, vcc_lo, v36
	v_cmp_gt_i32_e32 vcc_lo, 0, v34
	v_ashrrev_i32_e32 v37, 31, v37
	s_wait_alu 0xfffe
	v_mad_co_u64_u32 v[33:34], null, v38, s0, v[41:42]
	v_and_b32_e32 v34, v35, v36
	v_and_b32_e32 v39, 0xff, v39
	s_wait_alu 0xfffd
	v_xor_b32_e32 v40, vcc_lo, v37
	v_dual_mov_b32 v38, s15 :: v_dual_mov_b32 v37, s14
	v_dual_mov_b32 v36, s13 :: v_dual_mov_b32 v35, s12
	s_delay_alu instid0(VALU_DEP_3)
	v_and_b32_e32 v34, v34, v40
	v_lshrrev_b32_e32 v33, 3, v33
	ds_store_b128 v64, v[35:38] offset:32
	ds_store_b128 v64, v[35:38] offset:48
	v_mbcnt_lo_u32_b32 v85, v34, 0
	v_and_b32_e32 v33, 0x1ffffffc, v33
	v_lshlrev_b32_e32 v35, 5, v39
	v_cmp_ne_u32_e64 s0, 0, v34
	s_wait_loadcnt_dscnt 0x0
	v_cmp_eq_u32_e32 vcc_lo, 0, v85
	s_barrier_signal -1
	v_add_nc_u32_e32 v86, v33, v35
	s_barrier_wait -1
	global_inv scope:SCOPE_SE
	s_and_b32 s12, s0, vcc_lo
	; wave barrier
	s_wait_alu 0xfffe
	s_and_saveexec_b32 s0, s12
; %bb.45:
	v_bcnt_u32_b32 v34, v34, 0
	ds_store_b32 v86, v34 offset:32
; %bb.46:
	s_wait_alu 0xfffe
	s_or_b32 exec_lo, exec_lo, s0
	v_and_b32_e32 v34, s1, v78
	; wave barrier
	s_delay_alu instid0(VALU_DEP_1)
	v_and_b32_e32 v36, 1, v34
	v_lshlrev_b32_e32 v37, 30, v34
	v_lshlrev_b32_e32 v38, 29, v34
	;; [unrolled: 1-line block ×4, first 2 shown]
	v_add_co_u32 v36, s0, v36, -1
	s_wait_alu 0xf1ff
	v_cndmask_b32_e64 v40, 0, 1, s0
	v_not_b32_e32 v90, v37
	v_cmp_gt_i32_e64 s0, 0, v37
	v_not_b32_e32 v37, v38
	v_lshlrev_b32_e32 v88, 26, v34
	v_cmp_ne_u32_e32 vcc_lo, 0, v40
	v_ashrrev_i32_e32 v40, 31, v90
	v_lshlrev_b32_e32 v89, 25, v34
	v_ashrrev_i32_e32 v37, 31, v37
	v_and_b32_e32 v35, 0xff, v34
	s_wait_alu 0xfffd
	v_xor_b32_e32 v36, vcc_lo, v36
	v_cmp_gt_i32_e32 vcc_lo, 0, v38
	v_not_b32_e32 v38, v39
	s_wait_alu 0xf1ff
	v_xor_b32_e32 v40, s0, v40
	v_cmp_gt_i32_e64 s0, 0, v39
	v_and_b32_e32 v36, exec_lo, v36
	v_not_b32_e32 v39, v87
	v_ashrrev_i32_e32 v38, 31, v38
	s_wait_alu 0xfffd
	v_xor_b32_e32 v37, vcc_lo, v37
	v_cmp_gt_i32_e32 vcc_lo, 0, v87
	v_and_b32_e32 v36, v36, v40
	v_not_b32_e32 v40, v88
	v_ashrrev_i32_e32 v39, 31, v39
	s_wait_alu 0xf1ff
	v_xor_b32_e32 v38, s0, v38
	v_lshlrev_b32_e32 v34, 24, v34
	v_and_b32_e32 v36, v36, v37
	v_cmp_gt_i32_e64 s0, 0, v88
	v_not_b32_e32 v37, v89
	v_ashrrev_i32_e32 v40, 31, v40
	s_wait_alu 0xfffd
	v_xor_b32_e32 v39, vcc_lo, v39
	v_and_b32_e32 v36, v36, v38
	v_cmp_gt_i32_e32 vcc_lo, 0, v89
	v_not_b32_e32 v38, v34
	v_ashrrev_i32_e32 v37, 31, v37
	s_wait_alu 0xf1ff
	v_xor_b32_e32 v40, s0, v40
	v_and_b32_e32 v36, v36, v39
	v_lshlrev_b32_e32 v35, 5, v35
	v_cmp_gt_i32_e64 s0, 0, v34
	v_ashrrev_i32_e32 v34, 31, v38
	s_wait_alu 0xfffd
	v_xor_b32_e32 v37, vcc_lo, v37
	v_and_b32_e32 v36, v36, v40
	v_add_nc_u32_e32 v89, v33, v35
	s_wait_alu 0xf1ff
	v_xor_b32_e32 v34, s0, v34
	s_delay_alu instid0(VALU_DEP_3) | instskip(SKIP_2) | instid1(VALU_DEP_1)
	v_and_b32_e32 v35, v36, v37
	ds_load_b32 v87, v89 offset:32
	; wave barrier
	v_and_b32_e32 v34, v35, v34
	v_mbcnt_lo_u32_b32 v88, v34, 0
	v_cmp_ne_u32_e64 s0, 0, v34
	s_delay_alu instid0(VALU_DEP_2)
	v_cmp_eq_u32_e32 vcc_lo, 0, v88
	s_and_b32 s12, s0, vcc_lo
	s_wait_alu 0xfffe
	s_and_saveexec_b32 s0, s12
	s_cbranch_execz .LBB116_48
; %bb.47:
	s_wait_dscnt 0x0
	v_bcnt_u32_b32 v34, v34, v87
	ds_store_b32 v89, v34 offset:32
.LBB116_48:
	s_wait_alu 0xfffe
	s_or_b32 exec_lo, exec_lo, s0
	v_and_b32_e32 v34, s1, v79
	; wave barrier
	s_delay_alu instid0(VALU_DEP_1)
	v_and_b32_e32 v36, 1, v34
	v_lshlrev_b32_e32 v37, 30, v34
	v_lshlrev_b32_e32 v38, 29, v34
	;; [unrolled: 1-line block ×4, first 2 shown]
	v_add_co_u32 v36, s0, v36, -1
	s_wait_alu 0xf1ff
	v_cndmask_b32_e64 v40, 0, 1, s0
	v_not_b32_e32 v93, v37
	v_cmp_gt_i32_e64 s0, 0, v37
	v_not_b32_e32 v37, v38
	v_lshlrev_b32_e32 v91, 26, v34
	v_cmp_ne_u32_e32 vcc_lo, 0, v40
	v_ashrrev_i32_e32 v40, 31, v93
	v_lshlrev_b32_e32 v92, 25, v34
	v_ashrrev_i32_e32 v37, 31, v37
	v_and_b32_e32 v35, 0xff, v34
	s_wait_alu 0xfffd
	v_xor_b32_e32 v36, vcc_lo, v36
	v_cmp_gt_i32_e32 vcc_lo, 0, v38
	v_not_b32_e32 v38, v39
	s_wait_alu 0xf1ff
	v_xor_b32_e32 v40, s0, v40
	v_cmp_gt_i32_e64 s0, 0, v39
	v_and_b32_e32 v36, exec_lo, v36
	v_not_b32_e32 v39, v90
	v_ashrrev_i32_e32 v38, 31, v38
	s_wait_alu 0xfffd
	v_xor_b32_e32 v37, vcc_lo, v37
	v_cmp_gt_i32_e32 vcc_lo, 0, v90
	v_and_b32_e32 v36, v36, v40
	v_not_b32_e32 v40, v91
	v_ashrrev_i32_e32 v39, 31, v39
	s_wait_alu 0xf1ff
	v_xor_b32_e32 v38, s0, v38
	v_lshlrev_b32_e32 v34, 24, v34
	v_and_b32_e32 v36, v36, v37
	v_cmp_gt_i32_e64 s0, 0, v91
	v_not_b32_e32 v37, v92
	v_ashrrev_i32_e32 v40, 31, v40
	s_wait_alu 0xfffd
	v_xor_b32_e32 v39, vcc_lo, v39
	v_and_b32_e32 v36, v36, v38
	v_cmp_gt_i32_e32 vcc_lo, 0, v92
	v_not_b32_e32 v38, v34
	v_ashrrev_i32_e32 v37, 31, v37
	s_wait_alu 0xf1ff
	v_xor_b32_e32 v40, s0, v40
	v_and_b32_e32 v36, v36, v39
	v_lshlrev_b32_e32 v35, 5, v35
	v_cmp_gt_i32_e64 s0, 0, v34
	v_ashrrev_i32_e32 v34, 31, v38
	s_wait_alu 0xfffd
	v_xor_b32_e32 v37, vcc_lo, v37
	v_and_b32_e32 v36, v36, v40
	v_add_nc_u32_e32 v92, v33, v35
	s_wait_alu 0xf1ff
	v_xor_b32_e32 v34, s0, v34
	s_delay_alu instid0(VALU_DEP_3) | instskip(SKIP_2) | instid1(VALU_DEP_1)
	v_and_b32_e32 v35, v36, v37
	ds_load_b32 v90, v92 offset:32
	; wave barrier
	v_and_b32_e32 v34, v35, v34
	v_mbcnt_lo_u32_b32 v91, v34, 0
	v_cmp_ne_u32_e64 s0, 0, v34
	s_delay_alu instid0(VALU_DEP_2)
	v_cmp_eq_u32_e32 vcc_lo, 0, v91
	s_and_b32 s12, s0, vcc_lo
	s_wait_alu 0xfffe
	s_and_saveexec_b32 s0, s12
	s_cbranch_execz .LBB116_50
; %bb.49:
	s_wait_dscnt 0x0
	v_bcnt_u32_b32 v34, v34, v90
	ds_store_b32 v92, v34 offset:32
.LBB116_50:
	s_wait_alu 0xfffe
	s_or_b32 exec_lo, exec_lo, s0
	v_and_b32_e32 v34, s1, v80
	; wave barrier
	s_delay_alu instid0(VALU_DEP_1)
	v_and_b32_e32 v36, 1, v34
	v_lshlrev_b32_e32 v37, 30, v34
	v_lshlrev_b32_e32 v38, 29, v34
	;; [unrolled: 1-line block ×4, first 2 shown]
	v_add_co_u32 v36, s0, v36, -1
	s_wait_alu 0xf1ff
	v_cndmask_b32_e64 v40, 0, 1, s0
	v_not_b32_e32 v96, v37
	v_cmp_gt_i32_e64 s0, 0, v37
	v_not_b32_e32 v37, v38
	v_lshlrev_b32_e32 v94, 26, v34
	v_cmp_ne_u32_e32 vcc_lo, 0, v40
	v_ashrrev_i32_e32 v40, 31, v96
	v_lshlrev_b32_e32 v95, 25, v34
	v_ashrrev_i32_e32 v37, 31, v37
	v_and_b32_e32 v35, 0xff, v34
	s_wait_alu 0xfffd
	v_xor_b32_e32 v36, vcc_lo, v36
	v_cmp_gt_i32_e32 vcc_lo, 0, v38
	v_not_b32_e32 v38, v39
	s_wait_alu 0xf1ff
	v_xor_b32_e32 v40, s0, v40
	v_cmp_gt_i32_e64 s0, 0, v39
	v_and_b32_e32 v36, exec_lo, v36
	v_not_b32_e32 v39, v93
	v_ashrrev_i32_e32 v38, 31, v38
	s_wait_alu 0xfffd
	v_xor_b32_e32 v37, vcc_lo, v37
	v_cmp_gt_i32_e32 vcc_lo, 0, v93
	v_and_b32_e32 v36, v36, v40
	v_not_b32_e32 v40, v94
	v_ashrrev_i32_e32 v39, 31, v39
	s_wait_alu 0xf1ff
	v_xor_b32_e32 v38, s0, v38
	v_lshlrev_b32_e32 v34, 24, v34
	v_and_b32_e32 v36, v36, v37
	v_cmp_gt_i32_e64 s0, 0, v94
	v_not_b32_e32 v37, v95
	v_ashrrev_i32_e32 v40, 31, v40
	s_wait_alu 0xfffd
	v_xor_b32_e32 v39, vcc_lo, v39
	v_and_b32_e32 v36, v36, v38
	v_cmp_gt_i32_e32 vcc_lo, 0, v95
	v_not_b32_e32 v38, v34
	v_ashrrev_i32_e32 v37, 31, v37
	s_wait_alu 0xf1ff
	v_xor_b32_e32 v40, s0, v40
	v_and_b32_e32 v36, v36, v39
	v_lshlrev_b32_e32 v35, 5, v35
	v_cmp_gt_i32_e64 s0, 0, v34
	v_ashrrev_i32_e32 v34, 31, v38
	s_wait_alu 0xfffd
	v_xor_b32_e32 v37, vcc_lo, v37
	v_and_b32_e32 v36, v36, v40
	v_add_nc_u32_e32 v95, v33, v35
	s_wait_alu 0xf1ff
	v_xor_b32_e32 v34, s0, v34
	s_delay_alu instid0(VALU_DEP_3) | instskip(SKIP_2) | instid1(VALU_DEP_1)
	v_and_b32_e32 v35, v36, v37
	ds_load_b32 v93, v95 offset:32
	; wave barrier
	v_and_b32_e32 v34, v35, v34
	v_mbcnt_lo_u32_b32 v94, v34, 0
	v_cmp_ne_u32_e64 s0, 0, v34
	s_delay_alu instid0(VALU_DEP_2)
	v_cmp_eq_u32_e32 vcc_lo, 0, v94
	s_and_b32 s12, s0, vcc_lo
	s_wait_alu 0xfffe
	s_and_saveexec_b32 s0, s12
	s_cbranch_execz .LBB116_52
; %bb.51:
	s_wait_dscnt 0x0
	v_bcnt_u32_b32 v34, v34, v93
	ds_store_b32 v95, v34 offset:32
.LBB116_52:
	s_wait_alu 0xfffe
	s_or_b32 exec_lo, exec_lo, s0
	v_and_b32_e32 v34, s1, v81
	; wave barrier
	s_delay_alu instid0(VALU_DEP_1)
	v_and_b32_e32 v36, 1, v34
	v_lshlrev_b32_e32 v37, 30, v34
	v_lshlrev_b32_e32 v38, 29, v34
	;; [unrolled: 1-line block ×4, first 2 shown]
	v_add_co_u32 v36, s0, v36, -1
	s_wait_alu 0xf1ff
	v_cndmask_b32_e64 v40, 0, 1, s0
	v_not_b32_e32 v99, v37
	v_cmp_gt_i32_e64 s0, 0, v37
	v_not_b32_e32 v37, v38
	v_lshlrev_b32_e32 v97, 26, v34
	v_cmp_ne_u32_e32 vcc_lo, 0, v40
	v_ashrrev_i32_e32 v40, 31, v99
	v_lshlrev_b32_e32 v98, 25, v34
	v_ashrrev_i32_e32 v37, 31, v37
	v_and_b32_e32 v35, 0xff, v34
	s_wait_alu 0xfffd
	v_xor_b32_e32 v36, vcc_lo, v36
	v_cmp_gt_i32_e32 vcc_lo, 0, v38
	v_not_b32_e32 v38, v39
	s_wait_alu 0xf1ff
	v_xor_b32_e32 v40, s0, v40
	v_cmp_gt_i32_e64 s0, 0, v39
	v_and_b32_e32 v36, exec_lo, v36
	v_not_b32_e32 v39, v96
	v_ashrrev_i32_e32 v38, 31, v38
	s_wait_alu 0xfffd
	v_xor_b32_e32 v37, vcc_lo, v37
	v_cmp_gt_i32_e32 vcc_lo, 0, v96
	v_and_b32_e32 v36, v36, v40
	v_not_b32_e32 v40, v97
	v_ashrrev_i32_e32 v39, 31, v39
	s_wait_alu 0xf1ff
	v_xor_b32_e32 v38, s0, v38
	v_lshlrev_b32_e32 v34, 24, v34
	v_and_b32_e32 v36, v36, v37
	v_cmp_gt_i32_e64 s0, 0, v97
	v_not_b32_e32 v37, v98
	v_ashrrev_i32_e32 v40, 31, v40
	s_wait_alu 0xfffd
	v_xor_b32_e32 v39, vcc_lo, v39
	v_and_b32_e32 v36, v36, v38
	v_cmp_gt_i32_e32 vcc_lo, 0, v98
	v_not_b32_e32 v38, v34
	v_ashrrev_i32_e32 v37, 31, v37
	s_wait_alu 0xf1ff
	v_xor_b32_e32 v40, s0, v40
	v_and_b32_e32 v36, v36, v39
	v_lshlrev_b32_e32 v35, 5, v35
	v_cmp_gt_i32_e64 s0, 0, v34
	v_ashrrev_i32_e32 v34, 31, v38
	s_wait_alu 0xfffd
	v_xor_b32_e32 v37, vcc_lo, v37
	v_and_b32_e32 v36, v36, v40
	v_add_nc_u32_e32 v98, v33, v35
	s_wait_alu 0xf1ff
	v_xor_b32_e32 v34, s0, v34
	s_delay_alu instid0(VALU_DEP_3) | instskip(SKIP_2) | instid1(VALU_DEP_1)
	v_and_b32_e32 v35, v36, v37
	ds_load_b32 v96, v98 offset:32
	; wave barrier
	v_and_b32_e32 v34, v35, v34
	v_mbcnt_lo_u32_b32 v97, v34, 0
	v_cmp_ne_u32_e64 s0, 0, v34
	s_delay_alu instid0(VALU_DEP_2)
	v_cmp_eq_u32_e32 vcc_lo, 0, v97
	s_and_b32 s12, s0, vcc_lo
	s_wait_alu 0xfffe
	s_and_saveexec_b32 s0, s12
	s_cbranch_execz .LBB116_54
; %bb.53:
	s_wait_dscnt 0x0
	v_bcnt_u32_b32 v34, v34, v96
	ds_store_b32 v98, v34 offset:32
.LBB116_54:
	s_wait_alu 0xfffe
	s_or_b32 exec_lo, exec_lo, s0
	v_and_b32_e32 v34, s1, v82
	; wave barrier
	s_delay_alu instid0(VALU_DEP_1)
	v_and_b32_e32 v36, 1, v34
	v_lshlrev_b32_e32 v37, 30, v34
	v_lshlrev_b32_e32 v38, 29, v34
	v_lshlrev_b32_e32 v39, 28, v34
	v_lshlrev_b32_e32 v99, 27, v34
	v_add_co_u32 v36, s0, v36, -1
	s_wait_alu 0xf1ff
	v_cndmask_b32_e64 v40, 0, 1, s0
	v_not_b32_e32 v102, v37
	v_cmp_gt_i32_e64 s0, 0, v37
	v_not_b32_e32 v37, v38
	v_lshlrev_b32_e32 v100, 26, v34
	v_cmp_ne_u32_e32 vcc_lo, 0, v40
	v_ashrrev_i32_e32 v40, 31, v102
	v_lshlrev_b32_e32 v101, 25, v34
	v_ashrrev_i32_e32 v37, 31, v37
	v_and_b32_e32 v35, 0xff, v34
	s_wait_alu 0xfffd
	v_xor_b32_e32 v36, vcc_lo, v36
	v_cmp_gt_i32_e32 vcc_lo, 0, v38
	v_not_b32_e32 v38, v39
	s_wait_alu 0xf1ff
	v_xor_b32_e32 v40, s0, v40
	v_cmp_gt_i32_e64 s0, 0, v39
	v_and_b32_e32 v36, exec_lo, v36
	v_not_b32_e32 v39, v99
	v_ashrrev_i32_e32 v38, 31, v38
	s_wait_alu 0xfffd
	v_xor_b32_e32 v37, vcc_lo, v37
	v_cmp_gt_i32_e32 vcc_lo, 0, v99
	v_and_b32_e32 v36, v36, v40
	v_not_b32_e32 v40, v100
	v_ashrrev_i32_e32 v39, 31, v39
	s_wait_alu 0xf1ff
	v_xor_b32_e32 v38, s0, v38
	v_lshlrev_b32_e32 v34, 24, v34
	v_and_b32_e32 v36, v36, v37
	v_cmp_gt_i32_e64 s0, 0, v100
	v_not_b32_e32 v37, v101
	v_ashrrev_i32_e32 v40, 31, v40
	s_wait_alu 0xfffd
	v_xor_b32_e32 v39, vcc_lo, v39
	v_and_b32_e32 v36, v36, v38
	v_cmp_gt_i32_e32 vcc_lo, 0, v101
	v_not_b32_e32 v38, v34
	v_ashrrev_i32_e32 v37, 31, v37
	s_wait_alu 0xf1ff
	v_xor_b32_e32 v40, s0, v40
	v_and_b32_e32 v36, v36, v39
	v_lshlrev_b32_e32 v35, 5, v35
	v_cmp_gt_i32_e64 s0, 0, v34
	v_ashrrev_i32_e32 v34, 31, v38
	s_wait_alu 0xfffd
	v_xor_b32_e32 v37, vcc_lo, v37
	v_and_b32_e32 v36, v36, v40
	v_add_nc_u32_e32 v101, v33, v35
	s_wait_alu 0xf1ff
	v_xor_b32_e32 v34, s0, v34
	s_delay_alu instid0(VALU_DEP_3) | instskip(SKIP_2) | instid1(VALU_DEP_1)
	v_and_b32_e32 v35, v36, v37
	ds_load_b32 v99, v101 offset:32
	; wave barrier
	v_and_b32_e32 v34, v35, v34
	v_mbcnt_lo_u32_b32 v100, v34, 0
	v_cmp_ne_u32_e64 s0, 0, v34
	s_delay_alu instid0(VALU_DEP_2)
	v_cmp_eq_u32_e32 vcc_lo, 0, v100
	s_and_b32 s12, s0, vcc_lo
	s_wait_alu 0xfffe
	s_and_saveexec_b32 s0, s12
	s_cbranch_execz .LBB116_56
; %bb.55:
	s_wait_dscnt 0x0
	v_bcnt_u32_b32 v34, v34, v99
	ds_store_b32 v101, v34 offset:32
.LBB116_56:
	s_wait_alu 0xfffe
	s_or_b32 exec_lo, exec_lo, s0
	v_and_b32_e32 v34, s1, v83
	; wave barrier
	s_delay_alu instid0(VALU_DEP_1)
	v_and_b32_e32 v36, 1, v34
	v_lshlrev_b32_e32 v37, 30, v34
	v_lshlrev_b32_e32 v38, 29, v34
	;; [unrolled: 1-line block ×4, first 2 shown]
	v_add_co_u32 v36, s0, v36, -1
	s_wait_alu 0xf1ff
	v_cndmask_b32_e64 v40, 0, 1, s0
	v_not_b32_e32 v105, v37
	v_cmp_gt_i32_e64 s0, 0, v37
	v_not_b32_e32 v37, v38
	v_lshlrev_b32_e32 v103, 26, v34
	v_cmp_ne_u32_e32 vcc_lo, 0, v40
	v_ashrrev_i32_e32 v40, 31, v105
	v_lshlrev_b32_e32 v104, 25, v34
	v_ashrrev_i32_e32 v37, 31, v37
	v_and_b32_e32 v35, 0xff, v34
	s_wait_alu 0xfffd
	v_xor_b32_e32 v36, vcc_lo, v36
	v_cmp_gt_i32_e32 vcc_lo, 0, v38
	v_not_b32_e32 v38, v39
	s_wait_alu 0xf1ff
	v_xor_b32_e32 v40, s0, v40
	v_cmp_gt_i32_e64 s0, 0, v39
	v_and_b32_e32 v36, exec_lo, v36
	v_not_b32_e32 v39, v102
	v_ashrrev_i32_e32 v38, 31, v38
	s_wait_alu 0xfffd
	v_xor_b32_e32 v37, vcc_lo, v37
	v_cmp_gt_i32_e32 vcc_lo, 0, v102
	v_and_b32_e32 v36, v36, v40
	v_not_b32_e32 v40, v103
	v_ashrrev_i32_e32 v39, 31, v39
	s_wait_alu 0xf1ff
	v_xor_b32_e32 v38, s0, v38
	v_lshlrev_b32_e32 v34, 24, v34
	v_and_b32_e32 v36, v36, v37
	v_cmp_gt_i32_e64 s0, 0, v103
	v_not_b32_e32 v37, v104
	v_ashrrev_i32_e32 v40, 31, v40
	s_wait_alu 0xfffd
	v_xor_b32_e32 v39, vcc_lo, v39
	v_and_b32_e32 v36, v36, v38
	v_cmp_gt_i32_e32 vcc_lo, 0, v104
	v_not_b32_e32 v38, v34
	v_ashrrev_i32_e32 v37, 31, v37
	s_wait_alu 0xf1ff
	v_xor_b32_e32 v40, s0, v40
	v_and_b32_e32 v36, v36, v39
	v_lshlrev_b32_e32 v35, 5, v35
	v_cmp_gt_i32_e64 s0, 0, v34
	v_ashrrev_i32_e32 v34, 31, v38
	s_wait_alu 0xfffd
	v_xor_b32_e32 v37, vcc_lo, v37
	v_and_b32_e32 v36, v36, v40
	v_add_nc_u32_e32 v104, v33, v35
	s_wait_alu 0xf1ff
	v_xor_b32_e32 v34, s0, v34
	s_delay_alu instid0(VALU_DEP_3) | instskip(SKIP_2) | instid1(VALU_DEP_1)
	v_and_b32_e32 v35, v36, v37
	ds_load_b32 v102, v104 offset:32
	; wave barrier
	v_and_b32_e32 v34, v35, v34
	v_mbcnt_lo_u32_b32 v103, v34, 0
	v_cmp_ne_u32_e64 s0, 0, v34
	s_delay_alu instid0(VALU_DEP_2)
	v_cmp_eq_u32_e32 vcc_lo, 0, v103
	s_and_b32 s12, s0, vcc_lo
	s_wait_alu 0xfffe
	s_and_saveexec_b32 s0, s12
	s_cbranch_execz .LBB116_58
; %bb.57:
	s_wait_dscnt 0x0
	v_bcnt_u32_b32 v34, v34, v102
	ds_store_b32 v104, v34 offset:32
.LBB116_58:
	s_wait_alu 0xfffe
	s_or_b32 exec_lo, exec_lo, s0
	v_and_b32_e32 v34, s1, v84
	; wave barrier
	s_delay_alu instid0(VALU_DEP_1)
	v_and_b32_e32 v36, 1, v34
	v_lshlrev_b32_e32 v37, 30, v34
	v_lshlrev_b32_e32 v38, 29, v34
	;; [unrolled: 1-line block ×4, first 2 shown]
	v_add_co_u32 v36, s0, v36, -1
	s_wait_alu 0xf1ff
	v_cndmask_b32_e64 v40, 0, 1, s0
	v_not_b32_e32 v108, v37
	v_cmp_gt_i32_e64 s0, 0, v37
	v_not_b32_e32 v37, v38
	v_lshlrev_b32_e32 v106, 26, v34
	v_cmp_ne_u32_e32 vcc_lo, 0, v40
	v_ashrrev_i32_e32 v40, 31, v108
	v_lshlrev_b32_e32 v107, 25, v34
	v_ashrrev_i32_e32 v37, 31, v37
	v_and_b32_e32 v35, 0xff, v34
	s_wait_alu 0xfffd
	v_xor_b32_e32 v36, vcc_lo, v36
	v_cmp_gt_i32_e32 vcc_lo, 0, v38
	v_not_b32_e32 v38, v39
	s_wait_alu 0xf1ff
	v_xor_b32_e32 v40, s0, v40
	v_cmp_gt_i32_e64 s0, 0, v39
	v_and_b32_e32 v36, exec_lo, v36
	v_not_b32_e32 v39, v105
	v_ashrrev_i32_e32 v38, 31, v38
	s_wait_alu 0xfffd
	v_xor_b32_e32 v37, vcc_lo, v37
	v_cmp_gt_i32_e32 vcc_lo, 0, v105
	v_and_b32_e32 v36, v36, v40
	v_not_b32_e32 v40, v106
	v_ashrrev_i32_e32 v39, 31, v39
	s_wait_alu 0xf1ff
	v_xor_b32_e32 v38, s0, v38
	v_lshlrev_b32_e32 v34, 24, v34
	v_and_b32_e32 v36, v36, v37
	v_cmp_gt_i32_e64 s0, 0, v106
	v_not_b32_e32 v37, v107
	v_ashrrev_i32_e32 v40, 31, v40
	s_wait_alu 0xfffd
	v_xor_b32_e32 v39, vcc_lo, v39
	v_and_b32_e32 v36, v36, v38
	v_cmp_gt_i32_e32 vcc_lo, 0, v107
	v_not_b32_e32 v38, v34
	v_ashrrev_i32_e32 v37, 31, v37
	s_wait_alu 0xf1ff
	v_xor_b32_e32 v40, s0, v40
	v_and_b32_e32 v36, v36, v39
	v_lshlrev_b32_e32 v35, 5, v35
	v_cmp_gt_i32_e64 s0, 0, v34
	v_ashrrev_i32_e32 v34, 31, v38
	s_wait_alu 0xfffd
	v_xor_b32_e32 v37, vcc_lo, v37
	v_and_b32_e32 v36, v36, v40
	v_add_nc_u32_e32 v107, v33, v35
	s_wait_alu 0xf1ff
	v_xor_b32_e32 v33, s0, v34
	s_delay_alu instid0(VALU_DEP_3) | instskip(SKIP_2) | instid1(VALU_DEP_1)
	v_and_b32_e32 v34, v36, v37
	ds_load_b32 v105, v107 offset:32
	; wave barrier
	v_and_b32_e32 v33, v34, v33
	v_mbcnt_lo_u32_b32 v106, v33, 0
	v_cmp_ne_u32_e64 s0, 0, v33
	s_delay_alu instid0(VALU_DEP_2)
	v_cmp_eq_u32_e32 vcc_lo, 0, v106
	s_and_b32 s1, s0, vcc_lo
	s_wait_alu 0xfffe
	s_and_saveexec_b32 s0, s1
	s_cbranch_execz .LBB116_60
; %bb.59:
	s_wait_dscnt 0x0
	v_bcnt_u32_b32 v33, v33, v105
	ds_store_b32 v107, v33 offset:32
.LBB116_60:
	s_wait_alu 0xfffe
	s_or_b32 exec_lo, exec_lo, s0
	; wave barrier
	s_wait_loadcnt_dscnt 0x0
	s_barrier_signal -1
	s_barrier_wait -1
	global_inv scope:SCOPE_SE
	ds_load_b128 v[37:40], v64 offset:32
	ds_load_b128 v[33:36], v64 offset:48
	v_min_u32_e32 v110, 0xe0, v66
	s_mov_b32 s0, exec_lo
	s_wait_dscnt 0x1
	v_add_nc_u32_e32 v108, v38, v37
	s_delay_alu instid0(VALU_DEP_1) | instskip(SKIP_1) | instid1(VALU_DEP_1)
	v_add3_u32 v108, v108, v39, v40
	s_wait_dscnt 0x0
	v_add3_u32 v108, v108, v33, v34
	s_delay_alu instid0(VALU_DEP_1) | instskip(SKIP_1) | instid1(VALU_DEP_2)
	v_add3_u32 v36, v108, v35, v36
	v_and_b32_e32 v108, 15, v65
	v_mov_b32_dpp v109, v36 row_shr:1 row_mask:0xf bank_mask:0xf
	s_delay_alu instid0(VALU_DEP_2) | instskip(SKIP_1) | instid1(VALU_DEP_2)
	v_cmp_ne_u32_e32 vcc_lo, 0, v108
	s_wait_alu 0xfffd
	v_cndmask_b32_e32 v109, 0, v109, vcc_lo
	v_cmp_lt_u32_e32 vcc_lo, 1, v108
	s_delay_alu instid0(VALU_DEP_2) | instskip(NEXT) | instid1(VALU_DEP_1)
	v_add_nc_u32_e32 v36, v109, v36
	v_mov_b32_dpp v109, v36 row_shr:2 row_mask:0xf bank_mask:0xf
	s_wait_alu 0xfffd
	s_delay_alu instid0(VALU_DEP_1) | instskip(SKIP_1) | instid1(VALU_DEP_2)
	v_cndmask_b32_e32 v109, 0, v109, vcc_lo
	v_cmp_lt_u32_e32 vcc_lo, 3, v108
	v_add_nc_u32_e32 v36, v36, v109
	s_delay_alu instid0(VALU_DEP_1) | instskip(SKIP_1) | instid1(VALU_DEP_1)
	v_mov_b32_dpp v109, v36 row_shr:4 row_mask:0xf bank_mask:0xf
	s_wait_alu 0xfffd
	v_cndmask_b32_e32 v109, 0, v109, vcc_lo
	v_cmp_lt_u32_e32 vcc_lo, 7, v108
	s_delay_alu instid0(VALU_DEP_2) | instskip(NEXT) | instid1(VALU_DEP_1)
	v_add_nc_u32_e32 v36, v36, v109
	v_mov_b32_dpp v109, v36 row_shr:8 row_mask:0xf bank_mask:0xf
	s_wait_alu 0xfffd
	s_delay_alu instid0(VALU_DEP_1) | instskip(SKIP_1) | instid1(VALU_DEP_2)
	v_cndmask_b32_e32 v108, 0, v109, vcc_lo
	v_bfe_i32 v109, v65, 4, 1
	v_add_nc_u32_e32 v36, v36, v108
	ds_swizzle_b32 v108, v36 offset:swizzle(BROADCAST,32,15)
	s_wait_dscnt 0x0
	v_and_b32_e32 v108, v109, v108
	v_or_b32_e32 v109, 31, v110
	s_delay_alu instid0(VALU_DEP_2) | instskip(NEXT) | instid1(VALU_DEP_2)
	v_add_nc_u32_e32 v36, v36, v108
	v_cmpx_eq_u32_e64 v41, v109
; %bb.61:
	v_lshlrev_b32_e32 v108, 2, v63
	ds_store_b32 v108, v36
; %bb.62:
	s_wait_alu 0xfffe
	s_or_b32 exec_lo, exec_lo, s0
	s_delay_alu instid0(SALU_CYCLE_1)
	s_mov_b32 s0, exec_lo
	s_wait_loadcnt_dscnt 0x0
	s_barrier_signal -1
	s_barrier_wait -1
	global_inv scope:SCOPE_SE
	v_cmpx_gt_u32_e32 8, v41
	s_cbranch_execz .LBB116_64
; %bb.63:
	v_and_b32_e32 v110, 7, v65
	s_delay_alu instid0(VALU_DEP_1)
	v_cmp_ne_u32_e32 vcc_lo, 0, v110
	v_lshlrev_b32_e32 v108, 2, v41
	ds_load_b32 v109, v108
	s_wait_dscnt 0x0
	v_mov_b32_dpp v111, v109 row_shr:1 row_mask:0xf bank_mask:0xf
	s_wait_alu 0xfffd
	s_delay_alu instid0(VALU_DEP_1) | instskip(SKIP_1) | instid1(VALU_DEP_2)
	v_cndmask_b32_e32 v111, 0, v111, vcc_lo
	v_cmp_lt_u32_e32 vcc_lo, 1, v110
	v_add_nc_u32_e32 v109, v111, v109
	s_delay_alu instid0(VALU_DEP_1) | instskip(SKIP_1) | instid1(VALU_DEP_1)
	v_mov_b32_dpp v111, v109 row_shr:2 row_mask:0xf bank_mask:0xf
	s_wait_alu 0xfffd
	v_cndmask_b32_e32 v111, 0, v111, vcc_lo
	v_cmp_lt_u32_e32 vcc_lo, 3, v110
	s_delay_alu instid0(VALU_DEP_2) | instskip(NEXT) | instid1(VALU_DEP_1)
	v_add_nc_u32_e32 v109, v109, v111
	v_mov_b32_dpp v111, v109 row_shr:4 row_mask:0xf bank_mask:0xf
	s_wait_alu 0xfffd
	s_delay_alu instid0(VALU_DEP_1) | instskip(NEXT) | instid1(VALU_DEP_1)
	v_cndmask_b32_e32 v110, 0, v111, vcc_lo
	v_add_nc_u32_e32 v109, v109, v110
	ds_store_b32 v108, v109
.LBB116_64:
	s_wait_alu 0xfffe
	s_or_b32 exec_lo, exec_lo, s0
	v_mov_b32_e32 v108, 0
	s_mov_b32 s0, exec_lo
	s_wait_loadcnt_dscnt 0x0
	s_barrier_signal -1
	s_barrier_wait -1
	global_inv scope:SCOPE_SE
	v_cmpx_lt_u32_e32 31, v41
; %bb.65:
	v_lshl_add_u32 v108, v63, 2, -4
	ds_load_b32 v108, v108
; %bb.66:
	s_wait_alu 0xfffe
	s_or_b32 exec_lo, exec_lo, s0
	v_sub_co_u32 v109, vcc_lo, v65, 1
	s_wait_dscnt 0x0
	v_add_nc_u32_e32 v36, v108, v36
	s_delay_alu instid0(VALU_DEP_2) | instskip(SKIP_1) | instid1(VALU_DEP_1)
	v_cmp_gt_i32_e64 s0, 0, v109
	s_wait_alu 0xf1ff
	v_cndmask_b32_e64 v109, v109, v65, s0
	s_delay_alu instid0(VALU_DEP_1)
	v_lshlrev_b32_e32 v109, 2, v109
	ds_bpermute_b32 v36, v109, v36
	s_wait_dscnt 0x0
	s_wait_alu 0xfffd
	v_cndmask_b32_e32 v36, v36, v108, vcc_lo
	v_cmp_ne_u32_e32 vcc_lo, 0, v41
	s_wait_alu 0xfffd
	s_delay_alu instid0(VALU_DEP_2) | instskip(NEXT) | instid1(VALU_DEP_1)
	v_cndmask_b32_e32 v36, 0, v36, vcc_lo
	v_add_nc_u32_e32 v37, v36, v37
	s_delay_alu instid0(VALU_DEP_1) | instskip(NEXT) | instid1(VALU_DEP_1)
	v_add_nc_u32_e32 v38, v37, v38
	v_add_nc_u32_e32 v39, v38, v39
	s_delay_alu instid0(VALU_DEP_1) | instskip(NEXT) | instid1(VALU_DEP_1)
	v_add_nc_u32_e32 v108, v39, v40
	;; [unrolled: 3-line block ×3, first 2 shown]
	v_add_nc_u32_e32 v111, v110, v35
	ds_store_b128 v64, v[36:39] offset:32
	ds_store_b128 v64, v[108:111] offset:48
	s_wait_loadcnt_dscnt 0x0
	s_barrier_signal -1
	s_barrier_wait -1
	global_inv scope:SCOPE_SE
	ds_load_b32 v33, v86 offset:32
	ds_load_b32 v34, v89 offset:32
	;; [unrolled: 1-line block ×8, first 2 shown]
	s_wait_loadcnt_dscnt 0x0
	s_barrier_signal -1
	s_barrier_wait -1
	global_inv scope:SCOPE_SE
	v_mad_u32_u24 v86, v41, 56, v61
	v_add_nc_u32_e32 v33, v33, v85
	v_add3_u32 v34, v88, v87, v34
	v_add3_u32 v35, v91, v90, v35
	;; [unrolled: 1-line block ×7, first 2 shown]
	ds_store_b8 v33, v0
	ds_store_b8 v34, v78
	;; [unrolled: 1-line block ×8, first 2 shown]
	s_wait_loadcnt_dscnt 0x0
	s_barrier_signal -1
	s_barrier_wait -1
	global_inv scope:SCOPE_SE
	v_lshlrev_b32_e32 v0, 3, v33
	v_lshlrev_b32_e32 v78, 3, v34
	ds_load_b64 v[33:34], v61
	v_lshlrev_b32_e32 v35, 3, v35
	v_lshlrev_b32_e32 v36, 3, v36
	;; [unrolled: 1-line block ×6, first 2 shown]
	s_wait_loadcnt_dscnt 0x0
	s_barrier_signal -1
	s_barrier_wait -1
	global_inv scope:SCOPE_SE
	ds_store_b64 v0, v[21:22]
	ds_store_b64 v78, v[23:24]
	;; [unrolled: 1-line block ×8, first 2 shown]
	s_wait_loadcnt_dscnt 0x0
	s_barrier_signal -1
	s_barrier_wait -1
	global_inv scope:SCOPE_SE
	ds_load_b128 v[21:24], v86
	ds_load_b128 v[17:20], v86 offset:16
	v_lshrrev_b32_e32 v0, 16, v33
	v_xor_b32_e32 v25, 0x80, v33
	v_lshrrev_b32_e32 v26, 16, v34
	v_and_b32_e32 v35, 0xffffff00, v34
	v_xor_b32_e32 v27, 0x80, v34
	v_and_b32_e32 v33, 0xffffff00, v33
	v_and_b32_e32 v34, 0xff, v25
	v_xor_b32_e32 v25, 0x80, v0
	v_xor_b32_e32 v28, 0x80, v26
	v_and_b32_e32 v0, 0xffffff00, v0
	v_and_b32_e32 v36, 0xff, v27
	;; [unrolled: 1-line block ×5, first 2 shown]
	ds_load_b128 v[29:32], v86 offset:32
	ds_load_b128 v[25:28], v86 offset:48
	v_or_b32_e32 v33, v34, v33
	v_or_b32_e32 v34, v36, v35
	;; [unrolled: 1-line block ×4, first 2 shown]
	s_delay_alu instid0(VALU_DEP_4) | instskip(NEXT) | instid1(VALU_DEP_4)
	v_add_nc_u16 v33, 0x8000, v33
	v_add_nc_u16 v34, 0x8000, v34
	s_delay_alu instid0(VALU_DEP_4) | instskip(NEXT) | instid1(VALU_DEP_4)
	v_add_nc_u16 v0, 0x8000, v0
	v_add_nc_u16 v35, 0x8000, v35
	s_delay_alu instid0(VALU_DEP_4) | instskip(NEXT) | instid1(VALU_DEP_4)
	v_and_b32_e32 v33, 0xffff, v33
	v_and_b32_e32 v34, 0xffff, v34
	s_delay_alu instid0(VALU_DEP_4) | instskip(NEXT) | instid1(VALU_DEP_4)
	v_lshlrev_b32_e32 v0, 16, v0
	v_lshlrev_b32_e32 v35, 16, v35
	s_delay_alu instid0(VALU_DEP_2) | instskip(NEXT) | instid1(VALU_DEP_2)
	v_or_b32_e32 v0, v33, v0
	v_or_b32_e32 v33, v34, v35
	s_branch .LBB116_98
.LBB116_67:
	s_wait_kmcnt 0x0
	v_mad_co_u64_u32 v[2:3], null, s10, v41, 0
	v_dual_mov_b32 v14, v1 :: v_dual_mov_b32 v15, v1
	v_mov_b32_e32 v16, v1
	v_dual_mov_b32 v6, v1 :: v_dual_mov_b32 v7, v1
	v_dual_mov_b32 v8, v1 :: v_dual_mov_b32 v9, v1
	v_mad_co_u64_u32 v[3:4], null, s11, v41, v[3:4]
	v_dual_mov_b32 v4, v1 :: v_dual_mov_b32 v5, v1
	v_dual_mov_b32 v10, v1 :: v_dual_mov_b32 v13, v1
	s_delay_alu instid0(VALU_DEP_3) | instskip(SKIP_1) | instid1(VALU_DEP_1)
	v_lshlrev_b64_e32 v[2:3], 3, v[2:3]
	s_wait_alu 0xfffe
	v_add_co_u32 v2, vcc_lo, s20, v2
	s_delay_alu instid0(VALU_DEP_1)
	v_add_co_ci_u32_e64 v3, null, s21, v3, vcc_lo
	global_load_b64 v[11:12], v[2:3], off
	v_dual_mov_b32 v2, v1 :: v_dual_mov_b32 v3, v1
	s_or_b32 exec_lo, exec_lo, s0
	s_and_saveexec_b32 s0, s3
	s_cbranch_execz .LBB116_36
.LBB116_68:
	s_wait_kmcnt 0x0
	v_mad_co_u64_u32 v[1:2], null, s10, v24, 0
	s_delay_alu instid0(VALU_DEP_1) | instskip(NEXT) | instid1(VALU_DEP_1)
	v_mad_co_u64_u32 v[32:33], null, s11, v24, v[2:3]
	v_mov_b32_e32 v2, v32
	s_delay_alu instid0(VALU_DEP_1) | instskip(SKIP_1) | instid1(VALU_DEP_1)
	v_lshlrev_b64_e32 v[1:2], 3, v[1:2]
	s_wait_alu 0xfffe
	v_add_co_u32 v1, vcc_lo, s20, v1
	s_wait_alu 0xfffd
	s_delay_alu instid0(VALU_DEP_2)
	v_add_co_ci_u32_e64 v2, null, s21, v2, vcc_lo
	global_load_b64 v[1:2], v[1:2], off
	s_or_b32 exec_lo, exec_lo, s0
	s_and_saveexec_b32 s0, s4
	s_cbranch_execz .LBB116_37
.LBB116_69:
	s_wait_kmcnt 0x0
	v_mad_co_u64_u32 v[13:14], null, s10, v22, 0
	s_delay_alu instid0(VALU_DEP_1) | instskip(NEXT) | instid1(VALU_DEP_1)
	v_mad_co_u64_u32 v[32:33], null, s11, v22, v[14:15]
	v_mov_b32_e32 v14, v32
	s_delay_alu instid0(VALU_DEP_1) | instskip(SKIP_1) | instid1(VALU_DEP_1)
	v_lshlrev_b64_e32 v[13:14], 3, v[13:14]
	s_wait_alu 0xfffe
	v_add_co_u32 v13, vcc_lo, s20, v13
	s_wait_alu 0xfffd
	s_delay_alu instid0(VALU_DEP_2)
	v_add_co_ci_u32_e64 v14, null, s21, v14, vcc_lo
	global_load_b64 v[13:14], v[13:14], off
	s_or_b32 exec_lo, exec_lo, s0
	s_and_saveexec_b32 s0, s5
	s_cbranch_execz .LBB116_38
.LBB116_70:
	s_wait_kmcnt 0x0
	v_mad_co_u64_u32 v[15:16], null, s10, v21, 0
	s_delay_alu instid0(VALU_DEP_1) | instskip(NEXT) | instid1(VALU_DEP_1)
	v_mad_co_u64_u32 v[21:22], null, s11, v21, v[16:17]
	v_mov_b32_e32 v16, v21
	s_delay_alu instid0(VALU_DEP_1) | instskip(SKIP_1) | instid1(VALU_DEP_1)
	v_lshlrev_b64_e32 v[15:16], 3, v[15:16]
	s_wait_alu 0xfffe
	v_add_co_u32 v15, vcc_lo, s20, v15
	s_wait_alu 0xfffd
	s_delay_alu instid0(VALU_DEP_2)
	v_add_co_ci_u32_e64 v16, null, s21, v16, vcc_lo
	global_load_b64 v[15:16], v[15:16], off
	s_or_b32 exec_lo, exec_lo, s0
	s_and_saveexec_b32 s0, s6
	s_cbranch_execz .LBB116_39
.LBB116_71:
	s_wait_kmcnt 0x0
	v_mad_co_u64_u32 v[3:4], null, s10, v20, 0
	s_delay_alu instid0(VALU_DEP_1) | instskip(NEXT) | instid1(VALU_DEP_1)
	v_mad_co_u64_u32 v[20:21], null, s11, v20, v[4:5]
	v_mov_b32_e32 v4, v20
	s_delay_alu instid0(VALU_DEP_1) | instskip(SKIP_1) | instid1(VALU_DEP_1)
	v_lshlrev_b64_e32 v[3:4], 3, v[3:4]
	s_wait_alu 0xfffe
	v_add_co_u32 v3, vcc_lo, s20, v3
	s_wait_alu 0xfffd
	s_delay_alu instid0(VALU_DEP_2)
	v_add_co_ci_u32_e64 v4, null, s21, v4, vcc_lo
	global_load_b64 v[3:4], v[3:4], off
	s_or_b32 exec_lo, exec_lo, s0
	s_and_saveexec_b32 s0, s7
	s_cbranch_execz .LBB116_40
.LBB116_72:
	s_wait_kmcnt 0x0
	v_mad_co_u64_u32 v[5:6], null, s10, v19, 0
	s_delay_alu instid0(VALU_DEP_1) | instskip(NEXT) | instid1(VALU_DEP_1)
	v_mad_co_u64_u32 v[19:20], null, s11, v19, v[6:7]
	v_mov_b32_e32 v6, v19
	s_delay_alu instid0(VALU_DEP_1) | instskip(SKIP_1) | instid1(VALU_DEP_1)
	v_lshlrev_b64_e32 v[5:6], 3, v[5:6]
	s_wait_alu 0xfffe
	v_add_co_u32 v5, vcc_lo, s20, v5
	s_wait_alu 0xfffd
	s_delay_alu instid0(VALU_DEP_2)
	v_add_co_ci_u32_e64 v6, null, s21, v6, vcc_lo
	global_load_b64 v[5:6], v[5:6], off
	s_or_b32 exec_lo, exec_lo, s0
	s_and_saveexec_b32 s0, s8
	s_cbranch_execz .LBB116_41
.LBB116_73:
	s_wait_kmcnt 0x0
	v_mad_co_u64_u32 v[7:8], null, s10, v18, 0
	s_delay_alu instid0(VALU_DEP_1) | instskip(NEXT) | instid1(VALU_DEP_1)
	v_mad_co_u64_u32 v[18:19], null, s11, v18, v[8:9]
	v_mov_b32_e32 v8, v18
	s_delay_alu instid0(VALU_DEP_1) | instskip(SKIP_1) | instid1(VALU_DEP_1)
	v_lshlrev_b64_e32 v[7:8], 3, v[7:8]
	s_wait_alu 0xfffe
	v_add_co_u32 v7, vcc_lo, s20, v7
	s_wait_alu 0xfffd
	s_delay_alu instid0(VALU_DEP_2)
	v_add_co_ci_u32_e64 v8, null, s21, v8, vcc_lo
	global_load_b64 v[7:8], v[7:8], off
	s_or_b32 exec_lo, exec_lo, s0
	s_xor_b32 s0, s26, -1
	s_and_saveexec_b32 s1, s9
	s_cbranch_execnz .LBB116_42
	s_branch .LBB116_43
.LBB116_74:
                                        ; implicit-def: $vgpr27_vgpr28
                                        ; implicit-def: $vgpr31_vgpr32
                                        ; implicit-def: $vgpr19_vgpr20
                                        ; implicit-def: $vgpr23_vgpr24
                                        ; implicit-def: $vgpr33
                                        ; implicit-def: $vgpr0
	s_and_b32 vcc_lo, exec_lo, s0
	s_wait_alu 0xfffe
	s_cbranch_vccz .LBB116_98
; %bb.75:
	v_xor_b32_e32 v0, 0x7f, v42
	s_wait_dscnt 0x2
	v_xor_b32_e32 v17, 0x7f, v77
	v_xor_b32_e32 v18, 0x7f, v76
	;; [unrolled: 1-line block ×7, first 2 shown]
	v_and_b32_e32 v0, 0xff, v0
	v_lshlrev_b16 v17, 8, v17
	v_and_b32_e32 v18, 0xff, v18
	v_lshlrev_b16 v19, 8, v19
	;; [unrolled: 2-line block ×4, first 2 shown]
	v_or_b32_e32 v0, v0, v17
	v_or_b32_e32 v17, v18, v19
	;; [unrolled: 1-line block ×3, first 2 shown]
	s_getpc_b64 s[0:1]
	s_sext_i32_i16 s1, s1
	s_add_co_u32 s0, s0, _ZN7rocprim17ROCPRIM_400000_NS16block_radix_sortIaLj256ELj8ElLj1ELj1ELj0ELNS0_26block_radix_rank_algorithmE1ELNS0_18block_padding_hintE2ELNS0_4arch9wavefront6targetE0EE19radix_bits_per_passE@rel32@lo+8
	s_add_co_ci_u32 s1, s1, _ZN7rocprim17ROCPRIM_400000_NS16block_radix_sortIaLj256ELj8ElLj1ELj1ELj0ELNS0_26block_radix_rank_algorithmE1ELNS0_18block_padding_hintE2ELNS0_4arch9wavefront6targetE0EE19radix_bits_per_passE@rel32@hi+16
	v_or_b32_e32 v19, v22, v23
	s_load_b32 s0, s[0:1], 0x0
	v_and_b32_e32 v0, 0xffff, v0
	v_lshlrev_b32_e32 v17, 16, v17
	v_and_b32_e32 v18, 0xffff, v18
	v_lshlrev_b32_e32 v19, 16, v19
	s_delay_alu instid0(VALU_DEP_3) | instskip(SKIP_1) | instid1(VALU_DEP_3)
	v_or_b32_e32 v17, v0, v17
	v_mad_u32_u24 v0, v70, 7, v70
	v_or_b32_e32 v18, v18, v19
	ds_store_b64 v70, v[17:18]
	; wave barrier
	ds_load_u8 v24, v71
	s_wait_dscnt 0x2
	ds_load_u8 v25, v71 offset:32
	ds_load_u8 v26, v71 offset:64
	;; [unrolled: 1-line block ×7, first 2 shown]
	s_wait_loadcnt_dscnt 0x0
	s_barrier_signal -1
	s_wait_kmcnt 0x0
	s_min_u32 s0, s0, 8
	s_barrier_wait -1
	s_lshl_b32 s0, -1, s0
	global_inv scope:SCOPE_SE
	s_not_b32 s1, s0
	ds_store_b128 v0, v[13:16]
	ds_store_b128 v0, v[9:12] offset:16
	ds_store_b128 v0, v[5:8] offset:32
	ds_store_b128 v0, v[1:4] offset:48
	; wave barrier
	ds_load_2addr_b64 v[12:15], v69 offset1:32
	ds_load_2addr_b64 v[4:7], v69 offset0:64 offset1:96
	ds_load_2addr_b64 v[0:3], v69 offset0:128 offset1:160
	v_and_b32_e32 v22, s1, v24
	s_delay_alu instid0(VALU_DEP_1) | instskip(SKIP_3) | instid1(VALU_DEP_4)
	v_and_b32_e32 v8, 1, v22
	v_lshlrev_b32_e32 v18, 30, v22
	v_lshlrev_b32_e32 v19, 29, v22
	;; [unrolled: 1-line block ×3, first 2 shown]
	v_add_co_u32 v16, s0, v8, -1
	s_wait_alu 0xf1ff
	v_cndmask_b32_e64 v17, 0, 1, s0
	ds_load_2addr_b64 v[8:11], v69 offset0:192 offset1:224
	s_wait_loadcnt_dscnt 0x0
	s_barrier_signal -1
	s_barrier_wait -1
	v_cmp_ne_u32_e32 vcc_lo, 0, v17
	v_not_b32_e32 v17, v18
	global_inv scope:SCOPE_SE
	s_load_b32 s0, s[22:23], 0xc
	v_xor_b32_e32 v16, vcc_lo, v16
	v_cmp_gt_i32_e32 vcc_lo, 0, v18
	v_ashrrev_i32_e32 v17, 31, v17
	v_not_b32_e32 v18, v19
	s_delay_alu instid0(VALU_DEP_4) | instskip(SKIP_1) | instid1(VALU_DEP_3)
	v_and_b32_e32 v16, exec_lo, v16
	s_wait_alu 0xfffd
	v_xor_b32_e32 v17, vcc_lo, v17
	v_cmp_gt_i32_e32 vcc_lo, 0, v19
	v_ashrrev_i32_e32 v18, 31, v18
	v_not_b32_e32 v19, v20
	s_delay_alu instid0(VALU_DEP_4)
	v_and_b32_e32 v16, v16, v17
	v_lshlrev_b32_e32 v17, 27, v22
	s_wait_alu 0xfffd
	v_xor_b32_e32 v18, vcc_lo, v18
	v_cmp_gt_i32_e32 vcc_lo, 0, v20
	v_ashrrev_i32_e32 v19, 31, v19
	v_not_b32_e32 v20, v17
	s_delay_alu instid0(VALU_DEP_4)
	v_and_b32_e32 v16, v16, v18
	v_lshlrev_b32_e32 v18, 26, v22
	s_wait_alu 0xfffd
	v_xor_b32_e32 v19, vcc_lo, v19
	v_cmp_gt_i32_e32 vcc_lo, 0, v17
	v_ashrrev_i32_e32 v17, 31, v20
	s_wait_kmcnt 0x0
	s_lshr_b32 s12, s0, 16
	v_not_b32_e32 v20, v18
	v_and_b32_e32 v16, v16, v19
	v_lshlrev_b32_e32 v19, 25, v22
	s_wait_alu 0xfffd
	v_xor_b32_e32 v17, vcc_lo, v17
	v_cmp_gt_i32_e32 vcc_lo, 0, v18
	v_ashrrev_i32_e32 v18, 31, v20
	s_and_b32 s0, s0, 0xffff
	v_not_b32_e32 v20, v19
	v_and_b32_e32 v16, v16, v17
	v_lshlrev_b32_e32 v17, 24, v22
	s_wait_alu 0xfffd
	v_xor_b32_e32 v18, vcc_lo, v18
	v_cmp_gt_i32_e32 vcc_lo, 0, v19
	v_ashrrev_i32_e32 v19, 31, v20
	v_mad_u32_u24 v20, v68, s12, v67
	v_not_b32_e32 v21, v17
	v_and_b32_e32 v18, v16, v18
	s_mov_b32 s12, 0
	s_wait_alu 0xfffd
	v_xor_b32_e32 v19, vcc_lo, v19
	v_cmp_gt_i32_e32 vcc_lo, 0, v17
	v_ashrrev_i32_e32 v21, 31, v21
	s_wait_alu 0xfffe
	v_mad_co_u64_u32 v[16:17], null, v20, s0, v[41:42]
	v_and_b32_e32 v17, v18, v19
	s_mov_b32 s15, s12
	s_wait_alu 0xfffd
	v_xor_b32_e32 v23, vcc_lo, v21
	s_mov_b32 s13, s12
	s_mov_b32 s14, s12
	s_delay_alu instid0(SALU_CYCLE_1) | instskip(NEXT) | instid1(VALU_DEP_2)
	v_dual_mov_b32 v21, s15 :: v_dual_mov_b32 v20, s14
	v_and_b32_e32 v17, v17, v23
	s_wait_alu 0xfffe
	v_dual_mov_b32 v19, s13 :: v_dual_mov_b32 v18, s12
	v_and_b32_e32 v22, 0xff, v22
	v_lshrrev_b32_e32 v16, 3, v16
	v_mbcnt_lo_u32_b32 v32, v17, 0
	ds_store_b128 v64, v[18:21] offset:32
	ds_store_b128 v64, v[18:21] offset:48
	v_lshlrev_b32_e32 v18, 5, v22
	v_and_b32_e32 v16, 0x1ffffffc, v16
	v_cmp_eq_u32_e32 vcc_lo, 0, v32
	v_cmp_ne_u32_e64 s0, 0, v17
	s_wait_loadcnt_dscnt 0x0
	s_barrier_signal -1
	v_add_nc_u32_e32 v33, v16, v18
	s_barrier_wait -1
	s_and_b32 s12, s0, vcc_lo
	global_inv scope:SCOPE_SE
	; wave barrier
	s_wait_alu 0xfffe
	s_and_saveexec_b32 s0, s12
; %bb.76:
	v_bcnt_u32_b32 v17, v17, 0
	ds_store_b32 v33, v17 offset:32
; %bb.77:
	s_wait_alu 0xfffe
	s_or_b32 exec_lo, exec_lo, s0
	v_and_b32_e32 v17, s1, v25
	; wave barrier
	s_delay_alu instid0(VALU_DEP_1)
	v_and_b32_e32 v19, 1, v17
	v_lshlrev_b32_e32 v20, 30, v17
	v_lshlrev_b32_e32 v21, 29, v17
	;; [unrolled: 1-line block ×4, first 2 shown]
	v_add_co_u32 v19, s0, v19, -1
	s_wait_alu 0xf1ff
	v_cndmask_b32_e64 v23, 0, 1, s0
	v_not_b32_e32 v37, v20
	v_cmp_gt_i32_e64 s0, 0, v20
	v_not_b32_e32 v20, v21
	v_lshlrev_b32_e32 v35, 26, v17
	v_cmp_ne_u32_e32 vcc_lo, 0, v23
	v_ashrrev_i32_e32 v23, 31, v37
	v_lshlrev_b32_e32 v36, 25, v17
	v_ashrrev_i32_e32 v20, 31, v20
	v_and_b32_e32 v18, 0xff, v17
	s_wait_alu 0xfffd
	v_xor_b32_e32 v19, vcc_lo, v19
	v_cmp_gt_i32_e32 vcc_lo, 0, v21
	v_not_b32_e32 v21, v22
	s_wait_alu 0xf1ff
	v_xor_b32_e32 v23, s0, v23
	v_cmp_gt_i32_e64 s0, 0, v22
	v_and_b32_e32 v19, exec_lo, v19
	v_not_b32_e32 v22, v34
	v_ashrrev_i32_e32 v21, 31, v21
	s_wait_alu 0xfffd
	v_xor_b32_e32 v20, vcc_lo, v20
	v_cmp_gt_i32_e32 vcc_lo, 0, v34
	v_and_b32_e32 v19, v19, v23
	v_not_b32_e32 v23, v35
	v_ashrrev_i32_e32 v22, 31, v22
	s_wait_alu 0xf1ff
	v_xor_b32_e32 v21, s0, v21
	v_lshlrev_b32_e32 v17, 24, v17
	v_and_b32_e32 v19, v19, v20
	v_cmp_gt_i32_e64 s0, 0, v35
	v_not_b32_e32 v20, v36
	v_ashrrev_i32_e32 v23, 31, v23
	s_wait_alu 0xfffd
	v_xor_b32_e32 v22, vcc_lo, v22
	v_and_b32_e32 v19, v19, v21
	v_cmp_gt_i32_e32 vcc_lo, 0, v36
	v_not_b32_e32 v21, v17
	v_ashrrev_i32_e32 v20, 31, v20
	s_wait_alu 0xf1ff
	v_xor_b32_e32 v23, s0, v23
	v_and_b32_e32 v19, v19, v22
	v_lshlrev_b32_e32 v18, 5, v18
	v_cmp_gt_i32_e64 s0, 0, v17
	v_ashrrev_i32_e32 v17, 31, v21
	s_wait_alu 0xfffd
	v_xor_b32_e32 v20, vcc_lo, v20
	v_and_b32_e32 v19, v19, v23
	v_add_nc_u32_e32 v36, v16, v18
	s_wait_alu 0xf1ff
	v_xor_b32_e32 v17, s0, v17
	s_delay_alu instid0(VALU_DEP_3) | instskip(SKIP_2) | instid1(VALU_DEP_1)
	v_and_b32_e32 v18, v19, v20
	ds_load_b32 v34, v36 offset:32
	; wave barrier
	v_and_b32_e32 v17, v18, v17
	v_mbcnt_lo_u32_b32 v35, v17, 0
	v_cmp_ne_u32_e64 s0, 0, v17
	s_delay_alu instid0(VALU_DEP_2)
	v_cmp_eq_u32_e32 vcc_lo, 0, v35
	s_and_b32 s12, s0, vcc_lo
	s_wait_alu 0xfffe
	s_and_saveexec_b32 s0, s12
	s_cbranch_execz .LBB116_79
; %bb.78:
	s_wait_dscnt 0x0
	v_bcnt_u32_b32 v17, v17, v34
	ds_store_b32 v36, v17 offset:32
.LBB116_79:
	s_wait_alu 0xfffe
	s_or_b32 exec_lo, exec_lo, s0
	v_and_b32_e32 v17, s1, v26
	; wave barrier
	s_delay_alu instid0(VALU_DEP_1)
	v_and_b32_e32 v19, 1, v17
	v_lshlrev_b32_e32 v20, 30, v17
	v_lshlrev_b32_e32 v21, 29, v17
	v_lshlrev_b32_e32 v22, 28, v17
	v_lshlrev_b32_e32 v37, 27, v17
	v_add_co_u32 v19, s0, v19, -1
	s_wait_alu 0xf1ff
	v_cndmask_b32_e64 v23, 0, 1, s0
	v_not_b32_e32 v40, v20
	v_cmp_gt_i32_e64 s0, 0, v20
	v_not_b32_e32 v20, v21
	v_lshlrev_b32_e32 v38, 26, v17
	v_cmp_ne_u32_e32 vcc_lo, 0, v23
	v_ashrrev_i32_e32 v23, 31, v40
	v_lshlrev_b32_e32 v39, 25, v17
	v_ashrrev_i32_e32 v20, 31, v20
	v_and_b32_e32 v18, 0xff, v17
	s_wait_alu 0xfffd
	v_xor_b32_e32 v19, vcc_lo, v19
	v_cmp_gt_i32_e32 vcc_lo, 0, v21
	v_not_b32_e32 v21, v22
	s_wait_alu 0xf1ff
	v_xor_b32_e32 v23, s0, v23
	v_cmp_gt_i32_e64 s0, 0, v22
	v_and_b32_e32 v19, exec_lo, v19
	v_not_b32_e32 v22, v37
	v_ashrrev_i32_e32 v21, 31, v21
	s_wait_alu 0xfffd
	v_xor_b32_e32 v20, vcc_lo, v20
	v_cmp_gt_i32_e32 vcc_lo, 0, v37
	v_and_b32_e32 v19, v19, v23
	v_not_b32_e32 v23, v38
	v_ashrrev_i32_e32 v22, 31, v22
	s_wait_alu 0xf1ff
	v_xor_b32_e32 v21, s0, v21
	v_lshlrev_b32_e32 v17, 24, v17
	v_and_b32_e32 v19, v19, v20
	v_cmp_gt_i32_e64 s0, 0, v38
	v_not_b32_e32 v20, v39
	v_ashrrev_i32_e32 v23, 31, v23
	s_wait_alu 0xfffd
	v_xor_b32_e32 v22, vcc_lo, v22
	v_and_b32_e32 v19, v19, v21
	v_cmp_gt_i32_e32 vcc_lo, 0, v39
	v_not_b32_e32 v21, v17
	v_ashrrev_i32_e32 v20, 31, v20
	s_wait_alu 0xf1ff
	v_xor_b32_e32 v23, s0, v23
	v_and_b32_e32 v19, v19, v22
	v_lshlrev_b32_e32 v18, 5, v18
	v_cmp_gt_i32_e64 s0, 0, v17
	v_ashrrev_i32_e32 v17, 31, v21
	s_wait_alu 0xfffd
	v_xor_b32_e32 v20, vcc_lo, v20
	v_and_b32_e32 v19, v19, v23
	v_add_nc_u32_e32 v39, v16, v18
	s_wait_alu 0xf1ff
	v_xor_b32_e32 v17, s0, v17
	s_delay_alu instid0(VALU_DEP_3) | instskip(SKIP_2) | instid1(VALU_DEP_1)
	v_and_b32_e32 v18, v19, v20
	ds_load_b32 v37, v39 offset:32
	; wave barrier
	v_and_b32_e32 v17, v18, v17
	v_mbcnt_lo_u32_b32 v38, v17, 0
	v_cmp_ne_u32_e64 s0, 0, v17
	s_delay_alu instid0(VALU_DEP_2)
	v_cmp_eq_u32_e32 vcc_lo, 0, v38
	s_and_b32 s12, s0, vcc_lo
	s_wait_alu 0xfffe
	s_and_saveexec_b32 s0, s12
	s_cbranch_execz .LBB116_81
; %bb.80:
	s_wait_dscnt 0x0
	v_bcnt_u32_b32 v17, v17, v37
	ds_store_b32 v39, v17 offset:32
.LBB116_81:
	s_wait_alu 0xfffe
	s_or_b32 exec_lo, exec_lo, s0
	v_and_b32_e32 v17, s1, v27
	; wave barrier
	s_delay_alu instid0(VALU_DEP_1)
	v_and_b32_e32 v19, 1, v17
	v_lshlrev_b32_e32 v20, 30, v17
	v_lshlrev_b32_e32 v21, 29, v17
	;; [unrolled: 1-line block ×4, first 2 shown]
	v_add_co_u32 v19, s0, v19, -1
	s_wait_alu 0xf1ff
	v_cndmask_b32_e64 v23, 0, 1, s0
	v_not_b32_e32 v67, v20
	v_cmp_gt_i32_e64 s0, 0, v20
	v_not_b32_e32 v20, v21
	v_lshlrev_b32_e32 v42, 26, v17
	v_cmp_ne_u32_e32 vcc_lo, 0, v23
	v_ashrrev_i32_e32 v23, 31, v67
	v_lshlrev_b32_e32 v43, 25, v17
	v_ashrrev_i32_e32 v20, 31, v20
	v_and_b32_e32 v18, 0xff, v17
	s_wait_alu 0xfffd
	v_xor_b32_e32 v19, vcc_lo, v19
	v_cmp_gt_i32_e32 vcc_lo, 0, v21
	v_not_b32_e32 v21, v22
	s_wait_alu 0xf1ff
	v_xor_b32_e32 v23, s0, v23
	v_cmp_gt_i32_e64 s0, 0, v22
	v_and_b32_e32 v19, exec_lo, v19
	v_not_b32_e32 v22, v40
	v_ashrrev_i32_e32 v21, 31, v21
	s_wait_alu 0xfffd
	v_xor_b32_e32 v20, vcc_lo, v20
	v_cmp_gt_i32_e32 vcc_lo, 0, v40
	v_and_b32_e32 v19, v19, v23
	v_not_b32_e32 v23, v42
	v_ashrrev_i32_e32 v22, 31, v22
	s_wait_alu 0xf1ff
	v_xor_b32_e32 v21, s0, v21
	v_lshlrev_b32_e32 v17, 24, v17
	v_and_b32_e32 v19, v19, v20
	v_cmp_gt_i32_e64 s0, 0, v42
	v_not_b32_e32 v20, v43
	v_ashrrev_i32_e32 v23, 31, v23
	s_wait_alu 0xfffd
	v_xor_b32_e32 v22, vcc_lo, v22
	v_and_b32_e32 v19, v19, v21
	v_cmp_gt_i32_e32 vcc_lo, 0, v43
	v_not_b32_e32 v21, v17
	v_ashrrev_i32_e32 v20, 31, v20
	s_wait_alu 0xf1ff
	v_xor_b32_e32 v23, s0, v23
	v_and_b32_e32 v19, v19, v22
	v_lshlrev_b32_e32 v18, 5, v18
	v_cmp_gt_i32_e64 s0, 0, v17
	v_ashrrev_i32_e32 v17, 31, v21
	s_wait_alu 0xfffd
	v_xor_b32_e32 v20, vcc_lo, v20
	v_and_b32_e32 v19, v19, v23
	v_add_nc_u32_e32 v43, v16, v18
	s_wait_alu 0xf1ff
	v_xor_b32_e32 v17, s0, v17
	s_delay_alu instid0(VALU_DEP_3) | instskip(SKIP_2) | instid1(VALU_DEP_1)
	v_and_b32_e32 v18, v19, v20
	ds_load_b32 v40, v43 offset:32
	; wave barrier
	v_and_b32_e32 v17, v18, v17
	v_mbcnt_lo_u32_b32 v42, v17, 0
	v_cmp_ne_u32_e64 s0, 0, v17
	s_delay_alu instid0(VALU_DEP_2)
	v_cmp_eq_u32_e32 vcc_lo, 0, v42
	s_and_b32 s12, s0, vcc_lo
	s_wait_alu 0xfffe
	s_and_saveexec_b32 s0, s12
	s_cbranch_execz .LBB116_83
; %bb.82:
	s_wait_dscnt 0x0
	v_bcnt_u32_b32 v17, v17, v40
	ds_store_b32 v43, v17 offset:32
.LBB116_83:
	s_wait_alu 0xfffe
	s_or_b32 exec_lo, exec_lo, s0
	v_and_b32_e32 v17, s1, v28
	; wave barrier
	s_delay_alu instid0(VALU_DEP_1)
	v_and_b32_e32 v19, 1, v17
	v_lshlrev_b32_e32 v20, 30, v17
	v_lshlrev_b32_e32 v21, 29, v17
	;; [unrolled: 1-line block ×4, first 2 shown]
	v_add_co_u32 v19, s0, v19, -1
	s_wait_alu 0xf1ff
	v_cndmask_b32_e64 v23, 0, 1, s0
	v_not_b32_e32 v70, v20
	v_cmp_gt_i32_e64 s0, 0, v20
	v_not_b32_e32 v20, v21
	v_lshlrev_b32_e32 v68, 26, v17
	v_cmp_ne_u32_e32 vcc_lo, 0, v23
	v_ashrrev_i32_e32 v23, 31, v70
	v_lshlrev_b32_e32 v69, 25, v17
	v_ashrrev_i32_e32 v20, 31, v20
	v_and_b32_e32 v18, 0xff, v17
	s_wait_alu 0xfffd
	v_xor_b32_e32 v19, vcc_lo, v19
	v_cmp_gt_i32_e32 vcc_lo, 0, v21
	v_not_b32_e32 v21, v22
	s_wait_alu 0xf1ff
	v_xor_b32_e32 v23, s0, v23
	v_cmp_gt_i32_e64 s0, 0, v22
	v_and_b32_e32 v19, exec_lo, v19
	v_not_b32_e32 v22, v67
	v_ashrrev_i32_e32 v21, 31, v21
	s_wait_alu 0xfffd
	v_xor_b32_e32 v20, vcc_lo, v20
	v_cmp_gt_i32_e32 vcc_lo, 0, v67
	v_and_b32_e32 v19, v19, v23
	v_not_b32_e32 v23, v68
	v_ashrrev_i32_e32 v22, 31, v22
	s_wait_alu 0xf1ff
	v_xor_b32_e32 v21, s0, v21
	v_lshlrev_b32_e32 v17, 24, v17
	v_and_b32_e32 v19, v19, v20
	v_cmp_gt_i32_e64 s0, 0, v68
	v_not_b32_e32 v20, v69
	v_ashrrev_i32_e32 v23, 31, v23
	s_wait_alu 0xfffd
	v_xor_b32_e32 v22, vcc_lo, v22
	v_and_b32_e32 v19, v19, v21
	v_cmp_gt_i32_e32 vcc_lo, 0, v69
	v_not_b32_e32 v21, v17
	v_ashrrev_i32_e32 v20, 31, v20
	s_wait_alu 0xf1ff
	v_xor_b32_e32 v23, s0, v23
	v_and_b32_e32 v19, v19, v22
	v_lshlrev_b32_e32 v18, 5, v18
	v_cmp_gt_i32_e64 s0, 0, v17
	v_ashrrev_i32_e32 v17, 31, v21
	s_wait_alu 0xfffd
	v_xor_b32_e32 v20, vcc_lo, v20
	v_and_b32_e32 v19, v19, v23
	v_add_nc_u32_e32 v69, v16, v18
	s_wait_alu 0xf1ff
	v_xor_b32_e32 v17, s0, v17
	s_delay_alu instid0(VALU_DEP_3) | instskip(SKIP_2) | instid1(VALU_DEP_1)
	v_and_b32_e32 v18, v19, v20
	ds_load_b32 v67, v69 offset:32
	; wave barrier
	v_and_b32_e32 v17, v18, v17
	v_mbcnt_lo_u32_b32 v68, v17, 0
	v_cmp_ne_u32_e64 s0, 0, v17
	s_delay_alu instid0(VALU_DEP_2)
	v_cmp_eq_u32_e32 vcc_lo, 0, v68
	s_and_b32 s12, s0, vcc_lo
	s_wait_alu 0xfffe
	s_and_saveexec_b32 s0, s12
	s_cbranch_execz .LBB116_85
; %bb.84:
	s_wait_dscnt 0x0
	v_bcnt_u32_b32 v17, v17, v67
	ds_store_b32 v69, v17 offset:32
.LBB116_85:
	s_wait_alu 0xfffe
	s_or_b32 exec_lo, exec_lo, s0
	v_and_b32_e32 v17, s1, v29
	; wave barrier
	s_delay_alu instid0(VALU_DEP_1)
	v_and_b32_e32 v19, 1, v17
	v_lshlrev_b32_e32 v20, 30, v17
	v_lshlrev_b32_e32 v21, 29, v17
	;; [unrolled: 1-line block ×4, first 2 shown]
	v_add_co_u32 v19, s0, v19, -1
	s_wait_alu 0xf1ff
	v_cndmask_b32_e64 v23, 0, 1, s0
	v_not_b32_e32 v73, v20
	v_cmp_gt_i32_e64 s0, 0, v20
	v_not_b32_e32 v20, v21
	v_lshlrev_b32_e32 v71, 26, v17
	v_cmp_ne_u32_e32 vcc_lo, 0, v23
	v_ashrrev_i32_e32 v23, 31, v73
	v_lshlrev_b32_e32 v72, 25, v17
	v_ashrrev_i32_e32 v20, 31, v20
	v_and_b32_e32 v18, 0xff, v17
	s_wait_alu 0xfffd
	v_xor_b32_e32 v19, vcc_lo, v19
	v_cmp_gt_i32_e32 vcc_lo, 0, v21
	v_not_b32_e32 v21, v22
	s_wait_alu 0xf1ff
	v_xor_b32_e32 v23, s0, v23
	v_cmp_gt_i32_e64 s0, 0, v22
	v_and_b32_e32 v19, exec_lo, v19
	v_not_b32_e32 v22, v70
	v_ashrrev_i32_e32 v21, 31, v21
	s_wait_alu 0xfffd
	v_xor_b32_e32 v20, vcc_lo, v20
	v_cmp_gt_i32_e32 vcc_lo, 0, v70
	v_and_b32_e32 v19, v19, v23
	v_not_b32_e32 v23, v71
	v_ashrrev_i32_e32 v22, 31, v22
	s_wait_alu 0xf1ff
	v_xor_b32_e32 v21, s0, v21
	v_lshlrev_b32_e32 v17, 24, v17
	v_and_b32_e32 v19, v19, v20
	v_cmp_gt_i32_e64 s0, 0, v71
	v_not_b32_e32 v20, v72
	v_ashrrev_i32_e32 v23, 31, v23
	s_wait_alu 0xfffd
	v_xor_b32_e32 v22, vcc_lo, v22
	v_and_b32_e32 v19, v19, v21
	v_cmp_gt_i32_e32 vcc_lo, 0, v72
	v_not_b32_e32 v21, v17
	v_ashrrev_i32_e32 v20, 31, v20
	s_wait_alu 0xf1ff
	v_xor_b32_e32 v23, s0, v23
	v_and_b32_e32 v19, v19, v22
	v_lshlrev_b32_e32 v18, 5, v18
	v_cmp_gt_i32_e64 s0, 0, v17
	v_ashrrev_i32_e32 v17, 31, v21
	s_wait_alu 0xfffd
	v_xor_b32_e32 v20, vcc_lo, v20
	v_and_b32_e32 v19, v19, v23
	v_add_nc_u32_e32 v72, v16, v18
	s_wait_alu 0xf1ff
	v_xor_b32_e32 v17, s0, v17
	s_delay_alu instid0(VALU_DEP_3) | instskip(SKIP_2) | instid1(VALU_DEP_1)
	v_and_b32_e32 v18, v19, v20
	ds_load_b32 v70, v72 offset:32
	; wave barrier
	v_and_b32_e32 v17, v18, v17
	v_mbcnt_lo_u32_b32 v71, v17, 0
	v_cmp_ne_u32_e64 s0, 0, v17
	s_delay_alu instid0(VALU_DEP_2)
	v_cmp_eq_u32_e32 vcc_lo, 0, v71
	s_and_b32 s12, s0, vcc_lo
	s_wait_alu 0xfffe
	s_and_saveexec_b32 s0, s12
	s_cbranch_execz .LBB116_87
; %bb.86:
	s_wait_dscnt 0x0
	v_bcnt_u32_b32 v17, v17, v70
	ds_store_b32 v72, v17 offset:32
.LBB116_87:
	s_wait_alu 0xfffe
	s_or_b32 exec_lo, exec_lo, s0
	v_and_b32_e32 v17, s1, v30
	; wave barrier
	s_delay_alu instid0(VALU_DEP_1)
	v_and_b32_e32 v19, 1, v17
	v_lshlrev_b32_e32 v20, 30, v17
	v_lshlrev_b32_e32 v21, 29, v17
	;; [unrolled: 1-line block ×4, first 2 shown]
	v_add_co_u32 v19, s0, v19, -1
	s_wait_alu 0xf1ff
	v_cndmask_b32_e64 v23, 0, 1, s0
	v_not_b32_e32 v76, v20
	v_cmp_gt_i32_e64 s0, 0, v20
	v_not_b32_e32 v20, v21
	v_lshlrev_b32_e32 v74, 26, v17
	v_cmp_ne_u32_e32 vcc_lo, 0, v23
	v_ashrrev_i32_e32 v23, 31, v76
	v_lshlrev_b32_e32 v75, 25, v17
	v_ashrrev_i32_e32 v20, 31, v20
	v_and_b32_e32 v18, 0xff, v17
	s_wait_alu 0xfffd
	v_xor_b32_e32 v19, vcc_lo, v19
	v_cmp_gt_i32_e32 vcc_lo, 0, v21
	v_not_b32_e32 v21, v22
	s_wait_alu 0xf1ff
	v_xor_b32_e32 v23, s0, v23
	v_cmp_gt_i32_e64 s0, 0, v22
	v_and_b32_e32 v19, exec_lo, v19
	v_not_b32_e32 v22, v73
	v_ashrrev_i32_e32 v21, 31, v21
	s_wait_alu 0xfffd
	v_xor_b32_e32 v20, vcc_lo, v20
	v_cmp_gt_i32_e32 vcc_lo, 0, v73
	v_and_b32_e32 v19, v19, v23
	v_not_b32_e32 v23, v74
	v_ashrrev_i32_e32 v22, 31, v22
	s_wait_alu 0xf1ff
	v_xor_b32_e32 v21, s0, v21
	v_lshlrev_b32_e32 v17, 24, v17
	v_and_b32_e32 v19, v19, v20
	v_cmp_gt_i32_e64 s0, 0, v74
	v_not_b32_e32 v20, v75
	v_ashrrev_i32_e32 v23, 31, v23
	s_wait_alu 0xfffd
	v_xor_b32_e32 v22, vcc_lo, v22
	v_and_b32_e32 v19, v19, v21
	v_cmp_gt_i32_e32 vcc_lo, 0, v75
	v_not_b32_e32 v21, v17
	v_ashrrev_i32_e32 v20, 31, v20
	s_wait_alu 0xf1ff
	v_xor_b32_e32 v23, s0, v23
	v_and_b32_e32 v19, v19, v22
	v_lshlrev_b32_e32 v18, 5, v18
	v_cmp_gt_i32_e64 s0, 0, v17
	v_ashrrev_i32_e32 v17, 31, v21
	s_wait_alu 0xfffd
	v_xor_b32_e32 v20, vcc_lo, v20
	v_and_b32_e32 v19, v19, v23
	v_add_nc_u32_e32 v75, v16, v18
	s_wait_alu 0xf1ff
	v_xor_b32_e32 v17, s0, v17
	s_delay_alu instid0(VALU_DEP_3) | instskip(SKIP_2) | instid1(VALU_DEP_1)
	v_and_b32_e32 v18, v19, v20
	ds_load_b32 v73, v75 offset:32
	; wave barrier
	v_and_b32_e32 v17, v18, v17
	v_mbcnt_lo_u32_b32 v74, v17, 0
	v_cmp_ne_u32_e64 s0, 0, v17
	s_delay_alu instid0(VALU_DEP_2)
	v_cmp_eq_u32_e32 vcc_lo, 0, v74
	s_and_b32 s12, s0, vcc_lo
	s_wait_alu 0xfffe
	s_and_saveexec_b32 s0, s12
	s_cbranch_execz .LBB116_89
; %bb.88:
	s_wait_dscnt 0x0
	v_bcnt_u32_b32 v17, v17, v73
	ds_store_b32 v75, v17 offset:32
.LBB116_89:
	s_wait_alu 0xfffe
	s_or_b32 exec_lo, exec_lo, s0
	v_and_b32_e32 v17, s1, v31
	; wave barrier
	s_delay_alu instid0(VALU_DEP_1)
	v_and_b32_e32 v19, 1, v17
	v_lshlrev_b32_e32 v20, 30, v17
	v_lshlrev_b32_e32 v21, 29, v17
	;; [unrolled: 1-line block ×4, first 2 shown]
	v_add_co_u32 v19, s0, v19, -1
	s_wait_alu 0xf1ff
	v_cndmask_b32_e64 v23, 0, 1, s0
	v_not_b32_e32 v79, v20
	v_cmp_gt_i32_e64 s0, 0, v20
	v_not_b32_e32 v20, v21
	v_lshlrev_b32_e32 v77, 26, v17
	v_cmp_ne_u32_e32 vcc_lo, 0, v23
	v_ashrrev_i32_e32 v23, 31, v79
	v_lshlrev_b32_e32 v78, 25, v17
	v_ashrrev_i32_e32 v20, 31, v20
	v_and_b32_e32 v18, 0xff, v17
	s_wait_alu 0xfffd
	v_xor_b32_e32 v19, vcc_lo, v19
	v_cmp_gt_i32_e32 vcc_lo, 0, v21
	v_not_b32_e32 v21, v22
	s_wait_alu 0xf1ff
	v_xor_b32_e32 v23, s0, v23
	v_cmp_gt_i32_e64 s0, 0, v22
	v_and_b32_e32 v19, exec_lo, v19
	v_not_b32_e32 v22, v76
	v_ashrrev_i32_e32 v21, 31, v21
	s_wait_alu 0xfffd
	v_xor_b32_e32 v20, vcc_lo, v20
	v_cmp_gt_i32_e32 vcc_lo, 0, v76
	v_and_b32_e32 v19, v19, v23
	v_not_b32_e32 v23, v77
	v_ashrrev_i32_e32 v22, 31, v22
	s_wait_alu 0xf1ff
	v_xor_b32_e32 v21, s0, v21
	v_lshlrev_b32_e32 v17, 24, v17
	v_and_b32_e32 v19, v19, v20
	v_cmp_gt_i32_e64 s0, 0, v77
	v_not_b32_e32 v20, v78
	v_ashrrev_i32_e32 v23, 31, v23
	s_wait_alu 0xfffd
	v_xor_b32_e32 v22, vcc_lo, v22
	v_and_b32_e32 v19, v19, v21
	v_cmp_gt_i32_e32 vcc_lo, 0, v78
	v_not_b32_e32 v21, v17
	v_ashrrev_i32_e32 v20, 31, v20
	s_wait_alu 0xf1ff
	v_xor_b32_e32 v23, s0, v23
	v_and_b32_e32 v19, v19, v22
	v_lshlrev_b32_e32 v18, 5, v18
	v_cmp_gt_i32_e64 s0, 0, v17
	v_ashrrev_i32_e32 v17, 31, v21
	s_wait_alu 0xfffd
	v_xor_b32_e32 v20, vcc_lo, v20
	v_and_b32_e32 v19, v19, v23
	v_add_nc_u32_e32 v78, v16, v18
	s_wait_alu 0xf1ff
	v_xor_b32_e32 v16, s0, v17
	s_delay_alu instid0(VALU_DEP_3) | instskip(SKIP_2) | instid1(VALU_DEP_1)
	v_and_b32_e32 v17, v19, v20
	ds_load_b32 v76, v78 offset:32
	; wave barrier
	v_and_b32_e32 v16, v17, v16
	v_mbcnt_lo_u32_b32 v77, v16, 0
	v_cmp_ne_u32_e64 s0, 0, v16
	s_delay_alu instid0(VALU_DEP_2)
	v_cmp_eq_u32_e32 vcc_lo, 0, v77
	s_and_b32 s1, s0, vcc_lo
	s_wait_alu 0xfffe
	s_and_saveexec_b32 s0, s1
	s_cbranch_execz .LBB116_91
; %bb.90:
	s_wait_dscnt 0x0
	v_bcnt_u32_b32 v16, v16, v76
	ds_store_b32 v78, v16 offset:32
.LBB116_91:
	s_wait_alu 0xfffe
	s_or_b32 exec_lo, exec_lo, s0
	; wave barrier
	s_wait_loadcnt_dscnt 0x0
	s_barrier_signal -1
	s_barrier_wait -1
	global_inv scope:SCOPE_SE
	ds_load_b128 v[20:23], v64 offset:32
	ds_load_b128 v[16:19], v64 offset:48
	v_min_u32_e32 v66, 0xe0, v66
	s_mov_b32 s0, exec_lo
	s_delay_alu instid0(VALU_DEP_1) | instskip(SKIP_2) | instid1(VALU_DEP_1)
	v_or_b32_e32 v66, 31, v66
	s_wait_dscnt 0x1
	v_add_nc_u32_e32 v79, v21, v20
	v_add3_u32 v79, v79, v22, v23
	s_wait_dscnt 0x0
	s_delay_alu instid0(VALU_DEP_1) | instskip(NEXT) | instid1(VALU_DEP_1)
	v_add3_u32 v79, v79, v16, v17
	v_add3_u32 v19, v79, v18, v19
	s_delay_alu instid0(VALU_DEP_1) | instskip(SKIP_1) | instid1(VALU_DEP_1)
	v_mov_b32_dpp v80, v19 row_shr:1 row_mask:0xf bank_mask:0xf
	v_and_b32_e32 v79, 15, v65
	v_cmp_ne_u32_e32 vcc_lo, 0, v79
	s_wait_alu 0xfffd
	s_delay_alu instid0(VALU_DEP_3) | instskip(SKIP_1) | instid1(VALU_DEP_2)
	v_cndmask_b32_e32 v80, 0, v80, vcc_lo
	v_cmp_lt_u32_e32 vcc_lo, 1, v79
	v_add_nc_u32_e32 v19, v80, v19
	s_delay_alu instid0(VALU_DEP_1) | instskip(SKIP_1) | instid1(VALU_DEP_1)
	v_mov_b32_dpp v80, v19 row_shr:2 row_mask:0xf bank_mask:0xf
	s_wait_alu 0xfffd
	v_cndmask_b32_e32 v80, 0, v80, vcc_lo
	v_cmp_lt_u32_e32 vcc_lo, 3, v79
	s_delay_alu instid0(VALU_DEP_2) | instskip(NEXT) | instid1(VALU_DEP_1)
	v_add_nc_u32_e32 v19, v19, v80
	v_mov_b32_dpp v80, v19 row_shr:4 row_mask:0xf bank_mask:0xf
	s_wait_alu 0xfffd
	s_delay_alu instid0(VALU_DEP_1) | instskip(SKIP_1) | instid1(VALU_DEP_2)
	v_cndmask_b32_e32 v80, 0, v80, vcc_lo
	v_cmp_lt_u32_e32 vcc_lo, 7, v79
	v_add_nc_u32_e32 v19, v19, v80
	s_delay_alu instid0(VALU_DEP_1) | instskip(SKIP_1) | instid1(VALU_DEP_1)
	v_mov_b32_dpp v80, v19 row_shr:8 row_mask:0xf bank_mask:0xf
	s_wait_alu 0xfffd
	v_cndmask_b32_e32 v79, 0, v80, vcc_lo
	v_bfe_i32 v80, v65, 4, 1
	s_delay_alu instid0(VALU_DEP_2) | instskip(SKIP_3) | instid1(VALU_DEP_1)
	v_add_nc_u32_e32 v19, v19, v79
	ds_swizzle_b32 v79, v19 offset:swizzle(BROADCAST,32,15)
	s_wait_dscnt 0x0
	v_and_b32_e32 v79, v80, v79
	v_add_nc_u32_e32 v19, v19, v79
	v_cmpx_eq_u32_e64 v41, v66
; %bb.92:
	v_lshlrev_b32_e32 v66, 2, v63
	ds_store_b32 v66, v19
; %bb.93:
	s_wait_alu 0xfffe
	s_or_b32 exec_lo, exec_lo, s0
	s_delay_alu instid0(SALU_CYCLE_1)
	s_mov_b32 s0, exec_lo
	s_wait_loadcnt_dscnt 0x0
	s_barrier_signal -1
	s_barrier_wait -1
	global_inv scope:SCOPE_SE
	v_cmpx_gt_u32_e32 8, v41
	s_cbranch_execz .LBB116_95
; %bb.94:
	v_lshlrev_b32_e32 v66, 2, v41
	v_and_b32_e32 v80, 7, v65
	ds_load_b32 v79, v66
	v_cmp_ne_u32_e32 vcc_lo, 0, v80
	s_wait_dscnt 0x0
	v_mov_b32_dpp v81, v79 row_shr:1 row_mask:0xf bank_mask:0xf
	s_wait_alu 0xfffd
	s_delay_alu instid0(VALU_DEP_1) | instskip(SKIP_1) | instid1(VALU_DEP_2)
	v_cndmask_b32_e32 v81, 0, v81, vcc_lo
	v_cmp_lt_u32_e32 vcc_lo, 1, v80
	v_add_nc_u32_e32 v79, v81, v79
	s_delay_alu instid0(VALU_DEP_1) | instskip(SKIP_1) | instid1(VALU_DEP_1)
	v_mov_b32_dpp v81, v79 row_shr:2 row_mask:0xf bank_mask:0xf
	s_wait_alu 0xfffd
	v_cndmask_b32_e32 v81, 0, v81, vcc_lo
	v_cmp_lt_u32_e32 vcc_lo, 3, v80
	s_delay_alu instid0(VALU_DEP_2) | instskip(NEXT) | instid1(VALU_DEP_1)
	v_add_nc_u32_e32 v79, v79, v81
	v_mov_b32_dpp v81, v79 row_shr:4 row_mask:0xf bank_mask:0xf
	s_wait_alu 0xfffd
	s_delay_alu instid0(VALU_DEP_1) | instskip(NEXT) | instid1(VALU_DEP_1)
	v_cndmask_b32_e32 v80, 0, v81, vcc_lo
	v_add_nc_u32_e32 v79, v79, v80
	ds_store_b32 v66, v79
.LBB116_95:
	s_wait_alu 0xfffe
	s_or_b32 exec_lo, exec_lo, s0
	v_mov_b32_e32 v66, 0
	s_mov_b32 s0, exec_lo
	s_wait_loadcnt_dscnt 0x0
	s_barrier_signal -1
	s_barrier_wait -1
	global_inv scope:SCOPE_SE
	v_cmpx_lt_u32_e32 31, v41
; %bb.96:
	v_lshl_add_u32 v63, v63, 2, -4
	ds_load_b32 v66, v63
; %bb.97:
	s_wait_alu 0xfffe
	s_or_b32 exec_lo, exec_lo, s0
	v_sub_co_u32 v63, vcc_lo, v65, 1
	s_wait_dscnt 0x0
	v_add_nc_u32_e32 v19, v66, v19
	s_delay_alu instid0(VALU_DEP_2) | instskip(SKIP_1) | instid1(VALU_DEP_1)
	v_cmp_gt_i32_e64 s0, 0, v63
	s_wait_alu 0xf1ff
	v_cndmask_b32_e64 v63, v63, v65, s0
	s_delay_alu instid0(VALU_DEP_1)
	v_lshlrev_b32_e32 v63, 2, v63
	ds_bpermute_b32 v19, v63, v19
	s_wait_dscnt 0x0
	s_wait_alu 0xfffd
	v_cndmask_b32_e32 v19, v19, v66, vcc_lo
	v_cmp_ne_u32_e32 vcc_lo, 0, v41
	s_wait_alu 0xfffd
	s_delay_alu instid0(VALU_DEP_2) | instskip(NEXT) | instid1(VALU_DEP_1)
	v_cndmask_b32_e32 v19, 0, v19, vcc_lo
	v_add_nc_u32_e32 v20, v19, v20
	s_delay_alu instid0(VALU_DEP_1) | instskip(NEXT) | instid1(VALU_DEP_1)
	v_add_nc_u32_e32 v21, v20, v21
	v_add_nc_u32_e32 v22, v21, v22
	s_delay_alu instid0(VALU_DEP_1) | instskip(NEXT) | instid1(VALU_DEP_1)
	v_add_nc_u32_e32 v79, v22, v23
	;; [unrolled: 3-line block ×3, first 2 shown]
	v_add_nc_u32_e32 v82, v81, v18
	ds_store_b128 v64, v[19:22] offset:32
	ds_store_b128 v64, v[79:82] offset:48
	s_wait_loadcnt_dscnt 0x0
	s_barrier_signal -1
	s_barrier_wait -1
	global_inv scope:SCOPE_SE
	ds_load_b32 v16, v33 offset:32
	ds_load_b32 v17, v36 offset:32
	ds_load_b32 v18, v39 offset:32
	ds_load_b32 v19, v43 offset:32
	ds_load_b32 v20, v69 offset:32
	ds_load_b32 v21, v72 offset:32
	ds_load_b32 v22, v75 offset:32
	ds_load_b32 v23, v78 offset:32
	s_wait_loadcnt_dscnt 0x0
	s_barrier_signal -1
	s_barrier_wait -1
	global_inv scope:SCOPE_SE
	v_mad_u32_u24 v36, v41, 56, v61
	v_add_nc_u32_e32 v16, v16, v32
	v_add3_u32 v17, v35, v34, v17
	v_add3_u32 v18, v38, v37, v18
	;; [unrolled: 1-line block ×7, first 2 shown]
	ds_store_b8 v16, v24
	ds_store_b8 v17, v25
	;; [unrolled: 1-line block ×8, first 2 shown]
	s_wait_loadcnt_dscnt 0x0
	s_barrier_signal -1
	s_barrier_wait -1
	global_inv scope:SCOPE_SE
	ds_load_b64 v[33:34], v61
	v_lshlrev_b32_e32 v16, 3, v16
	v_lshlrev_b32_e32 v17, 3, v17
	;; [unrolled: 1-line block ×8, first 2 shown]
	s_wait_loadcnt_dscnt 0x0
	s_barrier_signal -1
	s_barrier_wait -1
	global_inv scope:SCOPE_SE
	ds_store_b64 v16, v[12:13]
	ds_store_b64 v17, v[14:15]
	;; [unrolled: 1-line block ×8, first 2 shown]
	s_wait_loadcnt_dscnt 0x0
	s_barrier_signal -1
	s_barrier_wait -1
	global_inv scope:SCOPE_SE
	ds_load_b128 v[21:24], v36
	ds_load_b128 v[17:20], v36 offset:16
	ds_load_b128 v[29:32], v36 offset:32
	;; [unrolled: 1-line block ×3, first 2 shown]
	v_lshrrev_b32_e32 v0, 16, v33
	v_lshrrev_b32_e32 v3, 16, v34
	v_and_b32_e32 v1, 0xffffff00, v33
	v_xor_b32_e32 v2, 0x7f, v33
	v_and_b32_e32 v4, 0xffffff00, v34
	v_xor_b32_e32 v5, 0x7f, v34
	;; [unrolled: 2-line block ×4, first 2 shown]
	v_xor_b32_e32 v1, 0x7f00, v1
	v_and_b32_e32 v2, 0xff, v2
	v_xor_b32_e32 v4, 0x7f00, v4
	v_and_b32_e32 v5, 0xff, v5
	;; [unrolled: 2-line block ×4, first 2 shown]
	v_or_b32_e32 v1, v2, v1
	v_or_b32_e32 v2, v5, v4
	;; [unrolled: 1-line block ×3, first 2 shown]
	s_delay_alu instid0(VALU_DEP_4) | instskip(NEXT) | instid1(VALU_DEP_4)
	v_or_b32_e32 v3, v3, v7
	v_and_b32_e32 v1, 0xffff, v1
	s_delay_alu instid0(VALU_DEP_4) | instskip(NEXT) | instid1(VALU_DEP_4)
	v_and_b32_e32 v2, 0xffff, v2
	v_lshlrev_b32_e32 v0, 16, v0
	s_delay_alu instid0(VALU_DEP_4) | instskip(NEXT) | instid1(VALU_DEP_2)
	v_lshlrev_b32_e32 v3, 16, v3
	v_or_b32_e32 v0, v1, v0
	s_delay_alu instid0(VALU_DEP_2)
	v_or_b32_e32 v33, v2, v3
.LBB116_98:
	s_wait_loadcnt_dscnt 0x0
	s_barrier_signal -1
	s_barrier_wait -1
	global_inv scope:SCOPE_SE
	ds_store_2addr_b32 v52, v0, v33 offset1:1
	s_wait_loadcnt_dscnt 0x0
	s_barrier_signal -1
	s_barrier_wait -1
	global_inv scope:SCOPE_SE
	ds_load_u8 v8, v45 offset:256
	ds_load_u8 v7, v46 offset:512
	;; [unrolled: 1-line block ×7, first 2 shown]
	v_mad_co_u64_u32 v[0:1], null, s16, v41, s[18:19]
	s_wait_dscnt 0x0
	s_delay_alu instid0(VALU_DEP_1) | instskip(NEXT) | instid1(VALU_DEP_1)
	v_mad_co_u64_u32 v[9:10], null, s17, v41, v[1:2]
	v_mov_b32_e32 v1, v9
	s_and_saveexec_b32 s0, s2
	s_cbranch_execnz .LBB116_117
; %bb.99:
	s_wait_alu 0xfffe
	s_or_b32 exec_lo, exec_lo, s0
	s_and_saveexec_b32 s0, s3
	s_cbranch_execnz .LBB116_118
.LBB116_100:
	s_wait_alu 0xfffe
	s_or_b32 exec_lo, exec_lo, s0
	s_and_saveexec_b32 s0, s4
	s_cbranch_execnz .LBB116_119
.LBB116_101:
	s_wait_alu 0xfffe
	s_or_b32 exec_lo, exec_lo, s0
	s_and_saveexec_b32 s0, s5
	s_cbranch_execnz .LBB116_120
.LBB116_102:
	s_wait_alu 0xfffe
	s_or_b32 exec_lo, exec_lo, s0
	s_and_saveexec_b32 s0, s6
	s_cbranch_execnz .LBB116_121
.LBB116_103:
	s_wait_alu 0xfffe
	s_or_b32 exec_lo, exec_lo, s0
	s_and_saveexec_b32 s0, s7
	s_cbranch_execnz .LBB116_122
.LBB116_104:
	s_wait_alu 0xfffe
	s_or_b32 exec_lo, exec_lo, s0
	s_and_saveexec_b32 s0, s8
	s_cbranch_execnz .LBB116_123
.LBB116_105:
	s_wait_alu 0xfffe
	s_or_b32 exec_lo, exec_lo, s0
	s_and_saveexec_b32 s0, s9
	s_cbranch_execz .LBB116_107
.LBB116_106:
	v_mad_co_u64_u32 v[0:1], null, 0x700, s16, v[0:1]
	s_delay_alu instid0(VALU_DEP_1) | instskip(NEXT) | instid1(VALU_DEP_1)
	v_mad_co_u64_u32 v[3:4], null, 0x700, s17, v[1:2]
	v_mov_b32_e32 v1, v3
	global_store_b8 v[0:1], v2, off
.LBB116_107:
	s_wait_alu 0xfffe
	s_or_b32 exec_lo, exec_lo, s0
	s_wait_kmcnt 0x0
	v_mad_co_u64_u32 v[2:3], null, s10, v41, 0
	s_wait_loadcnt 0x0
	s_wait_storecnt 0x0
	s_barrier_signal -1
	s_barrier_wait -1
	global_inv scope:SCOPE_SE
	ds_store_2addr_b64 v62, v[21:22], v[23:24] offset1:1
	ds_store_2addr_b64 v62, v[17:18], v[19:20] offset0:2 offset1:3
	ds_store_2addr_b64 v62, v[29:30], v[31:32] offset0:4 offset1:5
	;; [unrolled: 1-line block ×3, first 2 shown]
	s_wait_loadcnt_dscnt 0x0
	v_mov_b32_e32 v0, v3
	s_barrier_signal -1
	s_barrier_wait -1
	global_inv scope:SCOPE_SE
	v_mad_co_u64_u32 v[3:4], null, s11, v41, v[0:1]
	ds_load_b64 v[14:15], v54 offset:2048
	ds_load_b64 v[12:13], v55 offset:4096
	;; [unrolled: 1-line block ×7, first 2 shown]
	v_lshlrev_b64_e32 v[2:3], 3, v[2:3]
	s_delay_alu instid0(VALU_DEP_1) | instskip(SKIP_1) | instid1(VALU_DEP_2)
	v_add_co_u32 v2, vcc_lo, s20, v2
	s_wait_alu 0xfffd
	v_add_co_ci_u32_e64 v3, null, s21, v3, vcc_lo
	s_and_saveexec_b32 s0, s2
	s_cbranch_execnz .LBB116_124
; %bb.108:
	s_wait_alu 0xfffe
	s_or_b32 exec_lo, exec_lo, s0
	s_and_saveexec_b32 s0, s3
	s_cbranch_execnz .LBB116_125
.LBB116_109:
	s_wait_alu 0xfffe
	s_or_b32 exec_lo, exec_lo, s0
	s_and_saveexec_b32 s0, s4
	s_cbranch_execnz .LBB116_126
.LBB116_110:
	s_wait_alu 0xfffe
	s_or_b32 exec_lo, exec_lo, s0
	s_and_saveexec_b32 s0, s5
	s_cbranch_execnz .LBB116_127
.LBB116_111:
	s_wait_alu 0xfffe
	s_or_b32 exec_lo, exec_lo, s0
	s_and_saveexec_b32 s0, s6
	s_cbranch_execnz .LBB116_128
.LBB116_112:
	s_wait_alu 0xfffe
	s_or_b32 exec_lo, exec_lo, s0
	s_and_saveexec_b32 s0, s7
	s_cbranch_execnz .LBB116_129
.LBB116_113:
	s_wait_alu 0xfffe
	s_or_b32 exec_lo, exec_lo, s0
	s_and_saveexec_b32 s0, s8
	s_cbranch_execnz .LBB116_130
.LBB116_114:
	s_wait_alu 0xfffe
	s_or_b32 exec_lo, exec_lo, s0
	s_and_saveexec_b32 s0, s9
	s_cbranch_execz .LBB116_116
.LBB116_115:
	v_mad_co_u64_u32 v[2:3], null, 0x3800, s10, v[2:3]
	s_wait_dscnt 0x1
	s_delay_alu instid0(VALU_DEP_1)
	v_mad_co_u64_u32 v[3:4], null, 0x3800, s11, v[3:4]
	s_wait_dscnt 0x0
	global_store_b64 v[2:3], v[0:1], off
.LBB116_116:
	s_nop 0
	s_sendmsg sendmsg(MSG_DEALLOC_VGPRS)
	s_endpgm
.LBB116_117:
	ds_load_u8 v9, v44
	s_wait_dscnt 0x0
	global_store_b8 v[0:1], v9, off
	s_wait_alu 0xfffe
	s_or_b32 exec_lo, exec_lo, s0
	s_and_saveexec_b32 s0, s3
	s_cbranch_execz .LBB116_100
.LBB116_118:
	s_lshl_b64 s[12:13], s[16:17], 8
	s_wait_alu 0xfffe
	v_add_co_u32 v9, vcc_lo, v0, s12
	s_wait_alu 0xfffd
	v_add_co_ci_u32_e64 v10, null, s13, v1, vcc_lo
	global_store_b8 v[9:10], v8, off
	s_or_b32 exec_lo, exec_lo, s0
	s_and_saveexec_b32 s0, s4
	s_cbranch_execz .LBB116_101
.LBB116_119:
	s_lshl_b64 s[12:13], s[16:17], 9
	s_wait_alu 0xfffe
	v_add_co_u32 v8, vcc_lo, v0, s12
	s_wait_alu 0xfffd
	v_add_co_ci_u32_e64 v9, null, s13, v1, vcc_lo
	global_store_b8 v[8:9], v7, off
	s_or_b32 exec_lo, exec_lo, s0
	s_and_saveexec_b32 s0, s5
	s_cbranch_execz .LBB116_102
.LBB116_120:
	v_mad_co_u64_u32 v[7:8], null, 0x300, s16, v[0:1]
	s_delay_alu instid0(VALU_DEP_1)
	v_mad_co_u64_u32 v[8:9], null, 0x300, s17, v[8:9]
	global_store_b8 v[7:8], v6, off
	s_wait_alu 0xfffe
	s_or_b32 exec_lo, exec_lo, s0
	s_and_saveexec_b32 s0, s6
	s_cbranch_execz .LBB116_103
.LBB116_121:
	s_lshl_b64 s[12:13], s[16:17], 10
	s_wait_alu 0xfffe
	v_add_co_u32 v6, vcc_lo, v0, s12
	s_wait_alu 0xfffd
	v_add_co_ci_u32_e64 v7, null, s13, v1, vcc_lo
	global_store_b8 v[6:7], v5, off
	s_or_b32 exec_lo, exec_lo, s0
	s_and_saveexec_b32 s0, s7
	s_cbranch_execz .LBB116_104
.LBB116_122:
	v_mad_co_u64_u32 v[5:6], null, 0x500, s16, v[0:1]
	s_delay_alu instid0(VALU_DEP_1)
	v_mad_co_u64_u32 v[6:7], null, 0x500, s17, v[6:7]
	global_store_b8 v[5:6], v4, off
	s_wait_alu 0xfffe
	s_or_b32 exec_lo, exec_lo, s0
	s_and_saveexec_b32 s0, s8
	s_cbranch_execz .LBB116_105
.LBB116_123:
	v_mad_co_u64_u32 v[4:5], null, 0x600, s16, v[0:1]
	s_delay_alu instid0(VALU_DEP_1)
	v_mad_co_u64_u32 v[5:6], null, 0x600, s17, v[5:6]
	global_store_b8 v[4:5], v3, off
	s_wait_alu 0xfffe
	s_or_b32 exec_lo, exec_lo, s0
	s_and_saveexec_b32 s0, s9
	s_cbranch_execnz .LBB116_106
	s_branch .LBB116_107
.LBB116_124:
	ds_load_b64 v[16:17], v53
	s_wait_dscnt 0x0
	global_store_b64 v[2:3], v[16:17], off
	s_wait_alu 0xfffe
	s_or_b32 exec_lo, exec_lo, s0
	s_and_saveexec_b32 s0, s3
	s_cbranch_execz .LBB116_109
.LBB116_125:
	s_lshl_b64 s[2:3], s[10:11], 11
	s_wait_alu 0xfffe
	v_add_co_u32 v16, vcc_lo, v2, s2
	s_wait_alu 0xfffd
	v_add_co_ci_u32_e64 v17, null, s3, v3, vcc_lo
	s_wait_dscnt 0x6
	global_store_b64 v[16:17], v[14:15], off
	s_or_b32 exec_lo, exec_lo, s0
	s_and_saveexec_b32 s0, s4
	s_cbranch_execz .LBB116_110
.LBB116_126:
	s_lshl_b64 s[2:3], s[10:11], 12
	s_wait_dscnt 0x6
	s_wait_alu 0xfffe
	v_add_co_u32 v14, vcc_lo, v2, s2
	s_wait_alu 0xfffd
	v_add_co_ci_u32_e64 v15, null, s3, v3, vcc_lo
	s_wait_dscnt 0x5
	global_store_b64 v[14:15], v[12:13], off
	s_or_b32 exec_lo, exec_lo, s0
	s_and_saveexec_b32 s0, s5
	s_cbranch_execz .LBB116_111
.LBB116_127:
	s_wait_dscnt 0x5
	v_mad_co_u64_u32 v[12:13], null, 0x1800, s10, v[2:3]
	s_delay_alu instid0(VALU_DEP_1)
	v_mad_co_u64_u32 v[13:14], null, 0x1800, s11, v[13:14]
	s_wait_dscnt 0x4
	global_store_b64 v[12:13], v[10:11], off
	s_wait_alu 0xfffe
	s_or_b32 exec_lo, exec_lo, s0
	s_and_saveexec_b32 s0, s6
	s_cbranch_execz .LBB116_112
.LBB116_128:
	s_lshl_b64 s[2:3], s[10:11], 13
	s_wait_dscnt 0x4
	s_wait_alu 0xfffe
	v_add_co_u32 v10, vcc_lo, v2, s2
	s_wait_alu 0xfffd
	v_add_co_ci_u32_e64 v11, null, s3, v3, vcc_lo
	s_wait_dscnt 0x3
	global_store_b64 v[10:11], v[8:9], off
	s_or_b32 exec_lo, exec_lo, s0
	s_and_saveexec_b32 s0, s7
	s_cbranch_execz .LBB116_113
.LBB116_129:
	s_wait_dscnt 0x3
	v_mad_co_u64_u32 v[8:9], null, 0x2800, s10, v[2:3]
	s_delay_alu instid0(VALU_DEP_1)
	v_mad_co_u64_u32 v[9:10], null, 0x2800, s11, v[9:10]
	s_wait_dscnt 0x2
	global_store_b64 v[8:9], v[6:7], off
	s_wait_alu 0xfffe
	s_or_b32 exec_lo, exec_lo, s0
	s_and_saveexec_b32 s0, s8
	s_cbranch_execz .LBB116_114
.LBB116_130:
	s_wait_dscnt 0x2
	v_mad_co_u64_u32 v[6:7], null, 0x3000, s10, v[2:3]
	s_delay_alu instid0(VALU_DEP_1)
	v_mad_co_u64_u32 v[7:8], null, 0x3000, s11, v[7:8]
	s_wait_dscnt 0x1
	global_store_b64 v[6:7], v[4:5], off
	s_wait_alu 0xfffe
	s_or_b32 exec_lo, exec_lo, s0
	s_and_saveexec_b32 s0, s9
	s_cbranch_execnz .LBB116_115
	s_branch .LBB116_116
	.section	.rodata,"a",@progbits
	.p2align	6, 0x0
	.amdhsa_kernel _ZN2at6native18radixSortKVInPlaceILin1ELin1ELi256ELi8EalmEEvNS_4cuda6detail10TensorInfoIT3_T5_EES6_S6_S6_NS4_IT4_S6_EES6_b
		.amdhsa_group_segment_fixed_size 16896
		.amdhsa_private_segment_fixed_size 0
		.amdhsa_kernarg_size 1128
		.amdhsa_user_sgpr_count 2
		.amdhsa_user_sgpr_dispatch_ptr 0
		.amdhsa_user_sgpr_queue_ptr 0
		.amdhsa_user_sgpr_kernarg_segment_ptr 1
		.amdhsa_user_sgpr_dispatch_id 0
		.amdhsa_user_sgpr_private_segment_size 0
		.amdhsa_wavefront_size32 1
		.amdhsa_uses_dynamic_stack 0
		.amdhsa_enable_private_segment 0
		.amdhsa_system_sgpr_workgroup_id_x 1
		.amdhsa_system_sgpr_workgroup_id_y 1
		.amdhsa_system_sgpr_workgroup_id_z 1
		.amdhsa_system_sgpr_workgroup_info 0
		.amdhsa_system_vgpr_workitem_id 2
		.amdhsa_next_free_vgpr 112
		.amdhsa_next_free_sgpr 36
		.amdhsa_reserve_vcc 1
		.amdhsa_float_round_mode_32 0
		.amdhsa_float_round_mode_16_64 0
		.amdhsa_float_denorm_mode_32 3
		.amdhsa_float_denorm_mode_16_64 3
		.amdhsa_fp16_overflow 0
		.amdhsa_workgroup_processor_mode 1
		.amdhsa_memory_ordered 1
		.amdhsa_forward_progress 1
		.amdhsa_inst_pref_size 118
		.amdhsa_round_robin_scheduling 0
		.amdhsa_exception_fp_ieee_invalid_op 0
		.amdhsa_exception_fp_denorm_src 0
		.amdhsa_exception_fp_ieee_div_zero 0
		.amdhsa_exception_fp_ieee_overflow 0
		.amdhsa_exception_fp_ieee_underflow 0
		.amdhsa_exception_fp_ieee_inexact 0
		.amdhsa_exception_int_div_zero 0
	.end_amdhsa_kernel
	.section	.text._ZN2at6native18radixSortKVInPlaceILin1ELin1ELi256ELi8EalmEEvNS_4cuda6detail10TensorInfoIT3_T5_EES6_S6_S6_NS4_IT4_S6_EES6_b,"axG",@progbits,_ZN2at6native18radixSortKVInPlaceILin1ELin1ELi256ELi8EalmEEvNS_4cuda6detail10TensorInfoIT3_T5_EES6_S6_S6_NS4_IT4_S6_EES6_b,comdat
.Lfunc_end116:
	.size	_ZN2at6native18radixSortKVInPlaceILin1ELin1ELi256ELi8EalmEEvNS_4cuda6detail10TensorInfoIT3_T5_EES6_S6_S6_NS4_IT4_S6_EES6_b, .Lfunc_end116-_ZN2at6native18radixSortKVInPlaceILin1ELin1ELi256ELi8EalmEEvNS_4cuda6detail10TensorInfoIT3_T5_EES6_S6_S6_NS4_IT4_S6_EES6_b
                                        ; -- End function
	.set _ZN2at6native18radixSortKVInPlaceILin1ELin1ELi256ELi8EalmEEvNS_4cuda6detail10TensorInfoIT3_T5_EES6_S6_S6_NS4_IT4_S6_EES6_b.num_vgpr, 112
	.set _ZN2at6native18radixSortKVInPlaceILin1ELin1ELi256ELi8EalmEEvNS_4cuda6detail10TensorInfoIT3_T5_EES6_S6_S6_NS4_IT4_S6_EES6_b.num_agpr, 0
	.set _ZN2at6native18radixSortKVInPlaceILin1ELin1ELi256ELi8EalmEEvNS_4cuda6detail10TensorInfoIT3_T5_EES6_S6_S6_NS4_IT4_S6_EES6_b.numbered_sgpr, 36
	.set _ZN2at6native18radixSortKVInPlaceILin1ELin1ELi256ELi8EalmEEvNS_4cuda6detail10TensorInfoIT3_T5_EES6_S6_S6_NS4_IT4_S6_EES6_b.num_named_barrier, 0
	.set _ZN2at6native18radixSortKVInPlaceILin1ELin1ELi256ELi8EalmEEvNS_4cuda6detail10TensorInfoIT3_T5_EES6_S6_S6_NS4_IT4_S6_EES6_b.private_seg_size, 0
	.set _ZN2at6native18radixSortKVInPlaceILin1ELin1ELi256ELi8EalmEEvNS_4cuda6detail10TensorInfoIT3_T5_EES6_S6_S6_NS4_IT4_S6_EES6_b.uses_vcc, 1
	.set _ZN2at6native18radixSortKVInPlaceILin1ELin1ELi256ELi8EalmEEvNS_4cuda6detail10TensorInfoIT3_T5_EES6_S6_S6_NS4_IT4_S6_EES6_b.uses_flat_scratch, 0
	.set _ZN2at6native18radixSortKVInPlaceILin1ELin1ELi256ELi8EalmEEvNS_4cuda6detail10TensorInfoIT3_T5_EES6_S6_S6_NS4_IT4_S6_EES6_b.has_dyn_sized_stack, 0
	.set _ZN2at6native18radixSortKVInPlaceILin1ELin1ELi256ELi8EalmEEvNS_4cuda6detail10TensorInfoIT3_T5_EES6_S6_S6_NS4_IT4_S6_EES6_b.has_recursion, 0
	.set _ZN2at6native18radixSortKVInPlaceILin1ELin1ELi256ELi8EalmEEvNS_4cuda6detail10TensorInfoIT3_T5_EES6_S6_S6_NS4_IT4_S6_EES6_b.has_indirect_call, 0
	.section	.AMDGPU.csdata,"",@progbits
; Kernel info:
; codeLenInByte = 15000
; TotalNumSgprs: 38
; NumVgprs: 112
; ScratchSize: 0
; MemoryBound: 0
; FloatMode: 240
; IeeeMode: 1
; LDSByteSize: 16896 bytes/workgroup (compile time only)
; SGPRBlocks: 0
; VGPRBlocks: 13
; NumSGPRsForWavesPerEU: 38
; NumVGPRsForWavesPerEU: 112
; Occupancy: 12
; WaveLimiterHint : 1
; COMPUTE_PGM_RSRC2:SCRATCH_EN: 0
; COMPUTE_PGM_RSRC2:USER_SGPR: 2
; COMPUTE_PGM_RSRC2:TRAP_HANDLER: 0
; COMPUTE_PGM_RSRC2:TGID_X_EN: 1
; COMPUTE_PGM_RSRC2:TGID_Y_EN: 1
; COMPUTE_PGM_RSRC2:TGID_Z_EN: 1
; COMPUTE_PGM_RSRC2:TIDIG_COMP_CNT: 2
	.section	.text._ZN2at6native18radixSortKVInPlaceILin1ELin1ELi128ELi8EalmEEvNS_4cuda6detail10TensorInfoIT3_T5_EES6_S6_S6_NS4_IT4_S6_EES6_b,"axG",@progbits,_ZN2at6native18radixSortKVInPlaceILin1ELin1ELi128ELi8EalmEEvNS_4cuda6detail10TensorInfoIT3_T5_EES6_S6_S6_NS4_IT4_S6_EES6_b,comdat
	.protected	_ZN2at6native18radixSortKVInPlaceILin1ELin1ELi128ELi8EalmEEvNS_4cuda6detail10TensorInfoIT3_T5_EES6_S6_S6_NS4_IT4_S6_EES6_b ; -- Begin function _ZN2at6native18radixSortKVInPlaceILin1ELin1ELi128ELi8EalmEEvNS_4cuda6detail10TensorInfoIT3_T5_EES6_S6_S6_NS4_IT4_S6_EES6_b
	.globl	_ZN2at6native18radixSortKVInPlaceILin1ELin1ELi128ELi8EalmEEvNS_4cuda6detail10TensorInfoIT3_T5_EES6_S6_S6_NS4_IT4_S6_EES6_b
	.p2align	8
	.type	_ZN2at6native18radixSortKVInPlaceILin1ELin1ELi128ELi8EalmEEvNS_4cuda6detail10TensorInfoIT3_T5_EES6_S6_S6_NS4_IT4_S6_EES6_b,@function
_ZN2at6native18radixSortKVInPlaceILin1ELin1ELi128ELi8EalmEEvNS_4cuda6detail10TensorInfoIT3_T5_EES6_S6_S6_NS4_IT4_S6_EES6_b: ; @_ZN2at6native18radixSortKVInPlaceILin1ELin1ELi128ELi8EalmEEvNS_4cuda6detail10TensorInfoIT3_T5_EES6_S6_S6_NS4_IT4_S6_EES6_b
; %bb.0:
	s_clause 0x1
	s_load_b64 s[2:3], s[0:1], 0x368
	s_load_b128 s[8:11], s[0:1], 0x1a0
	s_lshr_b32 s4, ttmp7, 16
	s_and_b32 s5, ttmp7, 0xffff
	s_wait_kmcnt 0x0
	s_mul_i32 s3, s3, s4
	s_delay_alu instid0(SALU_CYCLE_1) | instskip(NEXT) | instid1(SALU_CYCLE_1)
	s_add_co_i32 s3, s3, s5
	s_mul_i32 s2, s3, s2
	s_mov_b32 s3, 0
	s_add_co_i32 s2, s2, ttmp9
	s_delay_alu instid0(SALU_CYCLE_1)
	v_cmp_le_u64_e64 s4, s[8:9], s[2:3]
	s_and_b32 vcc_lo, exec_lo, s4
	s_cbranch_vccnz .LBB117_116
; %bb.1:
	s_clause 0x1
	s_load_b32 s9, s[0:1], 0x198
	s_load_b64 s[16:17], s[0:1], 0x1b0
	s_mov_b64 s[4:5], 0
	s_mov_b64 s[6:7], s[2:3]
	s_wait_kmcnt 0x0
	s_cmp_lt_i32 s9, 2
	s_cbranch_scc1 .LBB117_9
; %bb.2:
	s_mov_b32 s8, 0
	s_add_co_i32 s4, s9, -1
	s_wait_alu 0xfffe
	s_mov_b32 s5, s8
	s_add_co_i32 s11, s9, 1
	s_lshl_b64 s[4:5], s[4:5], 3
	s_mov_b64 s[14:15], s[2:3]
	s_add_nc_u64 s[6:7], s[0:1], s[4:5]
	s_mov_b64 s[4:5], 0
	s_add_nc_u64 s[12:13], s[6:7], 8
.LBB117_3:                              ; =>This Inner Loop Header: Depth=1
	s_load_b64 s[18:19], s[12:13], 0x0
	s_wait_kmcnt 0x0
	s_or_b64 s[6:7], s[14:15], s[18:19]
	s_wait_alu 0xfffe
	s_mov_b32 s9, s7
                                        ; implicit-def: $sgpr6_sgpr7
	s_wait_alu 0xfffe
	s_cmp_lg_u64 s[8:9], 0
	s_mov_b32 s9, -1
	s_cbranch_scc0 .LBB117_5
; %bb.4:                                ;   in Loop: Header=BB117_3 Depth=1
	s_cvt_f32_u32 s6, s18
	s_cvt_f32_u32 s7, s19
	s_sub_nc_u64 s[20:21], 0, s[18:19]
	s_mov_b32 s23, s8
	s_mov_b32 s27, s8
	s_wait_alu 0xfffe
	s_fmamk_f32 s6, s7, 0x4f800000, s6
	s_wait_alu 0xfffe
	s_delay_alu instid0(SALU_CYCLE_2) | instskip(NEXT) | instid1(TRANS32_DEP_1)
	v_s_rcp_f32 s6, s6
	s_mul_f32 s6, s6, 0x5f7ffffc
	s_wait_alu 0xfffe
	s_delay_alu instid0(SALU_CYCLE_2) | instskip(SKIP_1) | instid1(SALU_CYCLE_2)
	s_mul_f32 s7, s6, 0x2f800000
	s_wait_alu 0xfffe
	s_trunc_f32 s7, s7
	s_wait_alu 0xfffe
	s_delay_alu instid0(SALU_CYCLE_2) | instskip(SKIP_2) | instid1(SALU_CYCLE_1)
	s_fmamk_f32 s6, s7, 0xcf800000, s6
	s_cvt_u32_f32 s7, s7
	s_wait_alu 0xfffe
	s_cvt_u32_f32 s6, s6
	s_wait_alu 0xfffe
	s_delay_alu instid0(SALU_CYCLE_2) | instskip(NEXT) | instid1(SALU_CYCLE_1)
	s_mul_u64 s[24:25], s[20:21], s[6:7]
	s_mul_hi_u32 s29, s6, s25
	s_mul_i32 s28, s6, s25
	s_mul_hi_u32 s22, s6, s24
	s_mul_i32 s26, s7, s24
	s_add_nc_u64 s[22:23], s[22:23], s[28:29]
	s_mul_hi_u32 s9, s7, s24
	s_mul_hi_u32 s30, s7, s25
	s_add_co_u32 s22, s22, s26
	s_wait_alu 0xfffe
	s_add_co_ci_u32 s26, s23, s9
	s_mul_i32 s24, s7, s25
	s_add_co_ci_u32 s25, s30, 0
	s_delay_alu instid0(SALU_CYCLE_1)
	s_add_nc_u64 s[22:23], s[26:27], s[24:25]
	s_mov_b32 s25, s8
	s_add_co_u32 s6, s6, s22
	s_cselect_b32 s9, -1, 0
	s_wait_alu 0xfffe
	s_cmp_lg_u32 s9, 0
	s_add_co_ci_u32 s7, s7, s23
	s_mov_b32 s23, s8
	s_wait_alu 0xfffe
	s_mul_u64 s[20:21], s[20:21], s[6:7]
	s_delay_alu instid0(SALU_CYCLE_1)
	s_mul_hi_u32 s27, s6, s21
	s_mul_i32 s26, s6, s21
	s_mul_hi_u32 s22, s6, s20
	s_mul_i32 s24, s7, s20
	s_add_nc_u64 s[22:23], s[22:23], s[26:27]
	s_mul_hi_u32 s9, s7, s20
	s_mul_hi_u32 s28, s7, s21
	s_mul_i32 s20, s7, s21
	s_add_co_u32 s21, s22, s24
	s_wait_alu 0xfffe
	s_add_co_ci_u32 s24, s23, s9
	s_add_co_ci_u32 s21, s28, 0
	s_mov_b32 s23, s8
	s_add_nc_u64 s[20:21], s[24:25], s[20:21]
	s_delay_alu instid0(SALU_CYCLE_1)
	s_add_co_u32 s6, s6, s20
	s_cselect_b32 s9, -1, 0
	s_wait_alu 0xfffe
	s_mul_hi_u32 s22, s14, s6
	s_cmp_lg_u32 s9, 0
	s_mul_hi_u32 s9, s15, s6
	s_add_co_ci_u32 s20, s7, s21
	s_mul_i32 s21, s15, s6
	s_mul_hi_u32 s7, s14, s20
	s_mul_i32 s6, s14, s20
	s_mul_hi_u32 s26, s15, s20
	s_wait_alu 0xfffe
	s_add_nc_u64 s[6:7], s[22:23], s[6:7]
	s_mul_i32 s20, s15, s20
	s_wait_alu 0xfffe
	s_add_co_u32 s6, s6, s21
	s_add_co_ci_u32 s24, s7, s9
	s_add_co_ci_u32 s21, s26, 0
	s_delay_alu instid0(SALU_CYCLE_1) | instskip(SKIP_2) | instid1(SALU_CYCLE_1)
	s_add_nc_u64 s[6:7], s[24:25], s[20:21]
	s_wait_alu 0xfffe
	s_mul_u64 s[20:21], s[18:19], s[6:7]
	s_sub_co_u32 s9, s14, s20
	s_cselect_b32 s20, -1, 0
	s_sub_co_i32 s22, s15, s21
	s_cmp_lg_u32 s20, 0
	s_sub_co_ci_u32 s22, s22, s19
	s_wait_alu 0xfffe
	s_sub_co_u32 s23, s9, s18
	s_cselect_b32 s24, -1, 0
	s_delay_alu instid0(SALU_CYCLE_1) | instskip(SKIP_1) | instid1(SALU_CYCLE_1)
	s_cmp_lg_u32 s24, 0
	s_sub_co_ci_u32 s22, s22, 0
	s_cmp_ge_u32 s22, s19
	s_cselect_b32 s24, -1, 0
	s_cmp_ge_u32 s23, s18
	s_cselect_b32 s25, -1, 0
	s_cmp_eq_u32 s22, s19
	s_add_nc_u64 s[22:23], s[6:7], 1
	s_cselect_b32 s26, s25, s24
	s_add_nc_u64 s[24:25], s[6:7], 2
	s_cmp_lg_u32 s26, 0
	s_cselect_b32 s22, s24, s22
	s_cselect_b32 s23, s25, s23
	s_cmp_lg_u32 s20, 0
	s_sub_co_ci_u32 s20, s15, s21
	s_delay_alu instid0(SALU_CYCLE_1)
	s_cmp_ge_u32 s20, s19
	s_cselect_b32 s21, -1, 0
	s_cmp_ge_u32 s9, s18
	s_cselect_b32 s9, -1, 0
	s_cmp_eq_u32 s20, s19
	s_wait_alu 0xfffe
	s_cselect_b32 s9, s9, s21
	s_wait_alu 0xfffe
	s_cmp_lg_u32 s9, 0
	s_mov_b32 s9, 0
	s_cselect_b32 s7, s23, s7
	s_cselect_b32 s6, s22, s6
.LBB117_5:                              ;   in Loop: Header=BB117_3 Depth=1
	s_wait_alu 0xfffe
	s_and_not1_b32 vcc_lo, exec_lo, s9
	s_cbranch_vccnz .LBB117_7
; %bb.6:                                ;   in Loop: Header=BB117_3 Depth=1
	v_cvt_f32_u32_e32 v1, s18
	s_sub_co_i32 s7, 0, s18
	s_delay_alu instid0(VALU_DEP_1) | instskip(NEXT) | instid1(TRANS32_DEP_1)
	v_rcp_iflag_f32_e32 v1, v1
	v_mul_f32_e32 v1, 0x4f7ffffe, v1
	s_delay_alu instid0(VALU_DEP_1) | instskip(NEXT) | instid1(VALU_DEP_1)
	v_cvt_u32_f32_e32 v1, v1
	v_readfirstlane_b32 s6, v1
	s_wait_alu 0xfffe
	s_mul_i32 s7, s7, s6
	s_wait_alu 0xfffe
	s_mul_hi_u32 s7, s6, s7
	s_wait_alu 0xfffe
	s_add_co_i32 s6, s6, s7
	s_wait_alu 0xfffe
	s_mul_hi_u32 s6, s14, s6
	s_wait_alu 0xfffe
	s_mul_i32 s7, s6, s18
	s_add_co_i32 s9, s6, 1
	s_wait_alu 0xfffe
	s_sub_co_i32 s7, s14, s7
	s_wait_alu 0xfffe
	s_sub_co_i32 s20, s7, s18
	s_cmp_ge_u32 s7, s18
	s_cselect_b32 s6, s9, s6
	s_cselect_b32 s7, s20, s7
	s_wait_alu 0xfffe
	s_add_co_i32 s9, s6, 1
	s_cmp_ge_u32 s7, s18
	s_mov_b32 s7, s8
	s_wait_alu 0xfffe
	s_cselect_b32 s6, s9, s6
.LBB117_7:                              ;   in Loop: Header=BB117_3 Depth=1
	s_load_b64 s[20:21], s[12:13], 0xc8
	s_mul_u64 s[18:19], s[6:7], s[18:19]
	s_add_co_i32 s11, s11, -1
	s_wait_alu 0xfffe
	s_sub_nc_u64 s[14:15], s[14:15], s[18:19]
	s_cmp_gt_u32 s11, 2
	s_add_nc_u64 s[12:13], s[12:13], -8
	s_wait_kmcnt 0x0
	s_mul_u64 s[14:15], s[20:21], s[14:15]
	s_delay_alu instid0(SALU_CYCLE_1)
	s_add_nc_u64 s[4:5], s[14:15], s[4:5]
	s_cbranch_scc0 .LBB117_9
; %bb.8:                                ;   in Loop: Header=BB117_3 Depth=1
	s_mov_b64 s[14:15], s[6:7]
	s_branch .LBB117_3
.LBB117_9:
	s_load_b32 s9, s[0:1], 0x350
	s_add_nc_u64 s[22:23], s[0:1], 0x368
	s_mov_b64 s[12:13], 0
	s_wait_kmcnt 0x0
	s_cmp_lt_i32 s9, 2
	s_cbranch_scc1 .LBB117_17
; %bb.10:
	s_mov_b32 s8, 0
	s_add_co_i32 s12, s9, -1
	s_wait_alu 0xfffe
	s_mov_b32 s13, s8
	s_add_co_i32 s11, s9, 1
	s_lshl_b64 s[12:13], s[12:13], 3
	s_delay_alu instid0(SALU_CYCLE_1) | instskip(NEXT) | instid1(SALU_CYCLE_1)
	s_add_nc_u64 s[12:13], s[0:1], s[12:13]
	s_add_nc_u64 s[18:19], s[12:13], 0x1c0
	s_mov_b64 s[12:13], 0
.LBB117_11:                             ; =>This Inner Loop Header: Depth=1
	s_load_b64 s[20:21], s[18:19], 0x0
	s_wait_kmcnt 0x0
	s_or_b64 s[14:15], s[2:3], s[20:21]
	s_delay_alu instid0(SALU_CYCLE_1)
	s_mov_b32 s9, s15
                                        ; implicit-def: $sgpr14_sgpr15
	s_wait_alu 0xfffe
	s_cmp_lg_u64 s[8:9], 0
	s_mov_b32 s9, -1
	s_cbranch_scc0 .LBB117_13
; %bb.12:                               ;   in Loop: Header=BB117_11 Depth=1
	s_cvt_f32_u32 s9, s20
	s_cvt_f32_u32 s14, s21
	s_sub_nc_u64 s[24:25], 0, s[20:21]
	s_mov_b32 s27, s8
	s_mov_b32 s31, s8
	s_wait_alu 0xfffe
	s_fmamk_f32 s9, s14, 0x4f800000, s9
	s_wait_alu 0xfffe
	s_delay_alu instid0(SALU_CYCLE_2) | instskip(NEXT) | instid1(TRANS32_DEP_1)
	v_s_rcp_f32 s9, s9
	s_mul_f32 s9, s9, 0x5f7ffffc
	s_wait_alu 0xfffe
	s_delay_alu instid0(SALU_CYCLE_2) | instskip(NEXT) | instid1(SALU_CYCLE_3)
	s_mul_f32 s14, s9, 0x2f800000
	s_trunc_f32 s14, s14
	s_delay_alu instid0(SALU_CYCLE_3) | instskip(SKIP_2) | instid1(SALU_CYCLE_1)
	s_fmamk_f32 s9, s14, 0xcf800000, s9
	s_cvt_u32_f32 s15, s14
	s_wait_alu 0xfffe
	s_cvt_u32_f32 s14, s9
	s_delay_alu instid0(SALU_CYCLE_3) | instskip(NEXT) | instid1(SALU_CYCLE_1)
	s_mul_u64 s[28:29], s[24:25], s[14:15]
	s_mul_hi_u32 s35, s14, s29
	s_mul_i32 s34, s14, s29
	s_mul_hi_u32 s26, s14, s28
	s_mul_i32 s30, s15, s28
	s_add_nc_u64 s[26:27], s[26:27], s[34:35]
	s_mul_hi_u32 s9, s15, s28
	s_mul_hi_u32 s33, s15, s29
	s_add_co_u32 s26, s26, s30
	s_wait_alu 0xfffe
	s_add_co_ci_u32 s30, s27, s9
	s_mul_i32 s28, s15, s29
	s_add_co_ci_u32 s29, s33, 0
	s_delay_alu instid0(SALU_CYCLE_1)
	s_add_nc_u64 s[26:27], s[30:31], s[28:29]
	s_mov_b32 s29, s8
	s_add_co_u32 s14, s14, s26
	s_cselect_b32 s9, -1, 0
	s_wait_alu 0xfffe
	s_cmp_lg_u32 s9, 0
	s_add_co_ci_u32 s15, s15, s27
	s_mov_b32 s27, s8
	s_mul_u64 s[24:25], s[24:25], s[14:15]
	s_delay_alu instid0(SALU_CYCLE_1)
	s_mul_hi_u32 s31, s14, s25
	s_mul_i32 s30, s14, s25
	s_mul_hi_u32 s26, s14, s24
	s_mul_i32 s28, s15, s24
	s_add_nc_u64 s[26:27], s[26:27], s[30:31]
	s_mul_hi_u32 s9, s15, s24
	s_mul_hi_u32 s33, s15, s25
	s_mul_i32 s24, s15, s25
	s_add_co_u32 s25, s26, s28
	s_wait_alu 0xfffe
	s_add_co_ci_u32 s28, s27, s9
	s_add_co_ci_u32 s25, s33, 0
	s_mov_b32 s27, s8
	s_add_nc_u64 s[24:25], s[28:29], s[24:25]
	s_delay_alu instid0(SALU_CYCLE_1)
	s_add_co_u32 s9, s14, s24
	s_cselect_b32 s14, -1, 0
	s_wait_alu 0xfffe
	s_mul_hi_u32 s26, s2, s9
	s_cmp_lg_u32 s14, 0
	s_mul_hi_u32 s28, s3, s9
	s_add_co_ci_u32 s24, s15, s25
	s_mul_i32 s9, s3, s9
	s_mul_hi_u32 s15, s2, s24
	s_mul_i32 s14, s2, s24
	s_mul_hi_u32 s25, s3, s24
	s_add_nc_u64 s[14:15], s[26:27], s[14:15]
	s_mul_i32 s24, s3, s24
	s_wait_alu 0xfffe
	s_add_co_u32 s9, s14, s9
	s_add_co_ci_u32 s28, s15, s28
	s_add_co_ci_u32 s25, s25, 0
	s_delay_alu instid0(SALU_CYCLE_1) | instskip(NEXT) | instid1(SALU_CYCLE_1)
	s_add_nc_u64 s[14:15], s[28:29], s[24:25]
	s_mul_u64 s[24:25], s[20:21], s[14:15]
	s_delay_alu instid0(SALU_CYCLE_1)
	s_sub_co_u32 s9, s2, s24
	s_cselect_b32 s24, -1, 0
	s_sub_co_i32 s26, s3, s25
	s_cmp_lg_u32 s24, 0
	s_sub_co_ci_u32 s26, s26, s21
	s_wait_alu 0xfffe
	s_sub_co_u32 s27, s9, s20
	s_cselect_b32 s28, -1, 0
	s_delay_alu instid0(SALU_CYCLE_1) | instskip(SKIP_1) | instid1(SALU_CYCLE_1)
	s_cmp_lg_u32 s28, 0
	s_sub_co_ci_u32 s26, s26, 0
	s_cmp_ge_u32 s26, s21
	s_cselect_b32 s28, -1, 0
	s_cmp_ge_u32 s27, s20
	s_cselect_b32 s29, -1, 0
	s_cmp_eq_u32 s26, s21
	s_add_nc_u64 s[26:27], s[14:15], 1
	s_cselect_b32 s30, s29, s28
	s_add_nc_u64 s[28:29], s[14:15], 2
	s_cmp_lg_u32 s30, 0
	s_cselect_b32 s26, s28, s26
	s_cselect_b32 s27, s29, s27
	s_cmp_lg_u32 s24, 0
	s_sub_co_ci_u32 s24, s3, s25
	s_delay_alu instid0(SALU_CYCLE_1)
	s_cmp_ge_u32 s24, s21
	s_cselect_b32 s25, -1, 0
	s_cmp_ge_u32 s9, s20
	s_cselect_b32 s9, -1, 0
	s_cmp_eq_u32 s24, s21
	s_wait_alu 0xfffe
	s_cselect_b32 s9, s9, s25
	s_wait_alu 0xfffe
	s_cmp_lg_u32 s9, 0
	s_mov_b32 s9, 0
	s_cselect_b32 s15, s27, s15
	s_cselect_b32 s14, s26, s14
.LBB117_13:                             ;   in Loop: Header=BB117_11 Depth=1
	s_wait_alu 0xfffe
	s_and_not1_b32 vcc_lo, exec_lo, s9
	s_cbranch_vccnz .LBB117_15
; %bb.14:                               ;   in Loop: Header=BB117_11 Depth=1
	v_cvt_f32_u32_e32 v1, s20
	s_sub_co_i32 s14, 0, s20
	s_delay_alu instid0(VALU_DEP_1) | instskip(NEXT) | instid1(TRANS32_DEP_1)
	v_rcp_iflag_f32_e32 v1, v1
	v_mul_f32_e32 v1, 0x4f7ffffe, v1
	s_delay_alu instid0(VALU_DEP_1) | instskip(NEXT) | instid1(VALU_DEP_1)
	v_cvt_u32_f32_e32 v1, v1
	v_readfirstlane_b32 s9, v1
	s_mul_i32 s14, s14, s9
	s_delay_alu instid0(SALU_CYCLE_1) | instskip(NEXT) | instid1(SALU_CYCLE_1)
	s_mul_hi_u32 s14, s9, s14
	s_add_co_i32 s9, s9, s14
	s_wait_alu 0xfffe
	s_mul_hi_u32 s9, s2, s9
	s_wait_alu 0xfffe
	s_mul_i32 s14, s9, s20
	s_add_co_i32 s15, s9, 1
	s_sub_co_i32 s14, s2, s14
	s_delay_alu instid0(SALU_CYCLE_1)
	s_sub_co_i32 s24, s14, s20
	s_cmp_ge_u32 s14, s20
	s_cselect_b32 s9, s15, s9
	s_cselect_b32 s14, s24, s14
	s_wait_alu 0xfffe
	s_add_co_i32 s15, s9, 1
	s_cmp_ge_u32 s14, s20
	s_cselect_b32 s14, s15, s9
	s_mov_b32 s15, s8
.LBB117_15:                             ;   in Loop: Header=BB117_11 Depth=1
	s_load_b64 s[24:25], s[18:19], 0xc8
	s_mul_u64 s[20:21], s[14:15], s[20:21]
	s_add_co_i32 s11, s11, -1
	s_wait_alu 0xfffe
	s_sub_nc_u64 s[2:3], s[2:3], s[20:21]
	s_cmp_gt_u32 s11, 2
	s_add_nc_u64 s[18:19], s[18:19], -8
	s_wait_kmcnt 0x0
	s_wait_alu 0xfffe
	s_mul_u64 s[2:3], s[24:25], s[2:3]
	s_wait_alu 0xfffe
	s_add_nc_u64 s[12:13], s[2:3], s[12:13]
	s_cbranch_scc0 .LBB117_18
; %bb.16:                               ;   in Loop: Header=BB117_11 Depth=1
	s_mov_b64 s[2:3], s[14:15]
	s_branch .LBB117_11
.LBB117_17:
	s_mov_b64 s[14:15], s[2:3]
.LBB117_18:
	s_clause 0x2
	s_load_b64 s[2:3], s[0:1], 0xd0
	s_load_b32 s8, s[0:1], 0x360
	s_load_b64 s[18:19], s[0:1], 0x0
	s_movk_i32 s11, 0x8000
	s_mov_b32 s9, 0xff80
	s_wait_kmcnt 0x0
	s_mul_u64 s[6:7], s[2:3], s[6:7]
	s_bitcmp1_b32 s8, 0
	s_movk_i32 s8, 0x80
	s_cselect_b32 s26, -1, 0
	s_wait_alu 0xfffe
	s_add_nc_u64 s[6:7], s[18:19], s[6:7]
	s_and_b32 s20, s26, exec_lo
	s_cselect_b32 s8, s8, 0x7f
	s_cselect_b32 s11, s11, 0x7f00
	;; [unrolled: 1-line block ×3, first 2 shown]
	s_wait_alu 0xfffe
	s_or_b32 s8, s8, s11
	v_mov_b32_e32 v3, s20
	s_wait_alu 0xfffe
	s_and_b32 s9, s8, 0xffff
	s_lshl_b32 s8, s8, 16
	s_add_nc_u64 s[18:19], s[6:7], s[4:5]
	s_wait_alu 0xfffe
	s_or_b32 s8, s9, s8
	s_wait_alu 0xfffe
	s_mov_b32 s9, s8
	v_and_b32_e32 v41, 0x3ff, v0
	s_wait_alu 0xfffe
	v_dual_mov_b32 v1, s8 :: v_dual_mov_b32 v2, s9
	s_delay_alu instid0(VALU_DEP_2)
	v_cmp_gt_u32_e64 s2, s10, v41
	s_and_saveexec_b32 s3, s2
	s_cbranch_execz .LBB117_20
; %bb.19:
	v_mad_co_u64_u32 v[1:2], null, s16, v41, s[18:19]
	s_delay_alu instid0(VALU_DEP_1)
	v_mad_co_u64_u32 v[2:3], null, s17, v41, v[2:3]
	global_load_u8 v3, v[1:2], off
	v_mov_b32_e32 v2, s8
	s_wait_loadcnt 0x0
	v_perm_b32 v1, v3, s8, 0x3020104
.LBB117_20:
	s_wait_alu 0xfffe
	s_or_b32 exec_lo, exec_lo, s3
	v_add_nc_u32_e32 v24, 0x80, v41
	s_delay_alu instid0(VALU_DEP_1)
	v_cmp_gt_u32_e64 s3, s10, v24
	s_and_saveexec_b32 s4, s3
	s_cbranch_execz .LBB117_22
; %bb.21:
	v_mad_co_u64_u32 v[4:5], null, s16, v24, s[18:19]
	s_delay_alu instid0(VALU_DEP_1)
	v_mad_co_u64_u32 v[5:6], null, s17, v24, v[5:6]
	global_load_u8 v4, v[4:5], off
	s_wait_loadcnt 0x0
	v_perm_b32 v1, v1, v4, 0x7060004
.LBB117_22:
	s_or_b32 exec_lo, exec_lo, s4
	v_add_nc_u32_e32 v22, 0x100, v41
	s_delay_alu instid0(VALU_DEP_1)
	v_cmp_gt_u32_e64 s4, s10, v22
	s_and_saveexec_b32 s5, s4
	s_cbranch_execz .LBB117_24
; %bb.23:
	v_mad_co_u64_u32 v[4:5], null, s16, v22, s[18:19]
	s_delay_alu instid0(VALU_DEP_1) | instskip(SKIP_3) | instid1(VALU_DEP_1)
	v_mad_co_u64_u32 v[5:6], null, s17, v22, v[5:6]
	global_load_u8 v4, v[4:5], off
	s_wait_loadcnt 0x0
	v_perm_b32 v4, v4, v1, 0xc0c0304
	v_lshlrev_b32_e32 v4, 16, v4
	s_delay_alu instid0(VALU_DEP_1)
	v_and_or_b32 v1, 0xffff, v1, v4
.LBB117_24:
	s_or_b32 exec_lo, exec_lo, s5
	v_add_nc_u32_e32 v21, 0x180, v41
	s_delay_alu instid0(VALU_DEP_1)
	v_cmp_gt_u32_e64 s5, s10, v21
	s_and_saveexec_b32 s6, s5
	s_cbranch_execz .LBB117_26
; %bb.25:
	v_mad_co_u64_u32 v[4:5], null, s16, v21, s[18:19]
	s_delay_alu instid0(VALU_DEP_1) | instskip(SKIP_3) | instid1(VALU_DEP_1)
	v_mad_co_u64_u32 v[5:6], null, s17, v21, v[5:6]
	global_load_u8 v4, v[4:5], off
	s_wait_loadcnt 0x0
	v_perm_b32 v4, v1, v4, 0xc0c0006
	v_lshlrev_b32_e32 v4, 16, v4
	s_delay_alu instid0(VALU_DEP_1)
	v_and_or_b32 v1, 0xffff, v1, v4
.LBB117_26:
	s_wait_alu 0xfffe
	s_or_b32 exec_lo, exec_lo, s6
	v_add_nc_u32_e32 v20, 0x200, v41
	s_delay_alu instid0(VALU_DEP_1)
	v_cmp_gt_u32_e64 s6, s10, v20
	s_and_saveexec_b32 s7, s6
	s_cbranch_execz .LBB117_28
; %bb.27:
	v_mad_co_u64_u32 v[4:5], null, s16, v20, s[18:19]
	s_delay_alu instid0(VALU_DEP_1)
	v_mad_co_u64_u32 v[5:6], null, s17, v20, v[5:6]
	global_load_u8 v4, v[4:5], off
	s_wait_loadcnt 0x0
	v_perm_b32 v2, v4, v2, 0x3020104
.LBB117_28:
	s_wait_alu 0xfffe
	s_or_b32 exec_lo, exec_lo, s7
	v_add_nc_u32_e32 v19, 0x280, v41
	s_delay_alu instid0(VALU_DEP_1)
	v_cmp_gt_u32_e64 s7, s10, v19
	s_and_saveexec_b32 s8, s7
	s_cbranch_execz .LBB117_30
; %bb.29:
	v_mad_co_u64_u32 v[4:5], null, s16, v19, s[18:19]
	s_delay_alu instid0(VALU_DEP_1)
	v_mad_co_u64_u32 v[5:6], null, s17, v19, v[5:6]
	global_load_u8 v4, v[4:5], off
	s_wait_loadcnt 0x0
	v_perm_b32 v2, v2, v4, 0x7060004
.LBB117_30:
	;; [unrolled: 15-line block ×3, first 2 shown]
	s_wait_alu 0xfffe
	s_or_b32 exec_lo, exec_lo, s9
	s_clause 0x1
	s_load_b64 s[24:25], s[0:1], 0x288
	s_load_b64 s[20:21], s[0:1], 0x1b8
	v_add_nc_u32_e32 v17, 0x380, v41
	s_delay_alu instid0(VALU_DEP_1)
	v_cmp_gt_u32_e64 s9, s10, v17
	s_and_saveexec_b32 s10, s9
	s_cbranch_execz .LBB117_34
; %bb.33:
	v_mad_co_u64_u32 v[4:5], null, s16, v17, s[18:19]
	s_delay_alu instid0(VALU_DEP_1)
	v_mad_co_u64_u32 v[5:6], null, s17, v17, v[5:6]
	global_load_u8 v4, v[4:5], off
	s_wait_loadcnt 0x0
	v_perm_b32 v2, v2, v4, 0x60504
.LBB117_34:
	s_wait_alu 0xfffe
	s_or_b32 exec_lo, exec_lo, s10
	v_lshrrev_b32_e32 v63, 5, v41
	v_lshrrev_b32_e32 v25, 5, v22
	;; [unrolled: 1-line block ×5, first 2 shown]
	v_and_b32_e32 v4, 28, v63
	v_lshrrev_b32_e32 v29, 5, v18
	v_and_b32_e32 v7, 60, v26
	v_lshrrev_b32_e32 v28, 5, v19
	v_lshrrev_b32_e32 v30, 5, v17
	v_add_nc_u32_e32 v44, v4, v41
	v_and_b32_e32 v4, 60, v25
	v_and_b32_e32 v5, 60, v23
	v_add_nc_u32_e32 v48, v7, v41
	v_and_b32_e32 v7, 60, v29
	v_and_b32_e32 v9, 60, v30
	v_add_nc_u32_e32 v46, v4, v41
	v_and_b32_e32 v4, 60, v27
	v_lshrrev_b32_e32 v31, 2, v41
	v_lshrrev_b32_e32 v6, 8, v1
	v_add_nc_u32_e32 v45, v5, v41
	v_lshrrev_b32_e32 v5, 24, v1
	v_add_nc_u32_e32 v47, v4, v41
	v_and_b32_e32 v4, 60, v28
	v_dual_mov_b32 v11, 0 :: v_dual_add_nc_u32 v50, v7, v41
	v_lshrrev_b32_e32 v8, 8, v2
	v_add_nc_u32_e32 v51, v9, v41
	s_delay_alu instid0(VALU_DEP_4)
	v_add_nc_u32_e32 v49, v4, v41
	v_lshrrev_b32_e32 v4, 24, v2
	v_dual_mov_b32 v12, 0 :: v_dual_and_b32 v7, 0xfc, v31
	ds_store_b8 v44, v3
	ds_store_b8 v45, v6 offset:128
	ds_store_b8_d16_hi v46, v1 offset:256
	ds_store_b8 v47, v5 offset:384
	ds_store_b8 v48, v2 offset:512
	;; [unrolled: 1-line block ×3, first 2 shown]
	ds_store_b8_d16_hi v50, v2 offset:768
	ds_store_b8 v51, v4 offset:896
	v_mov_b32_e32 v1, 0
	v_lshlrev_b32_e32 v61, 3, v41
	s_wait_kmcnt 0x0
	s_mul_u64 s[10:11], s[24:25], s[14:15]
	s_wait_dscnt 0x0
	s_wait_alu 0xfffe
	s_lshl_b64 s[14:15], s[10:11], 3
	v_mov_b32_e32 v10, v1
	v_add_nc_u32_e32 v52, v7, v61
	s_load_b64 s[10:11], s[0:1], 0x358
	s_barrier_signal -1
	s_barrier_wait -1
	global_inv scope:SCOPE_SE
	ds_load_2addr_b32 v[42:43], v52 offset1:1
	v_dual_mov_b32 v2, v1 :: v_dual_mov_b32 v13, v1
	v_dual_mov_b32 v14, v1 :: v_dual_mov_b32 v15, v1
	;; [unrolled: 1-line block ×6, first 2 shown]
	s_lshl_b64 s[12:13], s[12:13], 3
	s_add_nc_u64 s[0:1], s[20:21], s[14:15]
	s_wait_loadcnt_dscnt 0x0
	s_add_nc_u64 s[20:21], s[0:1], s[12:13]
	s_barrier_signal -1
	s_barrier_wait -1
	global_inv scope:SCOPE_SE
	s_and_saveexec_b32 s0, s2
	s_cbranch_execnz .LBB117_67
; %bb.35:
	s_or_b32 exec_lo, exec_lo, s0
	s_and_saveexec_b32 s0, s3
	s_cbranch_execnz .LBB117_68
.LBB117_36:
	s_or_b32 exec_lo, exec_lo, s0
	s_and_saveexec_b32 s0, s4
	s_cbranch_execnz .LBB117_69
.LBB117_37:
	s_or_b32 exec_lo, exec_lo, s0
	s_and_saveexec_b32 s0, s5
	s_cbranch_execnz .LBB117_70
.LBB117_38:
	s_or_b32 exec_lo, exec_lo, s0
	s_and_saveexec_b32 s0, s6
	s_cbranch_execnz .LBB117_71
.LBB117_39:
	s_or_b32 exec_lo, exec_lo, s0
	s_and_saveexec_b32 s0, s7
	s_cbranch_execnz .LBB117_72
.LBB117_40:
	s_or_b32 exec_lo, exec_lo, s0
	s_and_saveexec_b32 s0, s8
	s_cbranch_execnz .LBB117_73
.LBB117_41:
	s_or_b32 exec_lo, exec_lo, s0
	s_xor_b32 s0, s26, -1
	s_and_saveexec_b32 s1, s9
	s_cbranch_execz .LBB117_43
.LBB117_42:
	s_wait_kmcnt 0x0
	v_mad_co_u64_u32 v[9:10], null, s10, v17, 0
	s_wait_loadcnt 0x0
	s_delay_alu instid0(VALU_DEP_1) | instskip(NEXT) | instid1(VALU_DEP_1)
	v_mad_co_u64_u32 v[17:18], null, s11, v17, v[10:11]
	v_mov_b32_e32 v10, v17
	s_delay_alu instid0(VALU_DEP_1) | instskip(SKIP_1) | instid1(VALU_DEP_1)
	v_lshlrev_b64_e32 v[9:10], 3, v[9:10]
	s_wait_alu 0xfffe
	v_add_co_u32 v9, vcc_lo, s20, v9
	s_wait_alu 0xfffd
	s_delay_alu instid0(VALU_DEP_2)
	v_add_co_ci_u32_e64 v10, null, s21, v10, vcc_lo
	global_load_b64 v[9:10], v[9:10], off
.LBB117_43:
	s_or_b32 exec_lo, exec_lo, s1
	v_lshl_add_u32 v53, v63, 3, v61
	v_lshl_add_u32 v54, v23, 3, v61
	;; [unrolled: 1-line block ×5, first 2 shown]
	s_wait_loadcnt 0x0
	ds_store_b64 v53, v[11:12]
	ds_store_b64 v54, v[1:2] offset:1024
	ds_store_b64 v55, v[13:14] offset:2048
	;; [unrolled: 1-line block ×3, first 2 shown]
	v_lshlrev_b32_e32 v1, 3, v61
	v_lshl_add_u32 v58, v28, 3, v61
	v_lshl_add_u32 v59, v29, 3, v61
	;; [unrolled: 1-line block ×3, first 2 shown]
	ds_store_b64 v57, v[3:4] offset:4096
	ds_store_b64 v58, v[5:6] offset:5120
	;; [unrolled: 1-line block ×4, first 2 shown]
	v_lshl_add_u32 v62, v31, 3, v1
	s_wait_dscnt 0x0
	s_barrier_signal -1
	s_barrier_wait -1
	global_inv scope:SCOPE_SE
	ds_load_2addr_b64 v[13:16], v62 offset1:1
	ds_load_2addr_b64 v[9:12], v62 offset0:2 offset1:3
	ds_load_2addr_b64 v[5:8], v62 offset0:4 offset1:5
	;; [unrolled: 1-line block ×3, first 2 shown]
	v_mbcnt_lo_u32_b32 v65, -1, 0
	v_and_b32_e32 v66, 0x3e0, v41
	v_lshrrev_b32_e32 v72, 24, v43
	v_lshrrev_b32_e32 v73, 16, v43
	;; [unrolled: 1-line block ×3, first 2 shown]
	v_and_or_b32 v71, 0x1f00, v61, v65
	v_or_b32_e32 v17, v65, v66
	v_lshrrev_b32_e32 v75, 24, v42
	v_lshrrev_b32_e32 v76, 16, v42
	;; [unrolled: 1-line block ×3, first 2 shown]
	v_bfe_u32 v67, v0, 10, 10
	v_lshlrev_b32_e32 v70, 3, v17
	v_bfe_u32 v68, v0, 20, 10
	v_mad_u32_u24 v69, v71, 7, v71
	v_lshlrev_b32_e32 v64, 2, v61
	s_mov_b32 s12, 0
	s_and_b32 vcc_lo, exec_lo, s0
	s_mov_b32 s0, -1
	s_wait_loadcnt_dscnt 0x0
	s_barrier_signal -1
	s_barrier_wait -1
	global_inv scope:SCOPE_SE
	s_wait_alu 0xfffe
	s_cbranch_vccz .LBB117_74
; %bb.44:
	v_xor_b32_e32 v0, 0x80, v42
	v_xor_b32_e32 v17, 0x80, v77
	;; [unrolled: 1-line block ×8, first 2 shown]
	v_lshlrev_b16 v17, 8, v17
	v_lshlrev_b16 v19, 8, v19
	v_and_b32_e32 v20, 0xff, v20
	v_lshlrev_b16 v21, 8, v21
	v_and_b32_e32 v22, 0xff, v22
	v_lshlrev_b16 v23, 8, v23
	s_mov_b32 s14, s12
	s_mov_b32 s15, s12
	v_and_b32_e32 v0, 0xff, v0
	v_and_b32_e32 v18, 0xff, v18
	s_getpc_b64 s[0:1]
	s_sext_i32_i16 s1, s1
	s_add_co_u32 s0, s0, _ZN7rocprim17ROCPRIM_400000_NS16block_radix_sortIaLj128ELj8ElLj1ELj1ELj0ELNS0_26block_radix_rank_algorithmE1ELNS0_18block_padding_hintE2ELNS0_4arch9wavefront6targetE0EE19radix_bits_per_passE@rel32@lo+8
	s_add_co_ci_u32 s1, s1, _ZN7rocprim17ROCPRIM_400000_NS16block_radix_sortIaLj128ELj8ElLj1ELj1ELj0ELNS0_26block_radix_rank_algorithmE1ELNS0_18block_padding_hintE2ELNS0_4arch9wavefront6targetE0EE19radix_bits_per_passE@rel32@hi+16
	s_load_b32 s0, s[0:1], 0x0
	v_or_b32_e32 v0, v0, v17
	v_or_b32_e32 v17, v18, v19
	v_or_b32_e32 v18, v20, v21
	v_or_b32_e32 v19, v22, v23
	s_delay_alu instid0(VALU_DEP_4) | instskip(NEXT) | instid1(VALU_DEP_4)
	v_and_b32_e32 v0, 0xffff, v0
	v_lshlrev_b32_e32 v17, 16, v17
	s_delay_alu instid0(VALU_DEP_4) | instskip(NEXT) | instid1(VALU_DEP_4)
	v_and_b32_e32 v18, 0xffff, v18
	v_lshlrev_b32_e32 v19, 16, v19
	s_delay_alu instid0(VALU_DEP_3) | instskip(NEXT) | instid1(VALU_DEP_2)
	v_or_b32_e32 v17, v0, v17
	v_or_b32_e32 v18, v18, v19
	ds_store_b64 v70, v[17:18]
	; wave barrier
	ds_load_u8 v0, v71
	ds_load_u8 v78, v71 offset:32
	ds_load_u8 v79, v71 offset:64
	;; [unrolled: 1-line block ×7, first 2 shown]
	s_wait_kmcnt 0x0
	s_min_u32 s0, s0, 8
	v_lshlrev_b32_e32 v17, 3, v70
	s_lshl_b32 s0, -1, s0
	s_wait_loadcnt_dscnt 0x0
	s_not_b32 s1, s0
	s_barrier_signal -1
	s_barrier_wait -1
	global_inv scope:SCOPE_SE
	ds_store_b128 v17, v[13:16]
	ds_store_b128 v17, v[9:12] offset:16
	ds_store_b128 v17, v[5:8] offset:32
	;; [unrolled: 1-line block ×3, first 2 shown]
	; wave barrier
	ds_load_2addr_b64 v[21:24], v69 offset1:32
	ds_load_2addr_b64 v[17:20], v69 offset0:64 offset1:96
	v_and_b32_e32 v39, s1, v0
	ds_load_2addr_b64 v[29:32], v69 offset0:192 offset1:224
	v_and_b32_e32 v25, 1, v39
	v_lshlrev_b32_e32 v35, 30, v39
	v_lshlrev_b32_e32 v36, 29, v39
	;; [unrolled: 1-line block ×3, first 2 shown]
	s_delay_alu instid0(VALU_DEP_4)
	v_add_co_u32 v33, s0, v25, -1
	s_wait_alu 0xf1ff
	v_cndmask_b32_e64 v34, 0, 1, s0
	ds_load_2addr_b64 v[25:28], v69 offset0:128 offset1:160
	s_wait_loadcnt_dscnt 0x0
	s_barrier_signal -1
	s_barrier_wait -1
	v_cmp_ne_u32_e32 vcc_lo, 0, v34
	v_not_b32_e32 v34, v35
	global_inv scope:SCOPE_SE
	s_load_b32 s0, s[22:23], 0xc
	v_xor_b32_e32 v33, vcc_lo, v33
	v_cmp_gt_i32_e32 vcc_lo, 0, v35
	v_ashrrev_i32_e32 v34, 31, v34
	v_not_b32_e32 v35, v36
	s_delay_alu instid0(VALU_DEP_4) | instskip(SKIP_1) | instid1(VALU_DEP_3)
	v_and_b32_e32 v33, exec_lo, v33
	s_wait_alu 0xfffd
	v_xor_b32_e32 v34, vcc_lo, v34
	v_cmp_gt_i32_e32 vcc_lo, 0, v36
	v_ashrrev_i32_e32 v35, 31, v35
	v_not_b32_e32 v36, v37
	s_delay_alu instid0(VALU_DEP_4)
	v_and_b32_e32 v33, v33, v34
	v_lshlrev_b32_e32 v34, 27, v39
	s_wait_alu 0xfffd
	v_xor_b32_e32 v35, vcc_lo, v35
	v_cmp_gt_i32_e32 vcc_lo, 0, v37
	v_ashrrev_i32_e32 v36, 31, v36
	v_not_b32_e32 v37, v34
	s_delay_alu instid0(VALU_DEP_4)
	v_and_b32_e32 v33, v33, v35
	v_lshlrev_b32_e32 v35, 26, v39
	s_wait_alu 0xfffd
	v_xor_b32_e32 v36, vcc_lo, v36
	v_cmp_gt_i32_e32 vcc_lo, 0, v34
	v_ashrrev_i32_e32 v34, 31, v37
	s_wait_kmcnt 0x0
	s_lshr_b32 s13, s0, 16
	v_not_b32_e32 v37, v35
	v_and_b32_e32 v33, v33, v36
	v_lshlrev_b32_e32 v36, 25, v39
	s_wait_alu 0xfffd
	v_xor_b32_e32 v34, vcc_lo, v34
	v_cmp_gt_i32_e32 vcc_lo, 0, v35
	v_ashrrev_i32_e32 v35, 31, v37
	v_mad_u32_u24 v38, v68, s13, v67
	v_not_b32_e32 v37, v36
	v_and_b32_e32 v33, v33, v34
	v_lshlrev_b32_e32 v34, 24, v39
	s_wait_alu 0xfffd
	v_xor_b32_e32 v35, vcc_lo, v35
	v_cmp_gt_i32_e32 vcc_lo, 0, v36
	v_ashrrev_i32_e32 v36, 31, v37
	s_and_b32 s0, s0, 0xffff
	v_not_b32_e32 v37, v34
	v_and_b32_e32 v35, v33, v35
	s_mov_b32 s13, s12
	s_wait_alu 0xfffd
	v_xor_b32_e32 v36, vcc_lo, v36
	v_cmp_gt_i32_e32 vcc_lo, 0, v34
	v_ashrrev_i32_e32 v37, 31, v37
	s_wait_alu 0xfffe
	v_mad_co_u64_u32 v[33:34], null, v38, s0, v[41:42]
	v_and_b32_e32 v34, v35, v36
	v_and_b32_e32 v39, 0xff, v39
	s_wait_alu 0xfffd
	v_xor_b32_e32 v40, vcc_lo, v37
	v_dual_mov_b32 v38, s15 :: v_dual_mov_b32 v37, s14
	v_dual_mov_b32 v36, s13 :: v_dual_mov_b32 v35, s12
	s_delay_alu instid0(VALU_DEP_3)
	v_and_b32_e32 v34, v34, v40
	v_lshrrev_b32_e32 v33, 3, v33
	ds_store_b128 v64, v[35:38] offset:16
	ds_store_b128 v64, v[35:38] offset:32
	v_mbcnt_lo_u32_b32 v85, v34, 0
	v_and_b32_e32 v33, 0x1ffffffc, v33
	v_lshlrev_b32_e32 v35, 4, v39
	v_cmp_ne_u32_e64 s0, 0, v34
	s_wait_loadcnt_dscnt 0x0
	v_cmp_eq_u32_e32 vcc_lo, 0, v85
	s_barrier_signal -1
	v_add_nc_u32_e32 v86, v33, v35
	s_barrier_wait -1
	global_inv scope:SCOPE_SE
	s_and_b32 s12, s0, vcc_lo
	; wave barrier
	s_wait_alu 0xfffe
	s_and_saveexec_b32 s0, s12
; %bb.45:
	v_bcnt_u32_b32 v34, v34, 0
	ds_store_b32 v86, v34 offset:16
; %bb.46:
	s_wait_alu 0xfffe
	s_or_b32 exec_lo, exec_lo, s0
	v_and_b32_e32 v34, s1, v78
	; wave barrier
	s_delay_alu instid0(VALU_DEP_1)
	v_and_b32_e32 v36, 1, v34
	v_lshlrev_b32_e32 v37, 30, v34
	v_lshlrev_b32_e32 v38, 29, v34
	;; [unrolled: 1-line block ×4, first 2 shown]
	v_add_co_u32 v36, s0, v36, -1
	s_wait_alu 0xf1ff
	v_cndmask_b32_e64 v40, 0, 1, s0
	v_not_b32_e32 v90, v37
	v_cmp_gt_i32_e64 s0, 0, v37
	v_not_b32_e32 v37, v38
	v_lshlrev_b32_e32 v88, 26, v34
	v_cmp_ne_u32_e32 vcc_lo, 0, v40
	v_ashrrev_i32_e32 v40, 31, v90
	v_lshlrev_b32_e32 v89, 25, v34
	v_ashrrev_i32_e32 v37, 31, v37
	v_and_b32_e32 v35, 0xff, v34
	s_wait_alu 0xfffd
	v_xor_b32_e32 v36, vcc_lo, v36
	v_cmp_gt_i32_e32 vcc_lo, 0, v38
	v_not_b32_e32 v38, v39
	s_wait_alu 0xf1ff
	v_xor_b32_e32 v40, s0, v40
	v_cmp_gt_i32_e64 s0, 0, v39
	v_and_b32_e32 v36, exec_lo, v36
	v_not_b32_e32 v39, v87
	v_ashrrev_i32_e32 v38, 31, v38
	s_wait_alu 0xfffd
	v_xor_b32_e32 v37, vcc_lo, v37
	v_cmp_gt_i32_e32 vcc_lo, 0, v87
	v_and_b32_e32 v36, v36, v40
	v_not_b32_e32 v40, v88
	v_ashrrev_i32_e32 v39, 31, v39
	s_wait_alu 0xf1ff
	v_xor_b32_e32 v38, s0, v38
	v_lshlrev_b32_e32 v34, 24, v34
	v_and_b32_e32 v36, v36, v37
	v_cmp_gt_i32_e64 s0, 0, v88
	v_not_b32_e32 v37, v89
	v_ashrrev_i32_e32 v40, 31, v40
	s_wait_alu 0xfffd
	v_xor_b32_e32 v39, vcc_lo, v39
	v_and_b32_e32 v36, v36, v38
	v_cmp_gt_i32_e32 vcc_lo, 0, v89
	v_not_b32_e32 v38, v34
	v_ashrrev_i32_e32 v37, 31, v37
	s_wait_alu 0xf1ff
	v_xor_b32_e32 v40, s0, v40
	v_and_b32_e32 v36, v36, v39
	v_lshlrev_b32_e32 v35, 4, v35
	v_cmp_gt_i32_e64 s0, 0, v34
	v_ashrrev_i32_e32 v34, 31, v38
	s_wait_alu 0xfffd
	v_xor_b32_e32 v37, vcc_lo, v37
	v_and_b32_e32 v36, v36, v40
	v_add_nc_u32_e32 v89, v33, v35
	s_wait_alu 0xf1ff
	v_xor_b32_e32 v34, s0, v34
	s_delay_alu instid0(VALU_DEP_3) | instskip(SKIP_2) | instid1(VALU_DEP_1)
	v_and_b32_e32 v35, v36, v37
	ds_load_b32 v87, v89 offset:16
	; wave barrier
	v_and_b32_e32 v34, v35, v34
	v_mbcnt_lo_u32_b32 v88, v34, 0
	v_cmp_ne_u32_e64 s0, 0, v34
	s_delay_alu instid0(VALU_DEP_2)
	v_cmp_eq_u32_e32 vcc_lo, 0, v88
	s_and_b32 s12, s0, vcc_lo
	s_wait_alu 0xfffe
	s_and_saveexec_b32 s0, s12
	s_cbranch_execz .LBB117_48
; %bb.47:
	s_wait_dscnt 0x0
	v_bcnt_u32_b32 v34, v34, v87
	ds_store_b32 v89, v34 offset:16
.LBB117_48:
	s_wait_alu 0xfffe
	s_or_b32 exec_lo, exec_lo, s0
	v_and_b32_e32 v34, s1, v79
	; wave barrier
	s_delay_alu instid0(VALU_DEP_1)
	v_and_b32_e32 v36, 1, v34
	v_lshlrev_b32_e32 v37, 30, v34
	v_lshlrev_b32_e32 v38, 29, v34
	;; [unrolled: 1-line block ×4, first 2 shown]
	v_add_co_u32 v36, s0, v36, -1
	s_wait_alu 0xf1ff
	v_cndmask_b32_e64 v40, 0, 1, s0
	v_not_b32_e32 v93, v37
	v_cmp_gt_i32_e64 s0, 0, v37
	v_not_b32_e32 v37, v38
	v_lshlrev_b32_e32 v91, 26, v34
	v_cmp_ne_u32_e32 vcc_lo, 0, v40
	v_ashrrev_i32_e32 v40, 31, v93
	v_lshlrev_b32_e32 v92, 25, v34
	v_ashrrev_i32_e32 v37, 31, v37
	v_and_b32_e32 v35, 0xff, v34
	s_wait_alu 0xfffd
	v_xor_b32_e32 v36, vcc_lo, v36
	v_cmp_gt_i32_e32 vcc_lo, 0, v38
	v_not_b32_e32 v38, v39
	s_wait_alu 0xf1ff
	v_xor_b32_e32 v40, s0, v40
	v_cmp_gt_i32_e64 s0, 0, v39
	v_and_b32_e32 v36, exec_lo, v36
	v_not_b32_e32 v39, v90
	v_ashrrev_i32_e32 v38, 31, v38
	s_wait_alu 0xfffd
	v_xor_b32_e32 v37, vcc_lo, v37
	v_cmp_gt_i32_e32 vcc_lo, 0, v90
	v_and_b32_e32 v36, v36, v40
	v_not_b32_e32 v40, v91
	v_ashrrev_i32_e32 v39, 31, v39
	s_wait_alu 0xf1ff
	v_xor_b32_e32 v38, s0, v38
	v_lshlrev_b32_e32 v34, 24, v34
	v_and_b32_e32 v36, v36, v37
	v_cmp_gt_i32_e64 s0, 0, v91
	v_not_b32_e32 v37, v92
	v_ashrrev_i32_e32 v40, 31, v40
	s_wait_alu 0xfffd
	v_xor_b32_e32 v39, vcc_lo, v39
	v_and_b32_e32 v36, v36, v38
	v_cmp_gt_i32_e32 vcc_lo, 0, v92
	v_not_b32_e32 v38, v34
	v_ashrrev_i32_e32 v37, 31, v37
	s_wait_alu 0xf1ff
	v_xor_b32_e32 v40, s0, v40
	v_and_b32_e32 v36, v36, v39
	v_lshlrev_b32_e32 v35, 4, v35
	v_cmp_gt_i32_e64 s0, 0, v34
	v_ashrrev_i32_e32 v34, 31, v38
	s_wait_alu 0xfffd
	v_xor_b32_e32 v37, vcc_lo, v37
	v_and_b32_e32 v36, v36, v40
	v_add_nc_u32_e32 v92, v33, v35
	s_wait_alu 0xf1ff
	v_xor_b32_e32 v34, s0, v34
	s_delay_alu instid0(VALU_DEP_3) | instskip(SKIP_2) | instid1(VALU_DEP_1)
	v_and_b32_e32 v35, v36, v37
	ds_load_b32 v90, v92 offset:16
	; wave barrier
	v_and_b32_e32 v34, v35, v34
	v_mbcnt_lo_u32_b32 v91, v34, 0
	v_cmp_ne_u32_e64 s0, 0, v34
	s_delay_alu instid0(VALU_DEP_2)
	v_cmp_eq_u32_e32 vcc_lo, 0, v91
	s_and_b32 s12, s0, vcc_lo
	s_wait_alu 0xfffe
	s_and_saveexec_b32 s0, s12
	s_cbranch_execz .LBB117_50
; %bb.49:
	s_wait_dscnt 0x0
	v_bcnt_u32_b32 v34, v34, v90
	ds_store_b32 v92, v34 offset:16
.LBB117_50:
	s_wait_alu 0xfffe
	s_or_b32 exec_lo, exec_lo, s0
	v_and_b32_e32 v34, s1, v80
	; wave barrier
	s_delay_alu instid0(VALU_DEP_1)
	v_and_b32_e32 v36, 1, v34
	v_lshlrev_b32_e32 v37, 30, v34
	v_lshlrev_b32_e32 v38, 29, v34
	;; [unrolled: 1-line block ×4, first 2 shown]
	v_add_co_u32 v36, s0, v36, -1
	s_wait_alu 0xf1ff
	v_cndmask_b32_e64 v40, 0, 1, s0
	v_not_b32_e32 v96, v37
	v_cmp_gt_i32_e64 s0, 0, v37
	v_not_b32_e32 v37, v38
	v_lshlrev_b32_e32 v94, 26, v34
	v_cmp_ne_u32_e32 vcc_lo, 0, v40
	v_ashrrev_i32_e32 v40, 31, v96
	v_lshlrev_b32_e32 v95, 25, v34
	v_ashrrev_i32_e32 v37, 31, v37
	v_and_b32_e32 v35, 0xff, v34
	s_wait_alu 0xfffd
	v_xor_b32_e32 v36, vcc_lo, v36
	v_cmp_gt_i32_e32 vcc_lo, 0, v38
	v_not_b32_e32 v38, v39
	s_wait_alu 0xf1ff
	v_xor_b32_e32 v40, s0, v40
	v_cmp_gt_i32_e64 s0, 0, v39
	v_and_b32_e32 v36, exec_lo, v36
	v_not_b32_e32 v39, v93
	v_ashrrev_i32_e32 v38, 31, v38
	s_wait_alu 0xfffd
	v_xor_b32_e32 v37, vcc_lo, v37
	v_cmp_gt_i32_e32 vcc_lo, 0, v93
	v_and_b32_e32 v36, v36, v40
	v_not_b32_e32 v40, v94
	v_ashrrev_i32_e32 v39, 31, v39
	s_wait_alu 0xf1ff
	v_xor_b32_e32 v38, s0, v38
	v_lshlrev_b32_e32 v34, 24, v34
	v_and_b32_e32 v36, v36, v37
	v_cmp_gt_i32_e64 s0, 0, v94
	v_not_b32_e32 v37, v95
	v_ashrrev_i32_e32 v40, 31, v40
	s_wait_alu 0xfffd
	v_xor_b32_e32 v39, vcc_lo, v39
	v_and_b32_e32 v36, v36, v38
	v_cmp_gt_i32_e32 vcc_lo, 0, v95
	v_not_b32_e32 v38, v34
	v_ashrrev_i32_e32 v37, 31, v37
	s_wait_alu 0xf1ff
	v_xor_b32_e32 v40, s0, v40
	v_and_b32_e32 v36, v36, v39
	v_lshlrev_b32_e32 v35, 4, v35
	v_cmp_gt_i32_e64 s0, 0, v34
	v_ashrrev_i32_e32 v34, 31, v38
	s_wait_alu 0xfffd
	v_xor_b32_e32 v37, vcc_lo, v37
	v_and_b32_e32 v36, v36, v40
	v_add_nc_u32_e32 v95, v33, v35
	s_wait_alu 0xf1ff
	v_xor_b32_e32 v34, s0, v34
	s_delay_alu instid0(VALU_DEP_3) | instskip(SKIP_2) | instid1(VALU_DEP_1)
	v_and_b32_e32 v35, v36, v37
	ds_load_b32 v93, v95 offset:16
	; wave barrier
	v_and_b32_e32 v34, v35, v34
	v_mbcnt_lo_u32_b32 v94, v34, 0
	v_cmp_ne_u32_e64 s0, 0, v34
	s_delay_alu instid0(VALU_DEP_2)
	v_cmp_eq_u32_e32 vcc_lo, 0, v94
	s_and_b32 s12, s0, vcc_lo
	s_wait_alu 0xfffe
	s_and_saveexec_b32 s0, s12
	s_cbranch_execz .LBB117_52
; %bb.51:
	s_wait_dscnt 0x0
	v_bcnt_u32_b32 v34, v34, v93
	ds_store_b32 v95, v34 offset:16
.LBB117_52:
	s_wait_alu 0xfffe
	s_or_b32 exec_lo, exec_lo, s0
	v_and_b32_e32 v34, s1, v81
	; wave barrier
	s_delay_alu instid0(VALU_DEP_1)
	v_and_b32_e32 v36, 1, v34
	v_lshlrev_b32_e32 v37, 30, v34
	v_lshlrev_b32_e32 v38, 29, v34
	;; [unrolled: 1-line block ×4, first 2 shown]
	v_add_co_u32 v36, s0, v36, -1
	s_wait_alu 0xf1ff
	v_cndmask_b32_e64 v40, 0, 1, s0
	v_not_b32_e32 v99, v37
	v_cmp_gt_i32_e64 s0, 0, v37
	v_not_b32_e32 v37, v38
	v_lshlrev_b32_e32 v97, 26, v34
	v_cmp_ne_u32_e32 vcc_lo, 0, v40
	v_ashrrev_i32_e32 v40, 31, v99
	v_lshlrev_b32_e32 v98, 25, v34
	v_ashrrev_i32_e32 v37, 31, v37
	v_and_b32_e32 v35, 0xff, v34
	s_wait_alu 0xfffd
	v_xor_b32_e32 v36, vcc_lo, v36
	v_cmp_gt_i32_e32 vcc_lo, 0, v38
	v_not_b32_e32 v38, v39
	s_wait_alu 0xf1ff
	v_xor_b32_e32 v40, s0, v40
	v_cmp_gt_i32_e64 s0, 0, v39
	v_and_b32_e32 v36, exec_lo, v36
	v_not_b32_e32 v39, v96
	v_ashrrev_i32_e32 v38, 31, v38
	s_wait_alu 0xfffd
	v_xor_b32_e32 v37, vcc_lo, v37
	v_cmp_gt_i32_e32 vcc_lo, 0, v96
	v_and_b32_e32 v36, v36, v40
	v_not_b32_e32 v40, v97
	v_ashrrev_i32_e32 v39, 31, v39
	s_wait_alu 0xf1ff
	v_xor_b32_e32 v38, s0, v38
	v_lshlrev_b32_e32 v34, 24, v34
	v_and_b32_e32 v36, v36, v37
	v_cmp_gt_i32_e64 s0, 0, v97
	v_not_b32_e32 v37, v98
	v_ashrrev_i32_e32 v40, 31, v40
	s_wait_alu 0xfffd
	v_xor_b32_e32 v39, vcc_lo, v39
	v_and_b32_e32 v36, v36, v38
	v_cmp_gt_i32_e32 vcc_lo, 0, v98
	v_not_b32_e32 v38, v34
	v_ashrrev_i32_e32 v37, 31, v37
	s_wait_alu 0xf1ff
	v_xor_b32_e32 v40, s0, v40
	v_and_b32_e32 v36, v36, v39
	v_lshlrev_b32_e32 v35, 4, v35
	v_cmp_gt_i32_e64 s0, 0, v34
	v_ashrrev_i32_e32 v34, 31, v38
	s_wait_alu 0xfffd
	v_xor_b32_e32 v37, vcc_lo, v37
	v_and_b32_e32 v36, v36, v40
	v_add_nc_u32_e32 v98, v33, v35
	s_wait_alu 0xf1ff
	v_xor_b32_e32 v34, s0, v34
	s_delay_alu instid0(VALU_DEP_3) | instskip(SKIP_2) | instid1(VALU_DEP_1)
	v_and_b32_e32 v35, v36, v37
	ds_load_b32 v96, v98 offset:16
	; wave barrier
	v_and_b32_e32 v34, v35, v34
	v_mbcnt_lo_u32_b32 v97, v34, 0
	v_cmp_ne_u32_e64 s0, 0, v34
	s_delay_alu instid0(VALU_DEP_2)
	v_cmp_eq_u32_e32 vcc_lo, 0, v97
	s_and_b32 s12, s0, vcc_lo
	s_wait_alu 0xfffe
	s_and_saveexec_b32 s0, s12
	s_cbranch_execz .LBB117_54
; %bb.53:
	s_wait_dscnt 0x0
	v_bcnt_u32_b32 v34, v34, v96
	ds_store_b32 v98, v34 offset:16
.LBB117_54:
	s_wait_alu 0xfffe
	s_or_b32 exec_lo, exec_lo, s0
	v_and_b32_e32 v34, s1, v82
	; wave barrier
	s_delay_alu instid0(VALU_DEP_1)
	v_and_b32_e32 v36, 1, v34
	v_lshlrev_b32_e32 v37, 30, v34
	v_lshlrev_b32_e32 v38, 29, v34
	;; [unrolled: 1-line block ×4, first 2 shown]
	v_add_co_u32 v36, s0, v36, -1
	s_wait_alu 0xf1ff
	v_cndmask_b32_e64 v40, 0, 1, s0
	v_not_b32_e32 v102, v37
	v_cmp_gt_i32_e64 s0, 0, v37
	v_not_b32_e32 v37, v38
	v_lshlrev_b32_e32 v100, 26, v34
	v_cmp_ne_u32_e32 vcc_lo, 0, v40
	v_ashrrev_i32_e32 v40, 31, v102
	v_lshlrev_b32_e32 v101, 25, v34
	v_ashrrev_i32_e32 v37, 31, v37
	v_and_b32_e32 v35, 0xff, v34
	s_wait_alu 0xfffd
	v_xor_b32_e32 v36, vcc_lo, v36
	v_cmp_gt_i32_e32 vcc_lo, 0, v38
	v_not_b32_e32 v38, v39
	s_wait_alu 0xf1ff
	v_xor_b32_e32 v40, s0, v40
	v_cmp_gt_i32_e64 s0, 0, v39
	v_and_b32_e32 v36, exec_lo, v36
	v_not_b32_e32 v39, v99
	v_ashrrev_i32_e32 v38, 31, v38
	s_wait_alu 0xfffd
	v_xor_b32_e32 v37, vcc_lo, v37
	v_cmp_gt_i32_e32 vcc_lo, 0, v99
	v_and_b32_e32 v36, v36, v40
	v_not_b32_e32 v40, v100
	v_ashrrev_i32_e32 v39, 31, v39
	s_wait_alu 0xf1ff
	v_xor_b32_e32 v38, s0, v38
	v_lshlrev_b32_e32 v34, 24, v34
	v_and_b32_e32 v36, v36, v37
	v_cmp_gt_i32_e64 s0, 0, v100
	v_not_b32_e32 v37, v101
	v_ashrrev_i32_e32 v40, 31, v40
	s_wait_alu 0xfffd
	v_xor_b32_e32 v39, vcc_lo, v39
	v_and_b32_e32 v36, v36, v38
	v_cmp_gt_i32_e32 vcc_lo, 0, v101
	v_not_b32_e32 v38, v34
	v_ashrrev_i32_e32 v37, 31, v37
	s_wait_alu 0xf1ff
	v_xor_b32_e32 v40, s0, v40
	v_and_b32_e32 v36, v36, v39
	v_lshlrev_b32_e32 v35, 4, v35
	v_cmp_gt_i32_e64 s0, 0, v34
	v_ashrrev_i32_e32 v34, 31, v38
	s_wait_alu 0xfffd
	v_xor_b32_e32 v37, vcc_lo, v37
	v_and_b32_e32 v36, v36, v40
	v_add_nc_u32_e32 v101, v33, v35
	s_wait_alu 0xf1ff
	v_xor_b32_e32 v34, s0, v34
	s_delay_alu instid0(VALU_DEP_3) | instskip(SKIP_2) | instid1(VALU_DEP_1)
	v_and_b32_e32 v35, v36, v37
	ds_load_b32 v99, v101 offset:16
	; wave barrier
	v_and_b32_e32 v34, v35, v34
	v_mbcnt_lo_u32_b32 v100, v34, 0
	v_cmp_ne_u32_e64 s0, 0, v34
	s_delay_alu instid0(VALU_DEP_2)
	v_cmp_eq_u32_e32 vcc_lo, 0, v100
	s_and_b32 s12, s0, vcc_lo
	s_wait_alu 0xfffe
	s_and_saveexec_b32 s0, s12
	s_cbranch_execz .LBB117_56
; %bb.55:
	s_wait_dscnt 0x0
	v_bcnt_u32_b32 v34, v34, v99
	ds_store_b32 v101, v34 offset:16
.LBB117_56:
	s_wait_alu 0xfffe
	s_or_b32 exec_lo, exec_lo, s0
	v_and_b32_e32 v34, s1, v83
	; wave barrier
	s_delay_alu instid0(VALU_DEP_1)
	v_and_b32_e32 v36, 1, v34
	v_lshlrev_b32_e32 v37, 30, v34
	v_lshlrev_b32_e32 v38, 29, v34
	;; [unrolled: 1-line block ×4, first 2 shown]
	v_add_co_u32 v36, s0, v36, -1
	s_wait_alu 0xf1ff
	v_cndmask_b32_e64 v40, 0, 1, s0
	v_not_b32_e32 v105, v37
	v_cmp_gt_i32_e64 s0, 0, v37
	v_not_b32_e32 v37, v38
	v_lshlrev_b32_e32 v103, 26, v34
	v_cmp_ne_u32_e32 vcc_lo, 0, v40
	v_ashrrev_i32_e32 v40, 31, v105
	v_lshlrev_b32_e32 v104, 25, v34
	v_ashrrev_i32_e32 v37, 31, v37
	v_and_b32_e32 v35, 0xff, v34
	s_wait_alu 0xfffd
	v_xor_b32_e32 v36, vcc_lo, v36
	v_cmp_gt_i32_e32 vcc_lo, 0, v38
	v_not_b32_e32 v38, v39
	s_wait_alu 0xf1ff
	v_xor_b32_e32 v40, s0, v40
	v_cmp_gt_i32_e64 s0, 0, v39
	v_and_b32_e32 v36, exec_lo, v36
	v_not_b32_e32 v39, v102
	v_ashrrev_i32_e32 v38, 31, v38
	s_wait_alu 0xfffd
	v_xor_b32_e32 v37, vcc_lo, v37
	v_cmp_gt_i32_e32 vcc_lo, 0, v102
	v_and_b32_e32 v36, v36, v40
	v_not_b32_e32 v40, v103
	v_ashrrev_i32_e32 v39, 31, v39
	s_wait_alu 0xf1ff
	v_xor_b32_e32 v38, s0, v38
	v_lshlrev_b32_e32 v34, 24, v34
	v_and_b32_e32 v36, v36, v37
	v_cmp_gt_i32_e64 s0, 0, v103
	v_not_b32_e32 v37, v104
	v_ashrrev_i32_e32 v40, 31, v40
	s_wait_alu 0xfffd
	v_xor_b32_e32 v39, vcc_lo, v39
	v_and_b32_e32 v36, v36, v38
	v_cmp_gt_i32_e32 vcc_lo, 0, v104
	v_not_b32_e32 v38, v34
	v_ashrrev_i32_e32 v37, 31, v37
	s_wait_alu 0xf1ff
	v_xor_b32_e32 v40, s0, v40
	v_and_b32_e32 v36, v36, v39
	v_lshlrev_b32_e32 v35, 4, v35
	v_cmp_gt_i32_e64 s0, 0, v34
	v_ashrrev_i32_e32 v34, 31, v38
	s_wait_alu 0xfffd
	v_xor_b32_e32 v37, vcc_lo, v37
	v_and_b32_e32 v36, v36, v40
	v_add_nc_u32_e32 v104, v33, v35
	s_wait_alu 0xf1ff
	v_xor_b32_e32 v34, s0, v34
	s_delay_alu instid0(VALU_DEP_3) | instskip(SKIP_2) | instid1(VALU_DEP_1)
	v_and_b32_e32 v35, v36, v37
	ds_load_b32 v102, v104 offset:16
	; wave barrier
	v_and_b32_e32 v34, v35, v34
	v_mbcnt_lo_u32_b32 v103, v34, 0
	v_cmp_ne_u32_e64 s0, 0, v34
	s_delay_alu instid0(VALU_DEP_2)
	v_cmp_eq_u32_e32 vcc_lo, 0, v103
	s_and_b32 s12, s0, vcc_lo
	s_wait_alu 0xfffe
	s_and_saveexec_b32 s0, s12
	s_cbranch_execz .LBB117_58
; %bb.57:
	s_wait_dscnt 0x0
	v_bcnt_u32_b32 v34, v34, v102
	ds_store_b32 v104, v34 offset:16
.LBB117_58:
	s_wait_alu 0xfffe
	s_or_b32 exec_lo, exec_lo, s0
	v_and_b32_e32 v34, s1, v84
	; wave barrier
	s_delay_alu instid0(VALU_DEP_1)
	v_and_b32_e32 v36, 1, v34
	v_lshlrev_b32_e32 v37, 30, v34
	v_lshlrev_b32_e32 v38, 29, v34
	;; [unrolled: 1-line block ×4, first 2 shown]
	v_add_co_u32 v36, s0, v36, -1
	s_wait_alu 0xf1ff
	v_cndmask_b32_e64 v40, 0, 1, s0
	v_not_b32_e32 v108, v37
	v_cmp_gt_i32_e64 s0, 0, v37
	v_not_b32_e32 v37, v38
	v_lshlrev_b32_e32 v106, 26, v34
	v_cmp_ne_u32_e32 vcc_lo, 0, v40
	v_ashrrev_i32_e32 v40, 31, v108
	v_lshlrev_b32_e32 v107, 25, v34
	v_ashrrev_i32_e32 v37, 31, v37
	v_and_b32_e32 v35, 0xff, v34
	s_wait_alu 0xfffd
	v_xor_b32_e32 v36, vcc_lo, v36
	v_cmp_gt_i32_e32 vcc_lo, 0, v38
	v_not_b32_e32 v38, v39
	s_wait_alu 0xf1ff
	v_xor_b32_e32 v40, s0, v40
	v_cmp_gt_i32_e64 s0, 0, v39
	v_and_b32_e32 v36, exec_lo, v36
	v_not_b32_e32 v39, v105
	v_ashrrev_i32_e32 v38, 31, v38
	s_wait_alu 0xfffd
	v_xor_b32_e32 v37, vcc_lo, v37
	v_cmp_gt_i32_e32 vcc_lo, 0, v105
	v_and_b32_e32 v36, v36, v40
	v_not_b32_e32 v40, v106
	v_ashrrev_i32_e32 v39, 31, v39
	s_wait_alu 0xf1ff
	v_xor_b32_e32 v38, s0, v38
	v_lshlrev_b32_e32 v34, 24, v34
	v_and_b32_e32 v36, v36, v37
	v_cmp_gt_i32_e64 s0, 0, v106
	v_not_b32_e32 v37, v107
	v_ashrrev_i32_e32 v40, 31, v40
	s_wait_alu 0xfffd
	v_xor_b32_e32 v39, vcc_lo, v39
	v_and_b32_e32 v36, v36, v38
	v_cmp_gt_i32_e32 vcc_lo, 0, v107
	v_not_b32_e32 v38, v34
	v_ashrrev_i32_e32 v37, 31, v37
	s_wait_alu 0xf1ff
	v_xor_b32_e32 v40, s0, v40
	v_and_b32_e32 v36, v36, v39
	v_lshlrev_b32_e32 v35, 4, v35
	v_cmp_gt_i32_e64 s0, 0, v34
	v_ashrrev_i32_e32 v34, 31, v38
	s_wait_alu 0xfffd
	v_xor_b32_e32 v37, vcc_lo, v37
	v_and_b32_e32 v36, v36, v40
	v_add_nc_u32_e32 v107, v33, v35
	s_wait_alu 0xf1ff
	v_xor_b32_e32 v33, s0, v34
	s_delay_alu instid0(VALU_DEP_3) | instskip(SKIP_2) | instid1(VALU_DEP_1)
	v_and_b32_e32 v34, v36, v37
	ds_load_b32 v105, v107 offset:16
	; wave barrier
	v_and_b32_e32 v33, v34, v33
	v_mbcnt_lo_u32_b32 v106, v33, 0
	v_cmp_ne_u32_e64 s0, 0, v33
	s_delay_alu instid0(VALU_DEP_2)
	v_cmp_eq_u32_e32 vcc_lo, 0, v106
	s_and_b32 s1, s0, vcc_lo
	s_wait_alu 0xfffe
	s_and_saveexec_b32 s0, s1
	s_cbranch_execz .LBB117_60
; %bb.59:
	s_wait_dscnt 0x0
	v_bcnt_u32_b32 v33, v33, v105
	ds_store_b32 v107, v33 offset:16
.LBB117_60:
	s_wait_alu 0xfffe
	s_or_b32 exec_lo, exec_lo, s0
	; wave barrier
	s_wait_loadcnt_dscnt 0x0
	s_barrier_signal -1
	s_barrier_wait -1
	global_inv scope:SCOPE_SE
	ds_load_b128 v[37:40], v64 offset:16
	ds_load_b128 v[33:36], v64 offset:32
	v_min_u32_e32 v110, 0x60, v66
	s_mov_b32 s0, exec_lo
	s_wait_dscnt 0x1
	v_add_nc_u32_e32 v108, v38, v37
	s_delay_alu instid0(VALU_DEP_1) | instskip(SKIP_1) | instid1(VALU_DEP_1)
	v_add3_u32 v108, v108, v39, v40
	s_wait_dscnt 0x0
	v_add3_u32 v108, v108, v33, v34
	s_delay_alu instid0(VALU_DEP_1) | instskip(SKIP_1) | instid1(VALU_DEP_2)
	v_add3_u32 v36, v108, v35, v36
	v_and_b32_e32 v108, 15, v65
	v_mov_b32_dpp v109, v36 row_shr:1 row_mask:0xf bank_mask:0xf
	s_delay_alu instid0(VALU_DEP_2) | instskip(SKIP_1) | instid1(VALU_DEP_2)
	v_cmp_ne_u32_e32 vcc_lo, 0, v108
	s_wait_alu 0xfffd
	v_cndmask_b32_e32 v109, 0, v109, vcc_lo
	v_cmp_lt_u32_e32 vcc_lo, 1, v108
	s_delay_alu instid0(VALU_DEP_2) | instskip(NEXT) | instid1(VALU_DEP_1)
	v_add_nc_u32_e32 v36, v109, v36
	v_mov_b32_dpp v109, v36 row_shr:2 row_mask:0xf bank_mask:0xf
	s_wait_alu 0xfffd
	s_delay_alu instid0(VALU_DEP_1) | instskip(SKIP_1) | instid1(VALU_DEP_2)
	v_cndmask_b32_e32 v109, 0, v109, vcc_lo
	v_cmp_lt_u32_e32 vcc_lo, 3, v108
	v_add_nc_u32_e32 v36, v36, v109
	s_delay_alu instid0(VALU_DEP_1) | instskip(SKIP_1) | instid1(VALU_DEP_1)
	v_mov_b32_dpp v109, v36 row_shr:4 row_mask:0xf bank_mask:0xf
	s_wait_alu 0xfffd
	v_cndmask_b32_e32 v109, 0, v109, vcc_lo
	v_cmp_lt_u32_e32 vcc_lo, 7, v108
	s_delay_alu instid0(VALU_DEP_2) | instskip(NEXT) | instid1(VALU_DEP_1)
	v_add_nc_u32_e32 v36, v36, v109
	v_mov_b32_dpp v109, v36 row_shr:8 row_mask:0xf bank_mask:0xf
	s_wait_alu 0xfffd
	s_delay_alu instid0(VALU_DEP_1) | instskip(SKIP_1) | instid1(VALU_DEP_2)
	v_cndmask_b32_e32 v108, 0, v109, vcc_lo
	v_bfe_i32 v109, v65, 4, 1
	v_add_nc_u32_e32 v36, v36, v108
	ds_swizzle_b32 v108, v36 offset:swizzle(BROADCAST,32,15)
	s_wait_dscnt 0x0
	v_and_b32_e32 v108, v109, v108
	v_or_b32_e32 v109, 31, v110
	s_delay_alu instid0(VALU_DEP_2) | instskip(NEXT) | instid1(VALU_DEP_2)
	v_add_nc_u32_e32 v36, v36, v108
	v_cmpx_eq_u32_e64 v41, v109
; %bb.61:
	v_lshlrev_b32_e32 v108, 2, v63
	ds_store_b32 v108, v36
; %bb.62:
	s_wait_alu 0xfffe
	s_or_b32 exec_lo, exec_lo, s0
	s_delay_alu instid0(SALU_CYCLE_1)
	s_mov_b32 s0, exec_lo
	s_wait_loadcnt_dscnt 0x0
	s_barrier_signal -1
	s_barrier_wait -1
	global_inv scope:SCOPE_SE
	v_cmpx_gt_u32_e32 4, v41
	s_cbranch_execz .LBB117_64
; %bb.63:
	v_and_b32_e32 v110, 3, v65
	s_delay_alu instid0(VALU_DEP_1)
	v_cmp_ne_u32_e32 vcc_lo, 0, v110
	v_lshlrev_b32_e32 v108, 2, v41
	ds_load_b32 v109, v108
	s_wait_dscnt 0x0
	v_mov_b32_dpp v111, v109 row_shr:1 row_mask:0xf bank_mask:0xf
	s_wait_alu 0xfffd
	s_delay_alu instid0(VALU_DEP_1) | instskip(SKIP_1) | instid1(VALU_DEP_2)
	v_cndmask_b32_e32 v111, 0, v111, vcc_lo
	v_cmp_lt_u32_e32 vcc_lo, 1, v110
	v_add_nc_u32_e32 v109, v111, v109
	s_delay_alu instid0(VALU_DEP_1) | instskip(SKIP_1) | instid1(VALU_DEP_1)
	v_mov_b32_dpp v111, v109 row_shr:2 row_mask:0xf bank_mask:0xf
	s_wait_alu 0xfffd
	v_cndmask_b32_e32 v110, 0, v111, vcc_lo
	s_delay_alu instid0(VALU_DEP_1)
	v_add_nc_u32_e32 v109, v109, v110
	ds_store_b32 v108, v109
.LBB117_64:
	s_wait_alu 0xfffe
	s_or_b32 exec_lo, exec_lo, s0
	v_mov_b32_e32 v108, 0
	s_mov_b32 s0, exec_lo
	s_wait_loadcnt_dscnt 0x0
	s_barrier_signal -1
	s_barrier_wait -1
	global_inv scope:SCOPE_SE
	v_cmpx_lt_u32_e32 31, v41
; %bb.65:
	v_lshl_add_u32 v108, v63, 2, -4
	ds_load_b32 v108, v108
; %bb.66:
	s_wait_alu 0xfffe
	s_or_b32 exec_lo, exec_lo, s0
	v_sub_co_u32 v109, vcc_lo, v65, 1
	s_wait_dscnt 0x0
	v_add_nc_u32_e32 v36, v108, v36
	s_delay_alu instid0(VALU_DEP_2) | instskip(SKIP_1) | instid1(VALU_DEP_1)
	v_cmp_gt_i32_e64 s0, 0, v109
	s_wait_alu 0xf1ff
	v_cndmask_b32_e64 v109, v109, v65, s0
	s_delay_alu instid0(VALU_DEP_1)
	v_lshlrev_b32_e32 v109, 2, v109
	ds_bpermute_b32 v36, v109, v36
	s_wait_dscnt 0x0
	s_wait_alu 0xfffd
	v_cndmask_b32_e32 v36, v36, v108, vcc_lo
	v_cmp_ne_u32_e32 vcc_lo, 0, v41
	s_wait_alu 0xfffd
	s_delay_alu instid0(VALU_DEP_2) | instskip(NEXT) | instid1(VALU_DEP_1)
	v_cndmask_b32_e32 v36, 0, v36, vcc_lo
	v_add_nc_u32_e32 v37, v36, v37
	s_delay_alu instid0(VALU_DEP_1) | instskip(NEXT) | instid1(VALU_DEP_1)
	v_add_nc_u32_e32 v38, v37, v38
	v_add_nc_u32_e32 v39, v38, v39
	s_delay_alu instid0(VALU_DEP_1) | instskip(NEXT) | instid1(VALU_DEP_1)
	v_add_nc_u32_e32 v108, v39, v40
	;; [unrolled: 3-line block ×3, first 2 shown]
	v_add_nc_u32_e32 v111, v110, v35
	ds_store_b128 v64, v[36:39] offset:16
	ds_store_b128 v64, v[108:111] offset:32
	s_wait_loadcnt_dscnt 0x0
	s_barrier_signal -1
	s_barrier_wait -1
	global_inv scope:SCOPE_SE
	ds_load_b32 v33, v86 offset:16
	ds_load_b32 v34, v89 offset:16
	;; [unrolled: 1-line block ×8, first 2 shown]
	s_wait_loadcnt_dscnt 0x0
	s_barrier_signal -1
	s_barrier_wait -1
	global_inv scope:SCOPE_SE
	v_mad_u32_u24 v86, v41, 56, v61
	v_add_nc_u32_e32 v33, v33, v85
	v_add3_u32 v34, v88, v87, v34
	v_add3_u32 v35, v91, v90, v35
	;; [unrolled: 1-line block ×7, first 2 shown]
	ds_store_b8 v33, v0
	ds_store_b8 v34, v78
	;; [unrolled: 1-line block ×8, first 2 shown]
	s_wait_loadcnt_dscnt 0x0
	s_barrier_signal -1
	s_barrier_wait -1
	global_inv scope:SCOPE_SE
	v_lshlrev_b32_e32 v0, 3, v33
	v_lshlrev_b32_e32 v78, 3, v34
	ds_load_b64 v[33:34], v61
	v_lshlrev_b32_e32 v35, 3, v35
	v_lshlrev_b32_e32 v36, 3, v36
	;; [unrolled: 1-line block ×6, first 2 shown]
	s_wait_loadcnt_dscnt 0x0
	s_barrier_signal -1
	s_barrier_wait -1
	global_inv scope:SCOPE_SE
	ds_store_b64 v0, v[21:22]
	ds_store_b64 v78, v[23:24]
	;; [unrolled: 1-line block ×8, first 2 shown]
	s_wait_loadcnt_dscnt 0x0
	s_barrier_signal -1
	s_barrier_wait -1
	global_inv scope:SCOPE_SE
	ds_load_b128 v[21:24], v86
	ds_load_b128 v[17:20], v86 offset:16
	v_lshrrev_b32_e32 v0, 16, v33
	v_xor_b32_e32 v25, 0x80, v33
	v_lshrrev_b32_e32 v26, 16, v34
	v_and_b32_e32 v35, 0xffffff00, v34
	v_xor_b32_e32 v27, 0x80, v34
	v_and_b32_e32 v33, 0xffffff00, v33
	v_and_b32_e32 v34, 0xff, v25
	v_xor_b32_e32 v25, 0x80, v0
	v_xor_b32_e32 v28, 0x80, v26
	v_and_b32_e32 v0, 0xffffff00, v0
	v_and_b32_e32 v36, 0xff, v27
	;; [unrolled: 1-line block ×5, first 2 shown]
	ds_load_b128 v[29:32], v86 offset:32
	ds_load_b128 v[25:28], v86 offset:48
	v_or_b32_e32 v33, v34, v33
	v_or_b32_e32 v34, v36, v35
	;; [unrolled: 1-line block ×4, first 2 shown]
	s_delay_alu instid0(VALU_DEP_4) | instskip(NEXT) | instid1(VALU_DEP_4)
	v_add_nc_u16 v33, 0x8000, v33
	v_add_nc_u16 v34, 0x8000, v34
	s_delay_alu instid0(VALU_DEP_4) | instskip(NEXT) | instid1(VALU_DEP_4)
	v_add_nc_u16 v0, 0x8000, v0
	v_add_nc_u16 v35, 0x8000, v35
	s_delay_alu instid0(VALU_DEP_4) | instskip(NEXT) | instid1(VALU_DEP_4)
	v_and_b32_e32 v33, 0xffff, v33
	v_and_b32_e32 v34, 0xffff, v34
	s_delay_alu instid0(VALU_DEP_4) | instskip(NEXT) | instid1(VALU_DEP_4)
	v_lshlrev_b32_e32 v0, 16, v0
	v_lshlrev_b32_e32 v35, 16, v35
	s_delay_alu instid0(VALU_DEP_2) | instskip(NEXT) | instid1(VALU_DEP_2)
	v_or_b32_e32 v0, v33, v0
	v_or_b32_e32 v33, v34, v35
	s_branch .LBB117_98
.LBB117_67:
	s_wait_kmcnt 0x0
	v_mad_co_u64_u32 v[2:3], null, s10, v41, 0
	v_dual_mov_b32 v14, v1 :: v_dual_mov_b32 v15, v1
	v_mov_b32_e32 v16, v1
	v_dual_mov_b32 v6, v1 :: v_dual_mov_b32 v7, v1
	v_dual_mov_b32 v8, v1 :: v_dual_mov_b32 v9, v1
	v_mad_co_u64_u32 v[3:4], null, s11, v41, v[3:4]
	v_dual_mov_b32 v4, v1 :: v_dual_mov_b32 v5, v1
	v_dual_mov_b32 v10, v1 :: v_dual_mov_b32 v13, v1
	s_delay_alu instid0(VALU_DEP_3) | instskip(SKIP_1) | instid1(VALU_DEP_1)
	v_lshlrev_b64_e32 v[2:3], 3, v[2:3]
	s_wait_alu 0xfffe
	v_add_co_u32 v2, vcc_lo, s20, v2
	s_delay_alu instid0(VALU_DEP_1)
	v_add_co_ci_u32_e64 v3, null, s21, v3, vcc_lo
	global_load_b64 v[11:12], v[2:3], off
	v_dual_mov_b32 v2, v1 :: v_dual_mov_b32 v3, v1
	s_or_b32 exec_lo, exec_lo, s0
	s_and_saveexec_b32 s0, s3
	s_cbranch_execz .LBB117_36
.LBB117_68:
	s_wait_kmcnt 0x0
	v_mad_co_u64_u32 v[1:2], null, s10, v24, 0
	s_delay_alu instid0(VALU_DEP_1) | instskip(NEXT) | instid1(VALU_DEP_1)
	v_mad_co_u64_u32 v[32:33], null, s11, v24, v[2:3]
	v_mov_b32_e32 v2, v32
	s_delay_alu instid0(VALU_DEP_1) | instskip(SKIP_1) | instid1(VALU_DEP_1)
	v_lshlrev_b64_e32 v[1:2], 3, v[1:2]
	s_wait_alu 0xfffe
	v_add_co_u32 v1, vcc_lo, s20, v1
	s_wait_alu 0xfffd
	s_delay_alu instid0(VALU_DEP_2)
	v_add_co_ci_u32_e64 v2, null, s21, v2, vcc_lo
	global_load_b64 v[1:2], v[1:2], off
	s_or_b32 exec_lo, exec_lo, s0
	s_and_saveexec_b32 s0, s4
	s_cbranch_execz .LBB117_37
.LBB117_69:
	s_wait_kmcnt 0x0
	v_mad_co_u64_u32 v[13:14], null, s10, v22, 0
	s_delay_alu instid0(VALU_DEP_1) | instskip(NEXT) | instid1(VALU_DEP_1)
	v_mad_co_u64_u32 v[32:33], null, s11, v22, v[14:15]
	v_mov_b32_e32 v14, v32
	s_delay_alu instid0(VALU_DEP_1) | instskip(SKIP_1) | instid1(VALU_DEP_1)
	v_lshlrev_b64_e32 v[13:14], 3, v[13:14]
	s_wait_alu 0xfffe
	v_add_co_u32 v13, vcc_lo, s20, v13
	s_wait_alu 0xfffd
	s_delay_alu instid0(VALU_DEP_2)
	v_add_co_ci_u32_e64 v14, null, s21, v14, vcc_lo
	global_load_b64 v[13:14], v[13:14], off
	s_or_b32 exec_lo, exec_lo, s0
	s_and_saveexec_b32 s0, s5
	s_cbranch_execz .LBB117_38
.LBB117_70:
	s_wait_kmcnt 0x0
	v_mad_co_u64_u32 v[15:16], null, s10, v21, 0
	s_delay_alu instid0(VALU_DEP_1) | instskip(NEXT) | instid1(VALU_DEP_1)
	v_mad_co_u64_u32 v[21:22], null, s11, v21, v[16:17]
	v_mov_b32_e32 v16, v21
	s_delay_alu instid0(VALU_DEP_1) | instskip(SKIP_1) | instid1(VALU_DEP_1)
	v_lshlrev_b64_e32 v[15:16], 3, v[15:16]
	s_wait_alu 0xfffe
	v_add_co_u32 v15, vcc_lo, s20, v15
	s_wait_alu 0xfffd
	s_delay_alu instid0(VALU_DEP_2)
	v_add_co_ci_u32_e64 v16, null, s21, v16, vcc_lo
	global_load_b64 v[15:16], v[15:16], off
	s_or_b32 exec_lo, exec_lo, s0
	s_and_saveexec_b32 s0, s6
	s_cbranch_execz .LBB117_39
.LBB117_71:
	s_wait_kmcnt 0x0
	v_mad_co_u64_u32 v[3:4], null, s10, v20, 0
	s_delay_alu instid0(VALU_DEP_1) | instskip(NEXT) | instid1(VALU_DEP_1)
	v_mad_co_u64_u32 v[20:21], null, s11, v20, v[4:5]
	v_mov_b32_e32 v4, v20
	s_delay_alu instid0(VALU_DEP_1) | instskip(SKIP_1) | instid1(VALU_DEP_1)
	v_lshlrev_b64_e32 v[3:4], 3, v[3:4]
	s_wait_alu 0xfffe
	v_add_co_u32 v3, vcc_lo, s20, v3
	s_wait_alu 0xfffd
	s_delay_alu instid0(VALU_DEP_2)
	v_add_co_ci_u32_e64 v4, null, s21, v4, vcc_lo
	global_load_b64 v[3:4], v[3:4], off
	s_or_b32 exec_lo, exec_lo, s0
	s_and_saveexec_b32 s0, s7
	s_cbranch_execz .LBB117_40
.LBB117_72:
	s_wait_kmcnt 0x0
	v_mad_co_u64_u32 v[5:6], null, s10, v19, 0
	s_delay_alu instid0(VALU_DEP_1) | instskip(NEXT) | instid1(VALU_DEP_1)
	v_mad_co_u64_u32 v[19:20], null, s11, v19, v[6:7]
	v_mov_b32_e32 v6, v19
	s_delay_alu instid0(VALU_DEP_1) | instskip(SKIP_1) | instid1(VALU_DEP_1)
	v_lshlrev_b64_e32 v[5:6], 3, v[5:6]
	s_wait_alu 0xfffe
	v_add_co_u32 v5, vcc_lo, s20, v5
	s_wait_alu 0xfffd
	s_delay_alu instid0(VALU_DEP_2)
	v_add_co_ci_u32_e64 v6, null, s21, v6, vcc_lo
	global_load_b64 v[5:6], v[5:6], off
	s_or_b32 exec_lo, exec_lo, s0
	s_and_saveexec_b32 s0, s8
	s_cbranch_execz .LBB117_41
.LBB117_73:
	s_wait_kmcnt 0x0
	v_mad_co_u64_u32 v[7:8], null, s10, v18, 0
	s_delay_alu instid0(VALU_DEP_1) | instskip(NEXT) | instid1(VALU_DEP_1)
	v_mad_co_u64_u32 v[18:19], null, s11, v18, v[8:9]
	v_mov_b32_e32 v8, v18
	s_delay_alu instid0(VALU_DEP_1) | instskip(SKIP_1) | instid1(VALU_DEP_1)
	v_lshlrev_b64_e32 v[7:8], 3, v[7:8]
	s_wait_alu 0xfffe
	v_add_co_u32 v7, vcc_lo, s20, v7
	s_wait_alu 0xfffd
	s_delay_alu instid0(VALU_DEP_2)
	v_add_co_ci_u32_e64 v8, null, s21, v8, vcc_lo
	global_load_b64 v[7:8], v[7:8], off
	s_or_b32 exec_lo, exec_lo, s0
	s_xor_b32 s0, s26, -1
	s_and_saveexec_b32 s1, s9
	s_cbranch_execnz .LBB117_42
	s_branch .LBB117_43
.LBB117_74:
                                        ; implicit-def: $vgpr27_vgpr28
                                        ; implicit-def: $vgpr31_vgpr32
                                        ; implicit-def: $vgpr19_vgpr20
                                        ; implicit-def: $vgpr23_vgpr24
                                        ; implicit-def: $vgpr33
                                        ; implicit-def: $vgpr0
	s_and_b32 vcc_lo, exec_lo, s0
	s_wait_alu 0xfffe
	s_cbranch_vccz .LBB117_98
; %bb.75:
	v_xor_b32_e32 v0, 0x7f, v42
	s_wait_dscnt 0x2
	v_xor_b32_e32 v17, 0x7f, v77
	v_xor_b32_e32 v18, 0x7f, v76
	;; [unrolled: 1-line block ×7, first 2 shown]
	v_and_b32_e32 v0, 0xff, v0
	v_lshlrev_b16 v17, 8, v17
	v_and_b32_e32 v18, 0xff, v18
	v_lshlrev_b16 v19, 8, v19
	;; [unrolled: 2-line block ×4, first 2 shown]
	v_or_b32_e32 v0, v0, v17
	v_or_b32_e32 v17, v18, v19
	;; [unrolled: 1-line block ×3, first 2 shown]
	s_getpc_b64 s[0:1]
	s_sext_i32_i16 s1, s1
	s_add_co_u32 s0, s0, _ZN7rocprim17ROCPRIM_400000_NS16block_radix_sortIaLj128ELj8ElLj1ELj1ELj0ELNS0_26block_radix_rank_algorithmE1ELNS0_18block_padding_hintE2ELNS0_4arch9wavefront6targetE0EE19radix_bits_per_passE@rel32@lo+8
	s_add_co_ci_u32 s1, s1, _ZN7rocprim17ROCPRIM_400000_NS16block_radix_sortIaLj128ELj8ElLj1ELj1ELj0ELNS0_26block_radix_rank_algorithmE1ELNS0_18block_padding_hintE2ELNS0_4arch9wavefront6targetE0EE19radix_bits_per_passE@rel32@hi+16
	v_or_b32_e32 v19, v22, v23
	s_load_b32 s0, s[0:1], 0x0
	v_and_b32_e32 v0, 0xffff, v0
	v_lshlrev_b32_e32 v17, 16, v17
	v_and_b32_e32 v18, 0xffff, v18
	v_lshlrev_b32_e32 v19, 16, v19
	s_delay_alu instid0(VALU_DEP_3) | instskip(SKIP_1) | instid1(VALU_DEP_3)
	v_or_b32_e32 v17, v0, v17
	v_mad_u32_u24 v0, v70, 7, v70
	v_or_b32_e32 v18, v18, v19
	ds_store_b64 v70, v[17:18]
	; wave barrier
	ds_load_u8 v24, v71
	s_wait_dscnt 0x2
	ds_load_u8 v25, v71 offset:32
	ds_load_u8 v26, v71 offset:64
	;; [unrolled: 1-line block ×7, first 2 shown]
	s_wait_loadcnt_dscnt 0x0
	s_barrier_signal -1
	s_wait_kmcnt 0x0
	s_min_u32 s0, s0, 8
	s_barrier_wait -1
	s_lshl_b32 s0, -1, s0
	global_inv scope:SCOPE_SE
	s_not_b32 s1, s0
	ds_store_b128 v0, v[13:16]
	ds_store_b128 v0, v[9:12] offset:16
	ds_store_b128 v0, v[5:8] offset:32
	;; [unrolled: 1-line block ×3, first 2 shown]
	; wave barrier
	ds_load_2addr_b64 v[12:15], v69 offset1:32
	ds_load_2addr_b64 v[4:7], v69 offset0:64 offset1:96
	ds_load_2addr_b64 v[0:3], v69 offset0:128 offset1:160
	v_and_b32_e32 v22, s1, v24
	s_delay_alu instid0(VALU_DEP_1) | instskip(SKIP_3) | instid1(VALU_DEP_4)
	v_and_b32_e32 v8, 1, v22
	v_lshlrev_b32_e32 v18, 30, v22
	v_lshlrev_b32_e32 v19, 29, v22
	;; [unrolled: 1-line block ×3, first 2 shown]
	v_add_co_u32 v16, s0, v8, -1
	s_wait_alu 0xf1ff
	v_cndmask_b32_e64 v17, 0, 1, s0
	ds_load_2addr_b64 v[8:11], v69 offset0:192 offset1:224
	s_wait_loadcnt_dscnt 0x0
	s_barrier_signal -1
	s_barrier_wait -1
	v_cmp_ne_u32_e32 vcc_lo, 0, v17
	v_not_b32_e32 v17, v18
	global_inv scope:SCOPE_SE
	s_load_b32 s0, s[22:23], 0xc
	v_xor_b32_e32 v16, vcc_lo, v16
	v_cmp_gt_i32_e32 vcc_lo, 0, v18
	v_ashrrev_i32_e32 v17, 31, v17
	v_not_b32_e32 v18, v19
	s_delay_alu instid0(VALU_DEP_4) | instskip(SKIP_1) | instid1(VALU_DEP_3)
	v_and_b32_e32 v16, exec_lo, v16
	s_wait_alu 0xfffd
	v_xor_b32_e32 v17, vcc_lo, v17
	v_cmp_gt_i32_e32 vcc_lo, 0, v19
	v_ashrrev_i32_e32 v18, 31, v18
	v_not_b32_e32 v19, v20
	s_delay_alu instid0(VALU_DEP_4)
	v_and_b32_e32 v16, v16, v17
	v_lshlrev_b32_e32 v17, 27, v22
	s_wait_alu 0xfffd
	v_xor_b32_e32 v18, vcc_lo, v18
	v_cmp_gt_i32_e32 vcc_lo, 0, v20
	v_ashrrev_i32_e32 v19, 31, v19
	v_not_b32_e32 v20, v17
	s_delay_alu instid0(VALU_DEP_4)
	v_and_b32_e32 v16, v16, v18
	v_lshlrev_b32_e32 v18, 26, v22
	s_wait_alu 0xfffd
	v_xor_b32_e32 v19, vcc_lo, v19
	v_cmp_gt_i32_e32 vcc_lo, 0, v17
	v_ashrrev_i32_e32 v17, 31, v20
	s_wait_kmcnt 0x0
	s_lshr_b32 s12, s0, 16
	v_not_b32_e32 v20, v18
	v_and_b32_e32 v16, v16, v19
	v_lshlrev_b32_e32 v19, 25, v22
	s_wait_alu 0xfffd
	v_xor_b32_e32 v17, vcc_lo, v17
	v_cmp_gt_i32_e32 vcc_lo, 0, v18
	v_ashrrev_i32_e32 v18, 31, v20
	s_and_b32 s0, s0, 0xffff
	v_not_b32_e32 v20, v19
	v_and_b32_e32 v16, v16, v17
	v_lshlrev_b32_e32 v17, 24, v22
	s_wait_alu 0xfffd
	v_xor_b32_e32 v18, vcc_lo, v18
	v_cmp_gt_i32_e32 vcc_lo, 0, v19
	v_ashrrev_i32_e32 v19, 31, v20
	v_mad_u32_u24 v20, v68, s12, v67
	v_not_b32_e32 v21, v17
	v_and_b32_e32 v18, v16, v18
	s_mov_b32 s12, 0
	s_wait_alu 0xfffd
	v_xor_b32_e32 v19, vcc_lo, v19
	v_cmp_gt_i32_e32 vcc_lo, 0, v17
	v_ashrrev_i32_e32 v21, 31, v21
	s_wait_alu 0xfffe
	v_mad_co_u64_u32 v[16:17], null, v20, s0, v[41:42]
	v_and_b32_e32 v17, v18, v19
	s_mov_b32 s15, s12
	s_wait_alu 0xfffd
	v_xor_b32_e32 v23, vcc_lo, v21
	s_mov_b32 s13, s12
	s_mov_b32 s14, s12
	s_delay_alu instid0(SALU_CYCLE_1) | instskip(NEXT) | instid1(VALU_DEP_2)
	v_dual_mov_b32 v21, s15 :: v_dual_mov_b32 v20, s14
	v_and_b32_e32 v17, v17, v23
	s_wait_alu 0xfffe
	v_dual_mov_b32 v19, s13 :: v_dual_mov_b32 v18, s12
	v_and_b32_e32 v22, 0xff, v22
	v_lshrrev_b32_e32 v16, 3, v16
	v_mbcnt_lo_u32_b32 v32, v17, 0
	ds_store_b128 v64, v[18:21] offset:16
	ds_store_b128 v64, v[18:21] offset:32
	v_lshlrev_b32_e32 v18, 4, v22
	v_and_b32_e32 v16, 0x1ffffffc, v16
	v_cmp_eq_u32_e32 vcc_lo, 0, v32
	v_cmp_ne_u32_e64 s0, 0, v17
	s_wait_loadcnt_dscnt 0x0
	s_barrier_signal -1
	v_add_nc_u32_e32 v33, v16, v18
	s_barrier_wait -1
	s_and_b32 s12, s0, vcc_lo
	global_inv scope:SCOPE_SE
	; wave barrier
	s_wait_alu 0xfffe
	s_and_saveexec_b32 s0, s12
; %bb.76:
	v_bcnt_u32_b32 v17, v17, 0
	ds_store_b32 v33, v17 offset:16
; %bb.77:
	s_wait_alu 0xfffe
	s_or_b32 exec_lo, exec_lo, s0
	v_and_b32_e32 v17, s1, v25
	; wave barrier
	s_delay_alu instid0(VALU_DEP_1)
	v_and_b32_e32 v19, 1, v17
	v_lshlrev_b32_e32 v20, 30, v17
	v_lshlrev_b32_e32 v21, 29, v17
	;; [unrolled: 1-line block ×4, first 2 shown]
	v_add_co_u32 v19, s0, v19, -1
	s_wait_alu 0xf1ff
	v_cndmask_b32_e64 v23, 0, 1, s0
	v_not_b32_e32 v37, v20
	v_cmp_gt_i32_e64 s0, 0, v20
	v_not_b32_e32 v20, v21
	v_lshlrev_b32_e32 v35, 26, v17
	v_cmp_ne_u32_e32 vcc_lo, 0, v23
	v_ashrrev_i32_e32 v23, 31, v37
	v_lshlrev_b32_e32 v36, 25, v17
	v_ashrrev_i32_e32 v20, 31, v20
	v_and_b32_e32 v18, 0xff, v17
	s_wait_alu 0xfffd
	v_xor_b32_e32 v19, vcc_lo, v19
	v_cmp_gt_i32_e32 vcc_lo, 0, v21
	v_not_b32_e32 v21, v22
	s_wait_alu 0xf1ff
	v_xor_b32_e32 v23, s0, v23
	v_cmp_gt_i32_e64 s0, 0, v22
	v_and_b32_e32 v19, exec_lo, v19
	v_not_b32_e32 v22, v34
	v_ashrrev_i32_e32 v21, 31, v21
	s_wait_alu 0xfffd
	v_xor_b32_e32 v20, vcc_lo, v20
	v_cmp_gt_i32_e32 vcc_lo, 0, v34
	v_and_b32_e32 v19, v19, v23
	v_not_b32_e32 v23, v35
	v_ashrrev_i32_e32 v22, 31, v22
	s_wait_alu 0xf1ff
	v_xor_b32_e32 v21, s0, v21
	v_lshlrev_b32_e32 v17, 24, v17
	v_and_b32_e32 v19, v19, v20
	v_cmp_gt_i32_e64 s0, 0, v35
	v_not_b32_e32 v20, v36
	v_ashrrev_i32_e32 v23, 31, v23
	s_wait_alu 0xfffd
	v_xor_b32_e32 v22, vcc_lo, v22
	v_and_b32_e32 v19, v19, v21
	v_cmp_gt_i32_e32 vcc_lo, 0, v36
	v_not_b32_e32 v21, v17
	v_ashrrev_i32_e32 v20, 31, v20
	s_wait_alu 0xf1ff
	v_xor_b32_e32 v23, s0, v23
	v_and_b32_e32 v19, v19, v22
	v_lshlrev_b32_e32 v18, 4, v18
	v_cmp_gt_i32_e64 s0, 0, v17
	v_ashrrev_i32_e32 v17, 31, v21
	s_wait_alu 0xfffd
	v_xor_b32_e32 v20, vcc_lo, v20
	v_and_b32_e32 v19, v19, v23
	v_add_nc_u32_e32 v36, v16, v18
	s_wait_alu 0xf1ff
	v_xor_b32_e32 v17, s0, v17
	s_delay_alu instid0(VALU_DEP_3) | instskip(SKIP_2) | instid1(VALU_DEP_1)
	v_and_b32_e32 v18, v19, v20
	ds_load_b32 v34, v36 offset:16
	; wave barrier
	v_and_b32_e32 v17, v18, v17
	v_mbcnt_lo_u32_b32 v35, v17, 0
	v_cmp_ne_u32_e64 s0, 0, v17
	s_delay_alu instid0(VALU_DEP_2)
	v_cmp_eq_u32_e32 vcc_lo, 0, v35
	s_and_b32 s12, s0, vcc_lo
	s_wait_alu 0xfffe
	s_and_saveexec_b32 s0, s12
	s_cbranch_execz .LBB117_79
; %bb.78:
	s_wait_dscnt 0x0
	v_bcnt_u32_b32 v17, v17, v34
	ds_store_b32 v36, v17 offset:16
.LBB117_79:
	s_wait_alu 0xfffe
	s_or_b32 exec_lo, exec_lo, s0
	v_and_b32_e32 v17, s1, v26
	; wave barrier
	s_delay_alu instid0(VALU_DEP_1)
	v_and_b32_e32 v19, 1, v17
	v_lshlrev_b32_e32 v20, 30, v17
	v_lshlrev_b32_e32 v21, 29, v17
	;; [unrolled: 1-line block ×4, first 2 shown]
	v_add_co_u32 v19, s0, v19, -1
	s_wait_alu 0xf1ff
	v_cndmask_b32_e64 v23, 0, 1, s0
	v_not_b32_e32 v40, v20
	v_cmp_gt_i32_e64 s0, 0, v20
	v_not_b32_e32 v20, v21
	v_lshlrev_b32_e32 v38, 26, v17
	v_cmp_ne_u32_e32 vcc_lo, 0, v23
	v_ashrrev_i32_e32 v23, 31, v40
	v_lshlrev_b32_e32 v39, 25, v17
	v_ashrrev_i32_e32 v20, 31, v20
	v_and_b32_e32 v18, 0xff, v17
	s_wait_alu 0xfffd
	v_xor_b32_e32 v19, vcc_lo, v19
	v_cmp_gt_i32_e32 vcc_lo, 0, v21
	v_not_b32_e32 v21, v22
	s_wait_alu 0xf1ff
	v_xor_b32_e32 v23, s0, v23
	v_cmp_gt_i32_e64 s0, 0, v22
	v_and_b32_e32 v19, exec_lo, v19
	v_not_b32_e32 v22, v37
	v_ashrrev_i32_e32 v21, 31, v21
	s_wait_alu 0xfffd
	v_xor_b32_e32 v20, vcc_lo, v20
	v_cmp_gt_i32_e32 vcc_lo, 0, v37
	v_and_b32_e32 v19, v19, v23
	v_not_b32_e32 v23, v38
	v_ashrrev_i32_e32 v22, 31, v22
	s_wait_alu 0xf1ff
	v_xor_b32_e32 v21, s0, v21
	v_lshlrev_b32_e32 v17, 24, v17
	v_and_b32_e32 v19, v19, v20
	v_cmp_gt_i32_e64 s0, 0, v38
	v_not_b32_e32 v20, v39
	v_ashrrev_i32_e32 v23, 31, v23
	s_wait_alu 0xfffd
	v_xor_b32_e32 v22, vcc_lo, v22
	v_and_b32_e32 v19, v19, v21
	v_cmp_gt_i32_e32 vcc_lo, 0, v39
	v_not_b32_e32 v21, v17
	v_ashrrev_i32_e32 v20, 31, v20
	s_wait_alu 0xf1ff
	v_xor_b32_e32 v23, s0, v23
	v_and_b32_e32 v19, v19, v22
	v_lshlrev_b32_e32 v18, 4, v18
	v_cmp_gt_i32_e64 s0, 0, v17
	v_ashrrev_i32_e32 v17, 31, v21
	s_wait_alu 0xfffd
	v_xor_b32_e32 v20, vcc_lo, v20
	v_and_b32_e32 v19, v19, v23
	v_add_nc_u32_e32 v39, v16, v18
	s_wait_alu 0xf1ff
	v_xor_b32_e32 v17, s0, v17
	s_delay_alu instid0(VALU_DEP_3) | instskip(SKIP_2) | instid1(VALU_DEP_1)
	v_and_b32_e32 v18, v19, v20
	ds_load_b32 v37, v39 offset:16
	; wave barrier
	v_and_b32_e32 v17, v18, v17
	v_mbcnt_lo_u32_b32 v38, v17, 0
	v_cmp_ne_u32_e64 s0, 0, v17
	s_delay_alu instid0(VALU_DEP_2)
	v_cmp_eq_u32_e32 vcc_lo, 0, v38
	s_and_b32 s12, s0, vcc_lo
	s_wait_alu 0xfffe
	s_and_saveexec_b32 s0, s12
	s_cbranch_execz .LBB117_81
; %bb.80:
	s_wait_dscnt 0x0
	v_bcnt_u32_b32 v17, v17, v37
	ds_store_b32 v39, v17 offset:16
.LBB117_81:
	s_wait_alu 0xfffe
	s_or_b32 exec_lo, exec_lo, s0
	v_and_b32_e32 v17, s1, v27
	; wave barrier
	s_delay_alu instid0(VALU_DEP_1)
	v_and_b32_e32 v19, 1, v17
	v_lshlrev_b32_e32 v20, 30, v17
	v_lshlrev_b32_e32 v21, 29, v17
	;; [unrolled: 1-line block ×4, first 2 shown]
	v_add_co_u32 v19, s0, v19, -1
	s_wait_alu 0xf1ff
	v_cndmask_b32_e64 v23, 0, 1, s0
	v_not_b32_e32 v67, v20
	v_cmp_gt_i32_e64 s0, 0, v20
	v_not_b32_e32 v20, v21
	v_lshlrev_b32_e32 v42, 26, v17
	v_cmp_ne_u32_e32 vcc_lo, 0, v23
	v_ashrrev_i32_e32 v23, 31, v67
	v_lshlrev_b32_e32 v43, 25, v17
	v_ashrrev_i32_e32 v20, 31, v20
	v_and_b32_e32 v18, 0xff, v17
	s_wait_alu 0xfffd
	v_xor_b32_e32 v19, vcc_lo, v19
	v_cmp_gt_i32_e32 vcc_lo, 0, v21
	v_not_b32_e32 v21, v22
	s_wait_alu 0xf1ff
	v_xor_b32_e32 v23, s0, v23
	v_cmp_gt_i32_e64 s0, 0, v22
	v_and_b32_e32 v19, exec_lo, v19
	v_not_b32_e32 v22, v40
	v_ashrrev_i32_e32 v21, 31, v21
	s_wait_alu 0xfffd
	v_xor_b32_e32 v20, vcc_lo, v20
	v_cmp_gt_i32_e32 vcc_lo, 0, v40
	v_and_b32_e32 v19, v19, v23
	v_not_b32_e32 v23, v42
	v_ashrrev_i32_e32 v22, 31, v22
	s_wait_alu 0xf1ff
	v_xor_b32_e32 v21, s0, v21
	v_lshlrev_b32_e32 v17, 24, v17
	v_and_b32_e32 v19, v19, v20
	v_cmp_gt_i32_e64 s0, 0, v42
	v_not_b32_e32 v20, v43
	v_ashrrev_i32_e32 v23, 31, v23
	s_wait_alu 0xfffd
	v_xor_b32_e32 v22, vcc_lo, v22
	v_and_b32_e32 v19, v19, v21
	v_cmp_gt_i32_e32 vcc_lo, 0, v43
	v_not_b32_e32 v21, v17
	v_ashrrev_i32_e32 v20, 31, v20
	s_wait_alu 0xf1ff
	v_xor_b32_e32 v23, s0, v23
	v_and_b32_e32 v19, v19, v22
	v_lshlrev_b32_e32 v18, 4, v18
	v_cmp_gt_i32_e64 s0, 0, v17
	v_ashrrev_i32_e32 v17, 31, v21
	s_wait_alu 0xfffd
	v_xor_b32_e32 v20, vcc_lo, v20
	v_and_b32_e32 v19, v19, v23
	v_add_nc_u32_e32 v43, v16, v18
	s_wait_alu 0xf1ff
	v_xor_b32_e32 v17, s0, v17
	s_delay_alu instid0(VALU_DEP_3) | instskip(SKIP_2) | instid1(VALU_DEP_1)
	v_and_b32_e32 v18, v19, v20
	ds_load_b32 v40, v43 offset:16
	; wave barrier
	v_and_b32_e32 v17, v18, v17
	v_mbcnt_lo_u32_b32 v42, v17, 0
	v_cmp_ne_u32_e64 s0, 0, v17
	s_delay_alu instid0(VALU_DEP_2)
	v_cmp_eq_u32_e32 vcc_lo, 0, v42
	s_and_b32 s12, s0, vcc_lo
	s_wait_alu 0xfffe
	s_and_saveexec_b32 s0, s12
	s_cbranch_execz .LBB117_83
; %bb.82:
	s_wait_dscnt 0x0
	v_bcnt_u32_b32 v17, v17, v40
	ds_store_b32 v43, v17 offset:16
.LBB117_83:
	s_wait_alu 0xfffe
	s_or_b32 exec_lo, exec_lo, s0
	v_and_b32_e32 v17, s1, v28
	; wave barrier
	s_delay_alu instid0(VALU_DEP_1)
	v_and_b32_e32 v19, 1, v17
	v_lshlrev_b32_e32 v20, 30, v17
	v_lshlrev_b32_e32 v21, 29, v17
	;; [unrolled: 1-line block ×4, first 2 shown]
	v_add_co_u32 v19, s0, v19, -1
	s_wait_alu 0xf1ff
	v_cndmask_b32_e64 v23, 0, 1, s0
	v_not_b32_e32 v70, v20
	v_cmp_gt_i32_e64 s0, 0, v20
	v_not_b32_e32 v20, v21
	v_lshlrev_b32_e32 v68, 26, v17
	v_cmp_ne_u32_e32 vcc_lo, 0, v23
	v_ashrrev_i32_e32 v23, 31, v70
	v_lshlrev_b32_e32 v69, 25, v17
	v_ashrrev_i32_e32 v20, 31, v20
	v_and_b32_e32 v18, 0xff, v17
	s_wait_alu 0xfffd
	v_xor_b32_e32 v19, vcc_lo, v19
	v_cmp_gt_i32_e32 vcc_lo, 0, v21
	v_not_b32_e32 v21, v22
	s_wait_alu 0xf1ff
	v_xor_b32_e32 v23, s0, v23
	v_cmp_gt_i32_e64 s0, 0, v22
	v_and_b32_e32 v19, exec_lo, v19
	v_not_b32_e32 v22, v67
	v_ashrrev_i32_e32 v21, 31, v21
	s_wait_alu 0xfffd
	v_xor_b32_e32 v20, vcc_lo, v20
	v_cmp_gt_i32_e32 vcc_lo, 0, v67
	v_and_b32_e32 v19, v19, v23
	v_not_b32_e32 v23, v68
	v_ashrrev_i32_e32 v22, 31, v22
	s_wait_alu 0xf1ff
	v_xor_b32_e32 v21, s0, v21
	v_lshlrev_b32_e32 v17, 24, v17
	v_and_b32_e32 v19, v19, v20
	v_cmp_gt_i32_e64 s0, 0, v68
	v_not_b32_e32 v20, v69
	v_ashrrev_i32_e32 v23, 31, v23
	s_wait_alu 0xfffd
	v_xor_b32_e32 v22, vcc_lo, v22
	v_and_b32_e32 v19, v19, v21
	v_cmp_gt_i32_e32 vcc_lo, 0, v69
	v_not_b32_e32 v21, v17
	v_ashrrev_i32_e32 v20, 31, v20
	s_wait_alu 0xf1ff
	v_xor_b32_e32 v23, s0, v23
	v_and_b32_e32 v19, v19, v22
	v_lshlrev_b32_e32 v18, 4, v18
	v_cmp_gt_i32_e64 s0, 0, v17
	v_ashrrev_i32_e32 v17, 31, v21
	s_wait_alu 0xfffd
	v_xor_b32_e32 v20, vcc_lo, v20
	v_and_b32_e32 v19, v19, v23
	v_add_nc_u32_e32 v69, v16, v18
	s_wait_alu 0xf1ff
	v_xor_b32_e32 v17, s0, v17
	s_delay_alu instid0(VALU_DEP_3) | instskip(SKIP_2) | instid1(VALU_DEP_1)
	v_and_b32_e32 v18, v19, v20
	ds_load_b32 v67, v69 offset:16
	; wave barrier
	v_and_b32_e32 v17, v18, v17
	v_mbcnt_lo_u32_b32 v68, v17, 0
	v_cmp_ne_u32_e64 s0, 0, v17
	s_delay_alu instid0(VALU_DEP_2)
	v_cmp_eq_u32_e32 vcc_lo, 0, v68
	s_and_b32 s12, s0, vcc_lo
	s_wait_alu 0xfffe
	s_and_saveexec_b32 s0, s12
	s_cbranch_execz .LBB117_85
; %bb.84:
	s_wait_dscnt 0x0
	v_bcnt_u32_b32 v17, v17, v67
	ds_store_b32 v69, v17 offset:16
.LBB117_85:
	s_wait_alu 0xfffe
	s_or_b32 exec_lo, exec_lo, s0
	v_and_b32_e32 v17, s1, v29
	; wave barrier
	s_delay_alu instid0(VALU_DEP_1)
	v_and_b32_e32 v19, 1, v17
	v_lshlrev_b32_e32 v20, 30, v17
	v_lshlrev_b32_e32 v21, 29, v17
	;; [unrolled: 1-line block ×4, first 2 shown]
	v_add_co_u32 v19, s0, v19, -1
	s_wait_alu 0xf1ff
	v_cndmask_b32_e64 v23, 0, 1, s0
	v_not_b32_e32 v73, v20
	v_cmp_gt_i32_e64 s0, 0, v20
	v_not_b32_e32 v20, v21
	v_lshlrev_b32_e32 v71, 26, v17
	v_cmp_ne_u32_e32 vcc_lo, 0, v23
	v_ashrrev_i32_e32 v23, 31, v73
	v_lshlrev_b32_e32 v72, 25, v17
	v_ashrrev_i32_e32 v20, 31, v20
	v_and_b32_e32 v18, 0xff, v17
	s_wait_alu 0xfffd
	v_xor_b32_e32 v19, vcc_lo, v19
	v_cmp_gt_i32_e32 vcc_lo, 0, v21
	v_not_b32_e32 v21, v22
	s_wait_alu 0xf1ff
	v_xor_b32_e32 v23, s0, v23
	v_cmp_gt_i32_e64 s0, 0, v22
	v_and_b32_e32 v19, exec_lo, v19
	v_not_b32_e32 v22, v70
	v_ashrrev_i32_e32 v21, 31, v21
	s_wait_alu 0xfffd
	v_xor_b32_e32 v20, vcc_lo, v20
	v_cmp_gt_i32_e32 vcc_lo, 0, v70
	v_and_b32_e32 v19, v19, v23
	v_not_b32_e32 v23, v71
	v_ashrrev_i32_e32 v22, 31, v22
	s_wait_alu 0xf1ff
	v_xor_b32_e32 v21, s0, v21
	v_lshlrev_b32_e32 v17, 24, v17
	v_and_b32_e32 v19, v19, v20
	v_cmp_gt_i32_e64 s0, 0, v71
	v_not_b32_e32 v20, v72
	v_ashrrev_i32_e32 v23, 31, v23
	s_wait_alu 0xfffd
	v_xor_b32_e32 v22, vcc_lo, v22
	v_and_b32_e32 v19, v19, v21
	v_cmp_gt_i32_e32 vcc_lo, 0, v72
	v_not_b32_e32 v21, v17
	v_ashrrev_i32_e32 v20, 31, v20
	s_wait_alu 0xf1ff
	v_xor_b32_e32 v23, s0, v23
	v_and_b32_e32 v19, v19, v22
	v_lshlrev_b32_e32 v18, 4, v18
	v_cmp_gt_i32_e64 s0, 0, v17
	v_ashrrev_i32_e32 v17, 31, v21
	s_wait_alu 0xfffd
	v_xor_b32_e32 v20, vcc_lo, v20
	v_and_b32_e32 v19, v19, v23
	v_add_nc_u32_e32 v72, v16, v18
	s_wait_alu 0xf1ff
	v_xor_b32_e32 v17, s0, v17
	s_delay_alu instid0(VALU_DEP_3) | instskip(SKIP_2) | instid1(VALU_DEP_1)
	v_and_b32_e32 v18, v19, v20
	ds_load_b32 v70, v72 offset:16
	; wave barrier
	v_and_b32_e32 v17, v18, v17
	v_mbcnt_lo_u32_b32 v71, v17, 0
	v_cmp_ne_u32_e64 s0, 0, v17
	s_delay_alu instid0(VALU_DEP_2)
	v_cmp_eq_u32_e32 vcc_lo, 0, v71
	s_and_b32 s12, s0, vcc_lo
	s_wait_alu 0xfffe
	s_and_saveexec_b32 s0, s12
	s_cbranch_execz .LBB117_87
; %bb.86:
	s_wait_dscnt 0x0
	v_bcnt_u32_b32 v17, v17, v70
	ds_store_b32 v72, v17 offset:16
.LBB117_87:
	s_wait_alu 0xfffe
	s_or_b32 exec_lo, exec_lo, s0
	v_and_b32_e32 v17, s1, v30
	; wave barrier
	s_delay_alu instid0(VALU_DEP_1)
	v_and_b32_e32 v19, 1, v17
	v_lshlrev_b32_e32 v20, 30, v17
	v_lshlrev_b32_e32 v21, 29, v17
	;; [unrolled: 1-line block ×4, first 2 shown]
	v_add_co_u32 v19, s0, v19, -1
	s_wait_alu 0xf1ff
	v_cndmask_b32_e64 v23, 0, 1, s0
	v_not_b32_e32 v76, v20
	v_cmp_gt_i32_e64 s0, 0, v20
	v_not_b32_e32 v20, v21
	v_lshlrev_b32_e32 v74, 26, v17
	v_cmp_ne_u32_e32 vcc_lo, 0, v23
	v_ashrrev_i32_e32 v23, 31, v76
	v_lshlrev_b32_e32 v75, 25, v17
	v_ashrrev_i32_e32 v20, 31, v20
	v_and_b32_e32 v18, 0xff, v17
	s_wait_alu 0xfffd
	v_xor_b32_e32 v19, vcc_lo, v19
	v_cmp_gt_i32_e32 vcc_lo, 0, v21
	v_not_b32_e32 v21, v22
	s_wait_alu 0xf1ff
	v_xor_b32_e32 v23, s0, v23
	v_cmp_gt_i32_e64 s0, 0, v22
	v_and_b32_e32 v19, exec_lo, v19
	v_not_b32_e32 v22, v73
	v_ashrrev_i32_e32 v21, 31, v21
	s_wait_alu 0xfffd
	v_xor_b32_e32 v20, vcc_lo, v20
	v_cmp_gt_i32_e32 vcc_lo, 0, v73
	v_and_b32_e32 v19, v19, v23
	v_not_b32_e32 v23, v74
	v_ashrrev_i32_e32 v22, 31, v22
	s_wait_alu 0xf1ff
	v_xor_b32_e32 v21, s0, v21
	v_lshlrev_b32_e32 v17, 24, v17
	v_and_b32_e32 v19, v19, v20
	v_cmp_gt_i32_e64 s0, 0, v74
	v_not_b32_e32 v20, v75
	v_ashrrev_i32_e32 v23, 31, v23
	s_wait_alu 0xfffd
	v_xor_b32_e32 v22, vcc_lo, v22
	v_and_b32_e32 v19, v19, v21
	v_cmp_gt_i32_e32 vcc_lo, 0, v75
	v_not_b32_e32 v21, v17
	v_ashrrev_i32_e32 v20, 31, v20
	s_wait_alu 0xf1ff
	v_xor_b32_e32 v23, s0, v23
	v_and_b32_e32 v19, v19, v22
	v_lshlrev_b32_e32 v18, 4, v18
	v_cmp_gt_i32_e64 s0, 0, v17
	v_ashrrev_i32_e32 v17, 31, v21
	s_wait_alu 0xfffd
	v_xor_b32_e32 v20, vcc_lo, v20
	v_and_b32_e32 v19, v19, v23
	v_add_nc_u32_e32 v75, v16, v18
	s_wait_alu 0xf1ff
	v_xor_b32_e32 v17, s0, v17
	s_delay_alu instid0(VALU_DEP_3) | instskip(SKIP_2) | instid1(VALU_DEP_1)
	v_and_b32_e32 v18, v19, v20
	ds_load_b32 v73, v75 offset:16
	; wave barrier
	v_and_b32_e32 v17, v18, v17
	v_mbcnt_lo_u32_b32 v74, v17, 0
	v_cmp_ne_u32_e64 s0, 0, v17
	s_delay_alu instid0(VALU_DEP_2)
	v_cmp_eq_u32_e32 vcc_lo, 0, v74
	s_and_b32 s12, s0, vcc_lo
	s_wait_alu 0xfffe
	s_and_saveexec_b32 s0, s12
	s_cbranch_execz .LBB117_89
; %bb.88:
	s_wait_dscnt 0x0
	v_bcnt_u32_b32 v17, v17, v73
	ds_store_b32 v75, v17 offset:16
.LBB117_89:
	s_wait_alu 0xfffe
	s_or_b32 exec_lo, exec_lo, s0
	v_and_b32_e32 v17, s1, v31
	; wave barrier
	s_delay_alu instid0(VALU_DEP_1)
	v_and_b32_e32 v19, 1, v17
	v_lshlrev_b32_e32 v20, 30, v17
	v_lshlrev_b32_e32 v21, 29, v17
	;; [unrolled: 1-line block ×4, first 2 shown]
	v_add_co_u32 v19, s0, v19, -1
	s_wait_alu 0xf1ff
	v_cndmask_b32_e64 v23, 0, 1, s0
	v_not_b32_e32 v79, v20
	v_cmp_gt_i32_e64 s0, 0, v20
	v_not_b32_e32 v20, v21
	v_lshlrev_b32_e32 v77, 26, v17
	v_cmp_ne_u32_e32 vcc_lo, 0, v23
	v_ashrrev_i32_e32 v23, 31, v79
	v_lshlrev_b32_e32 v78, 25, v17
	v_ashrrev_i32_e32 v20, 31, v20
	v_and_b32_e32 v18, 0xff, v17
	s_wait_alu 0xfffd
	v_xor_b32_e32 v19, vcc_lo, v19
	v_cmp_gt_i32_e32 vcc_lo, 0, v21
	v_not_b32_e32 v21, v22
	s_wait_alu 0xf1ff
	v_xor_b32_e32 v23, s0, v23
	v_cmp_gt_i32_e64 s0, 0, v22
	v_and_b32_e32 v19, exec_lo, v19
	v_not_b32_e32 v22, v76
	v_ashrrev_i32_e32 v21, 31, v21
	s_wait_alu 0xfffd
	v_xor_b32_e32 v20, vcc_lo, v20
	v_cmp_gt_i32_e32 vcc_lo, 0, v76
	v_and_b32_e32 v19, v19, v23
	v_not_b32_e32 v23, v77
	v_ashrrev_i32_e32 v22, 31, v22
	s_wait_alu 0xf1ff
	v_xor_b32_e32 v21, s0, v21
	v_lshlrev_b32_e32 v17, 24, v17
	v_and_b32_e32 v19, v19, v20
	v_cmp_gt_i32_e64 s0, 0, v77
	v_not_b32_e32 v20, v78
	v_ashrrev_i32_e32 v23, 31, v23
	s_wait_alu 0xfffd
	v_xor_b32_e32 v22, vcc_lo, v22
	v_and_b32_e32 v19, v19, v21
	v_cmp_gt_i32_e32 vcc_lo, 0, v78
	v_not_b32_e32 v21, v17
	v_ashrrev_i32_e32 v20, 31, v20
	s_wait_alu 0xf1ff
	v_xor_b32_e32 v23, s0, v23
	v_and_b32_e32 v19, v19, v22
	v_lshlrev_b32_e32 v18, 4, v18
	v_cmp_gt_i32_e64 s0, 0, v17
	v_ashrrev_i32_e32 v17, 31, v21
	s_wait_alu 0xfffd
	v_xor_b32_e32 v20, vcc_lo, v20
	v_and_b32_e32 v19, v19, v23
	v_add_nc_u32_e32 v78, v16, v18
	s_wait_alu 0xf1ff
	v_xor_b32_e32 v16, s0, v17
	s_delay_alu instid0(VALU_DEP_3) | instskip(SKIP_2) | instid1(VALU_DEP_1)
	v_and_b32_e32 v17, v19, v20
	ds_load_b32 v76, v78 offset:16
	; wave barrier
	v_and_b32_e32 v16, v17, v16
	v_mbcnt_lo_u32_b32 v77, v16, 0
	v_cmp_ne_u32_e64 s0, 0, v16
	s_delay_alu instid0(VALU_DEP_2)
	v_cmp_eq_u32_e32 vcc_lo, 0, v77
	s_and_b32 s1, s0, vcc_lo
	s_wait_alu 0xfffe
	s_and_saveexec_b32 s0, s1
	s_cbranch_execz .LBB117_91
; %bb.90:
	s_wait_dscnt 0x0
	v_bcnt_u32_b32 v16, v16, v76
	ds_store_b32 v78, v16 offset:16
.LBB117_91:
	s_wait_alu 0xfffe
	s_or_b32 exec_lo, exec_lo, s0
	; wave barrier
	s_wait_loadcnt_dscnt 0x0
	s_barrier_signal -1
	s_barrier_wait -1
	global_inv scope:SCOPE_SE
	ds_load_b128 v[20:23], v64 offset:16
	ds_load_b128 v[16:19], v64 offset:32
	v_min_u32_e32 v66, 0x60, v66
	s_mov_b32 s0, exec_lo
	s_delay_alu instid0(VALU_DEP_1) | instskip(SKIP_2) | instid1(VALU_DEP_1)
	v_or_b32_e32 v66, 31, v66
	s_wait_dscnt 0x1
	v_add_nc_u32_e32 v79, v21, v20
	v_add3_u32 v79, v79, v22, v23
	s_wait_dscnt 0x0
	s_delay_alu instid0(VALU_DEP_1) | instskip(NEXT) | instid1(VALU_DEP_1)
	v_add3_u32 v79, v79, v16, v17
	v_add3_u32 v19, v79, v18, v19
	s_delay_alu instid0(VALU_DEP_1) | instskip(SKIP_1) | instid1(VALU_DEP_1)
	v_mov_b32_dpp v80, v19 row_shr:1 row_mask:0xf bank_mask:0xf
	v_and_b32_e32 v79, 15, v65
	v_cmp_ne_u32_e32 vcc_lo, 0, v79
	s_wait_alu 0xfffd
	s_delay_alu instid0(VALU_DEP_3) | instskip(SKIP_1) | instid1(VALU_DEP_2)
	v_cndmask_b32_e32 v80, 0, v80, vcc_lo
	v_cmp_lt_u32_e32 vcc_lo, 1, v79
	v_add_nc_u32_e32 v19, v80, v19
	s_delay_alu instid0(VALU_DEP_1) | instskip(SKIP_1) | instid1(VALU_DEP_1)
	v_mov_b32_dpp v80, v19 row_shr:2 row_mask:0xf bank_mask:0xf
	s_wait_alu 0xfffd
	v_cndmask_b32_e32 v80, 0, v80, vcc_lo
	v_cmp_lt_u32_e32 vcc_lo, 3, v79
	s_delay_alu instid0(VALU_DEP_2) | instskip(NEXT) | instid1(VALU_DEP_1)
	v_add_nc_u32_e32 v19, v19, v80
	v_mov_b32_dpp v80, v19 row_shr:4 row_mask:0xf bank_mask:0xf
	s_wait_alu 0xfffd
	s_delay_alu instid0(VALU_DEP_1) | instskip(SKIP_1) | instid1(VALU_DEP_2)
	v_cndmask_b32_e32 v80, 0, v80, vcc_lo
	v_cmp_lt_u32_e32 vcc_lo, 7, v79
	v_add_nc_u32_e32 v19, v19, v80
	s_delay_alu instid0(VALU_DEP_1) | instskip(SKIP_1) | instid1(VALU_DEP_1)
	v_mov_b32_dpp v80, v19 row_shr:8 row_mask:0xf bank_mask:0xf
	s_wait_alu 0xfffd
	v_cndmask_b32_e32 v79, 0, v80, vcc_lo
	v_bfe_i32 v80, v65, 4, 1
	s_delay_alu instid0(VALU_DEP_2) | instskip(SKIP_3) | instid1(VALU_DEP_1)
	v_add_nc_u32_e32 v19, v19, v79
	ds_swizzle_b32 v79, v19 offset:swizzle(BROADCAST,32,15)
	s_wait_dscnt 0x0
	v_and_b32_e32 v79, v80, v79
	v_add_nc_u32_e32 v19, v19, v79
	v_cmpx_eq_u32_e64 v41, v66
; %bb.92:
	v_lshlrev_b32_e32 v66, 2, v63
	ds_store_b32 v66, v19
; %bb.93:
	s_wait_alu 0xfffe
	s_or_b32 exec_lo, exec_lo, s0
	s_delay_alu instid0(SALU_CYCLE_1)
	s_mov_b32 s0, exec_lo
	s_wait_loadcnt_dscnt 0x0
	s_barrier_signal -1
	s_barrier_wait -1
	global_inv scope:SCOPE_SE
	v_cmpx_gt_u32_e32 4, v41
	s_cbranch_execz .LBB117_95
; %bb.94:
	v_lshlrev_b32_e32 v66, 2, v41
	v_and_b32_e32 v80, 3, v65
	ds_load_b32 v79, v66
	v_cmp_ne_u32_e32 vcc_lo, 0, v80
	s_wait_dscnt 0x0
	v_mov_b32_dpp v81, v79 row_shr:1 row_mask:0xf bank_mask:0xf
	s_wait_alu 0xfffd
	s_delay_alu instid0(VALU_DEP_1) | instskip(SKIP_1) | instid1(VALU_DEP_2)
	v_cndmask_b32_e32 v81, 0, v81, vcc_lo
	v_cmp_lt_u32_e32 vcc_lo, 1, v80
	v_add_nc_u32_e32 v79, v81, v79
	s_delay_alu instid0(VALU_DEP_1) | instskip(SKIP_1) | instid1(VALU_DEP_1)
	v_mov_b32_dpp v81, v79 row_shr:2 row_mask:0xf bank_mask:0xf
	s_wait_alu 0xfffd
	v_cndmask_b32_e32 v80, 0, v81, vcc_lo
	s_delay_alu instid0(VALU_DEP_1)
	v_add_nc_u32_e32 v79, v79, v80
	ds_store_b32 v66, v79
.LBB117_95:
	s_wait_alu 0xfffe
	s_or_b32 exec_lo, exec_lo, s0
	v_mov_b32_e32 v66, 0
	s_mov_b32 s0, exec_lo
	s_wait_loadcnt_dscnt 0x0
	s_barrier_signal -1
	s_barrier_wait -1
	global_inv scope:SCOPE_SE
	v_cmpx_lt_u32_e32 31, v41
; %bb.96:
	v_lshl_add_u32 v63, v63, 2, -4
	ds_load_b32 v66, v63
; %bb.97:
	s_wait_alu 0xfffe
	s_or_b32 exec_lo, exec_lo, s0
	v_sub_co_u32 v63, vcc_lo, v65, 1
	s_wait_dscnt 0x0
	v_add_nc_u32_e32 v19, v66, v19
	s_delay_alu instid0(VALU_DEP_2) | instskip(SKIP_1) | instid1(VALU_DEP_1)
	v_cmp_gt_i32_e64 s0, 0, v63
	s_wait_alu 0xf1ff
	v_cndmask_b32_e64 v63, v63, v65, s0
	s_delay_alu instid0(VALU_DEP_1)
	v_lshlrev_b32_e32 v63, 2, v63
	ds_bpermute_b32 v19, v63, v19
	s_wait_dscnt 0x0
	s_wait_alu 0xfffd
	v_cndmask_b32_e32 v19, v19, v66, vcc_lo
	v_cmp_ne_u32_e32 vcc_lo, 0, v41
	s_wait_alu 0xfffd
	s_delay_alu instid0(VALU_DEP_2) | instskip(NEXT) | instid1(VALU_DEP_1)
	v_cndmask_b32_e32 v19, 0, v19, vcc_lo
	v_add_nc_u32_e32 v20, v19, v20
	s_delay_alu instid0(VALU_DEP_1) | instskip(NEXT) | instid1(VALU_DEP_1)
	v_add_nc_u32_e32 v21, v20, v21
	v_add_nc_u32_e32 v22, v21, v22
	s_delay_alu instid0(VALU_DEP_1) | instskip(NEXT) | instid1(VALU_DEP_1)
	v_add_nc_u32_e32 v79, v22, v23
	;; [unrolled: 3-line block ×3, first 2 shown]
	v_add_nc_u32_e32 v82, v81, v18
	ds_store_b128 v64, v[19:22] offset:16
	ds_store_b128 v64, v[79:82] offset:32
	s_wait_loadcnt_dscnt 0x0
	s_barrier_signal -1
	s_barrier_wait -1
	global_inv scope:SCOPE_SE
	ds_load_b32 v16, v33 offset:16
	ds_load_b32 v17, v36 offset:16
	;; [unrolled: 1-line block ×8, first 2 shown]
	s_wait_loadcnt_dscnt 0x0
	s_barrier_signal -1
	s_barrier_wait -1
	global_inv scope:SCOPE_SE
	v_mad_u32_u24 v36, v41, 56, v61
	v_add_nc_u32_e32 v16, v16, v32
	v_add3_u32 v17, v35, v34, v17
	v_add3_u32 v18, v38, v37, v18
	;; [unrolled: 1-line block ×7, first 2 shown]
	ds_store_b8 v16, v24
	ds_store_b8 v17, v25
	;; [unrolled: 1-line block ×8, first 2 shown]
	s_wait_loadcnt_dscnt 0x0
	s_barrier_signal -1
	s_barrier_wait -1
	global_inv scope:SCOPE_SE
	ds_load_b64 v[33:34], v61
	v_lshlrev_b32_e32 v16, 3, v16
	v_lshlrev_b32_e32 v17, 3, v17
	;; [unrolled: 1-line block ×8, first 2 shown]
	s_wait_loadcnt_dscnt 0x0
	s_barrier_signal -1
	s_barrier_wait -1
	global_inv scope:SCOPE_SE
	ds_store_b64 v16, v[12:13]
	ds_store_b64 v17, v[14:15]
	ds_store_b64 v18, v[4:5]
	ds_store_b64 v19, v[6:7]
	ds_store_b64 v20, v[0:1]
	ds_store_b64 v21, v[2:3]
	ds_store_b64 v22, v[8:9]
	ds_store_b64 v23, v[10:11]
	s_wait_loadcnt_dscnt 0x0
	s_barrier_signal -1
	s_barrier_wait -1
	global_inv scope:SCOPE_SE
	ds_load_b128 v[21:24], v36
	ds_load_b128 v[17:20], v36 offset:16
	ds_load_b128 v[29:32], v36 offset:32
	;; [unrolled: 1-line block ×3, first 2 shown]
	v_lshrrev_b32_e32 v0, 16, v33
	v_lshrrev_b32_e32 v3, 16, v34
	v_and_b32_e32 v1, 0xffffff00, v33
	v_xor_b32_e32 v2, 0x7f, v33
	v_and_b32_e32 v4, 0xffffff00, v34
	v_xor_b32_e32 v5, 0x7f, v34
	;; [unrolled: 2-line block ×4, first 2 shown]
	v_xor_b32_e32 v1, 0x7f00, v1
	v_and_b32_e32 v2, 0xff, v2
	v_xor_b32_e32 v4, 0x7f00, v4
	v_and_b32_e32 v5, 0xff, v5
	;; [unrolled: 2-line block ×4, first 2 shown]
	v_or_b32_e32 v1, v2, v1
	v_or_b32_e32 v2, v5, v4
	;; [unrolled: 1-line block ×3, first 2 shown]
	s_delay_alu instid0(VALU_DEP_4) | instskip(NEXT) | instid1(VALU_DEP_4)
	v_or_b32_e32 v3, v3, v7
	v_and_b32_e32 v1, 0xffff, v1
	s_delay_alu instid0(VALU_DEP_4) | instskip(NEXT) | instid1(VALU_DEP_4)
	v_and_b32_e32 v2, 0xffff, v2
	v_lshlrev_b32_e32 v0, 16, v0
	s_delay_alu instid0(VALU_DEP_4) | instskip(NEXT) | instid1(VALU_DEP_2)
	v_lshlrev_b32_e32 v3, 16, v3
	v_or_b32_e32 v0, v1, v0
	s_delay_alu instid0(VALU_DEP_2)
	v_or_b32_e32 v33, v2, v3
.LBB117_98:
	s_wait_loadcnt_dscnt 0x0
	s_barrier_signal -1
	s_barrier_wait -1
	global_inv scope:SCOPE_SE
	ds_store_2addr_b32 v52, v0, v33 offset1:1
	s_wait_loadcnt_dscnt 0x0
	s_barrier_signal -1
	s_barrier_wait -1
	global_inv scope:SCOPE_SE
	ds_load_u8 v8, v45 offset:128
	ds_load_u8 v7, v46 offset:256
	;; [unrolled: 1-line block ×7, first 2 shown]
	v_mad_co_u64_u32 v[0:1], null, s16, v41, s[18:19]
	s_wait_dscnt 0x0
	s_delay_alu instid0(VALU_DEP_1) | instskip(NEXT) | instid1(VALU_DEP_1)
	v_mad_co_u64_u32 v[9:10], null, s17, v41, v[1:2]
	v_mov_b32_e32 v1, v9
	s_and_saveexec_b32 s0, s2
	s_cbranch_execnz .LBB117_117
; %bb.99:
	s_wait_alu 0xfffe
	s_or_b32 exec_lo, exec_lo, s0
	s_and_saveexec_b32 s0, s3
	s_cbranch_execnz .LBB117_118
.LBB117_100:
	s_wait_alu 0xfffe
	s_or_b32 exec_lo, exec_lo, s0
	s_and_saveexec_b32 s0, s4
	s_cbranch_execnz .LBB117_119
.LBB117_101:
	s_wait_alu 0xfffe
	s_or_b32 exec_lo, exec_lo, s0
	s_and_saveexec_b32 s0, s5
	s_cbranch_execnz .LBB117_120
.LBB117_102:
	s_wait_alu 0xfffe
	s_or_b32 exec_lo, exec_lo, s0
	s_and_saveexec_b32 s0, s6
	s_cbranch_execnz .LBB117_121
.LBB117_103:
	s_wait_alu 0xfffe
	s_or_b32 exec_lo, exec_lo, s0
	s_and_saveexec_b32 s0, s7
	s_cbranch_execnz .LBB117_122
.LBB117_104:
	s_wait_alu 0xfffe
	s_or_b32 exec_lo, exec_lo, s0
	s_and_saveexec_b32 s0, s8
	s_cbranch_execnz .LBB117_123
.LBB117_105:
	s_wait_alu 0xfffe
	s_or_b32 exec_lo, exec_lo, s0
	s_and_saveexec_b32 s0, s9
	s_cbranch_execz .LBB117_107
.LBB117_106:
	v_mad_co_u64_u32 v[0:1], null, 0x380, s16, v[0:1]
	s_delay_alu instid0(VALU_DEP_1) | instskip(NEXT) | instid1(VALU_DEP_1)
	v_mad_co_u64_u32 v[3:4], null, 0x380, s17, v[1:2]
	v_mov_b32_e32 v1, v3
	global_store_b8 v[0:1], v2, off
.LBB117_107:
	s_wait_alu 0xfffe
	s_or_b32 exec_lo, exec_lo, s0
	s_wait_kmcnt 0x0
	v_mad_co_u64_u32 v[2:3], null, s10, v41, 0
	s_wait_loadcnt 0x0
	s_wait_storecnt 0x0
	s_barrier_signal -1
	s_barrier_wait -1
	global_inv scope:SCOPE_SE
	ds_store_2addr_b64 v62, v[21:22], v[23:24] offset1:1
	ds_store_2addr_b64 v62, v[17:18], v[19:20] offset0:2 offset1:3
	ds_store_2addr_b64 v62, v[29:30], v[31:32] offset0:4 offset1:5
	;; [unrolled: 1-line block ×3, first 2 shown]
	s_wait_loadcnt_dscnt 0x0
	v_mov_b32_e32 v0, v3
	s_barrier_signal -1
	s_barrier_wait -1
	global_inv scope:SCOPE_SE
	v_mad_co_u64_u32 v[3:4], null, s11, v41, v[0:1]
	ds_load_b64 v[14:15], v54 offset:1024
	ds_load_b64 v[12:13], v55 offset:2048
	;; [unrolled: 1-line block ×7, first 2 shown]
	v_lshlrev_b64_e32 v[2:3], 3, v[2:3]
	s_delay_alu instid0(VALU_DEP_1) | instskip(SKIP_1) | instid1(VALU_DEP_2)
	v_add_co_u32 v2, vcc_lo, s20, v2
	s_wait_alu 0xfffd
	v_add_co_ci_u32_e64 v3, null, s21, v3, vcc_lo
	s_and_saveexec_b32 s0, s2
	s_cbranch_execnz .LBB117_124
; %bb.108:
	s_wait_alu 0xfffe
	s_or_b32 exec_lo, exec_lo, s0
	s_and_saveexec_b32 s0, s3
	s_cbranch_execnz .LBB117_125
.LBB117_109:
	s_wait_alu 0xfffe
	s_or_b32 exec_lo, exec_lo, s0
	s_and_saveexec_b32 s0, s4
	s_cbranch_execnz .LBB117_126
.LBB117_110:
	s_wait_alu 0xfffe
	s_or_b32 exec_lo, exec_lo, s0
	s_and_saveexec_b32 s0, s5
	s_cbranch_execnz .LBB117_127
.LBB117_111:
	s_wait_alu 0xfffe
	s_or_b32 exec_lo, exec_lo, s0
	s_and_saveexec_b32 s0, s6
	s_cbranch_execnz .LBB117_128
.LBB117_112:
	s_wait_alu 0xfffe
	s_or_b32 exec_lo, exec_lo, s0
	s_and_saveexec_b32 s0, s7
	s_cbranch_execnz .LBB117_129
.LBB117_113:
	s_wait_alu 0xfffe
	s_or_b32 exec_lo, exec_lo, s0
	s_and_saveexec_b32 s0, s8
	s_cbranch_execnz .LBB117_130
.LBB117_114:
	s_wait_alu 0xfffe
	s_or_b32 exec_lo, exec_lo, s0
	s_and_saveexec_b32 s0, s9
	s_cbranch_execz .LBB117_116
.LBB117_115:
	v_mad_co_u64_u32 v[2:3], null, 0x1c00, s10, v[2:3]
	s_wait_dscnt 0x1
	s_delay_alu instid0(VALU_DEP_1)
	v_mad_co_u64_u32 v[3:4], null, 0x1c00, s11, v[3:4]
	s_wait_dscnt 0x0
	global_store_b64 v[2:3], v[0:1], off
.LBB117_116:
	s_nop 0
	s_sendmsg sendmsg(MSG_DEALLOC_VGPRS)
	s_endpgm
.LBB117_117:
	ds_load_u8 v9, v44
	s_wait_dscnt 0x0
	global_store_b8 v[0:1], v9, off
	s_wait_alu 0xfffe
	s_or_b32 exec_lo, exec_lo, s0
	s_and_saveexec_b32 s0, s3
	s_cbranch_execz .LBB117_100
.LBB117_118:
	s_lshl_b64 s[12:13], s[16:17], 7
	s_wait_alu 0xfffe
	v_add_co_u32 v9, vcc_lo, v0, s12
	s_wait_alu 0xfffd
	v_add_co_ci_u32_e64 v10, null, s13, v1, vcc_lo
	global_store_b8 v[9:10], v8, off
	s_or_b32 exec_lo, exec_lo, s0
	s_and_saveexec_b32 s0, s4
	s_cbranch_execz .LBB117_101
.LBB117_119:
	s_lshl_b64 s[12:13], s[16:17], 8
	s_wait_alu 0xfffe
	v_add_co_u32 v8, vcc_lo, v0, s12
	s_wait_alu 0xfffd
	v_add_co_ci_u32_e64 v9, null, s13, v1, vcc_lo
	global_store_b8 v[8:9], v7, off
	s_or_b32 exec_lo, exec_lo, s0
	s_and_saveexec_b32 s0, s5
	s_cbranch_execz .LBB117_102
.LBB117_120:
	v_mad_co_u64_u32 v[7:8], null, 0x180, s16, v[0:1]
	s_delay_alu instid0(VALU_DEP_1)
	v_mad_co_u64_u32 v[8:9], null, 0x180, s17, v[8:9]
	global_store_b8 v[7:8], v6, off
	s_wait_alu 0xfffe
	s_or_b32 exec_lo, exec_lo, s0
	s_and_saveexec_b32 s0, s6
	s_cbranch_execz .LBB117_103
.LBB117_121:
	s_lshl_b64 s[12:13], s[16:17], 9
	s_wait_alu 0xfffe
	v_add_co_u32 v6, vcc_lo, v0, s12
	s_wait_alu 0xfffd
	v_add_co_ci_u32_e64 v7, null, s13, v1, vcc_lo
	global_store_b8 v[6:7], v5, off
	s_or_b32 exec_lo, exec_lo, s0
	s_and_saveexec_b32 s0, s7
	s_cbranch_execz .LBB117_104
.LBB117_122:
	v_mad_co_u64_u32 v[5:6], null, 0x280, s16, v[0:1]
	s_delay_alu instid0(VALU_DEP_1)
	v_mad_co_u64_u32 v[6:7], null, 0x280, s17, v[6:7]
	global_store_b8 v[5:6], v4, off
	s_wait_alu 0xfffe
	s_or_b32 exec_lo, exec_lo, s0
	s_and_saveexec_b32 s0, s8
	s_cbranch_execz .LBB117_105
.LBB117_123:
	v_mad_co_u64_u32 v[4:5], null, 0x300, s16, v[0:1]
	s_delay_alu instid0(VALU_DEP_1)
	v_mad_co_u64_u32 v[5:6], null, 0x300, s17, v[5:6]
	global_store_b8 v[4:5], v3, off
	s_wait_alu 0xfffe
	s_or_b32 exec_lo, exec_lo, s0
	s_and_saveexec_b32 s0, s9
	s_cbranch_execnz .LBB117_106
	s_branch .LBB117_107
.LBB117_124:
	ds_load_b64 v[16:17], v53
	s_wait_dscnt 0x0
	global_store_b64 v[2:3], v[16:17], off
	s_wait_alu 0xfffe
	s_or_b32 exec_lo, exec_lo, s0
	s_and_saveexec_b32 s0, s3
	s_cbranch_execz .LBB117_109
.LBB117_125:
	s_lshl_b64 s[2:3], s[10:11], 10
	s_wait_alu 0xfffe
	v_add_co_u32 v16, vcc_lo, v2, s2
	s_wait_alu 0xfffd
	v_add_co_ci_u32_e64 v17, null, s3, v3, vcc_lo
	s_wait_dscnt 0x6
	global_store_b64 v[16:17], v[14:15], off
	s_or_b32 exec_lo, exec_lo, s0
	s_and_saveexec_b32 s0, s4
	s_cbranch_execz .LBB117_110
.LBB117_126:
	s_lshl_b64 s[2:3], s[10:11], 11
	s_wait_dscnt 0x6
	s_wait_alu 0xfffe
	v_add_co_u32 v14, vcc_lo, v2, s2
	s_wait_alu 0xfffd
	v_add_co_ci_u32_e64 v15, null, s3, v3, vcc_lo
	s_wait_dscnt 0x5
	global_store_b64 v[14:15], v[12:13], off
	s_or_b32 exec_lo, exec_lo, s0
	s_and_saveexec_b32 s0, s5
	s_cbranch_execz .LBB117_111
.LBB117_127:
	s_wait_dscnt 0x5
	v_mad_co_u64_u32 v[12:13], null, 0xc00, s10, v[2:3]
	s_delay_alu instid0(VALU_DEP_1)
	v_mad_co_u64_u32 v[13:14], null, 0xc00, s11, v[13:14]
	s_wait_dscnt 0x4
	global_store_b64 v[12:13], v[10:11], off
	s_wait_alu 0xfffe
	s_or_b32 exec_lo, exec_lo, s0
	s_and_saveexec_b32 s0, s6
	s_cbranch_execz .LBB117_112
.LBB117_128:
	s_lshl_b64 s[2:3], s[10:11], 12
	s_wait_dscnt 0x4
	s_wait_alu 0xfffe
	v_add_co_u32 v10, vcc_lo, v2, s2
	s_wait_alu 0xfffd
	v_add_co_ci_u32_e64 v11, null, s3, v3, vcc_lo
	s_wait_dscnt 0x3
	global_store_b64 v[10:11], v[8:9], off
	s_or_b32 exec_lo, exec_lo, s0
	s_and_saveexec_b32 s0, s7
	s_cbranch_execz .LBB117_113
.LBB117_129:
	s_wait_dscnt 0x3
	v_mad_co_u64_u32 v[8:9], null, 0x1400, s10, v[2:3]
	s_delay_alu instid0(VALU_DEP_1)
	v_mad_co_u64_u32 v[9:10], null, 0x1400, s11, v[9:10]
	s_wait_dscnt 0x2
	global_store_b64 v[8:9], v[6:7], off
	s_wait_alu 0xfffe
	s_or_b32 exec_lo, exec_lo, s0
	s_and_saveexec_b32 s0, s8
	s_cbranch_execz .LBB117_114
.LBB117_130:
	s_wait_dscnt 0x2
	v_mad_co_u64_u32 v[6:7], null, 0x1800, s10, v[2:3]
	s_delay_alu instid0(VALU_DEP_1)
	v_mad_co_u64_u32 v[7:8], null, 0x1800, s11, v[7:8]
	s_wait_dscnt 0x1
	global_store_b64 v[6:7], v[4:5], off
	s_wait_alu 0xfffe
	s_or_b32 exec_lo, exec_lo, s0
	s_and_saveexec_b32 s0, s9
	s_cbranch_execnz .LBB117_115
	s_branch .LBB117_116
	.section	.rodata,"a",@progbits
	.p2align	6, 0x0
	.amdhsa_kernel _ZN2at6native18radixSortKVInPlaceILin1ELin1ELi128ELi8EalmEEvNS_4cuda6detail10TensorInfoIT3_T5_EES6_S6_S6_NS4_IT4_S6_EES6_b
		.amdhsa_group_segment_fixed_size 8448
		.amdhsa_private_segment_fixed_size 0
		.amdhsa_kernarg_size 1128
		.amdhsa_user_sgpr_count 2
		.amdhsa_user_sgpr_dispatch_ptr 0
		.amdhsa_user_sgpr_queue_ptr 0
		.amdhsa_user_sgpr_kernarg_segment_ptr 1
		.amdhsa_user_sgpr_dispatch_id 0
		.amdhsa_user_sgpr_private_segment_size 0
		.amdhsa_wavefront_size32 1
		.amdhsa_uses_dynamic_stack 0
		.amdhsa_enable_private_segment 0
		.amdhsa_system_sgpr_workgroup_id_x 1
		.amdhsa_system_sgpr_workgroup_id_y 1
		.amdhsa_system_sgpr_workgroup_id_z 1
		.amdhsa_system_sgpr_workgroup_info 0
		.amdhsa_system_vgpr_workitem_id 2
		.amdhsa_next_free_vgpr 112
		.amdhsa_next_free_sgpr 36
		.amdhsa_reserve_vcc 1
		.amdhsa_float_round_mode_32 0
		.amdhsa_float_round_mode_16_64 0
		.amdhsa_float_denorm_mode_32 3
		.amdhsa_float_denorm_mode_16_64 3
		.amdhsa_fp16_overflow 0
		.amdhsa_workgroup_processor_mode 1
		.amdhsa_memory_ordered 1
		.amdhsa_forward_progress 1
		.amdhsa_inst_pref_size 117
		.amdhsa_round_robin_scheduling 0
		.amdhsa_exception_fp_ieee_invalid_op 0
		.amdhsa_exception_fp_denorm_src 0
		.amdhsa_exception_fp_ieee_div_zero 0
		.amdhsa_exception_fp_ieee_overflow 0
		.amdhsa_exception_fp_ieee_underflow 0
		.amdhsa_exception_fp_ieee_inexact 0
		.amdhsa_exception_int_div_zero 0
	.end_amdhsa_kernel
	.section	.text._ZN2at6native18radixSortKVInPlaceILin1ELin1ELi128ELi8EalmEEvNS_4cuda6detail10TensorInfoIT3_T5_EES6_S6_S6_NS4_IT4_S6_EES6_b,"axG",@progbits,_ZN2at6native18radixSortKVInPlaceILin1ELin1ELi128ELi8EalmEEvNS_4cuda6detail10TensorInfoIT3_T5_EES6_S6_S6_NS4_IT4_S6_EES6_b,comdat
.Lfunc_end117:
	.size	_ZN2at6native18radixSortKVInPlaceILin1ELin1ELi128ELi8EalmEEvNS_4cuda6detail10TensorInfoIT3_T5_EES6_S6_S6_NS4_IT4_S6_EES6_b, .Lfunc_end117-_ZN2at6native18radixSortKVInPlaceILin1ELin1ELi128ELi8EalmEEvNS_4cuda6detail10TensorInfoIT3_T5_EES6_S6_S6_NS4_IT4_S6_EES6_b
                                        ; -- End function
	.set _ZN2at6native18radixSortKVInPlaceILin1ELin1ELi128ELi8EalmEEvNS_4cuda6detail10TensorInfoIT3_T5_EES6_S6_S6_NS4_IT4_S6_EES6_b.num_vgpr, 112
	.set _ZN2at6native18radixSortKVInPlaceILin1ELin1ELi128ELi8EalmEEvNS_4cuda6detail10TensorInfoIT3_T5_EES6_S6_S6_NS4_IT4_S6_EES6_b.num_agpr, 0
	.set _ZN2at6native18radixSortKVInPlaceILin1ELin1ELi128ELi8EalmEEvNS_4cuda6detail10TensorInfoIT3_T5_EES6_S6_S6_NS4_IT4_S6_EES6_b.numbered_sgpr, 36
	.set _ZN2at6native18radixSortKVInPlaceILin1ELin1ELi128ELi8EalmEEvNS_4cuda6detail10TensorInfoIT3_T5_EES6_S6_S6_NS4_IT4_S6_EES6_b.num_named_barrier, 0
	.set _ZN2at6native18radixSortKVInPlaceILin1ELin1ELi128ELi8EalmEEvNS_4cuda6detail10TensorInfoIT3_T5_EES6_S6_S6_NS4_IT4_S6_EES6_b.private_seg_size, 0
	.set _ZN2at6native18radixSortKVInPlaceILin1ELin1ELi128ELi8EalmEEvNS_4cuda6detail10TensorInfoIT3_T5_EES6_S6_S6_NS4_IT4_S6_EES6_b.uses_vcc, 1
	.set _ZN2at6native18radixSortKVInPlaceILin1ELin1ELi128ELi8EalmEEvNS_4cuda6detail10TensorInfoIT3_T5_EES6_S6_S6_NS4_IT4_S6_EES6_b.uses_flat_scratch, 0
	.set _ZN2at6native18radixSortKVInPlaceILin1ELin1ELi128ELi8EalmEEvNS_4cuda6detail10TensorInfoIT3_T5_EES6_S6_S6_NS4_IT4_S6_EES6_b.has_dyn_sized_stack, 0
	.set _ZN2at6native18radixSortKVInPlaceILin1ELin1ELi128ELi8EalmEEvNS_4cuda6detail10TensorInfoIT3_T5_EES6_S6_S6_NS4_IT4_S6_EES6_b.has_recursion, 0
	.set _ZN2at6native18radixSortKVInPlaceILin1ELin1ELi128ELi8EalmEEvNS_4cuda6detail10TensorInfoIT3_T5_EES6_S6_S6_NS4_IT4_S6_EES6_b.has_indirect_call, 0
	.section	.AMDGPU.csdata,"",@progbits
; Kernel info:
; codeLenInByte = 14932
; TotalNumSgprs: 38
; NumVgprs: 112
; ScratchSize: 0
; MemoryBound: 0
; FloatMode: 240
; IeeeMode: 1
; LDSByteSize: 8448 bytes/workgroup (compile time only)
; SGPRBlocks: 0
; VGPRBlocks: 13
; NumSGPRsForWavesPerEU: 38
; NumVGPRsForWavesPerEU: 112
; Occupancy: 12
; WaveLimiterHint : 1
; COMPUTE_PGM_RSRC2:SCRATCH_EN: 0
; COMPUTE_PGM_RSRC2:USER_SGPR: 2
; COMPUTE_PGM_RSRC2:TRAP_HANDLER: 0
; COMPUTE_PGM_RSRC2:TGID_X_EN: 1
; COMPUTE_PGM_RSRC2:TGID_Y_EN: 1
; COMPUTE_PGM_RSRC2:TGID_Z_EN: 1
; COMPUTE_PGM_RSRC2:TIDIG_COMP_CNT: 2
	.section	.text._ZN2at6native18radixSortKVInPlaceILin1ELin1ELi32ELi4EalmEEvNS_4cuda6detail10TensorInfoIT3_T5_EES6_S6_S6_NS4_IT4_S6_EES6_b,"axG",@progbits,_ZN2at6native18radixSortKVInPlaceILin1ELin1ELi32ELi4EalmEEvNS_4cuda6detail10TensorInfoIT3_T5_EES6_S6_S6_NS4_IT4_S6_EES6_b,comdat
	.protected	_ZN2at6native18radixSortKVInPlaceILin1ELin1ELi32ELi4EalmEEvNS_4cuda6detail10TensorInfoIT3_T5_EES6_S6_S6_NS4_IT4_S6_EES6_b ; -- Begin function _ZN2at6native18radixSortKVInPlaceILin1ELin1ELi32ELi4EalmEEvNS_4cuda6detail10TensorInfoIT3_T5_EES6_S6_S6_NS4_IT4_S6_EES6_b
	.globl	_ZN2at6native18radixSortKVInPlaceILin1ELin1ELi32ELi4EalmEEvNS_4cuda6detail10TensorInfoIT3_T5_EES6_S6_S6_NS4_IT4_S6_EES6_b
	.p2align	8
	.type	_ZN2at6native18radixSortKVInPlaceILin1ELin1ELi32ELi4EalmEEvNS_4cuda6detail10TensorInfoIT3_T5_EES6_S6_S6_NS4_IT4_S6_EES6_b,@function
_ZN2at6native18radixSortKVInPlaceILin1ELin1ELi32ELi4EalmEEvNS_4cuda6detail10TensorInfoIT3_T5_EES6_S6_S6_NS4_IT4_S6_EES6_b: ; @_ZN2at6native18radixSortKVInPlaceILin1ELin1ELi32ELi4EalmEEvNS_4cuda6detail10TensorInfoIT3_T5_EES6_S6_S6_NS4_IT4_S6_EES6_b
; %bb.0:
	s_clause 0x1
	s_load_b64 s[2:3], s[0:1], 0x368
	s_load_b128 s[4:7], s[0:1], 0x1a0
	s_wait_kmcnt 0x0
	s_lshr_b32 s7, ttmp7, 16
	s_and_b32 s8, ttmp7, 0xffff
	s_mul_i32 s3, s3, s7
	s_delay_alu instid0(SALU_CYCLE_1) | instskip(NEXT) | instid1(SALU_CYCLE_1)
	s_add_co_i32 s3, s3, s8
	s_mul_i32 s2, s3, s2
	s_mov_b32 s3, 0
	s_add_co_i32 s2, s2, ttmp9
	s_delay_alu instid0(SALU_CYCLE_1)
	v_cmp_le_u64_e64 s4, s[4:5], s[2:3]
	s_and_b32 vcc_lo, exec_lo, s4
	s_cbranch_vccnz .LBB118_68
; %bb.1:
	s_clause 0x1
	s_load_b32 s7, s[0:1], 0x198
	s_load_b64 s[10:11], s[0:1], 0x1b0
	s_mov_b64 s[4:5], 0
	s_mov_b64 s[12:13], s[2:3]
	s_wait_kmcnt 0x0
	s_cmp_lt_i32 s7, 2
	s_cbranch_scc1 .LBB118_9
; %bb.2:
	s_mov_b32 s8, 0
	s_add_co_i32 s4, s7, -1
	s_mov_b32 s5, s8
	s_add_co_i32 s7, s7, 1
	s_wait_alu 0xfffe
	s_lshl_b64 s[4:5], s[4:5], 3
	s_mov_b64 s[16:17], s[2:3]
	s_wait_alu 0xfffe
	s_add_nc_u64 s[12:13], s[0:1], s[4:5]
	s_mov_b64 s[4:5], 0
	s_add_nc_u64 s[14:15], s[12:13], 8
.LBB118_3:                              ; =>This Inner Loop Header: Depth=1
	s_load_b64 s[18:19], s[14:15], 0x0
	s_wait_kmcnt 0x0
	s_or_b64 s[12:13], s[16:17], s[18:19]
	s_delay_alu instid0(SALU_CYCLE_1)
	s_mov_b32 s9, s13
                                        ; implicit-def: $sgpr12_sgpr13
	s_wait_alu 0xfffe
	s_cmp_lg_u64 s[8:9], 0
	s_mov_b32 s9, -1
	s_cbranch_scc0 .LBB118_5
; %bb.4:                                ;   in Loop: Header=BB118_3 Depth=1
	s_cvt_f32_u32 s9, s18
	s_cvt_f32_u32 s12, s19
	s_sub_nc_u64 s[20:21], 0, s[18:19]
	s_mov_b32 s23, s8
	s_mov_b32 s27, s8
	s_wait_alu 0xfffe
	s_fmamk_f32 s9, s12, 0x4f800000, s9
	s_wait_alu 0xfffe
	s_delay_alu instid0(SALU_CYCLE_2) | instskip(NEXT) | instid1(TRANS32_DEP_1)
	v_s_rcp_f32 s9, s9
	s_mul_f32 s9, s9, 0x5f7ffffc
	s_wait_alu 0xfffe
	s_delay_alu instid0(SALU_CYCLE_2) | instskip(NEXT) | instid1(SALU_CYCLE_3)
	s_mul_f32 s12, s9, 0x2f800000
	s_trunc_f32 s12, s12
	s_delay_alu instid0(SALU_CYCLE_3) | instskip(SKIP_2) | instid1(SALU_CYCLE_1)
	s_fmamk_f32 s9, s12, 0xcf800000, s9
	s_cvt_u32_f32 s13, s12
	s_wait_alu 0xfffe
	s_cvt_u32_f32 s12, s9
	s_delay_alu instid0(SALU_CYCLE_3) | instskip(NEXT) | instid1(SALU_CYCLE_1)
	s_mul_u64 s[24:25], s[20:21], s[12:13]
	s_mul_hi_u32 s29, s12, s25
	s_mul_i32 s28, s12, s25
	s_mul_hi_u32 s22, s12, s24
	s_mul_i32 s26, s13, s24
	s_add_nc_u64 s[22:23], s[22:23], s[28:29]
	s_mul_hi_u32 s9, s13, s24
	s_mul_hi_u32 s30, s13, s25
	s_add_co_u32 s22, s22, s26
	s_wait_alu 0xfffe
	s_add_co_ci_u32 s26, s23, s9
	s_mul_i32 s24, s13, s25
	s_add_co_ci_u32 s25, s30, 0
	s_delay_alu instid0(SALU_CYCLE_1)
	s_add_nc_u64 s[22:23], s[26:27], s[24:25]
	s_mov_b32 s25, s8
	s_add_co_u32 s12, s12, s22
	s_cselect_b32 s9, -1, 0
	s_wait_alu 0xfffe
	s_cmp_lg_u32 s9, 0
	s_add_co_ci_u32 s13, s13, s23
	s_mov_b32 s23, s8
	s_mul_u64 s[20:21], s[20:21], s[12:13]
	s_delay_alu instid0(SALU_CYCLE_1)
	s_mul_hi_u32 s27, s12, s21
	s_mul_i32 s26, s12, s21
	s_mul_hi_u32 s22, s12, s20
	s_mul_i32 s24, s13, s20
	s_add_nc_u64 s[22:23], s[22:23], s[26:27]
	s_mul_hi_u32 s9, s13, s20
	s_mul_hi_u32 s28, s13, s21
	s_mul_i32 s20, s13, s21
	s_add_co_u32 s21, s22, s24
	s_wait_alu 0xfffe
	s_add_co_ci_u32 s24, s23, s9
	s_add_co_ci_u32 s21, s28, 0
	s_mov_b32 s23, s8
	s_add_nc_u64 s[20:21], s[24:25], s[20:21]
	s_delay_alu instid0(SALU_CYCLE_1)
	s_add_co_u32 s9, s12, s20
	s_cselect_b32 s12, -1, 0
	s_wait_alu 0xfffe
	s_mul_hi_u32 s22, s16, s9
	s_cmp_lg_u32 s12, 0
	s_mul_hi_u32 s24, s17, s9
	s_add_co_ci_u32 s20, s13, s21
	s_mul_i32 s9, s17, s9
	s_mul_hi_u32 s13, s16, s20
	s_mul_i32 s12, s16, s20
	s_mul_hi_u32 s21, s17, s20
	s_add_nc_u64 s[12:13], s[22:23], s[12:13]
	s_mul_i32 s20, s17, s20
	s_wait_alu 0xfffe
	s_add_co_u32 s9, s12, s9
	s_add_co_ci_u32 s24, s13, s24
	s_add_co_ci_u32 s21, s21, 0
	s_delay_alu instid0(SALU_CYCLE_1) | instskip(NEXT) | instid1(SALU_CYCLE_1)
	s_add_nc_u64 s[12:13], s[24:25], s[20:21]
	s_mul_u64 s[20:21], s[18:19], s[12:13]
	s_delay_alu instid0(SALU_CYCLE_1)
	s_sub_co_u32 s9, s16, s20
	s_cselect_b32 s20, -1, 0
	s_sub_co_i32 s22, s17, s21
	s_cmp_lg_u32 s20, 0
	s_sub_co_ci_u32 s22, s22, s19
	s_wait_alu 0xfffe
	s_sub_co_u32 s23, s9, s18
	s_cselect_b32 s24, -1, 0
	s_delay_alu instid0(SALU_CYCLE_1) | instskip(SKIP_1) | instid1(SALU_CYCLE_1)
	s_cmp_lg_u32 s24, 0
	s_sub_co_ci_u32 s22, s22, 0
	s_cmp_ge_u32 s22, s19
	s_cselect_b32 s24, -1, 0
	s_cmp_ge_u32 s23, s18
	s_cselect_b32 s25, -1, 0
	s_cmp_eq_u32 s22, s19
	s_add_nc_u64 s[22:23], s[12:13], 1
	s_cselect_b32 s26, s25, s24
	s_add_nc_u64 s[24:25], s[12:13], 2
	s_cmp_lg_u32 s26, 0
	s_cselect_b32 s22, s24, s22
	s_cselect_b32 s23, s25, s23
	s_cmp_lg_u32 s20, 0
	s_sub_co_ci_u32 s20, s17, s21
	s_delay_alu instid0(SALU_CYCLE_1)
	s_cmp_ge_u32 s20, s19
	s_cselect_b32 s21, -1, 0
	s_cmp_ge_u32 s9, s18
	s_cselect_b32 s9, -1, 0
	s_cmp_eq_u32 s20, s19
	s_wait_alu 0xfffe
	s_cselect_b32 s9, s9, s21
	s_wait_alu 0xfffe
	s_cmp_lg_u32 s9, 0
	s_mov_b32 s9, 0
	s_cselect_b32 s13, s23, s13
	s_cselect_b32 s12, s22, s12
.LBB118_5:                              ;   in Loop: Header=BB118_3 Depth=1
	s_wait_alu 0xfffe
	s_and_not1_b32 vcc_lo, exec_lo, s9
	s_cbranch_vccnz .LBB118_7
; %bb.6:                                ;   in Loop: Header=BB118_3 Depth=1
	v_cvt_f32_u32_e32 v1, s18
	s_sub_co_i32 s12, 0, s18
	s_delay_alu instid0(VALU_DEP_1) | instskip(NEXT) | instid1(TRANS32_DEP_1)
	v_rcp_iflag_f32_e32 v1, v1
	v_mul_f32_e32 v1, 0x4f7ffffe, v1
	s_delay_alu instid0(VALU_DEP_1) | instskip(NEXT) | instid1(VALU_DEP_1)
	v_cvt_u32_f32_e32 v1, v1
	v_readfirstlane_b32 s9, v1
	s_mul_i32 s12, s12, s9
	s_delay_alu instid0(SALU_CYCLE_1) | instskip(NEXT) | instid1(SALU_CYCLE_1)
	s_mul_hi_u32 s12, s9, s12
	s_add_co_i32 s9, s9, s12
	s_wait_alu 0xfffe
	s_mul_hi_u32 s9, s16, s9
	s_wait_alu 0xfffe
	s_mul_i32 s12, s9, s18
	s_add_co_i32 s13, s9, 1
	s_sub_co_i32 s12, s16, s12
	s_delay_alu instid0(SALU_CYCLE_1)
	s_sub_co_i32 s20, s12, s18
	s_cmp_ge_u32 s12, s18
	s_cselect_b32 s9, s13, s9
	s_cselect_b32 s12, s20, s12
	s_wait_alu 0xfffe
	s_add_co_i32 s13, s9, 1
	s_cmp_ge_u32 s12, s18
	s_cselect_b32 s12, s13, s9
	s_mov_b32 s13, s8
.LBB118_7:                              ;   in Loop: Header=BB118_3 Depth=1
	s_load_b64 s[20:21], s[14:15], 0xc8
	s_mul_u64 s[18:19], s[12:13], s[18:19]
	s_add_co_i32 s7, s7, -1
	s_wait_alu 0xfffe
	s_sub_nc_u64 s[16:17], s[16:17], s[18:19]
	s_cmp_gt_u32 s7, 2
	s_add_nc_u64 s[14:15], s[14:15], -8
	s_wait_kmcnt 0x0
	s_mul_u64 s[16:17], s[20:21], s[16:17]
	s_delay_alu instid0(SALU_CYCLE_1)
	s_add_nc_u64 s[4:5], s[16:17], s[4:5]
	s_cbranch_scc0 .LBB118_9
; %bb.8:                                ;   in Loop: Header=BB118_3 Depth=1
	s_mov_b64 s[16:17], s[12:13]
	s_branch .LBB118_3
.LBB118_9:
	s_load_b32 s7, s[0:1], 0x350
	s_add_nc_u64 s[18:19], s[0:1], 0x368
	s_mov_b64 s[8:9], 0
	s_wait_kmcnt 0x0
	s_cmp_lt_i32 s7, 2
	s_cbranch_scc1 .LBB118_17
; %bb.10:
	s_mov_b32 s14, 0
	s_add_co_i32 s8, s7, -1
	s_mov_b32 s9, s14
	s_add_co_i32 s7, s7, 1
	s_wait_alu 0xfffe
	s_lshl_b64 s[8:9], s[8:9], 3
	s_wait_alu 0xfffe
	s_add_nc_u64 s[8:9], s[0:1], s[8:9]
	s_wait_alu 0xfffe
	s_add_nc_u64 s[16:17], s[8:9], 0x1c0
	s_mov_b64 s[8:9], 0
.LBB118_11:                             ; =>This Inner Loop Header: Depth=1
	s_load_b64 s[22:23], s[16:17], 0x0
	s_wait_kmcnt 0x0
	s_or_b64 s[20:21], s[2:3], s[22:23]
	s_delay_alu instid0(SALU_CYCLE_1)
	s_mov_b32 s15, s21
                                        ; implicit-def: $sgpr20_sgpr21
	s_wait_alu 0xfffe
	s_cmp_lg_u64 s[14:15], 0
	s_mov_b32 s15, -1
	s_cbranch_scc0 .LBB118_13
; %bb.12:                               ;   in Loop: Header=BB118_11 Depth=1
	s_cvt_f32_u32 s15, s22
	s_cvt_f32_u32 s20, s23
	s_sub_nc_u64 s[24:25], 0, s[22:23]
	s_mov_b32 s27, s14
	s_mov_b32 s31, s14
	s_wait_alu 0xfffe
	s_fmamk_f32 s15, s20, 0x4f800000, s15
	s_wait_alu 0xfffe
	s_delay_alu instid0(SALU_CYCLE_2) | instskip(NEXT) | instid1(TRANS32_DEP_1)
	v_s_rcp_f32 s15, s15
	s_mul_f32 s15, s15, 0x5f7ffffc
	s_wait_alu 0xfffe
	s_delay_alu instid0(SALU_CYCLE_2) | instskip(NEXT) | instid1(SALU_CYCLE_3)
	s_mul_f32 s20, s15, 0x2f800000
	s_trunc_f32 s20, s20
	s_delay_alu instid0(SALU_CYCLE_3) | instskip(SKIP_2) | instid1(SALU_CYCLE_1)
	s_fmamk_f32 s15, s20, 0xcf800000, s15
	s_cvt_u32_f32 s21, s20
	s_wait_alu 0xfffe
	s_cvt_u32_f32 s20, s15
	s_delay_alu instid0(SALU_CYCLE_3) | instskip(NEXT) | instid1(SALU_CYCLE_1)
	s_mul_u64 s[28:29], s[24:25], s[20:21]
	s_mul_hi_u32 s35, s20, s29
	s_mul_i32 s34, s20, s29
	s_mul_hi_u32 s26, s20, s28
	s_mul_i32 s30, s21, s28
	s_add_nc_u64 s[26:27], s[26:27], s[34:35]
	s_mul_hi_u32 s15, s21, s28
	s_mul_hi_u32 s33, s21, s29
	s_add_co_u32 s26, s26, s30
	s_wait_alu 0xfffe
	s_add_co_ci_u32 s30, s27, s15
	s_mul_i32 s28, s21, s29
	s_add_co_ci_u32 s29, s33, 0
	s_delay_alu instid0(SALU_CYCLE_1)
	s_add_nc_u64 s[26:27], s[30:31], s[28:29]
	s_mov_b32 s29, s14
	s_add_co_u32 s20, s20, s26
	s_cselect_b32 s15, -1, 0
	s_wait_alu 0xfffe
	s_cmp_lg_u32 s15, 0
	s_add_co_ci_u32 s21, s21, s27
	s_mov_b32 s27, s14
	s_mul_u64 s[24:25], s[24:25], s[20:21]
	s_delay_alu instid0(SALU_CYCLE_1)
	s_mul_hi_u32 s31, s20, s25
	s_mul_i32 s30, s20, s25
	s_mul_hi_u32 s26, s20, s24
	s_mul_i32 s28, s21, s24
	s_add_nc_u64 s[26:27], s[26:27], s[30:31]
	s_mul_hi_u32 s15, s21, s24
	s_mul_hi_u32 s33, s21, s25
	s_mul_i32 s24, s21, s25
	s_add_co_u32 s25, s26, s28
	s_wait_alu 0xfffe
	s_add_co_ci_u32 s28, s27, s15
	s_add_co_ci_u32 s25, s33, 0
	s_mov_b32 s27, s14
	s_add_nc_u64 s[24:25], s[28:29], s[24:25]
	s_delay_alu instid0(SALU_CYCLE_1)
	s_add_co_u32 s15, s20, s24
	s_cselect_b32 s20, -1, 0
	s_wait_alu 0xfffe
	s_mul_hi_u32 s26, s2, s15
	s_cmp_lg_u32 s20, 0
	s_mul_hi_u32 s28, s3, s15
	s_add_co_ci_u32 s24, s21, s25
	s_mul_i32 s15, s3, s15
	s_mul_hi_u32 s21, s2, s24
	s_mul_i32 s20, s2, s24
	s_mul_hi_u32 s25, s3, s24
	s_add_nc_u64 s[20:21], s[26:27], s[20:21]
	s_mul_i32 s24, s3, s24
	s_wait_alu 0xfffe
	s_add_co_u32 s15, s20, s15
	s_add_co_ci_u32 s28, s21, s28
	s_add_co_ci_u32 s25, s25, 0
	s_delay_alu instid0(SALU_CYCLE_1) | instskip(NEXT) | instid1(SALU_CYCLE_1)
	s_add_nc_u64 s[20:21], s[28:29], s[24:25]
	s_mul_u64 s[24:25], s[22:23], s[20:21]
	s_delay_alu instid0(SALU_CYCLE_1)
	s_sub_co_u32 s15, s2, s24
	s_cselect_b32 s24, -1, 0
	s_sub_co_i32 s26, s3, s25
	s_cmp_lg_u32 s24, 0
	s_sub_co_ci_u32 s26, s26, s23
	s_wait_alu 0xfffe
	s_sub_co_u32 s27, s15, s22
	s_cselect_b32 s28, -1, 0
	s_delay_alu instid0(SALU_CYCLE_1) | instskip(SKIP_1) | instid1(SALU_CYCLE_1)
	s_cmp_lg_u32 s28, 0
	s_sub_co_ci_u32 s26, s26, 0
	s_cmp_ge_u32 s26, s23
	s_cselect_b32 s28, -1, 0
	s_cmp_ge_u32 s27, s22
	s_cselect_b32 s29, -1, 0
	s_cmp_eq_u32 s26, s23
	s_add_nc_u64 s[26:27], s[20:21], 1
	s_cselect_b32 s30, s29, s28
	s_add_nc_u64 s[28:29], s[20:21], 2
	s_cmp_lg_u32 s30, 0
	s_cselect_b32 s26, s28, s26
	s_cselect_b32 s27, s29, s27
	s_cmp_lg_u32 s24, 0
	s_sub_co_ci_u32 s24, s3, s25
	s_delay_alu instid0(SALU_CYCLE_1)
	s_cmp_ge_u32 s24, s23
	s_cselect_b32 s25, -1, 0
	s_cmp_ge_u32 s15, s22
	s_cselect_b32 s15, -1, 0
	s_cmp_eq_u32 s24, s23
	s_wait_alu 0xfffe
	s_cselect_b32 s15, s15, s25
	s_wait_alu 0xfffe
	s_cmp_lg_u32 s15, 0
	s_mov_b32 s15, 0
	s_cselect_b32 s21, s27, s21
	s_cselect_b32 s20, s26, s20
.LBB118_13:                             ;   in Loop: Header=BB118_11 Depth=1
	s_wait_alu 0xfffe
	s_and_not1_b32 vcc_lo, exec_lo, s15
	s_cbranch_vccnz .LBB118_15
; %bb.14:                               ;   in Loop: Header=BB118_11 Depth=1
	v_cvt_f32_u32_e32 v1, s22
	s_sub_co_i32 s20, 0, s22
	s_delay_alu instid0(VALU_DEP_1) | instskip(NEXT) | instid1(TRANS32_DEP_1)
	v_rcp_iflag_f32_e32 v1, v1
	v_mul_f32_e32 v1, 0x4f7ffffe, v1
	s_delay_alu instid0(VALU_DEP_1) | instskip(NEXT) | instid1(VALU_DEP_1)
	v_cvt_u32_f32_e32 v1, v1
	v_readfirstlane_b32 s15, v1
	s_mul_i32 s20, s20, s15
	s_delay_alu instid0(SALU_CYCLE_1) | instskip(NEXT) | instid1(SALU_CYCLE_1)
	s_mul_hi_u32 s20, s15, s20
	s_add_co_i32 s15, s15, s20
	s_wait_alu 0xfffe
	s_mul_hi_u32 s15, s2, s15
	s_wait_alu 0xfffe
	s_mul_i32 s20, s15, s22
	s_add_co_i32 s21, s15, 1
	s_sub_co_i32 s20, s2, s20
	s_delay_alu instid0(SALU_CYCLE_1)
	s_sub_co_i32 s24, s20, s22
	s_cmp_ge_u32 s20, s22
	s_cselect_b32 s15, s21, s15
	s_cselect_b32 s20, s24, s20
	s_wait_alu 0xfffe
	s_add_co_i32 s21, s15, 1
	s_cmp_ge_u32 s20, s22
	s_cselect_b32 s20, s21, s15
	s_mov_b32 s21, s14
.LBB118_15:                             ;   in Loop: Header=BB118_11 Depth=1
	s_load_b64 s[24:25], s[16:17], 0xc8
	s_mul_u64 s[22:23], s[20:21], s[22:23]
	s_add_co_i32 s7, s7, -1
	s_wait_alu 0xfffe
	s_sub_nc_u64 s[2:3], s[2:3], s[22:23]
	s_cmp_gt_u32 s7, 2
	s_add_nc_u64 s[16:17], s[16:17], -8
	s_wait_kmcnt 0x0
	s_wait_alu 0xfffe
	s_mul_u64 s[2:3], s[24:25], s[2:3]
	s_wait_alu 0xfffe
	s_add_nc_u64 s[8:9], s[2:3], s[8:9]
	s_cbranch_scc0 .LBB118_18
; %bb.16:                               ;   in Loop: Header=BB118_11 Depth=1
	s_mov_b64 s[2:3], s[20:21]
	s_branch .LBB118_11
.LBB118_17:
	s_mov_b64 s[20:21], s[2:3]
.LBB118_18:
	s_clause 0x2
	s_load_b64 s[2:3], s[0:1], 0xd0
	s_load_b32 s7, s[0:1], 0x360
	s_load_b64 s[14:15], s[0:1], 0x0
	s_movk_i32 s17, 0x80
	s_movk_i32 s22, 0x8000
	s_mov_b32 s16, 0xff80
	s_wait_kmcnt 0x0
	s_mul_u64 s[12:13], s[2:3], s[12:13]
	s_bitcmp1_b32 s7, 0
	s_add_nc_u64 s[12:13], s[14:15], s[12:13]
	s_cselect_b32 s7, -1, 0
	s_add_nc_u64 s[14:15], s[12:13], s[4:5]
	s_and_b32 s23, s7, exec_lo
	s_cselect_b32 s17, s17, 0x7f
	s_wait_alu 0xfffe
	s_cselect_b32 s22, s22, 0x7f00
	s_cselect_b32 s16, s16, 0x7f
	s_wait_alu 0xfffe
	s_or_b32 s17, s17, s22
	v_dual_mov_b32 v2, s16 :: v_dual_and_b32 v9, 0x3ff, v0
	s_and_b32 s22, s17, 0xffff
	s_lshl_b32 s17, s17, 16
	s_wait_alu 0xfffe
	s_or_b32 s3, s22, s17
	v_cmp_gt_u32_e64 s2, s6, v9
	s_wait_alu 0xfffe
	v_mov_b32_e32 v1, s3
	s_and_saveexec_b32 s4, s2
	s_cbranch_execz .LBB118_20
; %bb.19:
	v_mad_co_u64_u32 v[1:2], null, s10, v9, s[14:15]
	s_delay_alu instid0(VALU_DEP_1)
	v_mad_co_u64_u32 v[2:3], null, s11, v9, v[2:3]
	global_load_u8 v2, v[1:2], off
	s_wait_loadcnt 0x0
	v_perm_b32 v1, v2, s3, 0x3020104
.LBB118_20:
	s_wait_alu 0xfffe
	s_or_b32 exec_lo, exec_lo, s4
	v_add_nc_u32_e32 v5, 32, v9
	s_delay_alu instid0(VALU_DEP_1)
	v_cmp_gt_u32_e64 s3, s6, v5
	s_and_saveexec_b32 s4, s3
	s_cbranch_execz .LBB118_22
; %bb.21:
	v_mad_co_u64_u32 v[3:4], null, s10, v5, s[14:15]
	s_delay_alu instid0(VALU_DEP_1) | instskip(NEXT) | instid1(VALU_DEP_1)
	v_mad_co_u64_u32 v[6:7], null, s11, v5, v[4:5]
	v_mov_b32_e32 v4, v6
	global_load_u8 v3, v[3:4], off
	s_wait_loadcnt 0x0
	v_perm_b32 v1, v1, v3, 0x7060004
.LBB118_22:
	s_wait_alu 0xfffe
	s_or_b32 exec_lo, exec_lo, s4
	v_add_nc_u32_e32 v13, 64, v9
	s_delay_alu instid0(VALU_DEP_1)
	v_cmp_gt_u32_e64 s4, s6, v13
	s_and_saveexec_b32 s5, s4
	s_cbranch_execz .LBB118_24
; %bb.23:
	v_mad_co_u64_u32 v[3:4], null, s10, v13, s[14:15]
	s_delay_alu instid0(VALU_DEP_1) | instskip(NEXT) | instid1(VALU_DEP_1)
	v_mad_co_u64_u32 v[6:7], null, s11, v13, v[4:5]
	v_mov_b32_e32 v4, v6
	global_load_u8 v3, v[3:4], off
	s_wait_loadcnt 0x0
	v_perm_b32 v1, v1, v3, 0x7000504
.LBB118_24:
	s_wait_alu 0xfffe
	s_or_b32 exec_lo, exec_lo, s5
	s_clause 0x1
	s_load_b64 s[22:23], s[0:1], 0x288
	s_load_b64 s[16:17], s[0:1], 0x1b8
	v_add_nc_u32_e32 v11, 0x60, v9
	s_delay_alu instid0(VALU_DEP_1)
	v_cmp_gt_u32_e64 s5, s6, v11
	s_and_saveexec_b32 s6, s5
	s_cbranch_execz .LBB118_26
; %bb.25:
	v_mad_co_u64_u32 v[3:4], null, s10, v11, s[14:15]
	s_delay_alu instid0(VALU_DEP_1) | instskip(NEXT) | instid1(VALU_DEP_1)
	v_mad_co_u64_u32 v[6:7], null, s11, v11, v[4:5]
	v_mov_b32_e32 v4, v6
	global_load_u8 v3, v[3:4], off
	s_wait_loadcnt 0x0
	v_perm_b32 v1, v1, v3, 0x60504
.LBB118_26:
	s_wait_alu 0xfffe
	s_or_b32 exec_lo, exec_lo, s6
	v_lshrrev_b32_e32 v12, 5, v5
	v_lshrrev_b32_e32 v10, 5, v9
	;; [unrolled: 1-line block ×5, first 2 shown]
	v_and_b32_e32 v6, 60, v12
	v_and_b32_e32 v4, 28, v10
	;; [unrolled: 1-line block ×3, first 2 shown]
	v_lshlrev_b32_e32 v28, 2, v9
	v_lshrrev_b32_e32 v3, 8, v1
	v_add_nc_u32_e32 v19, v6, v9
	v_and_b32_e32 v6, 0x7c, v16
	v_add_nc_u32_e32 v18, v4, v9
	v_and_b32_e32 v4, 60, v15
	v_add_nc_u32_e32 v20, v7, v9
	v_lshrrev_b32_e32 v7, 24, v1
	v_add_nc_u32_e32 v22, v6, v28
	s_load_b64 s[12:13], s[0:1], 0x358
	v_add_nc_u32_e32 v21, v4, v9
	ds_store_b8 v18, v2
	ds_store_b8 v19, v3 offset:32
	ds_store_b8_d16_hi v20, v1 offset:64
	ds_store_b8 v21, v7 offset:96
	s_wait_dscnt 0x0
	; wave barrier
	global_inv scope:SCOPE_SE
	ds_load_b32 v34, v22
	s_wait_kmcnt 0x0
	s_mul_u64 s[0:1], s[22:23], s[20:21]
	v_mov_b32_e32 v1, 0
	s_lshl_b64 s[0:1], s[0:1], 3
	v_dual_mov_b32 v3, 0 :: v_dual_mov_b32 v2, 0
	v_mov_b32_e32 v4, 0
	s_add_nc_u64 s[0:1], s[16:17], s[0:1]
	s_lshl_b64 s[8:9], s[8:9], 3
	s_wait_loadcnt_dscnt 0x0
	s_wait_alu 0xfffe
	s_add_nc_u64 s[16:17], s[0:1], s[8:9]
	; wave barrier
	global_inv scope:SCOPE_SE
	s_and_saveexec_b32 s0, s2
	s_cbranch_execz .LBB118_28
; %bb.27:
	v_mad_co_u64_u32 v[3:4], null, s12, v9, 0
	s_delay_alu instid0(VALU_DEP_1) | instskip(NEXT) | instid1(VALU_DEP_1)
	v_mad_co_u64_u32 v[6:7], null, s13, v9, v[4:5]
	v_mov_b32_e32 v4, v6
	s_delay_alu instid0(VALU_DEP_1) | instskip(SKIP_1) | instid1(VALU_DEP_1)
	v_lshlrev_b64_e32 v[3:4], 3, v[3:4]
	s_wait_alu 0xfffe
	v_add_co_u32 v3, vcc_lo, s16, v3
	s_delay_alu instid0(VALU_DEP_1)
	v_add_co_ci_u32_e64 v4, null, s17, v4, vcc_lo
	global_load_b64 v[3:4], v[3:4], off
.LBB118_28:
	s_or_b32 exec_lo, exec_lo, s0
	s_and_saveexec_b32 s0, s3
	s_cbranch_execz .LBB118_30
; %bb.29:
	v_mad_co_u64_u32 v[1:2], null, s12, v5, 0
	s_wait_loadcnt 0x0
	s_delay_alu instid0(VALU_DEP_1) | instskip(NEXT) | instid1(VALU_DEP_1)
	v_mad_co_u64_u32 v[5:6], null, s13, v5, v[2:3]
	v_mov_b32_e32 v2, v5
	s_delay_alu instid0(VALU_DEP_1) | instskip(SKIP_1) | instid1(VALU_DEP_1)
	v_lshlrev_b64_e32 v[1:2], 3, v[1:2]
	s_wait_alu 0xfffe
	v_add_co_u32 v1, vcc_lo, s16, v1
	s_wait_alu 0xfffd
	s_delay_alu instid0(VALU_DEP_2)
	v_add_co_ci_u32_e64 v2, null, s17, v2, vcc_lo
	global_load_b64 v[1:2], v[1:2], off
.LBB118_30:
	s_or_b32 exec_lo, exec_lo, s0
	v_mov_b32_e32 v5, 0
	v_dual_mov_b32 v6, 0 :: v_dual_mov_b32 v7, 0
	v_mov_b32_e32 v8, 0
	s_and_saveexec_b32 s0, s4
	s_cbranch_execz .LBB118_32
; %bb.31:
	v_mad_co_u64_u32 v[7:8], null, s12, v13, 0
	s_delay_alu instid0(VALU_DEP_1) | instskip(NEXT) | instid1(VALU_DEP_1)
	v_mad_co_u64_u32 v[23:24], null, s13, v13, v[8:9]
	v_mov_b32_e32 v8, v23
	s_delay_alu instid0(VALU_DEP_1) | instskip(SKIP_1) | instid1(VALU_DEP_1)
	v_lshlrev_b64_e32 v[7:8], 3, v[7:8]
	s_wait_alu 0xfffe
	v_add_co_u32 v7, vcc_lo, s16, v7
	s_wait_alu 0xfffd
	s_delay_alu instid0(VALU_DEP_2)
	v_add_co_ci_u32_e64 v8, null, s17, v8, vcc_lo
	global_load_b64 v[7:8], v[7:8], off
.LBB118_32:
	s_or_b32 exec_lo, exec_lo, s0
	s_xor_b32 s7, s7, -1
	s_and_saveexec_b32 s0, s5
	s_cbranch_execz .LBB118_34
; %bb.33:
	v_mad_co_u64_u32 v[5:6], null, s12, v11, 0
	s_wait_loadcnt 0x0
	s_delay_alu instid0(VALU_DEP_1) | instskip(NEXT) | instid1(VALU_DEP_1)
	v_mad_co_u64_u32 v[23:24], null, s13, v11, v[6:7]
	v_mov_b32_e32 v6, v23
	s_delay_alu instid0(VALU_DEP_1) | instskip(SKIP_1) | instid1(VALU_DEP_1)
	v_lshlrev_b64_e32 v[5:6], 3, v[5:6]
	s_wait_alu 0xfffe
	v_add_co_u32 v5, vcc_lo, s16, v5
	s_wait_alu 0xfffd
	s_delay_alu instid0(VALU_DEP_2)
	v_add_co_ci_u32_e64 v6, null, s17, v6, vcc_lo
	global_load_b64 v[5:6], v[5:6], off
.LBB118_34:
	s_or_b32 exec_lo, exec_lo, s0
	v_lshlrev_b32_e32 v11, 3, v9
	v_lshlrev_b32_e32 v29, 3, v28
	v_mbcnt_lo_u32_b32 v30, -1, 0
	v_lshrrev_b32_e32 v36, 24, v34
	v_lshrrev_b32_e32 v37, 16, v34
	v_lshl_add_u32 v23, v10, 3, v11
	v_lshl_add_u32 v27, v16, 3, v29
	;; [unrolled: 1-line block ×5, first 2 shown]
	s_wait_loadcnt 0x0
	ds_store_b64 v23, v[3:4]
	ds_store_b64 v24, v[1:2] offset:256
	ds_store_b64 v25, v[7:8] offset:512
	;; [unrolled: 1-line block ×3, first 2 shown]
	s_wait_dscnt 0x0
	; wave barrier
	global_inv scope:SCOPE_SE
	ds_load_2addr_b64 v[5:8], v27 offset1:1
	ds_load_2addr_b64 v[1:4], v27 offset0:2 offset1:3
	v_and_b32_e32 v35, 3, v30
	v_lshrrev_b32_e32 v38, 8, v34
	v_and_b32_e32 v32, 28, v30
	s_wait_alu 0xfffe
	s_and_b32 vcc_lo, exec_lo, s7
	v_bfe_u32 v33, v0, 10, 10
	v_cmp_eq_u32_e64 s6, 0, v35
	v_cmp_eq_u32_e64 s1, 1, v35
	;; [unrolled: 1-line block ×3, first 2 shown]
	v_bfe_u32 v0, v0, 20, 10
	v_cmp_eq_u32_e64 s7, 3, v35
	v_lshlrev_b32_e32 v31, 5, v9
	s_mov_b32 s8, -1
	; wave barrier
	s_wait_loadcnt_dscnt 0x0
	global_inv scope:SCOPE_SE
                                        ; implicit-def: $vgpr12
	s_wait_alu 0xfffe
	s_cbranch_vccz .LBB118_46
; %bb.35:
	v_xor_b32_e32 v10, 0x80, v34
	v_xor_b32_e32 v11, 0x80, v38
	;; [unrolled: 1-line block ×4, first 2 shown]
	s_getpc_b64 s[8:9]
	s_wait_alu 0xfffe
	s_sext_i32_i16 s9, s9
	s_add_co_u32 s8, s8, _ZN7rocprim17ROCPRIM_400000_NS16block_radix_sortIaLj32ELj4ElLj1ELj1ELj0ELNS0_26block_radix_rank_algorithmE1ELNS0_18block_padding_hintE2ELNS0_4arch9wavefront6targetE0EE19radix_bits_per_passE@rel32@lo+12
	s_wait_alu 0xfffe
	s_add_co_ci_u32 s9, s9, _ZN7rocprim17ROCPRIM_400000_NS16block_radix_sortIaLj32ELj4ElLj1ELj1ELj0ELNS0_26block_radix_rank_algorithmE1ELNS0_18block_padding_hintE2ELNS0_4arch9wavefront6targetE0EE19radix_bits_per_passE@rel32@hi+24
	v_and_b32_e32 v10, 0xff, v10
	v_and_b32_e32 v11, 0xff, v11
	;; [unrolled: 1-line block ×4, first 2 shown]
	s_load_b32 s8, s[8:9], 0x0
	ds_bpermute_b32 v13, v32, v10
	ds_bpermute_b32 v14, v32, v11
	;; [unrolled: 1-line block ×4, first 2 shown]
	ds_bpermute_b32 v39, v32, v10 offset:32
	; wave barrier
	s_wait_loadcnt_dscnt 0x0
	global_inv scope:SCOPE_SE
	s_load_b32 s20, s[18:19], 0xc
	ds_bpermute_b32 v46, v32, v5
	ds_bpermute_b32 v47, v32, v6
	ds_bpermute_b32 v45, v32, v7
	ds_bpermute_b32 v48, v32, v8
	ds_bpermute_b32 v41, v32, v1
	ds_bpermute_b32 v42, v32, v2
	ds_bpermute_b32 v40, v32, v4
	ds_bpermute_b32 v43, v32, v5 offset:32
	ds_bpermute_b32 v63, v32, v6 offset:32
	;; [unrolled: 1-line block ×4, first 2 shown]
	s_wait_kmcnt 0x0
	s_min_u32 s8, s8, 8
	v_and_b32_e32 v13, 0xff, v13
	v_and_b32_e32 v14, 0xff, v14
	;; [unrolled: 1-line block ×3, first 2 shown]
	s_wait_alu 0xfffe
	s_lshl_b32 s8, -1, s8
	ds_bpermute_b32 v51, v32, v1 offset:32
	v_cndmask_b32_e64 v13, 0, v13, s6
	s_wait_alu 0xfffe
	s_not_b32 s9, s8
	s_lshr_b32 s8, s20, 16
	s_and_b32 s20, s20, 0xffff
	ds_bpermute_b32 v53, v32, v2 offset:32
	v_cndmask_b32_e64 v13, v13, v14, s1
	ds_bpermute_b32 v49, v32, v3 offset:32
	ds_bpermute_b32 v54, v32, v4 offset:32
	;; [unrolled: 1-line block ×4, first 2 shown]
	v_cndmask_b32_e64 v13, v13, v16, s0
	v_lshlrev_b16 v16, 8, v39
	ds_bpermute_b32 v39, v32, v3
	ds_bpermute_b32 v58, v32, v7 offset:64
	ds_bpermute_b32 v61, v32, v8 offset:64
	v_perm_b32 v14, v17, v13, 0x3020104
	ds_bpermute_b32 v55, v32, v1 offset:64
	ds_bpermute_b32 v59, v32, v2 offset:64
	;; [unrolled: 1-line block ×4, first 2 shown]
	v_cndmask_b32_e64 v13, v13, v14, s7
	ds_bpermute_b32 v14, v32, v11 offset:32
	ds_bpermute_b32 v64, v32, v5 offset:96
	;; [unrolled: 1-line block ×4, first 2 shown]
	v_and_b32_e32 v17, 0xff, v13
	ds_bpermute_b32 v71, v32, v8 offset:96
	ds_bpermute_b32 v70, v32, v2 offset:96
	v_or_b32_e32 v16, v17, v16
	ds_bpermute_b32 v17, v32, v12 offset:32
	v_and_b32_e32 v16, 0xffff, v16
	s_delay_alu instid0(VALU_DEP_1) | instskip(SKIP_2) | instid1(VALU_DEP_2)
	v_cndmask_b32_e64 v13, v13, v16, s6
	s_wait_dscnt 0x6
	v_lshlrev_b16 v14, 8, v14
	v_and_b32_e32 v16, 0xff, v13
	s_delay_alu instid0(VALU_DEP_1) | instskip(NEXT) | instid1(VALU_DEP_1)
	v_or_b32_e32 v14, v16, v14
	v_and_b32_e32 v14, 0xffff, v14
	s_delay_alu instid0(VALU_DEP_1) | instskip(NEXT) | instid1(VALU_DEP_1)
	v_and_or_b32 v14, 0xffff0000, v13, v14
	v_cndmask_b32_e64 v13, v13, v14, s1
	s_wait_dscnt 0x0
	v_lshlrev_b16 v14, 8, v17
	ds_bpermute_b32 v17, v32, v15 offset:32
	v_and_b32_e32 v16, 0xff, v13
	s_delay_alu instid0(VALU_DEP_1) | instskip(NEXT) | instid1(VALU_DEP_1)
	v_or_b32_e32 v14, v16, v14
	v_and_b32_e32 v14, 0xffff, v14
	s_delay_alu instid0(VALU_DEP_1) | instskip(NEXT) | instid1(VALU_DEP_1)
	v_and_or_b32 v14, 0xffff0000, v13, v14
	v_cndmask_b32_e64 v13, v13, v14, s0
	s_wait_dscnt 0x0
	v_lshlrev_b16 v14, 8, v17
	ds_bpermute_b32 v17, v32, v10 offset:64
	ds_bpermute_b32 v10, v32, v10 offset:96
	v_and_b32_e32 v16, 0xff, v13
	s_delay_alu instid0(VALU_DEP_1) | instskip(NEXT) | instid1(VALU_DEP_1)
	v_or_b32_e32 v14, v16, v14
	v_and_b32_e32 v14, 0xffff, v14
	s_delay_alu instid0(VALU_DEP_1) | instskip(SKIP_2) | instid1(VALU_DEP_2)
	v_and_or_b32 v14, 0xffff0000, v13, v14
	s_wait_dscnt 0x0
	v_lshlrev_b16 v10, 8, v10
	v_cndmask_b32_e64 v13, v13, v14, s7
	ds_bpermute_b32 v14, v32, v11 offset:64
	ds_bpermute_b32 v11, v32, v11 offset:96
	v_perm_b32 v16, v17, v13, 0xc0c0304
	s_delay_alu instid0(VALU_DEP_1) | instskip(NEXT) | instid1(VALU_DEP_1)
	v_lshlrev_b32_e32 v16, 16, v16
	v_and_or_b32 v16, 0xffff, v13, v16
	s_delay_alu instid0(VALU_DEP_1)
	v_cndmask_b32_e64 v13, v13, v16, s6
	ds_bpermute_b32 v16, v32, v12 offset:64
	s_wait_dscnt 0x1
	v_lshlrev_b16 v11, 8, v11
	ds_bpermute_b32 v12, v32, v12 offset:96
	v_perm_b32 v14, v14, v13, 0xc0c0304
	s_delay_alu instid0(VALU_DEP_1) | instskip(NEXT) | instid1(VALU_DEP_1)
	v_lshlrev_b32_e32 v14, 16, v14
	v_and_or_b32 v14, 0xffff, v13, v14
	s_delay_alu instid0(VALU_DEP_1) | instskip(SKIP_4) | instid1(VALU_DEP_1)
	v_cndmask_b32_e64 v13, v13, v14, s1
	ds_bpermute_b32 v14, v32, v15 offset:64
	s_wait_dscnt 0x1
	v_lshlrev_b16 v12, 8, v12
	v_perm_b32 v16, v16, v13, 0xc0c0304
	v_lshlrev_b32_e32 v16, 16, v16
	s_delay_alu instid0(VALU_DEP_1) | instskip(NEXT) | instid1(VALU_DEP_1)
	v_and_or_b32 v16, 0xffff, v13, v16
	v_cndmask_b32_e64 v13, v13, v16, s0
	s_wait_dscnt 0x0
	s_delay_alu instid0(VALU_DEP_1) | instskip(NEXT) | instid1(VALU_DEP_1)
	v_perm_b32 v14, v14, v13, 0xc0c0304
	v_lshlrev_b32_e32 v14, 16, v14
	s_delay_alu instid0(VALU_DEP_1) | instskip(NEXT) | instid1(VALU_DEP_1)
	v_and_or_b32 v14, 0xffff, v13, v14
	v_cndmask_b32_e64 v13, v13, v14, s7
	s_delay_alu instid0(VALU_DEP_1) | instskip(NEXT) | instid1(VALU_DEP_1)
	v_lshrrev_b32_e32 v14, 16, v13
	v_and_b32_e32 v14, 0xff, v14
	s_delay_alu instid0(VALU_DEP_1) | instskip(NEXT) | instid1(VALU_DEP_1)
	v_or_b32_e32 v10, v14, v10
	v_lshlrev_b32_e32 v10, 16, v10
	s_delay_alu instid0(VALU_DEP_1) | instskip(NEXT) | instid1(VALU_DEP_1)
	v_and_or_b32 v10, 0xffff, v13, v10
	v_cndmask_b32_e64 v10, v13, v10, s6
	s_delay_alu instid0(VALU_DEP_1) | instskip(NEXT) | instid1(VALU_DEP_1)
	v_lshrrev_b32_e32 v13, 16, v10
	v_and_b32_e32 v13, 0xff, v13
	s_delay_alu instid0(VALU_DEP_1) | instskip(NEXT) | instid1(VALU_DEP_1)
	v_or_b32_e32 v11, v13, v11
	v_lshlrev_b32_e32 v11, 16, v11
	s_delay_alu instid0(VALU_DEP_1) | instskip(NEXT) | instid1(VALU_DEP_1)
	v_and_or_b32 v11, 0xffff, v10, v11
	v_cndmask_b32_e64 v10, v10, v11, s1
	s_delay_alu instid0(VALU_DEP_1) | instskip(NEXT) | instid1(VALU_DEP_1)
	v_lshrrev_b32_e32 v11, 16, v10
	v_and_b32_e32 v11, 0xff, v11
	s_delay_alu instid0(VALU_DEP_1) | instskip(SKIP_2) | instid1(VALU_DEP_1)
	v_or_b32_e32 v11, v11, v12
	ds_bpermute_b32 v12, v32, v15 offset:96
	v_lshlrev_b32_e32 v11, 16, v11
	v_and_or_b32 v11, 0xffff, v10, v11
	s_delay_alu instid0(VALU_DEP_1) | instskip(NEXT) | instid1(VALU_DEP_1)
	v_cndmask_b32_e64 v10, v10, v11, s0
	v_lshrrev_b32_e32 v11, 16, v10
	s_wait_dscnt 0x0
	v_lshlrev_b16 v12, 8, v12
	s_delay_alu instid0(VALU_DEP_2) | instskip(NEXT) | instid1(VALU_DEP_1)
	v_and_b32_e32 v11, 0xff, v11
	v_or_b32_e32 v11, v11, v12
	s_delay_alu instid0(VALU_DEP_1) | instskip(NEXT) | instid1(VALU_DEP_1)
	v_lshlrev_b32_e32 v11, 16, v11
	v_and_or_b32 v11, 0xffff, v10, v11
	s_delay_alu instid0(VALU_DEP_1) | instskip(SKIP_2) | instid1(VALU_DEP_2)
	v_cndmask_b32_e64 v66, v10, v11, s7
	s_wait_alu 0xfffe
	v_mad_u32_u24 v10, v0, s8, v33
	v_and_b32_e32 v12, s9, v66
	s_delay_alu instid0(VALU_DEP_1)
	v_and_b32_e32 v11, 1, v12
	v_lshlrev_b32_e32 v13, 30, v12
	v_lshlrev_b32_e32 v14, 29, v12
	;; [unrolled: 1-line block ×4, first 2 shown]
	v_add_co_u32 v11, s8, v11, -1
	s_wait_alu 0xf1ff
	v_cndmask_b32_e64 v16, 0, 1, s8
	v_not_b32_e32 v69, v13
	v_cmp_gt_i32_e64 s8, 0, v13
	v_not_b32_e32 v13, v14
	v_lshlrev_b32_e32 v67, 26, v12
	v_cmp_ne_u32_e32 vcc_lo, 0, v16
	v_ashrrev_i32_e32 v69, 31, v69
	v_lshlrev_b32_e32 v68, 25, v12
	v_ashrrev_i32_e32 v13, 31, v13
	v_lshlrev_b32_e32 v16, 24, v12
	s_wait_alu 0xfffd
	v_xor_b32_e32 v11, vcc_lo, v11
	v_cmp_gt_i32_e32 vcc_lo, 0, v14
	v_not_b32_e32 v14, v15
	s_wait_alu 0xf1ff
	v_xor_b32_e32 v69, s8, v69
	v_cmp_gt_i32_e64 s8, 0, v15
	v_and_b32_e32 v11, exec_lo, v11
	v_not_b32_e32 v15, v17
	v_ashrrev_i32_e32 v14, 31, v14
	s_wait_alu 0xfffd
	v_xor_b32_e32 v13, vcc_lo, v13
	v_cmp_gt_i32_e32 vcc_lo, 0, v17
	v_and_b32_e32 v11, v11, v69
	v_not_b32_e32 v17, v67
	v_ashrrev_i32_e32 v15, 31, v15
	s_wait_alu 0xf1ff
	v_xor_b32_e32 v14, s8, v14
	v_cmp_gt_i32_e64 s8, 0, v67
	v_and_b32_e32 v11, v11, v13
	v_not_b32_e32 v13, v68
	v_ashrrev_i32_e32 v17, 31, v17
	s_wait_alu 0xfffd
	v_xor_b32_e32 v15, vcc_lo, v15
	v_cmp_gt_i32_e32 vcc_lo, 0, v68
	v_and_b32_e32 v11, v11, v14
	v_not_b32_e32 v14, v16
	v_ashrrev_i32_e32 v13, 31, v13
	s_wait_alu 0xf1ff
	v_xor_b32_e32 v17, s8, v17
	v_cmp_gt_i32_e64 s8, 0, v16
	v_and_b32_e32 v15, v11, v15
	v_mad_co_u64_u32 v[10:11], null, v10, s20, v[9:10]
	v_ashrrev_i32_e32 v11, 31, v14
	s_wait_alu 0xfffd
	v_xor_b32_e32 v13, vcc_lo, v13
	v_and_b32_e32 v14, v15, v17
	ds_bpermute_b32 v68, v32, v1 offset:96
	ds_bpermute_b32 v67, v32, v3 offset:96
	s_wait_alu 0xf1ff
	v_xor_b32_e32 v11, s8, v11
	ds_bpermute_b32 v69, v32, v4 offset:96
	v_and_b32_e32 v13, v14, v13
	v_lshrrev_b32_e32 v10, 3, v10
	v_and_b32_e32 v12, 0xff, v12
	s_delay_alu instid0(VALU_DEP_3) | instskip(NEXT) | instid1(VALU_DEP_3)
	v_and_b32_e32 v11, v13, v11
	v_dual_mov_b32 v13, 0 :: v_dual_and_b32 v10, 0x1ffffffc, v10
	ds_store_2addr_b32 v31, v13, v13 offset0:1 offset1:2
	ds_store_2addr_b32 v31, v13, v13 offset0:3 offset1:4
	;; [unrolled: 1-line block ×4, first 2 shown]
	v_mbcnt_lo_u32_b32 v72, v11, 0
	v_cmp_ne_u32_e64 s8, 0, v11
	v_lshl_add_u32 v74, v12, 2, v10
	; wave barrier
	s_wait_loadcnt_dscnt 0x0
	global_inv scope:SCOPE_SE
	v_cmp_eq_u32_e32 vcc_lo, 0, v72
	; wave barrier
	s_and_b32 s20, s8, vcc_lo
	s_wait_alu 0xfffe
	s_and_saveexec_b32 s8, s20
; %bb.36:
	v_bcnt_u32_b32 v11, v11, 0
	ds_store_b32 v74, v11 offset:4
; %bb.37:
	s_wait_alu 0xfffe
	s_or_b32 exec_lo, exec_lo, s8
	v_lshrrev_b32_e32 v73, 8, v66
	; wave barrier
	s_delay_alu instid0(VALU_DEP_1) | instskip(NEXT) | instid1(VALU_DEP_1)
	v_and_b32_e32 v11, s9, v73
	v_and_b32_e32 v12, 1, v11
	v_lshlrev_b32_e32 v13, 30, v11
	v_lshlrev_b32_e32 v14, 29, v11
	v_lshlrev_b32_e32 v15, 28, v11
	v_lshlrev_b32_e32 v17, 27, v11
	v_add_co_u32 v12, s8, v12, -1
	s_wait_alu 0xf1ff
	v_cndmask_b32_e64 v16, 0, 1, s8
	v_not_b32_e32 v77, v13
	v_cmp_gt_i32_e64 s8, 0, v13
	v_not_b32_e32 v13, v14
	v_lshlrev_b32_e32 v75, 26, v11
	v_cmp_ne_u32_e32 vcc_lo, 0, v16
	v_ashrrev_i32_e32 v77, 31, v77
	v_lshlrev_b32_e32 v76, 25, v11
	v_ashrrev_i32_e32 v13, 31, v13
	v_lshlrev_b32_e32 v16, 24, v11
	s_wait_alu 0xfffd
	v_xor_b32_e32 v12, vcc_lo, v12
	v_cmp_gt_i32_e32 vcc_lo, 0, v14
	v_not_b32_e32 v14, v15
	s_wait_alu 0xf1ff
	v_xor_b32_e32 v77, s8, v77
	v_cmp_gt_i32_e64 s8, 0, v15
	v_and_b32_e32 v12, exec_lo, v12
	v_not_b32_e32 v15, v17
	v_ashrrev_i32_e32 v14, 31, v14
	s_wait_alu 0xfffd
	v_xor_b32_e32 v13, vcc_lo, v13
	v_cmp_gt_i32_e32 vcc_lo, 0, v17
	v_and_b32_e32 v12, v12, v77
	v_not_b32_e32 v17, v75
	v_ashrrev_i32_e32 v15, 31, v15
	s_wait_alu 0xf1ff
	v_xor_b32_e32 v14, s8, v14
	v_cmp_gt_i32_e64 s8, 0, v75
	v_and_b32_e32 v12, v12, v13
	v_not_b32_e32 v13, v76
	v_ashrrev_i32_e32 v17, 31, v17
	s_wait_alu 0xfffd
	v_xor_b32_e32 v15, vcc_lo, v15
	v_cmp_gt_i32_e32 vcc_lo, 0, v76
	v_and_b32_e32 v12, v12, v14
	v_not_b32_e32 v14, v16
	v_ashrrev_i32_e32 v13, 31, v13
	s_wait_alu 0xf1ff
	v_xor_b32_e32 v17, s8, v17
	v_and_b32_e32 v11, 0xff, v11
	v_and_b32_e32 v12, v12, v15
	v_cmp_gt_i32_e64 s8, 0, v16
	v_ashrrev_i32_e32 v14, 31, v14
	s_wait_alu 0xfffd
	v_xor_b32_e32 v13, vcc_lo, v13
	v_lshl_add_u32 v77, v11, 2, v10
	v_and_b32_e32 v12, v12, v17
	s_wait_alu 0xf1ff
	v_xor_b32_e32 v11, s8, v14
	ds_load_b32 v75, v77 offset:4
	v_and_b32_e32 v12, v12, v13
	; wave barrier
	s_delay_alu instid0(VALU_DEP_1) | instskip(NEXT) | instid1(VALU_DEP_1)
	v_and_b32_e32 v11, v12, v11
	v_mbcnt_lo_u32_b32 v76, v11, 0
	v_cmp_ne_u32_e64 s8, 0, v11
	s_delay_alu instid0(VALU_DEP_2)
	v_cmp_eq_u32_e32 vcc_lo, 0, v76
	s_and_b32 s20, s8, vcc_lo
	s_wait_alu 0xfffe
	s_and_saveexec_b32 s8, s20
	s_cbranch_execz .LBB118_39
; %bb.38:
	s_wait_dscnt 0x0
	v_bcnt_u32_b32 v11, v11, v75
	ds_store_b32 v77, v11 offset:4
.LBB118_39:
	s_wait_alu 0xfffe
	s_or_b32 exec_lo, exec_lo, s8
	v_lshrrev_b32_e32 v78, 16, v66
	; wave barrier
	s_delay_alu instid0(VALU_DEP_1) | instskip(NEXT) | instid1(VALU_DEP_1)
	v_and_b32_e32 v11, s9, v78
	v_and_b32_e32 v12, 1, v11
	v_lshlrev_b32_e32 v13, 30, v11
	v_lshlrev_b32_e32 v14, 29, v11
	;; [unrolled: 1-line block ×4, first 2 shown]
	v_add_co_u32 v12, s8, v12, -1
	s_wait_alu 0xf1ff
	v_cndmask_b32_e64 v16, 0, 1, s8
	v_not_b32_e32 v81, v13
	v_cmp_gt_i32_e64 s8, 0, v13
	v_not_b32_e32 v13, v14
	v_lshlrev_b32_e32 v79, 26, v11
	v_cmp_ne_u32_e32 vcc_lo, 0, v16
	v_ashrrev_i32_e32 v81, 31, v81
	v_lshlrev_b32_e32 v80, 25, v11
	v_ashrrev_i32_e32 v13, 31, v13
	v_lshlrev_b32_e32 v16, 24, v11
	s_wait_alu 0xfffd
	v_xor_b32_e32 v12, vcc_lo, v12
	v_cmp_gt_i32_e32 vcc_lo, 0, v14
	v_not_b32_e32 v14, v15
	s_wait_alu 0xf1ff
	v_xor_b32_e32 v81, s8, v81
	v_cmp_gt_i32_e64 s8, 0, v15
	v_and_b32_e32 v12, exec_lo, v12
	v_not_b32_e32 v15, v17
	v_ashrrev_i32_e32 v14, 31, v14
	s_wait_alu 0xfffd
	v_xor_b32_e32 v13, vcc_lo, v13
	v_cmp_gt_i32_e32 vcc_lo, 0, v17
	v_and_b32_e32 v12, v12, v81
	v_not_b32_e32 v17, v79
	v_ashrrev_i32_e32 v15, 31, v15
	s_wait_alu 0xf1ff
	v_xor_b32_e32 v14, s8, v14
	v_cmp_gt_i32_e64 s8, 0, v79
	v_and_b32_e32 v12, v12, v13
	v_not_b32_e32 v13, v80
	v_ashrrev_i32_e32 v17, 31, v17
	s_wait_alu 0xfffd
	v_xor_b32_e32 v15, vcc_lo, v15
	v_cmp_gt_i32_e32 vcc_lo, 0, v80
	v_and_b32_e32 v12, v12, v14
	v_not_b32_e32 v14, v16
	v_ashrrev_i32_e32 v13, 31, v13
	s_wait_alu 0xf1ff
	v_xor_b32_e32 v17, s8, v17
	v_and_b32_e32 v11, 0xff, v11
	v_and_b32_e32 v12, v12, v15
	v_cmp_gt_i32_e64 s8, 0, v16
	v_ashrrev_i32_e32 v14, 31, v14
	s_wait_alu 0xfffd
	v_xor_b32_e32 v13, vcc_lo, v13
	v_lshl_add_u32 v81, v11, 2, v10
	v_and_b32_e32 v12, v12, v17
	s_wait_alu 0xf1ff
	v_xor_b32_e32 v11, s8, v14
	ds_load_b32 v79, v81 offset:4
	v_and_b32_e32 v12, v12, v13
	; wave barrier
	s_delay_alu instid0(VALU_DEP_1) | instskip(NEXT) | instid1(VALU_DEP_1)
	v_and_b32_e32 v11, v12, v11
	v_mbcnt_lo_u32_b32 v80, v11, 0
	v_cmp_ne_u32_e64 s8, 0, v11
	s_delay_alu instid0(VALU_DEP_2)
	v_cmp_eq_u32_e32 vcc_lo, 0, v80
	s_and_b32 s20, s8, vcc_lo
	s_wait_alu 0xfffe
	s_and_saveexec_b32 s8, s20
	s_cbranch_execz .LBB118_41
; %bb.40:
	s_wait_dscnt 0x0
	v_bcnt_u32_b32 v11, v11, v79
	ds_store_b32 v81, v11 offset:4
.LBB118_41:
	s_wait_alu 0xfffe
	s_or_b32 exec_lo, exec_lo, s8
	v_lshrrev_b32_e32 v82, 24, v66
	; wave barrier
	s_delay_alu instid0(VALU_DEP_1) | instskip(NEXT) | instid1(VALU_DEP_1)
	v_and_b32_e32 v11, s9, v82
	v_and_b32_e32 v12, 1, v11
	v_lshlrev_b32_e32 v13, 30, v11
	v_lshlrev_b32_e32 v14, 29, v11
	;; [unrolled: 1-line block ×4, first 2 shown]
	v_add_co_u32 v12, s8, v12, -1
	s_wait_alu 0xf1ff
	v_cndmask_b32_e64 v16, 0, 1, s8
	v_not_b32_e32 v85, v13
	v_cmp_gt_i32_e64 s8, 0, v13
	v_not_b32_e32 v13, v14
	v_lshlrev_b32_e32 v83, 26, v11
	v_cmp_ne_u32_e32 vcc_lo, 0, v16
	v_ashrrev_i32_e32 v85, 31, v85
	v_lshlrev_b32_e32 v84, 25, v11
	v_ashrrev_i32_e32 v13, 31, v13
	v_lshlrev_b32_e32 v16, 24, v11
	s_wait_alu 0xfffd
	v_xor_b32_e32 v12, vcc_lo, v12
	v_cmp_gt_i32_e32 vcc_lo, 0, v14
	v_not_b32_e32 v14, v15
	s_wait_alu 0xf1ff
	v_xor_b32_e32 v85, s8, v85
	v_cmp_gt_i32_e64 s8, 0, v15
	v_and_b32_e32 v12, exec_lo, v12
	v_not_b32_e32 v15, v17
	v_ashrrev_i32_e32 v14, 31, v14
	s_wait_alu 0xfffd
	v_xor_b32_e32 v13, vcc_lo, v13
	v_cmp_gt_i32_e32 vcc_lo, 0, v17
	v_and_b32_e32 v12, v12, v85
	v_not_b32_e32 v17, v83
	v_ashrrev_i32_e32 v15, 31, v15
	s_wait_alu 0xf1ff
	v_xor_b32_e32 v14, s8, v14
	v_cmp_gt_i32_e64 s8, 0, v83
	v_and_b32_e32 v12, v12, v13
	v_not_b32_e32 v13, v84
	v_ashrrev_i32_e32 v17, 31, v17
	s_wait_alu 0xfffd
	v_xor_b32_e32 v15, vcc_lo, v15
	v_cmp_gt_i32_e32 vcc_lo, 0, v84
	v_and_b32_e32 v12, v12, v14
	v_not_b32_e32 v14, v16
	v_ashrrev_i32_e32 v13, 31, v13
	s_wait_alu 0xf1ff
	v_xor_b32_e32 v17, s8, v17
	v_cmp_gt_i32_e64 s8, 0, v16
	v_and_b32_e32 v12, v12, v15
	v_ashrrev_i32_e32 v14, 31, v14
	s_wait_alu 0xfffd
	v_xor_b32_e32 v13, vcc_lo, v13
	v_lshl_add_u32 v85, v11, 2, v10
	v_and_b32_e32 v12, v12, v17
	s_wait_alu 0xf1ff
	v_xor_b32_e32 v10, s8, v14
	ds_load_b32 v83, v85 offset:4
	v_and_b32_e32 v11, v12, v13
	; wave barrier
	s_delay_alu instid0(VALU_DEP_1) | instskip(NEXT) | instid1(VALU_DEP_1)
	v_and_b32_e32 v10, v11, v10
	v_mbcnt_lo_u32_b32 v84, v10, 0
	v_cmp_ne_u32_e64 s8, 0, v10
	s_delay_alu instid0(VALU_DEP_2)
	v_cmp_eq_u32_e32 vcc_lo, 0, v84
	s_and_b32 s9, s8, vcc_lo
	s_wait_alu 0xfffe
	s_and_saveexec_b32 s8, s9
	s_cbranch_execz .LBB118_43
; %bb.42:
	s_wait_dscnt 0x0
	v_bcnt_u32_b32 v10, v10, v83
	ds_store_b32 v85, v10 offset:4
.LBB118_43:
	s_wait_alu 0xfffe
	s_or_b32 exec_lo, exec_lo, s8
	; wave barrier
	; wave barrier
	s_wait_loadcnt_dscnt 0x0
	global_inv scope:SCOPE_SE
	ds_load_2addr_b32 v[16:17], v31 offset0:1 offset1:2
	ds_load_2addr_b32 v[14:15], v31 offset0:3 offset1:4
	;; [unrolled: 1-line block ×4, first 2 shown]
	s_mov_b32 s8, exec_lo
	s_wait_dscnt 0x3
	v_add_nc_u32_e32 v86, v17, v16
	s_wait_dscnt 0x2
	s_delay_alu instid0(VALU_DEP_1) | instskip(SKIP_1) | instid1(VALU_DEP_1)
	v_add3_u32 v86, v86, v14, v15
	s_wait_dscnt 0x1
	v_add3_u32 v86, v86, v12, v13
	s_wait_dscnt 0x0
	s_delay_alu instid0(VALU_DEP_1) | instskip(SKIP_1) | instid1(VALU_DEP_2)
	v_add3_u32 v11, v86, v10, v11
	v_and_b32_e32 v86, 15, v30
	v_mov_b32_dpp v87, v11 row_shr:1 row_mask:0xf bank_mask:0xf
	s_delay_alu instid0(VALU_DEP_2) | instskip(SKIP_1) | instid1(VALU_DEP_2)
	v_cmp_ne_u32_e32 vcc_lo, 0, v86
	s_wait_alu 0xfffd
	v_cndmask_b32_e32 v87, 0, v87, vcc_lo
	v_cmp_lt_u32_e32 vcc_lo, 1, v86
	s_delay_alu instid0(VALU_DEP_2) | instskip(NEXT) | instid1(VALU_DEP_1)
	v_add_nc_u32_e32 v11, v87, v11
	v_mov_b32_dpp v87, v11 row_shr:2 row_mask:0xf bank_mask:0xf
	s_wait_alu 0xfffd
	s_delay_alu instid0(VALU_DEP_1) | instskip(SKIP_1) | instid1(VALU_DEP_2)
	v_cndmask_b32_e32 v87, 0, v87, vcc_lo
	v_cmp_lt_u32_e32 vcc_lo, 3, v86
	v_add_nc_u32_e32 v11, v11, v87
	s_delay_alu instid0(VALU_DEP_1) | instskip(SKIP_1) | instid1(VALU_DEP_1)
	v_mov_b32_dpp v87, v11 row_shr:4 row_mask:0xf bank_mask:0xf
	s_wait_alu 0xfffd
	v_cndmask_b32_e32 v87, 0, v87, vcc_lo
	v_cmp_lt_u32_e32 vcc_lo, 7, v86
	s_delay_alu instid0(VALU_DEP_2) | instskip(NEXT) | instid1(VALU_DEP_1)
	v_add_nc_u32_e32 v11, v11, v87
	v_mov_b32_dpp v87, v11 row_shr:8 row_mask:0xf bank_mask:0xf
	s_wait_alu 0xfffd
	s_delay_alu instid0(VALU_DEP_1) | instskip(SKIP_1) | instid1(VALU_DEP_2)
	v_cndmask_b32_e32 v86, 0, v87, vcc_lo
	v_bfe_i32 v87, v30, 4, 1
	v_add_nc_u32_e32 v11, v11, v86
	ds_swizzle_b32 v86, v11 offset:swizzle(BROADCAST,32,15)
	s_wait_dscnt 0x0
	v_and_b32_e32 v86, v87, v86
	s_delay_alu instid0(VALU_DEP_1)
	v_add_nc_u32_e32 v11, v11, v86
	v_cmpx_eq_u32_e32 31, v9
; %bb.44:
	v_mov_b32_e32 v86, 0
	ds_store_b32 v86, v11
; %bb.45:
	s_wait_alu 0xfffe
	s_or_b32 exec_lo, exec_lo, s8
	v_sub_co_u32 v86, s8, v30, 1
	; wave barrier
	s_wait_loadcnt_dscnt 0x0
	global_inv scope:SCOPE_SE
	v_cmp_gt_i32_e32 vcc_lo, 0, v86
	s_wait_alu 0xfffd
	v_cndmask_b32_e32 v86, v86, v30, vcc_lo
	v_cmp_eq_u32_e32 vcc_lo, 0, v9
	s_delay_alu instid0(VALU_DEP_2)
	v_lshlrev_b32_e32 v86, 2, v86
	s_or_b32 s8, vcc_lo, s8
	ds_bpermute_b32 v11, v86, v11
	s_wait_dscnt 0x0
	s_wait_alu 0xfffe
	v_cndmask_b32_e64 v11, v11, 0, s8
	s_mov_b32 s8, 0
	s_delay_alu instid0(VALU_DEP_1) | instskip(NEXT) | instid1(VALU_DEP_1)
	v_add_nc_u32_e32 v16, v11, v16
	v_add_nc_u32_e32 v17, v16, v17
	s_delay_alu instid0(VALU_DEP_1) | instskip(NEXT) | instid1(VALU_DEP_1)
	v_add_nc_u32_e32 v14, v17, v14
	v_add_nc_u32_e32 v15, v14, v15
	;; [unrolled: 3-line block ×3, first 2 shown]
	s_delay_alu instid0(VALU_DEP_1)
	v_add_nc_u32_e32 v10, v13, v10
	ds_store_2addr_b32 v31, v11, v16 offset0:1 offset1:2
	ds_store_2addr_b32 v31, v17, v14 offset0:3 offset1:4
	;; [unrolled: 1-line block ×4, first 2 shown]
	; wave barrier
	s_wait_loadcnt_dscnt 0x0
	global_inv scope:SCOPE_SE
	ds_load_b32 v10, v74 offset:4
	ds_load_b32 v11, v77 offset:4
	;; [unrolled: 1-line block ×4, first 2 shown]
	v_cndmask_b32_e64 v15, 0, v46, s6
	v_cndmask_b32_e64 v14, 0, v47, s6
	; wave barrier
	s_wait_loadcnt_dscnt 0x0
	global_inv scope:SCOPE_SE
	v_cndmask_b32_e64 v16, 0, v63, s6
	v_cndmask_b32_e64 v15, v15, v45, s1
	;; [unrolled: 1-line block ×3, first 2 shown]
	v_add_nc_u32_e32 v45, v10, v72
	v_add3_u32 v46, v76, v75, v11
	v_add3_u32 v47, v80, v79, v12
	;; [unrolled: 1-line block ×3, first 2 shown]
	ds_store_b8 v45, v66
	ds_store_b8 v46, v73
	;; [unrolled: 1-line block ×4, first 2 shown]
	; wave barrier
	s_wait_loadcnt_dscnt 0x0
	global_inv scope:SCOPE_SE
	ds_load_b32 v17, v28
	v_cndmask_b32_e64 v10, 0, v43, s6
	v_cndmask_b32_e64 v11, v14, v42, s0
	v_cndmask_b32_e64 v14, 0, v62, s6
	v_cndmask_b32_e64 v12, v15, v41, s0
	v_cndmask_b32_e64 v15, 0, v60, s6
	v_cndmask_b32_e64 v10, v10, v50, s1
	v_cndmask_b32_e64 v13, v16, v52, s1
	v_cndmask_b32_e64 v14, v14, v61, s1
	v_cndmask_b32_e64 v11, v11, v40, s7
	v_cndmask_b32_e64 v15, v15, v58, s1
	v_cndmask_b32_e64 v16, v10, v51, s0
	v_cndmask_b32_e64 v10, v12, v39, s7
	v_cndmask_b32_e64 v14, v14, v59, s0
	v_cndmask_b32_e64 v41, 0, v64, s6
	v_cndmask_b32_e64 v39, 0, v65, s6
	v_cndmask_b32_e64 v12, v16, v49, s7
	v_cndmask_b32_e64 v16, v15, v55, s0
	v_cndmask_b32_e64 v15, v14, v56, s7
	v_cndmask_b32_e64 v41, v41, v57, s1
	s_wait_dscnt 0x0
	v_lshrrev_b32_e32 v40, 16, v17
	v_xor_b32_e32 v14, 0x80, v17
	v_and_b32_e32 v17, 0xffffff00, v17
	v_cndmask_b32_e64 v39, v39, v71, s1
	v_cndmask_b32_e64 v41, v41, v68, s0
	v_xor_b32_e32 v42, 0x80, v40
	v_and_b32_e32 v43, 0xff, v14
	v_and_b32_e32 v40, 0xffffff00, v40
	v_cndmask_b32_e64 v39, v39, v70, s0
	v_cndmask_b32_e64 v14, v16, v44, s7
	v_and_b32_e32 v42, 0xff, v42
	v_or_b32_e32 v43, v43, v17
	v_cndmask_b32_e64 v16, v41, v67, s7
	v_cndmask_b32_e64 v13, v13, v53, s0
	;; [unrolled: 1-line block ×3, first 2 shown]
	v_or_b32_e32 v40, v42, v40
	v_add_nc_u16 v41, 0x8000, v43
	v_lshlrev_b32_e32 v39, 3, v45
	v_cndmask_b32_e64 v13, v13, v54, s7
	v_lshlrev_b32_e32 v42, 3, v46
	v_add_nc_u16 v40, 0x8000, v40
	v_and_b32_e32 v41, 0xffff, v41
	v_lshlrev_b32_e32 v43, 3, v47
	s_wait_loadcnt 0x0
	; wave barrier
	global_inv scope:SCOPE_SE
	v_lshlrev_b32_e32 v40, 16, v40
	ds_store_b64 v39, v[10:11]
	ds_store_b64 v42, v[12:13]
	v_lshlrev_b32_e32 v44, 3, v48
	ds_store_b64 v43, v[14:15]
	ds_store_b64 v44, v[16:17]
	v_or_b32_e32 v12, v41, v40
	; wave barrier
	s_wait_loadcnt_dscnt 0x0
	global_inv scope:SCOPE_SE
.LBB118_46:
	s_wait_alu 0xfffe
	s_and_b32 vcc_lo, exec_lo, s8
	s_wait_alu 0xfffe
	s_cbranch_vccz .LBB118_58
; %bb.47:
	v_xor_b32_e32 v10, 0x7f, v34
	v_xor_b32_e32 v11, 0x7f, v38
	;; [unrolled: 1-line block ×3, first 2 shown]
	v_cmp_eq_u32_e32 vcc_lo, 3, v35
	v_xor_b32_e32 v15, 0x7f, v36
	v_and_b32_e32 v10, 0xff, v10
	v_and_b32_e32 v11, 0xff, v11
	;; [unrolled: 1-line block ×3, first 2 shown]
	s_getpc_b64 s[8:9]
	s_wait_alu 0xfffe
	s_sext_i32_i16 s9, s9
	s_add_co_u32 s8, s8, _ZN7rocprim17ROCPRIM_400000_NS16block_radix_sortIaLj32ELj4ElLj1ELj1ELj0ELNS0_26block_radix_rank_algorithmE1ELNS0_18block_padding_hintE2ELNS0_4arch9wavefront6targetE0EE19radix_bits_per_passE@rel32@lo+12
	s_wait_alu 0xfffe
	s_add_co_ci_u32 s9, s9, _ZN7rocprim17ROCPRIM_400000_NS16block_radix_sortIaLj32ELj4ElLj1ELj1ELj0ELNS0_26block_radix_rank_algorithmE1ELNS0_18block_padding_hintE2ELNS0_4arch9wavefront6targetE0EE19radix_bits_per_passE@rel32@hi+24
	v_and_b32_e32 v15, 0xffff, v15
	ds_bpermute_b32 v13, v32, v10
	ds_bpermute_b32 v14, v32, v11
	;; [unrolled: 1-line block ×3, first 2 shown]
	ds_bpermute_b32 v34, v32, v10 offset:32
	ds_bpermute_b32 v17, v32, v15
	s_load_b32 s7, s[8:9], 0x0
	; wave barrier
	s_wait_loadcnt_dscnt 0x0
	global_inv scope:SCOPE_SE
	s_load_b32 s8, s[18:19], 0xc
	ds_bpermute_b32 v38, v32, v5 offset:32
	ds_bpermute_b32 v50, v32, v5 offset:64
	;; [unrolled: 1-line block ×3, first 2 shown]
	ds_bpermute_b32 v35, v32, v6
	ds_bpermute_b32 v47, v32, v6 offset:32
	ds_bpermute_b32 v51, v32, v6 offset:64
	;; [unrolled: 1-line block ×7, first 2 shown]
	v_and_b32_e32 v13, 0xff, v13
	v_and_b32_e32 v14, 0xff, v14
	;; [unrolled: 1-line block ×3, first 2 shown]
	ds_bpermute_b32 v41, v32, v8 offset:32
	ds_bpermute_b32 v37, v32, v2 offset:32
	v_cndmask_b32_e64 v13, 0, v13, s6
	s_wait_kmcnt 0x0
	s_min_u32 s7, s7, 8
	ds_bpermute_b32 v46, v32, v8 offset:64
	s_wait_alu 0xfffe
	s_lshl_b32 s7, -1, s7
	s_and_b32 s18, s8, 0xffff
	v_cndmask_b32_e64 v13, v13, v14, s1
	s_wait_alu 0xfffe
	s_not_b32 s9, s7
	s_lshr_b32 s7, s8, 16
	ds_bpermute_b32 v44, v32, v2 offset:64
	s_wait_alu 0xfffe
	v_mad_u32_u24 v0, v0, s7, v33
	v_cndmask_b32_e64 v13, v13, v16, s0
	v_lshlrev_b16 v16, 8, v34
	ds_bpermute_b32 v34, v32, v5
	ds_bpermute_b32 v42, v32, v4 offset:64
	v_perm_b32 v14, v17, v13, 0x3020104
	s_delay_alu instid0(VALU_DEP_1) | instskip(SKIP_2) | instid1(VALU_DEP_1)
	v_cndmask_b32_e32 v13, v13, v14, vcc_lo
	ds_bpermute_b32 v14, v32, v11 offset:32
	v_and_b32_e32 v17, 0xff, v13
	v_or_b32_e32 v16, v17, v16
	ds_bpermute_b32 v17, v32, v12 offset:32
	v_and_b32_e32 v16, 0xffff, v16
	s_delay_alu instid0(VALU_DEP_1) | instskip(SKIP_2) | instid1(VALU_DEP_2)
	v_cndmask_b32_e64 v13, v13, v16, s6
	s_wait_dscnt 0x1
	v_lshlrev_b16 v14, 8, v14
	v_and_b32_e32 v16, 0xff, v13
	s_delay_alu instid0(VALU_DEP_1) | instskip(NEXT) | instid1(VALU_DEP_1)
	v_or_b32_e32 v14, v16, v14
	v_and_b32_e32 v14, 0xffff, v14
	s_delay_alu instid0(VALU_DEP_1) | instskip(NEXT) | instid1(VALU_DEP_1)
	v_and_or_b32 v14, 0xffff0000, v13, v14
	v_cndmask_b32_e64 v13, v13, v14, s1
	s_wait_dscnt 0x0
	v_lshlrev_b16 v14, 8, v17
	ds_bpermute_b32 v17, v32, v15 offset:32
	v_and_b32_e32 v16, 0xff, v13
	s_delay_alu instid0(VALU_DEP_1) | instskip(NEXT) | instid1(VALU_DEP_1)
	v_or_b32_e32 v14, v16, v14
	v_and_b32_e32 v14, 0xffff, v14
	s_delay_alu instid0(VALU_DEP_1) | instskip(NEXT) | instid1(VALU_DEP_1)
	v_and_or_b32 v14, 0xffff0000, v13, v14
	v_cndmask_b32_e64 v13, v13, v14, s0
	s_wait_dscnt 0x0
	v_lshlrev_b16 v14, 8, v17
	ds_bpermute_b32 v17, v32, v10 offset:64
	ds_bpermute_b32 v10, v32, v10 offset:96
	v_and_b32_e32 v16, 0xff, v13
	s_delay_alu instid0(VALU_DEP_1) | instskip(NEXT) | instid1(VALU_DEP_1)
	v_or_b32_e32 v14, v16, v14
	v_and_b32_e32 v14, 0xffff, v14
	s_delay_alu instid0(VALU_DEP_1) | instskip(SKIP_2) | instid1(VALU_DEP_2)
	v_and_or_b32 v14, 0xffff0000, v13, v14
	s_wait_dscnt 0x0
	v_lshlrev_b16 v10, 8, v10
	v_cndmask_b32_e32 v13, v13, v14, vcc_lo
	ds_bpermute_b32 v14, v32, v11 offset:64
	ds_bpermute_b32 v11, v32, v11 offset:96
	v_perm_b32 v16, v17, v13, 0xc0c0304
	s_delay_alu instid0(VALU_DEP_1) | instskip(NEXT) | instid1(VALU_DEP_1)
	v_lshlrev_b32_e32 v16, 16, v16
	v_and_or_b32 v16, 0xffff, v13, v16
	s_delay_alu instid0(VALU_DEP_1)
	v_cndmask_b32_e64 v13, v13, v16, s6
	ds_bpermute_b32 v16, v32, v12 offset:64
	s_wait_dscnt 0x1
	v_lshlrev_b16 v11, 8, v11
	ds_bpermute_b32 v12, v32, v12 offset:96
	v_perm_b32 v14, v14, v13, 0xc0c0304
	s_delay_alu instid0(VALU_DEP_1) | instskip(NEXT) | instid1(VALU_DEP_1)
	v_lshlrev_b32_e32 v14, 16, v14
	v_and_or_b32 v14, 0xffff, v13, v14
	s_delay_alu instid0(VALU_DEP_1) | instskip(SKIP_4) | instid1(VALU_DEP_1)
	v_cndmask_b32_e64 v13, v13, v14, s1
	ds_bpermute_b32 v14, v32, v15 offset:64
	s_wait_dscnt 0x1
	v_lshlrev_b16 v12, 8, v12
	v_perm_b32 v16, v16, v13, 0xc0c0304
	v_lshlrev_b32_e32 v16, 16, v16
	s_delay_alu instid0(VALU_DEP_1) | instskip(NEXT) | instid1(VALU_DEP_1)
	v_and_or_b32 v16, 0xffff, v13, v16
	v_cndmask_b32_e64 v13, v13, v16, s0
	ds_bpermute_b32 v16, v32, v15 offset:96
	ds_bpermute_b32 v15, v32, v8
	s_wait_dscnt 0x2
	v_perm_b32 v14, v14, v13, 0xc0c0304
	s_delay_alu instid0(VALU_DEP_1) | instskip(NEXT) | instid1(VALU_DEP_1)
	v_lshlrev_b32_e32 v14, 16, v14
	v_and_or_b32 v14, 0xffff, v13, v14
	s_delay_alu instid0(VALU_DEP_1) | instskip(SKIP_2) | instid1(VALU_DEP_2)
	v_cndmask_b32_e32 v13, v13, v14, vcc_lo
	s_wait_dscnt 0x1
	v_lshlrev_b16 v16, 8, v16
	v_lshrrev_b32_e32 v14, 16, v13
	s_delay_alu instid0(VALU_DEP_1) | instskip(NEXT) | instid1(VALU_DEP_1)
	v_and_b32_e32 v14, 0xff, v14
	v_or_b32_e32 v10, v14, v10
	ds_bpermute_b32 v14, v32, v7
	v_lshlrev_b32_e32 v10, 16, v10
	s_delay_alu instid0(VALU_DEP_1) | instskip(NEXT) | instid1(VALU_DEP_1)
	v_and_or_b32 v10, 0xffff, v13, v10
	v_cndmask_b32_e64 v10, v13, v10, s6
	s_delay_alu instid0(VALU_DEP_1) | instskip(NEXT) | instid1(VALU_DEP_1)
	v_lshrrev_b32_e32 v13, 16, v10
	v_and_b32_e32 v13, 0xff, v13
	s_delay_alu instid0(VALU_DEP_1) | instskip(SKIP_2) | instid1(VALU_DEP_1)
	v_or_b32_e32 v11, v13, v11
	ds_bpermute_b32 v13, v32, v2
	v_lshlrev_b32_e32 v11, 16, v11
	v_and_or_b32 v11, 0xffff, v10, v11
	s_delay_alu instid0(VALU_DEP_1) | instskip(NEXT) | instid1(VALU_DEP_1)
	v_cndmask_b32_e64 v11, v10, v11, s1
	v_lshrrev_b32_e32 v10, 16, v11
	s_delay_alu instid0(VALU_DEP_1) | instskip(NEXT) | instid1(VALU_DEP_1)
	v_and_b32_e32 v10, 0xff, v10
	v_or_b32_e32 v10, v10, v12
	ds_bpermute_b32 v12, v32, v1
	v_lshlrev_b32_e32 v10, 16, v10
	s_delay_alu instid0(VALU_DEP_1) | instskip(SKIP_4) | instid1(VALU_DEP_1)
	v_and_or_b32 v17, 0xffff, v11, v10
	ds_bpermute_b32 v10, v32, v3
	v_cndmask_b32_e64 v48, v11, v17, s0
	ds_bpermute_b32 v11, v32, v4
	v_lshrrev_b32_e32 v17, 16, v48
	v_and_b32_e32 v39, 0xff, v17
	ds_bpermute_b32 v17, v32, v3 offset:32
	v_or_b32_e32 v16, v39, v16
	ds_bpermute_b32 v39, v32, v4 offset:32
	v_lshlrev_b32_e32 v16, 16, v16
	s_delay_alu instid0(VALU_DEP_1) | instskip(SKIP_4) | instid1(VALU_DEP_1)
	v_and_or_b32 v49, 0xffff, v48, v16
	ds_bpermute_b32 v16, v32, v3 offset:64
	v_cndmask_b32_e32 v48, v48, v49, vcc_lo
	ds_bpermute_b32 v49, v32, v7 offset:96
	v_and_b32_e32 v56, s9, v48
	v_and_b32_e32 v5, 1, v56
	v_lshlrev_b32_e32 v6, 30, v56
	v_lshlrev_b32_e32 v7, 29, v56
	;; [unrolled: 1-line block ×4, first 2 shown]
	v_add_co_u32 v5, s7, v5, -1
	s_wait_alu 0xf1ff
	v_cndmask_b32_e64 v54, 0, 1, s7
	v_not_b32_e32 v59, v6
	v_cmp_gt_i32_e64 s8, 0, v6
	v_not_b32_e32 v6, v7
	v_lshlrev_b32_e32 v57, 26, v56
	v_cmp_ne_u32_e64 s7, 0, v54
	v_ashrrev_i32_e32 v59, 31, v59
	v_lshlrev_b32_e32 v58, 25, v56
	v_ashrrev_i32_e32 v6, 31, v6
	v_lshlrev_b32_e32 v54, 24, v56
	s_wait_alu 0xf1ff
	v_xor_b32_e32 v5, s7, v5
	v_cmp_gt_i32_e64 s7, 0, v7
	v_not_b32_e32 v7, v33
	v_xor_b32_e32 v59, s8, v59
	v_cmp_gt_i32_e64 s8, 0, v33
	v_and_b32_e32 v5, exec_lo, v5
	v_not_b32_e32 v33, v55
	v_ashrrev_i32_e32 v7, 31, v7
	s_wait_alu 0xf1ff
	v_xor_b32_e32 v6, s7, v6
	v_cmp_gt_i32_e64 s7, 0, v55
	v_and_b32_e32 v5, v5, v59
	v_not_b32_e32 v55, v57
	v_ashrrev_i32_e32 v33, 31, v33
	v_xor_b32_e32 v7, s8, v7
	v_cmp_gt_i32_e64 s8, 0, v57
	v_and_b32_e32 v5, v5, v6
	v_not_b32_e32 v6, v58
	v_ashrrev_i32_e32 v55, 31, v55
	s_wait_alu 0xf1ff
	v_xor_b32_e32 v33, s7, v33
	v_cmp_gt_i32_e64 s7, 0, v58
	v_and_b32_e32 v5, v5, v7
	v_not_b32_e32 v7, v54
	v_ashrrev_i32_e32 v57, 31, v6
	v_xor_b32_e32 v55, s8, v55
	v_cmp_gt_i32_e64 s8, 0, v54
	v_and_b32_e32 v33, v5, v33
	s_wait_dscnt 0x5
	v_mad_co_u64_u32 v[5:6], null, v0, s18, v[9:10]
	v_ashrrev_i32_e32 v0, 31, v7
	s_wait_alu 0xf1ff
	v_xor_b32_e32 v6, s7, v57
	v_and_b32_e32 v7, v33, v55
	ds_bpermute_b32 v33, v32, v1 offset:96
	ds_bpermute_b32 v55, v32, v8 offset:96
	v_xor_b32_e32 v0, s8, v0
	ds_bpermute_b32 v54, v32, v2 offset:96
	v_and_b32_e32 v1, v7, v6
	ds_bpermute_b32 v8, v32, v3 offset:96
	ds_bpermute_b32 v32, v32, v4 offset:96
	v_lshrrev_b32_e32 v2, 3, v5
	v_mov_b32_e32 v3, 0
	v_and_b32_e32 v1, v1, v0
	ds_store_2addr_b32 v31, v3, v3 offset0:1 offset1:2
	ds_store_2addr_b32 v31, v3, v3 offset0:3 offset1:4
	ds_store_2addr_b32 v31, v3, v3 offset0:5 offset1:6
	ds_store_2addr_b32 v31, v3, v3 offset0:7 offset1:8
	v_and_b32_e32 v0, 0x1ffffffc, v2
	v_and_b32_e32 v2, 0xff, v56
	v_mbcnt_lo_u32_b32 v56, v1, 0
	v_cmp_ne_u32_e64 s8, 0, v1
	; wave barrier
	s_wait_loadcnt_dscnt 0x0
	global_inv scope:SCOPE_SE
	v_lshl_add_u32 v58, v2, 2, v0
	v_cmp_eq_u32_e64 s7, 0, v56
	; wave barrier
	s_and_b32 s8, s8, s7
	s_wait_alu 0xfffe
	s_and_saveexec_b32 s7, s8
; %bb.48:
	v_bcnt_u32_b32 v1, v1, 0
	ds_store_b32 v58, v1 offset:4
; %bb.49:
	s_wait_alu 0xfffe
	s_or_b32 exec_lo, exec_lo, s7
	v_lshrrev_b32_e32 v57, 8, v48
	; wave barrier
	s_delay_alu instid0(VALU_DEP_1) | instskip(NEXT) | instid1(VALU_DEP_1)
	v_and_b32_e32 v1, s9, v57
	v_and_b32_e32 v2, 1, v1
	v_lshlrev_b32_e32 v3, 30, v1
	v_lshlrev_b32_e32 v4, 29, v1
	;; [unrolled: 1-line block ×4, first 2 shown]
	v_add_co_u32 v2, s7, v2, -1
	s_wait_alu 0xf1ff
	v_cndmask_b32_e64 v6, 0, 1, s7
	v_not_b32_e32 v61, v3
	v_cmp_gt_i32_e64 s8, 0, v3
	v_not_b32_e32 v3, v4
	v_lshlrev_b32_e32 v59, 26, v1
	v_cmp_ne_u32_e64 s7, 0, v6
	v_ashrrev_i32_e32 v61, 31, v61
	v_lshlrev_b32_e32 v60, 25, v1
	v_ashrrev_i32_e32 v3, 31, v3
	v_lshlrev_b32_e32 v6, 24, v1
	s_wait_alu 0xf1ff
	v_xor_b32_e32 v2, s7, v2
	v_cmp_gt_i32_e64 s7, 0, v4
	v_not_b32_e32 v4, v5
	v_xor_b32_e32 v61, s8, v61
	v_cmp_gt_i32_e64 s8, 0, v5
	v_and_b32_e32 v2, exec_lo, v2
	v_not_b32_e32 v5, v7
	v_ashrrev_i32_e32 v4, 31, v4
	s_wait_alu 0xf1ff
	v_xor_b32_e32 v3, s7, v3
	v_cmp_gt_i32_e64 s7, 0, v7
	v_and_b32_e32 v2, v2, v61
	v_not_b32_e32 v7, v59
	v_ashrrev_i32_e32 v5, 31, v5
	v_xor_b32_e32 v4, s8, v4
	v_cmp_gt_i32_e64 s8, 0, v59
	v_and_b32_e32 v2, v2, v3
	v_not_b32_e32 v3, v60
	v_ashrrev_i32_e32 v7, 31, v7
	s_wait_alu 0xf1ff
	v_xor_b32_e32 v5, s7, v5
	v_cmp_gt_i32_e64 s7, 0, v60
	v_and_b32_e32 v2, v2, v4
	v_not_b32_e32 v4, v6
	v_ashrrev_i32_e32 v3, 31, v3
	v_xor_b32_e32 v7, s8, v7
	v_and_b32_e32 v1, 0xff, v1
	v_and_b32_e32 v2, v2, v5
	v_cmp_gt_i32_e64 s8, 0, v6
	v_ashrrev_i32_e32 v4, 31, v4
	s_wait_alu 0xf1ff
	v_xor_b32_e32 v3, s7, v3
	v_lshl_add_u32 v61, v1, 2, v0
	v_and_b32_e32 v2, v2, v7
	v_xor_b32_e32 v1, s8, v4
	ds_load_b32 v59, v61 offset:4
	v_and_b32_e32 v2, v2, v3
	; wave barrier
	s_delay_alu instid0(VALU_DEP_1) | instskip(NEXT) | instid1(VALU_DEP_1)
	v_and_b32_e32 v1, v2, v1
	v_mbcnt_lo_u32_b32 v60, v1, 0
	v_cmp_ne_u32_e64 s8, 0, v1
	s_delay_alu instid0(VALU_DEP_2)
	v_cmp_eq_u32_e64 s7, 0, v60
	s_and_b32 s8, s8, s7
	s_wait_alu 0xfffe
	s_and_saveexec_b32 s7, s8
	s_cbranch_execz .LBB118_51
; %bb.50:
	s_wait_dscnt 0x0
	v_bcnt_u32_b32 v1, v1, v59
	ds_store_b32 v61, v1 offset:4
.LBB118_51:
	s_wait_alu 0xfffe
	s_or_b32 exec_lo, exec_lo, s7
	v_lshrrev_b32_e32 v62, 16, v48
	; wave barrier
	s_delay_alu instid0(VALU_DEP_1) | instskip(NEXT) | instid1(VALU_DEP_1)
	v_and_b32_e32 v1, s9, v62
	v_and_b32_e32 v2, 1, v1
	v_lshlrev_b32_e32 v3, 30, v1
	v_lshlrev_b32_e32 v4, 29, v1
	;; [unrolled: 1-line block ×4, first 2 shown]
	v_add_co_u32 v2, s7, v2, -1
	s_wait_alu 0xf1ff
	v_cndmask_b32_e64 v6, 0, 1, s7
	v_not_b32_e32 v65, v3
	v_cmp_gt_i32_e64 s8, 0, v3
	v_not_b32_e32 v3, v4
	v_lshlrev_b32_e32 v63, 26, v1
	v_cmp_ne_u32_e64 s7, 0, v6
	v_ashrrev_i32_e32 v65, 31, v65
	v_lshlrev_b32_e32 v64, 25, v1
	v_ashrrev_i32_e32 v3, 31, v3
	v_lshlrev_b32_e32 v6, 24, v1
	s_wait_alu 0xf1ff
	v_xor_b32_e32 v2, s7, v2
	v_cmp_gt_i32_e64 s7, 0, v4
	v_not_b32_e32 v4, v5
	v_xor_b32_e32 v65, s8, v65
	v_cmp_gt_i32_e64 s8, 0, v5
	v_and_b32_e32 v2, exec_lo, v2
	v_not_b32_e32 v5, v7
	v_ashrrev_i32_e32 v4, 31, v4
	s_wait_alu 0xf1ff
	v_xor_b32_e32 v3, s7, v3
	v_cmp_gt_i32_e64 s7, 0, v7
	v_and_b32_e32 v2, v2, v65
	v_not_b32_e32 v7, v63
	v_ashrrev_i32_e32 v5, 31, v5
	v_xor_b32_e32 v4, s8, v4
	v_cmp_gt_i32_e64 s8, 0, v63
	v_and_b32_e32 v2, v2, v3
	v_not_b32_e32 v3, v64
	v_ashrrev_i32_e32 v7, 31, v7
	s_wait_alu 0xf1ff
	v_xor_b32_e32 v5, s7, v5
	v_cmp_gt_i32_e64 s7, 0, v64
	v_and_b32_e32 v2, v2, v4
	v_not_b32_e32 v4, v6
	v_ashrrev_i32_e32 v3, 31, v3
	v_xor_b32_e32 v7, s8, v7
	v_and_b32_e32 v1, 0xff, v1
	v_and_b32_e32 v2, v2, v5
	v_cmp_gt_i32_e64 s8, 0, v6
	v_ashrrev_i32_e32 v4, 31, v4
	s_wait_alu 0xf1ff
	v_xor_b32_e32 v3, s7, v3
	v_lshl_add_u32 v65, v1, 2, v0
	v_and_b32_e32 v2, v2, v7
	v_xor_b32_e32 v1, s8, v4
	ds_load_b32 v63, v65 offset:4
	v_and_b32_e32 v2, v2, v3
	; wave barrier
	s_delay_alu instid0(VALU_DEP_1) | instskip(NEXT) | instid1(VALU_DEP_1)
	v_and_b32_e32 v1, v2, v1
	v_mbcnt_lo_u32_b32 v64, v1, 0
	v_cmp_ne_u32_e64 s8, 0, v1
	s_delay_alu instid0(VALU_DEP_2)
	v_cmp_eq_u32_e64 s7, 0, v64
	s_and_b32 s8, s8, s7
	s_wait_alu 0xfffe
	s_and_saveexec_b32 s7, s8
	s_cbranch_execz .LBB118_53
; %bb.52:
	s_wait_dscnt 0x0
	v_bcnt_u32_b32 v1, v1, v63
	ds_store_b32 v65, v1 offset:4
.LBB118_53:
	s_wait_alu 0xfffe
	s_or_b32 exec_lo, exec_lo, s7
	v_lshrrev_b32_e32 v66, 24, v48
	; wave barrier
	s_delay_alu instid0(VALU_DEP_1) | instskip(NEXT) | instid1(VALU_DEP_1)
	v_and_b32_e32 v1, s9, v66
	v_and_b32_e32 v2, 1, v1
	v_lshlrev_b32_e32 v3, 30, v1
	v_lshlrev_b32_e32 v4, 29, v1
	;; [unrolled: 1-line block ×4, first 2 shown]
	v_add_co_u32 v2, s7, v2, -1
	s_wait_alu 0xf1ff
	v_cndmask_b32_e64 v6, 0, 1, s7
	v_not_b32_e32 v69, v3
	v_cmp_gt_i32_e64 s8, 0, v3
	v_not_b32_e32 v3, v4
	v_lshlrev_b32_e32 v67, 26, v1
	v_cmp_ne_u32_e64 s7, 0, v6
	v_ashrrev_i32_e32 v69, 31, v69
	v_lshlrev_b32_e32 v68, 25, v1
	v_ashrrev_i32_e32 v3, 31, v3
	v_lshlrev_b32_e32 v6, 24, v1
	s_wait_alu 0xf1ff
	v_xor_b32_e32 v2, s7, v2
	v_cmp_gt_i32_e64 s7, 0, v4
	v_not_b32_e32 v4, v5
	v_xor_b32_e32 v69, s8, v69
	v_cmp_gt_i32_e64 s8, 0, v5
	v_and_b32_e32 v2, exec_lo, v2
	v_not_b32_e32 v5, v7
	v_ashrrev_i32_e32 v4, 31, v4
	s_wait_alu 0xf1ff
	v_xor_b32_e32 v3, s7, v3
	v_cmp_gt_i32_e64 s7, 0, v7
	v_and_b32_e32 v2, v2, v69
	v_not_b32_e32 v7, v67
	v_ashrrev_i32_e32 v5, 31, v5
	v_xor_b32_e32 v4, s8, v4
	v_cmp_gt_i32_e64 s8, 0, v67
	v_and_b32_e32 v2, v2, v3
	v_not_b32_e32 v3, v68
	v_ashrrev_i32_e32 v7, 31, v7
	s_wait_alu 0xf1ff
	v_xor_b32_e32 v5, s7, v5
	v_cmp_gt_i32_e64 s7, 0, v68
	v_and_b32_e32 v2, v2, v4
	v_not_b32_e32 v4, v6
	v_ashrrev_i32_e32 v3, 31, v3
	v_xor_b32_e32 v7, s8, v7
	v_cmp_gt_i32_e64 s8, 0, v6
	v_and_b32_e32 v2, v2, v5
	v_ashrrev_i32_e32 v4, 31, v4
	s_wait_alu 0xf1ff
	v_xor_b32_e32 v3, s7, v3
	v_lshl_add_u32 v69, v1, 2, v0
	v_and_b32_e32 v2, v2, v7
	v_xor_b32_e32 v0, s8, v4
	ds_load_b32 v67, v69 offset:4
	v_and_b32_e32 v1, v2, v3
	; wave barrier
	s_delay_alu instid0(VALU_DEP_1) | instskip(NEXT) | instid1(VALU_DEP_1)
	v_and_b32_e32 v0, v1, v0
	v_mbcnt_lo_u32_b32 v68, v0, 0
	v_cmp_ne_u32_e64 s8, 0, v0
	s_delay_alu instid0(VALU_DEP_2)
	v_cmp_eq_u32_e64 s7, 0, v68
	s_and_b32 s8, s8, s7
	s_wait_alu 0xfffe
	s_and_saveexec_b32 s7, s8
	s_cbranch_execz .LBB118_55
; %bb.54:
	s_wait_dscnt 0x0
	v_bcnt_u32_b32 v0, v0, v67
	ds_store_b32 v69, v0 offset:4
.LBB118_55:
	s_wait_alu 0xfffe
	s_or_b32 exec_lo, exec_lo, s7
	; wave barrier
	; wave barrier
	s_wait_loadcnt_dscnt 0x0
	global_inv scope:SCOPE_SE
	ds_load_2addr_b32 v[6:7], v31 offset0:1 offset1:2
	ds_load_2addr_b32 v[4:5], v31 offset0:3 offset1:4
	;; [unrolled: 1-line block ×4, first 2 shown]
	s_mov_b32 s8, exec_lo
	s_wait_dscnt 0x3
	v_add_nc_u32_e32 v70, v7, v6
	s_wait_dscnt 0x2
	s_delay_alu instid0(VALU_DEP_1) | instskip(SKIP_1) | instid1(VALU_DEP_1)
	v_add3_u32 v70, v70, v4, v5
	s_wait_dscnt 0x1
	v_add3_u32 v70, v70, v2, v3
	s_wait_dscnt 0x0
	s_delay_alu instid0(VALU_DEP_1) | instskip(SKIP_1) | instid1(VALU_DEP_2)
	v_add3_u32 v1, v70, v0, v1
	v_and_b32_e32 v70, 15, v30
	v_mov_b32_dpp v71, v1 row_shr:1 row_mask:0xf bank_mask:0xf
	s_delay_alu instid0(VALU_DEP_2) | instskip(SKIP_1) | instid1(VALU_DEP_1)
	v_cmp_ne_u32_e64 s7, 0, v70
	s_wait_alu 0xf1ff
	v_cndmask_b32_e64 v71, 0, v71, s7
	v_cmp_lt_u32_e64 s7, 1, v70
	s_delay_alu instid0(VALU_DEP_2) | instskip(NEXT) | instid1(VALU_DEP_1)
	v_add_nc_u32_e32 v1, v71, v1
	v_mov_b32_dpp v71, v1 row_shr:2 row_mask:0xf bank_mask:0xf
	s_wait_alu 0xf1ff
	s_delay_alu instid0(VALU_DEP_1) | instskip(SKIP_1) | instid1(VALU_DEP_2)
	v_cndmask_b32_e64 v71, 0, v71, s7
	v_cmp_lt_u32_e64 s7, 3, v70
	v_add_nc_u32_e32 v1, v1, v71
	s_delay_alu instid0(VALU_DEP_1) | instskip(SKIP_1) | instid1(VALU_DEP_1)
	v_mov_b32_dpp v71, v1 row_shr:4 row_mask:0xf bank_mask:0xf
	s_wait_alu 0xf1ff
	v_cndmask_b32_e64 v71, 0, v71, s7
	v_cmp_lt_u32_e64 s7, 7, v70
	s_delay_alu instid0(VALU_DEP_2) | instskip(NEXT) | instid1(VALU_DEP_1)
	v_add_nc_u32_e32 v1, v1, v71
	v_mov_b32_dpp v71, v1 row_shr:8 row_mask:0xf bank_mask:0xf
	s_wait_alu 0xf1ff
	s_delay_alu instid0(VALU_DEP_1) | instskip(SKIP_1) | instid1(VALU_DEP_2)
	v_cndmask_b32_e64 v70, 0, v71, s7
	v_bfe_i32 v71, v30, 4, 1
	v_add_nc_u32_e32 v1, v1, v70
	ds_swizzle_b32 v70, v1 offset:swizzle(BROADCAST,32,15)
	s_wait_dscnt 0x0
	v_and_b32_e32 v70, v71, v70
	s_delay_alu instid0(VALU_DEP_1)
	v_add_nc_u32_e32 v1, v1, v70
	v_cmpx_eq_u32_e32 31, v9
; %bb.56:
	v_mov_b32_e32 v70, 0
	ds_store_b32 v70, v1
; %bb.57:
	s_wait_alu 0xfffe
	s_or_b32 exec_lo, exec_lo, s8
	v_sub_co_u32 v70, s8, v30, 1
	; wave barrier
	s_wait_loadcnt_dscnt 0x0
	global_inv scope:SCOPE_SE
	v_cmp_gt_i32_e64 s7, 0, v70
	s_wait_alu 0xf1ff
	s_delay_alu instid0(VALU_DEP_1) | instskip(SKIP_1) | instid1(VALU_DEP_2)
	v_cndmask_b32_e64 v30, v70, v30, s7
	v_cmp_eq_u32_e64 s7, 0, v9
	v_lshlrev_b32_e32 v30, 2, v30
	s_or_b32 s7, s7, s8
	ds_bpermute_b32 v1, v30, v1
	v_cndmask_b32_e64 v30, 0, v50, s6
	s_wait_dscnt 0x0
	s_wait_alu 0xfffe
	v_cndmask_b32_e64 v1, v1, 0, s7
	s_delay_alu instid0(VALU_DEP_1) | instskip(NEXT) | instid1(VALU_DEP_1)
	v_add_nc_u32_e32 v6, v1, v6
	v_add_nc_u32_e32 v7, v6, v7
	s_delay_alu instid0(VALU_DEP_1) | instskip(NEXT) | instid1(VALU_DEP_1)
	v_add_nc_u32_e32 v4, v7, v4
	v_add_nc_u32_e32 v5, v4, v5
	;; [unrolled: 3-line block ×3, first 2 shown]
	s_delay_alu instid0(VALU_DEP_1)
	v_add_nc_u32_e32 v0, v3, v0
	ds_store_2addr_b32 v31, v1, v6 offset0:1 offset1:2
	ds_store_2addr_b32 v31, v7, v4 offset0:3 offset1:4
	;; [unrolled: 1-line block ×4, first 2 shown]
	; wave barrier
	s_wait_loadcnt_dscnt 0x0
	global_inv scope:SCOPE_SE
	ds_load_b32 v0, v58 offset:4
	ds_load_b32 v1, v61 offset:4
	;; [unrolled: 1-line block ×4, first 2 shown]
	v_cndmask_b32_e64 v6, 0, v38, s6
	v_cndmask_b32_e64 v7, 0, v47, s6
	;; [unrolled: 1-line block ×3, first 2 shown]
	; wave barrier
	s_wait_loadcnt_dscnt 0x0
	global_inv scope:SCOPE_SE
	v_cndmask_b32_e64 v4, 0, v34, s6
	v_cndmask_b32_e64 v5, 0, v35, s6
	;; [unrolled: 1-line block ×4, first 2 shown]
	v_add_nc_u32_e32 v38, v0, v56
	v_add3_u32 v47, v60, v59, v1
	v_add3_u32 v50, v64, v63, v2
	;; [unrolled: 1-line block ×3, first 2 shown]
	ds_store_b8 v38, v48
	ds_store_b8 v47, v57
	;; [unrolled: 1-line block ×4, first 2 shown]
	; wave barrier
	s_wait_loadcnt_dscnt 0x0
	global_inv scope:SCOPE_SE
	ds_load_b32 v28, v28
	v_cndmask_b32_e64 v0, v5, v15, s1
	v_cndmask_b32_e64 v1, v4, v14, s1
	;; [unrolled: 1-line block ×11, first 2 shown]
	v_cndmask_b32_e32 v1, v0, v11, vcc_lo
	v_cndmask_b32_e32 v0, v12, v10, vcc_lo
	v_cndmask_b32_e64 v6, v6, v54, s0
	v_cndmask_b32_e64 v4, v31, v46, s1
	v_dual_cndmask_b32 v3, v2, v39 :: v_dual_cndmask_b32 v2, v13, v17
	v_cndmask_b32_e64 v5, v30, v45, s1
	s_wait_loadcnt_dscnt 0x0
	v_lshrrev_b32_e32 v7, 16, v28
	v_and_b32_e32 v10, 0xffffff00, v28
	v_xor_b32_e32 v11, 0x7f, v28
	v_cndmask_b32_e64 v14, v5, v43, s0
	v_cndmask_b32_e64 v4, v4, v44, s0
	v_and_b32_e32 v12, 0xffffff00, v7
	v_xor_b32_e32 v7, 0x7f, v7
	v_xor_b32_e32 v10, 0x7f00, v10
	v_and_b32_e32 v11, 0xff, v11
	v_cndmask_b32_e32 v5, v4, v42, vcc_lo
	v_xor_b32_e32 v12, 0x7f00, v12
	v_and_b32_e32 v13, 0xff, v7
	v_cndmask_b32_e32 v7, v6, v32, vcc_lo
	v_cndmask_b32_e32 v6, v15, v8, vcc_lo
	v_or_b32_e32 v10, v11, v10
	v_lshlrev_b32_e32 v8, 3, v38
	v_or_b32_e32 v11, v13, v12
	v_lshlrev_b32_e32 v12, 3, v47
	v_cndmask_b32_e32 v4, v14, v16, vcc_lo
	v_and_b32_e32 v10, 0xffff, v10
	v_lshlrev_b32_e32 v13, 3, v50
	v_lshlrev_b32_e32 v11, 16, v11
	; wave barrier
	global_inv scope:SCOPE_SE
	ds_store_b64 v8, v[0:1]
	ds_store_b64 v12, v[2:3]
	v_lshlrev_b32_e32 v14, 3, v51
	ds_store_b64 v13, v[4:5]
	ds_store_b64 v14, v[6:7]
	v_or_b32_e32 v12, v10, v11
	; wave barrier
	s_wait_loadcnt_dscnt 0x0
	global_inv scope:SCOPE_SE
.LBB118_58:
	ds_load_b128 v[4:7], v29
	ds_load_b128 v[0:3], v29 offset:16
	; wave barrier
	s_wait_loadcnt_dscnt 0x0
	global_inv scope:SCOPE_SE
	ds_store_b32 v22, v12
	; wave barrier
	s_wait_loadcnt_dscnt 0x0
	global_inv scope:SCOPE_SE
	ds_load_u8 v13, v19 offset:32
	ds_load_u8 v12, v20 offset:64
	;; [unrolled: 1-line block ×3, first 2 shown]
	v_mad_co_u64_u32 v[10:11], null, s10, v9, s[14:15]
	s_wait_dscnt 0x1
	s_delay_alu instid0(VALU_DEP_1) | instskip(NEXT) | instid1(VALU_DEP_1)
	v_mad_co_u64_u32 v[14:15], null, s11, v9, v[11:12]
	v_mov_b32_e32 v11, v14
	s_and_saveexec_b32 s0, s2
	s_cbranch_execnz .LBB118_69
; %bb.59:
	s_wait_alu 0xfffe
	s_or_b32 exec_lo, exec_lo, s0
	s_and_saveexec_b32 s0, s3
	s_cbranch_execnz .LBB118_70
.LBB118_60:
	s_wait_alu 0xfffe
	s_or_b32 exec_lo, exec_lo, s0
	s_and_saveexec_b32 s0, s4
	s_cbranch_execnz .LBB118_71
.LBB118_61:
	s_wait_alu 0xfffe
	s_or_b32 exec_lo, exec_lo, s0
	s_and_saveexec_b32 s0, s5
	s_cbranch_execz .LBB118_63
.LBB118_62:
	v_mad_co_u64_u32 v[10:11], null, 0x60, s10, v[10:11]
	s_delay_alu instid0(VALU_DEP_1)
	v_mad_co_u64_u32 v[11:12], null, 0x60, s11, v[11:12]
	s_wait_dscnt 0x0
	global_store_b8 v[10:11], v8, off
.LBB118_63:
	s_wait_alu 0xfffe
	s_or_b32 exec_lo, exec_lo, s0
	v_mad_co_u64_u32 v[10:11], null, s12, v9, 0
	s_wait_storecnt 0x0
	; wave barrier
	s_wait_loadcnt_dscnt 0x0
	global_inv scope:SCOPE_SE
	ds_store_2addr_b64 v27, v[4:5], v[6:7] offset1:1
	ds_store_2addr_b64 v27, v[0:1], v[2:3] offset0:2 offset1:3
	; wave barrier
	s_wait_loadcnt_dscnt 0x0
	global_inv scope:SCOPE_SE
	ds_load_b64 v[6:7], v24 offset:256
	ds_load_b64 v[4:5], v25 offset:512
	;; [unrolled: 1-line block ×3, first 2 shown]
	v_mov_b32_e32 v8, v11
	s_delay_alu instid0(VALU_DEP_1) | instskip(NEXT) | instid1(VALU_DEP_1)
	v_mad_co_u64_u32 v[8:9], null, s13, v9, v[8:9]
	v_mov_b32_e32 v11, v8
	s_delay_alu instid0(VALU_DEP_1) | instskip(NEXT) | instid1(VALU_DEP_1)
	v_lshlrev_b64_e32 v[2:3], 3, v[10:11]
	v_add_co_u32 v2, vcc_lo, s16, v2
	s_wait_alu 0xfffd
	s_delay_alu instid0(VALU_DEP_2)
	v_add_co_ci_u32_e64 v3, null, s17, v3, vcc_lo
	s_and_saveexec_b32 s0, s2
	s_cbranch_execnz .LBB118_72
; %bb.64:
	s_wait_alu 0xfffe
	s_or_b32 exec_lo, exec_lo, s0
	s_and_saveexec_b32 s0, s3
	s_cbranch_execnz .LBB118_73
.LBB118_65:
	s_wait_alu 0xfffe
	s_or_b32 exec_lo, exec_lo, s0
	s_and_saveexec_b32 s0, s4
	s_cbranch_execnz .LBB118_74
.LBB118_66:
	s_wait_alu 0xfffe
	s_or_b32 exec_lo, exec_lo, s0
	s_and_saveexec_b32 s0, s5
	s_cbranch_execz .LBB118_68
.LBB118_67:
	v_mad_co_u64_u32 v[2:3], null, 0x300, s12, v[2:3]
	s_wait_dscnt 0x1
	s_delay_alu instid0(VALU_DEP_1)
	v_mad_co_u64_u32 v[3:4], null, 0x300, s13, v[3:4]
	s_wait_dscnt 0x0
	global_store_b64 v[2:3], v[0:1], off
.LBB118_68:
	s_endpgm
.LBB118_69:
	ds_load_u8 v14, v18
	s_wait_dscnt 0x0
	global_store_b8 v[10:11], v14, off
	s_wait_alu 0xfffe
	s_or_b32 exec_lo, exec_lo, s0
	s_and_saveexec_b32 s0, s3
	s_cbranch_execz .LBB118_60
.LBB118_70:
	s_lshl_b64 s[6:7], s[10:11], 5
	s_wait_alu 0xfffe
	v_add_co_u32 v14, vcc_lo, v10, s6
	s_wait_alu 0xfffd
	v_add_co_ci_u32_e64 v15, null, s7, v11, vcc_lo
	global_store_b8 v[14:15], v13, off
	s_or_b32 exec_lo, exec_lo, s0
	s_and_saveexec_b32 s0, s4
	s_cbranch_execz .LBB118_61
.LBB118_71:
	s_lshl_b64 s[6:7], s[10:11], 6
	s_wait_alu 0xfffe
	v_add_co_u32 v13, vcc_lo, v10, s6
	s_wait_alu 0xfffd
	v_add_co_ci_u32_e64 v14, null, s7, v11, vcc_lo
	global_store_b8 v[13:14], v12, off
	s_or_b32 exec_lo, exec_lo, s0
	s_and_saveexec_b32 s0, s5
	s_cbranch_execnz .LBB118_62
	s_branch .LBB118_63
.LBB118_72:
	ds_load_b64 v[8:9], v23
	s_wait_dscnt 0x0
	global_store_b64 v[2:3], v[8:9], off
	s_wait_alu 0xfffe
	s_or_b32 exec_lo, exec_lo, s0
	s_and_saveexec_b32 s0, s3
	s_cbranch_execz .LBB118_65
.LBB118_73:
	s_lshl_b64 s[2:3], s[12:13], 8
	s_wait_alu 0xfffe
	v_add_co_u32 v8, vcc_lo, v2, s2
	s_wait_alu 0xfffd
	v_add_co_ci_u32_e64 v9, null, s3, v3, vcc_lo
	s_wait_dscnt 0x2
	global_store_b64 v[8:9], v[6:7], off
	s_or_b32 exec_lo, exec_lo, s0
	s_and_saveexec_b32 s0, s4
	s_cbranch_execz .LBB118_66
.LBB118_74:
	s_lshl_b64 s[2:3], s[12:13], 9
	s_wait_dscnt 0x2
	s_wait_alu 0xfffe
	v_add_co_u32 v6, vcc_lo, v2, s2
	s_wait_alu 0xfffd
	v_add_co_ci_u32_e64 v7, null, s3, v3, vcc_lo
	s_wait_dscnt 0x1
	global_store_b64 v[6:7], v[4:5], off
	s_or_b32 exec_lo, exec_lo, s0
	s_and_saveexec_b32 s0, s5
	s_cbranch_execnz .LBB118_67
	s_branch .LBB118_68
	.section	.rodata,"a",@progbits
	.p2align	6, 0x0
	.amdhsa_kernel _ZN2at6native18radixSortKVInPlaceILin1ELin1ELi32ELi4EalmEEvNS_4cuda6detail10TensorInfoIT3_T5_EES6_S6_S6_NS4_IT4_S6_EES6_b
		.amdhsa_group_segment_fixed_size 1056
		.amdhsa_private_segment_fixed_size 0
		.amdhsa_kernarg_size 1128
		.amdhsa_user_sgpr_count 2
		.amdhsa_user_sgpr_dispatch_ptr 0
		.amdhsa_user_sgpr_queue_ptr 0
		.amdhsa_user_sgpr_kernarg_segment_ptr 1
		.amdhsa_user_sgpr_dispatch_id 0
		.amdhsa_user_sgpr_private_segment_size 0
		.amdhsa_wavefront_size32 1
		.amdhsa_uses_dynamic_stack 0
		.amdhsa_enable_private_segment 0
		.amdhsa_system_sgpr_workgroup_id_x 1
		.amdhsa_system_sgpr_workgroup_id_y 1
		.amdhsa_system_sgpr_workgroup_id_z 1
		.amdhsa_system_sgpr_workgroup_info 0
		.amdhsa_system_vgpr_workitem_id 2
		.amdhsa_next_free_vgpr 88
		.amdhsa_next_free_sgpr 36
		.amdhsa_reserve_vcc 1
		.amdhsa_float_round_mode_32 0
		.amdhsa_float_round_mode_16_64 0
		.amdhsa_float_denorm_mode_32 3
		.amdhsa_float_denorm_mode_16_64 3
		.amdhsa_fp16_overflow 0
		.amdhsa_workgroup_processor_mode 1
		.amdhsa_memory_ordered 1
		.amdhsa_forward_progress 1
		.amdhsa_inst_pref_size 89
		.amdhsa_round_robin_scheduling 0
		.amdhsa_exception_fp_ieee_invalid_op 0
		.amdhsa_exception_fp_denorm_src 0
		.amdhsa_exception_fp_ieee_div_zero 0
		.amdhsa_exception_fp_ieee_overflow 0
		.amdhsa_exception_fp_ieee_underflow 0
		.amdhsa_exception_fp_ieee_inexact 0
		.amdhsa_exception_int_div_zero 0
	.end_amdhsa_kernel
	.section	.text._ZN2at6native18radixSortKVInPlaceILin1ELin1ELi32ELi4EalmEEvNS_4cuda6detail10TensorInfoIT3_T5_EES6_S6_S6_NS4_IT4_S6_EES6_b,"axG",@progbits,_ZN2at6native18radixSortKVInPlaceILin1ELin1ELi32ELi4EalmEEvNS_4cuda6detail10TensorInfoIT3_T5_EES6_S6_S6_NS4_IT4_S6_EES6_b,comdat
.Lfunc_end118:
	.size	_ZN2at6native18radixSortKVInPlaceILin1ELin1ELi32ELi4EalmEEvNS_4cuda6detail10TensorInfoIT3_T5_EES6_S6_S6_NS4_IT4_S6_EES6_b, .Lfunc_end118-_ZN2at6native18radixSortKVInPlaceILin1ELin1ELi32ELi4EalmEEvNS_4cuda6detail10TensorInfoIT3_T5_EES6_S6_S6_NS4_IT4_S6_EES6_b
                                        ; -- End function
	.set _ZN2at6native18radixSortKVInPlaceILin1ELin1ELi32ELi4EalmEEvNS_4cuda6detail10TensorInfoIT3_T5_EES6_S6_S6_NS4_IT4_S6_EES6_b.num_vgpr, 88
	.set _ZN2at6native18radixSortKVInPlaceILin1ELin1ELi32ELi4EalmEEvNS_4cuda6detail10TensorInfoIT3_T5_EES6_S6_S6_NS4_IT4_S6_EES6_b.num_agpr, 0
	.set _ZN2at6native18radixSortKVInPlaceILin1ELin1ELi32ELi4EalmEEvNS_4cuda6detail10TensorInfoIT3_T5_EES6_S6_S6_NS4_IT4_S6_EES6_b.numbered_sgpr, 36
	.set _ZN2at6native18radixSortKVInPlaceILin1ELin1ELi32ELi4EalmEEvNS_4cuda6detail10TensorInfoIT3_T5_EES6_S6_S6_NS4_IT4_S6_EES6_b.num_named_barrier, 0
	.set _ZN2at6native18radixSortKVInPlaceILin1ELin1ELi32ELi4EalmEEvNS_4cuda6detail10TensorInfoIT3_T5_EES6_S6_S6_NS4_IT4_S6_EES6_b.private_seg_size, 0
	.set _ZN2at6native18radixSortKVInPlaceILin1ELin1ELi32ELi4EalmEEvNS_4cuda6detail10TensorInfoIT3_T5_EES6_S6_S6_NS4_IT4_S6_EES6_b.uses_vcc, 1
	.set _ZN2at6native18radixSortKVInPlaceILin1ELin1ELi32ELi4EalmEEvNS_4cuda6detail10TensorInfoIT3_T5_EES6_S6_S6_NS4_IT4_S6_EES6_b.uses_flat_scratch, 0
	.set _ZN2at6native18radixSortKVInPlaceILin1ELin1ELi32ELi4EalmEEvNS_4cuda6detail10TensorInfoIT3_T5_EES6_S6_S6_NS4_IT4_S6_EES6_b.has_dyn_sized_stack, 0
	.set _ZN2at6native18radixSortKVInPlaceILin1ELin1ELi32ELi4EalmEEvNS_4cuda6detail10TensorInfoIT3_T5_EES6_S6_S6_NS4_IT4_S6_EES6_b.has_recursion, 0
	.set _ZN2at6native18radixSortKVInPlaceILin1ELin1ELi32ELi4EalmEEvNS_4cuda6detail10TensorInfoIT3_T5_EES6_S6_S6_NS4_IT4_S6_EES6_b.has_indirect_call, 0
	.section	.AMDGPU.csdata,"",@progbits
; Kernel info:
; codeLenInByte = 11324
; TotalNumSgprs: 38
; NumVgprs: 88
; ScratchSize: 0
; MemoryBound: 0
; FloatMode: 240
; IeeeMode: 1
; LDSByteSize: 1056 bytes/workgroup (compile time only)
; SGPRBlocks: 0
; VGPRBlocks: 10
; NumSGPRsForWavesPerEU: 38
; NumVGPRsForWavesPerEU: 88
; Occupancy: 16
; WaveLimiterHint : 1
; COMPUTE_PGM_RSRC2:SCRATCH_EN: 0
; COMPUTE_PGM_RSRC2:USER_SGPR: 2
; COMPUTE_PGM_RSRC2:TRAP_HANDLER: 0
; COMPUTE_PGM_RSRC2:TGID_X_EN: 1
; COMPUTE_PGM_RSRC2:TGID_Y_EN: 1
; COMPUTE_PGM_RSRC2:TGID_Z_EN: 1
; COMPUTE_PGM_RSRC2:TIDIG_COMP_CNT: 2
	.section	.text._ZN2at6native18radixSortKVInPlaceILin1ELin1ELi16ELi2EalmEEvNS_4cuda6detail10TensorInfoIT3_T5_EES6_S6_S6_NS4_IT4_S6_EES6_b,"axG",@progbits,_ZN2at6native18radixSortKVInPlaceILin1ELin1ELi16ELi2EalmEEvNS_4cuda6detail10TensorInfoIT3_T5_EES6_S6_S6_NS4_IT4_S6_EES6_b,comdat
	.protected	_ZN2at6native18radixSortKVInPlaceILin1ELin1ELi16ELi2EalmEEvNS_4cuda6detail10TensorInfoIT3_T5_EES6_S6_S6_NS4_IT4_S6_EES6_b ; -- Begin function _ZN2at6native18radixSortKVInPlaceILin1ELin1ELi16ELi2EalmEEvNS_4cuda6detail10TensorInfoIT3_T5_EES6_S6_S6_NS4_IT4_S6_EES6_b
	.globl	_ZN2at6native18radixSortKVInPlaceILin1ELin1ELi16ELi2EalmEEvNS_4cuda6detail10TensorInfoIT3_T5_EES6_S6_S6_NS4_IT4_S6_EES6_b
	.p2align	8
	.type	_ZN2at6native18radixSortKVInPlaceILin1ELin1ELi16ELi2EalmEEvNS_4cuda6detail10TensorInfoIT3_T5_EES6_S6_S6_NS4_IT4_S6_EES6_b,@function
_ZN2at6native18radixSortKVInPlaceILin1ELin1ELi16ELi2EalmEEvNS_4cuda6detail10TensorInfoIT3_T5_EES6_S6_S6_NS4_IT4_S6_EES6_b: ; @_ZN2at6native18radixSortKVInPlaceILin1ELin1ELi16ELi2EalmEEvNS_4cuda6detail10TensorInfoIT3_T5_EES6_S6_S6_NS4_IT4_S6_EES6_b
; %bb.0:
	s_clause 0x1
	s_load_b64 s[2:3], s[0:1], 0x368
	s_load_b128 s[4:7], s[0:1], 0x1a0
	s_wait_kmcnt 0x0
	s_lshr_b32 s7, ttmp7, 16
	s_and_b32 s8, ttmp7, 0xffff
	s_mul_i32 s3, s3, s7
	s_delay_alu instid0(SALU_CYCLE_1) | instskip(NEXT) | instid1(SALU_CYCLE_1)
	s_add_co_i32 s3, s3, s8
	s_mul_i32 s2, s3, s2
	s_mov_b32 s3, 0
	s_add_co_i32 s2, s2, ttmp9
	s_delay_alu instid0(SALU_CYCLE_1)
	v_cmp_le_u64_e64 s4, s[4:5], s[2:3]
	s_and_b32 vcc_lo, exec_lo, s4
	s_cbranch_vccnz .LBB119_82
; %bb.1:
	s_clause 0x1
	s_load_b32 s7, s[0:1], 0x198
	s_load_b64 s[8:9], s[0:1], 0x1b0
	s_mov_b64 s[4:5], 0
	s_mov_b64 s[10:11], s[2:3]
	s_wait_kmcnt 0x0
	s_cmp_lt_i32 s7, 2
	s_cbranch_scc1 .LBB119_9
; %bb.2:
	s_mov_b32 s12, 0
	s_add_co_i32 s4, s7, -1
	s_mov_b32 s5, s12
	s_add_co_i32 s7, s7, 1
	s_wait_alu 0xfffe
	s_lshl_b64 s[4:5], s[4:5], 3
	s_mov_b64 s[16:17], s[2:3]
	s_wait_alu 0xfffe
	s_add_nc_u64 s[10:11], s[0:1], s[4:5]
	s_mov_b64 s[4:5], 0
	s_add_nc_u64 s[14:15], s[10:11], 8
.LBB119_3:                              ; =>This Inner Loop Header: Depth=1
	s_load_b64 s[18:19], s[14:15], 0x0
	s_wait_kmcnt 0x0
	s_or_b64 s[10:11], s[16:17], s[18:19]
	s_wait_alu 0xfffe
	s_mov_b32 s13, s11
                                        ; implicit-def: $sgpr10_sgpr11
	s_delay_alu instid0(SALU_CYCLE_1)
	s_cmp_lg_u64 s[12:13], 0
	s_mov_b32 s13, -1
	s_cbranch_scc0 .LBB119_5
; %bb.4:                                ;   in Loop: Header=BB119_3 Depth=1
	s_cvt_f32_u32 s10, s18
	s_cvt_f32_u32 s11, s19
	s_sub_nc_u64 s[20:21], 0, s[18:19]
	s_mov_b32 s23, s12
	s_mov_b32 s27, s12
	s_wait_alu 0xfffe
	s_fmamk_f32 s10, s11, 0x4f800000, s10
	s_wait_alu 0xfffe
	s_delay_alu instid0(SALU_CYCLE_2) | instskip(NEXT) | instid1(TRANS32_DEP_1)
	v_s_rcp_f32 s10, s10
	s_mul_f32 s10, s10, 0x5f7ffffc
	s_wait_alu 0xfffe
	s_delay_alu instid0(SALU_CYCLE_2) | instskip(SKIP_1) | instid1(SALU_CYCLE_2)
	s_mul_f32 s11, s10, 0x2f800000
	s_wait_alu 0xfffe
	s_trunc_f32 s11, s11
	s_wait_alu 0xfffe
	s_delay_alu instid0(SALU_CYCLE_2) | instskip(SKIP_2) | instid1(SALU_CYCLE_1)
	s_fmamk_f32 s10, s11, 0xcf800000, s10
	s_cvt_u32_f32 s11, s11
	s_wait_alu 0xfffe
	s_cvt_u32_f32 s10, s10
	s_wait_alu 0xfffe
	s_delay_alu instid0(SALU_CYCLE_2) | instskip(NEXT) | instid1(SALU_CYCLE_1)
	s_mul_u64 s[24:25], s[20:21], s[10:11]
	s_mul_hi_u32 s29, s10, s25
	s_mul_i32 s28, s10, s25
	s_mul_hi_u32 s22, s10, s24
	s_mul_i32 s26, s11, s24
	s_add_nc_u64 s[22:23], s[22:23], s[28:29]
	s_mul_hi_u32 s13, s11, s24
	s_mul_hi_u32 s30, s11, s25
	s_add_co_u32 s22, s22, s26
	s_add_co_ci_u32 s26, s23, s13
	s_mul_i32 s24, s11, s25
	s_add_co_ci_u32 s25, s30, 0
	s_delay_alu instid0(SALU_CYCLE_1) | instskip(SKIP_3) | instid1(SALU_CYCLE_1)
	s_add_nc_u64 s[22:23], s[26:27], s[24:25]
	s_mov_b32 s25, s12
	s_add_co_u32 s10, s10, s22
	s_cselect_b32 s13, -1, 0
	s_cmp_lg_u32 s13, 0
	s_add_co_ci_u32 s11, s11, s23
	s_mov_b32 s23, s12
	s_wait_alu 0xfffe
	s_mul_u64 s[20:21], s[20:21], s[10:11]
	s_delay_alu instid0(SALU_CYCLE_1)
	s_mul_hi_u32 s27, s10, s21
	s_mul_i32 s26, s10, s21
	s_mul_hi_u32 s22, s10, s20
	s_mul_i32 s24, s11, s20
	s_add_nc_u64 s[22:23], s[22:23], s[26:27]
	s_mul_hi_u32 s13, s11, s20
	s_mul_hi_u32 s28, s11, s21
	s_mul_i32 s20, s11, s21
	s_add_co_u32 s21, s22, s24
	s_add_co_ci_u32 s24, s23, s13
	s_add_co_ci_u32 s21, s28, 0
	s_mov_b32 s23, s12
	s_add_nc_u64 s[20:21], s[24:25], s[20:21]
	s_delay_alu instid0(SALU_CYCLE_1)
	s_add_co_u32 s10, s10, s20
	s_cselect_b32 s13, -1, 0
	s_wait_alu 0xfffe
	s_mul_hi_u32 s22, s16, s10
	s_cmp_lg_u32 s13, 0
	s_mul_hi_u32 s13, s17, s10
	s_add_co_ci_u32 s20, s11, s21
	s_mul_i32 s21, s17, s10
	s_mul_hi_u32 s11, s16, s20
	s_mul_i32 s10, s16, s20
	s_mul_hi_u32 s26, s17, s20
	s_wait_alu 0xfffe
	s_add_nc_u64 s[10:11], s[22:23], s[10:11]
	s_mul_i32 s20, s17, s20
	s_wait_alu 0xfffe
	s_add_co_u32 s10, s10, s21
	s_add_co_ci_u32 s24, s11, s13
	s_add_co_ci_u32 s21, s26, 0
	s_delay_alu instid0(SALU_CYCLE_1) | instskip(SKIP_2) | instid1(SALU_CYCLE_1)
	s_add_nc_u64 s[10:11], s[24:25], s[20:21]
	s_wait_alu 0xfffe
	s_mul_u64 s[20:21], s[18:19], s[10:11]
	s_sub_co_u32 s13, s16, s20
	s_cselect_b32 s20, -1, 0
	s_sub_co_i32 s22, s17, s21
	s_cmp_lg_u32 s20, 0
	s_sub_co_ci_u32 s22, s22, s19
	s_sub_co_u32 s23, s13, s18
	s_cselect_b32 s24, -1, 0
	s_delay_alu instid0(SALU_CYCLE_1) | instskip(SKIP_1) | instid1(SALU_CYCLE_1)
	s_cmp_lg_u32 s24, 0
	s_sub_co_ci_u32 s22, s22, 0
	s_cmp_ge_u32 s22, s19
	s_cselect_b32 s24, -1, 0
	s_cmp_ge_u32 s23, s18
	s_cselect_b32 s25, -1, 0
	s_cmp_eq_u32 s22, s19
	s_add_nc_u64 s[22:23], s[10:11], 1
	s_cselect_b32 s26, s25, s24
	s_add_nc_u64 s[24:25], s[10:11], 2
	s_cmp_lg_u32 s26, 0
	s_cselect_b32 s22, s24, s22
	s_cselect_b32 s23, s25, s23
	s_cmp_lg_u32 s20, 0
	s_sub_co_ci_u32 s20, s17, s21
	s_delay_alu instid0(SALU_CYCLE_1)
	s_cmp_ge_u32 s20, s19
	s_cselect_b32 s21, -1, 0
	s_cmp_ge_u32 s13, s18
	s_cselect_b32 s13, -1, 0
	s_cmp_eq_u32 s20, s19
	s_cselect_b32 s13, s13, s21
	s_delay_alu instid0(SALU_CYCLE_1)
	s_cmp_lg_u32 s13, 0
	s_mov_b32 s13, 0
	s_cselect_b32 s11, s23, s11
	s_cselect_b32 s10, s22, s10
.LBB119_5:                              ;   in Loop: Header=BB119_3 Depth=1
	s_and_not1_b32 vcc_lo, exec_lo, s13
	s_cbranch_vccnz .LBB119_7
; %bb.6:                                ;   in Loop: Header=BB119_3 Depth=1
	v_cvt_f32_u32_e32 v1, s18
	s_sub_co_i32 s11, 0, s18
	s_delay_alu instid0(VALU_DEP_1) | instskip(NEXT) | instid1(TRANS32_DEP_1)
	v_rcp_iflag_f32_e32 v1, v1
	v_mul_f32_e32 v1, 0x4f7ffffe, v1
	s_delay_alu instid0(VALU_DEP_1) | instskip(NEXT) | instid1(VALU_DEP_1)
	v_cvt_u32_f32_e32 v1, v1
	v_readfirstlane_b32 s10, v1
	s_wait_alu 0xfffe
	s_mul_i32 s11, s11, s10
	s_wait_alu 0xfffe
	s_mul_hi_u32 s11, s10, s11
	s_wait_alu 0xfffe
	s_add_co_i32 s10, s10, s11
	s_wait_alu 0xfffe
	s_mul_hi_u32 s10, s16, s10
	s_wait_alu 0xfffe
	s_mul_i32 s11, s10, s18
	s_add_co_i32 s13, s10, 1
	s_wait_alu 0xfffe
	s_sub_co_i32 s11, s16, s11
	s_wait_alu 0xfffe
	s_sub_co_i32 s20, s11, s18
	s_cmp_ge_u32 s11, s18
	s_cselect_b32 s10, s13, s10
	s_cselect_b32 s11, s20, s11
	s_wait_alu 0xfffe
	s_add_co_i32 s13, s10, 1
	s_cmp_ge_u32 s11, s18
	s_mov_b32 s11, s12
	s_cselect_b32 s10, s13, s10
.LBB119_7:                              ;   in Loop: Header=BB119_3 Depth=1
	s_load_b64 s[20:21], s[14:15], 0xc8
	s_mul_u64 s[18:19], s[10:11], s[18:19]
	s_add_co_i32 s7, s7, -1
	s_wait_alu 0xfffe
	s_sub_nc_u64 s[16:17], s[16:17], s[18:19]
	s_cmp_gt_u32 s7, 2
	s_add_nc_u64 s[14:15], s[14:15], -8
	s_wait_kmcnt 0x0
	s_mul_u64 s[16:17], s[20:21], s[16:17]
	s_delay_alu instid0(SALU_CYCLE_1)
	s_add_nc_u64 s[4:5], s[16:17], s[4:5]
	s_cbranch_scc0 .LBB119_9
; %bb.8:                                ;   in Loop: Header=BB119_3 Depth=1
	s_mov_b64 s[16:17], s[10:11]
	s_branch .LBB119_3
.LBB119_9:
	s_load_b32 s7, s[0:1], 0x350
	s_mov_b64 s[14:15], 0
	s_wait_kmcnt 0x0
	s_cmp_lt_i32 s7, 2
	s_cbranch_scc1 .LBB119_17
; %bb.10:
	s_mov_b32 s12, 0
	s_add_co_i32 s14, s7, -1
	s_mov_b32 s15, s12
	s_add_co_i32 s7, s7, 1
	s_lshl_b64 s[14:15], s[14:15], 3
	s_delay_alu instid0(SALU_CYCLE_1) | instskip(NEXT) | instid1(SALU_CYCLE_1)
	s_add_nc_u64 s[14:15], s[0:1], s[14:15]
	s_add_nc_u64 s[16:17], s[14:15], 0x1c0
	s_mov_b64 s[14:15], 0
.LBB119_11:                             ; =>This Inner Loop Header: Depth=1
	s_load_b64 s[18:19], s[16:17], 0x0
	s_wait_kmcnt 0x0
	s_or_b64 s[20:21], s[2:3], s[18:19]
	s_delay_alu instid0(SALU_CYCLE_1)
	s_mov_b32 s13, s21
                                        ; implicit-def: $sgpr20_sgpr21
	s_wait_alu 0xfffe
	s_cmp_lg_u64 s[12:13], 0
	s_mov_b32 s13, -1
	s_cbranch_scc0 .LBB119_13
; %bb.12:                               ;   in Loop: Header=BB119_11 Depth=1
	s_cvt_f32_u32 s13, s18
	s_cvt_f32_u32 s20, s19
	s_sub_nc_u64 s[22:23], 0, s[18:19]
	s_mov_b32 s25, s12
	s_mov_b32 s29, s12
	s_wait_alu 0xfffe
	s_fmamk_f32 s13, s20, 0x4f800000, s13
	s_wait_alu 0xfffe
	s_delay_alu instid0(SALU_CYCLE_2) | instskip(NEXT) | instid1(TRANS32_DEP_1)
	v_s_rcp_f32 s13, s13
	s_mul_f32 s13, s13, 0x5f7ffffc
	s_wait_alu 0xfffe
	s_delay_alu instid0(SALU_CYCLE_2) | instskip(NEXT) | instid1(SALU_CYCLE_3)
	s_mul_f32 s20, s13, 0x2f800000
	s_trunc_f32 s20, s20
	s_delay_alu instid0(SALU_CYCLE_3) | instskip(SKIP_2) | instid1(SALU_CYCLE_1)
	s_fmamk_f32 s13, s20, 0xcf800000, s13
	s_cvt_u32_f32 s21, s20
	s_wait_alu 0xfffe
	s_cvt_u32_f32 s20, s13
	s_delay_alu instid0(SALU_CYCLE_3) | instskip(NEXT) | instid1(SALU_CYCLE_1)
	s_mul_u64 s[26:27], s[22:23], s[20:21]
	s_mul_hi_u32 s31, s20, s27
	s_mul_i32 s30, s20, s27
	s_mul_hi_u32 s24, s20, s26
	s_mul_i32 s28, s21, s26
	s_add_nc_u64 s[24:25], s[24:25], s[30:31]
	s_mul_hi_u32 s13, s21, s26
	s_mul_hi_u32 s33, s21, s27
	s_add_co_u32 s24, s24, s28
	s_wait_alu 0xfffe
	s_add_co_ci_u32 s28, s25, s13
	s_mul_i32 s26, s21, s27
	s_add_co_ci_u32 s27, s33, 0
	s_delay_alu instid0(SALU_CYCLE_1)
	s_add_nc_u64 s[24:25], s[28:29], s[26:27]
	s_mov_b32 s27, s12
	s_add_co_u32 s20, s20, s24
	s_cselect_b32 s13, -1, 0
	s_wait_alu 0xfffe
	s_cmp_lg_u32 s13, 0
	s_add_co_ci_u32 s21, s21, s25
	s_mov_b32 s25, s12
	s_mul_u64 s[22:23], s[22:23], s[20:21]
	s_delay_alu instid0(SALU_CYCLE_1)
	s_mul_hi_u32 s29, s20, s23
	s_mul_i32 s28, s20, s23
	s_mul_hi_u32 s24, s20, s22
	s_mul_i32 s26, s21, s22
	s_add_nc_u64 s[24:25], s[24:25], s[28:29]
	s_mul_hi_u32 s13, s21, s22
	s_mul_hi_u32 s30, s21, s23
	s_mul_i32 s22, s21, s23
	s_add_co_u32 s23, s24, s26
	s_wait_alu 0xfffe
	s_add_co_ci_u32 s26, s25, s13
	s_add_co_ci_u32 s23, s30, 0
	s_mov_b32 s25, s12
	s_add_nc_u64 s[22:23], s[26:27], s[22:23]
	s_delay_alu instid0(SALU_CYCLE_1)
	s_add_co_u32 s13, s20, s22
	s_cselect_b32 s20, -1, 0
	s_wait_alu 0xfffe
	s_mul_hi_u32 s24, s2, s13
	s_cmp_lg_u32 s20, 0
	s_mul_hi_u32 s26, s3, s13
	s_add_co_ci_u32 s22, s21, s23
	s_mul_i32 s13, s3, s13
	s_mul_hi_u32 s21, s2, s22
	s_mul_i32 s20, s2, s22
	s_mul_hi_u32 s23, s3, s22
	s_add_nc_u64 s[20:21], s[24:25], s[20:21]
	s_mul_i32 s22, s3, s22
	s_wait_alu 0xfffe
	s_add_co_u32 s13, s20, s13
	s_add_co_ci_u32 s26, s21, s26
	s_add_co_ci_u32 s23, s23, 0
	s_delay_alu instid0(SALU_CYCLE_1) | instskip(NEXT) | instid1(SALU_CYCLE_1)
	s_add_nc_u64 s[20:21], s[26:27], s[22:23]
	s_mul_u64 s[22:23], s[18:19], s[20:21]
	s_delay_alu instid0(SALU_CYCLE_1)
	s_sub_co_u32 s13, s2, s22
	s_cselect_b32 s22, -1, 0
	s_sub_co_i32 s24, s3, s23
	s_cmp_lg_u32 s22, 0
	s_sub_co_ci_u32 s24, s24, s19
	s_wait_alu 0xfffe
	s_sub_co_u32 s25, s13, s18
	s_cselect_b32 s26, -1, 0
	s_delay_alu instid0(SALU_CYCLE_1) | instskip(SKIP_1) | instid1(SALU_CYCLE_1)
	s_cmp_lg_u32 s26, 0
	s_sub_co_ci_u32 s24, s24, 0
	s_cmp_ge_u32 s24, s19
	s_cselect_b32 s26, -1, 0
	s_cmp_ge_u32 s25, s18
	s_cselect_b32 s27, -1, 0
	s_cmp_eq_u32 s24, s19
	s_add_nc_u64 s[24:25], s[20:21], 1
	s_cselect_b32 s28, s27, s26
	s_add_nc_u64 s[26:27], s[20:21], 2
	s_cmp_lg_u32 s28, 0
	s_cselect_b32 s24, s26, s24
	s_cselect_b32 s25, s27, s25
	s_cmp_lg_u32 s22, 0
	s_sub_co_ci_u32 s22, s3, s23
	s_delay_alu instid0(SALU_CYCLE_1)
	s_cmp_ge_u32 s22, s19
	s_cselect_b32 s23, -1, 0
	s_cmp_ge_u32 s13, s18
	s_cselect_b32 s13, -1, 0
	s_cmp_eq_u32 s22, s19
	s_wait_alu 0xfffe
	s_cselect_b32 s13, s13, s23
	s_wait_alu 0xfffe
	s_cmp_lg_u32 s13, 0
	s_mov_b32 s13, 0
	s_cselect_b32 s21, s25, s21
	s_cselect_b32 s20, s24, s20
.LBB119_13:                             ;   in Loop: Header=BB119_11 Depth=1
	s_wait_alu 0xfffe
	s_and_not1_b32 vcc_lo, exec_lo, s13
	s_cbranch_vccnz .LBB119_15
; %bb.14:                               ;   in Loop: Header=BB119_11 Depth=1
	v_cvt_f32_u32_e32 v1, s18
	s_sub_co_i32 s20, 0, s18
	s_delay_alu instid0(VALU_DEP_1) | instskip(NEXT) | instid1(TRANS32_DEP_1)
	v_rcp_iflag_f32_e32 v1, v1
	v_mul_f32_e32 v1, 0x4f7ffffe, v1
	s_delay_alu instid0(VALU_DEP_1) | instskip(NEXT) | instid1(VALU_DEP_1)
	v_cvt_u32_f32_e32 v1, v1
	v_readfirstlane_b32 s13, v1
	s_mul_i32 s20, s20, s13
	s_delay_alu instid0(SALU_CYCLE_1) | instskip(NEXT) | instid1(SALU_CYCLE_1)
	s_mul_hi_u32 s20, s13, s20
	s_add_co_i32 s13, s13, s20
	s_wait_alu 0xfffe
	s_mul_hi_u32 s13, s2, s13
	s_wait_alu 0xfffe
	s_mul_i32 s20, s13, s18
	s_add_co_i32 s21, s13, 1
	s_sub_co_i32 s20, s2, s20
	s_delay_alu instid0(SALU_CYCLE_1)
	s_sub_co_i32 s22, s20, s18
	s_cmp_ge_u32 s20, s18
	s_cselect_b32 s13, s21, s13
	s_cselect_b32 s20, s22, s20
	s_wait_alu 0xfffe
	s_add_co_i32 s21, s13, 1
	s_cmp_ge_u32 s20, s18
	s_cselect_b32 s20, s21, s13
	s_mov_b32 s21, s12
.LBB119_15:                             ;   in Loop: Header=BB119_11 Depth=1
	s_load_b64 s[22:23], s[16:17], 0xc8
	s_mul_u64 s[18:19], s[20:21], s[18:19]
	s_add_co_i32 s7, s7, -1
	s_wait_alu 0xfffe
	s_sub_nc_u64 s[2:3], s[2:3], s[18:19]
	s_cmp_gt_u32 s7, 2
	s_add_nc_u64 s[16:17], s[16:17], -8
	s_wait_kmcnt 0x0
	s_wait_alu 0xfffe
	s_mul_u64 s[2:3], s[22:23], s[2:3]
	s_wait_alu 0xfffe
	s_add_nc_u64 s[14:15], s[2:3], s[14:15]
	s_cbranch_scc0 .LBB119_18
; %bb.16:                               ;   in Loop: Header=BB119_11 Depth=1
	s_mov_b64 s[2:3], s[20:21]
	s_branch .LBB119_11
.LBB119_17:
	s_mov_b64 s[20:21], s[2:3]
.LBB119_18:
	s_clause 0x2
	s_load_b64 s[2:3], s[0:1], 0xd0
	s_load_b32 s7, s[0:1], 0x360
	s_load_b64 s[12:13], s[0:1], 0x0
	s_movk_i32 s17, 0x80
	s_movk_i32 s18, 0x8000
	s_mov_b32 s16, 0xff80
	s_wait_kmcnt 0x0
	s_mul_u64 s[10:11], s[2:3], s[10:11]
	s_bitcmp1_b32 s7, 0
	v_cmp_gt_u32_e64 s2, s6, v0
	s_cselect_b32 s7, -1, 0
	s_wait_alu 0xfffe
	s_add_nc_u64 s[10:11], s[12:13], s[10:11]
	s_and_b32 s19, s7, exec_lo
	s_cselect_b32 s17, s17, 0x7f
	s_cselect_b32 s18, s18, 0x7f00
	;; [unrolled: 1-line block ×3, first 2 shown]
	s_wait_alu 0xfffe
	s_or_b32 s17, s17, s18
	s_add_nc_u64 s[12:13], s[10:11], s[4:5]
	s_and_b32 s3, s17, 0xffff
	s_wait_alu 0xfffe
	v_dual_mov_b32 v1, s16 :: v_dual_mov_b32 v2, s3
	s_and_saveexec_b32 s4, s2
	s_cbranch_execz .LBB119_20
; %bb.19:
	v_mad_co_u64_u32 v[1:2], null, s8, v0, s[12:13]
	s_delay_alu instid0(VALU_DEP_1)
	v_mad_co_u64_u32 v[2:3], null, s9, v0, v[2:3]
	global_load_u8 v1, v[1:2], off
	s_wait_loadcnt 0x0
	v_perm_b32 v2, v1, s3, 0xc0c0104
.LBB119_20:
	s_wait_alu 0xfffe
	s_or_b32 exec_lo, exec_lo, s4
	s_clause 0x1
	s_load_b64 s[16:17], s[0:1], 0x288
	s_load_b64 s[4:5], s[0:1], 0x1b8
	v_or_b32_e32 v5, 16, v0
	s_delay_alu instid0(VALU_DEP_1)
	v_cmp_gt_u32_e64 s3, s6, v5
	s_and_saveexec_b32 s6, s3
	s_cbranch_execz .LBB119_22
; %bb.21:
	v_mad_co_u64_u32 v[3:4], null, s8, v5, s[12:13]
	s_delay_alu instid0(VALU_DEP_1) | instskip(NEXT) | instid1(VALU_DEP_1)
	v_mad_co_u64_u32 v[6:7], null, s9, v5, v[4:5]
	v_mov_b32_e32 v4, v6
	global_load_u8 v3, v[3:4], off
	s_wait_loadcnt 0x0
	v_perm_b32 v2, v2, v3, 0xc0c0004
.LBB119_22:
	s_wait_alu 0xfffe
	s_or_b32 exec_lo, exec_lo, s6
	s_delay_alu instid0(VALU_DEP_1)
	v_lshrrev_b16 v2, 8, v2
	v_lshlrev_b32_e32 v17, 1, v0
	s_load_b64 s[10:11], s[0:1], 0x358
	s_wait_kmcnt 0x0
	s_mul_u64 s[0:1], s[16:17], s[20:21]
	ds_store_b8 v0, v1
	ds_store_b8 v0, v2 offset:16
	v_mov_b32_e32 v1, 0
	v_mov_b32_e32 v3, 0
	s_wait_dscnt 0x0
	; wave barrier
	global_inv scope:SCOPE_SE
	v_mov_b32_e32 v4, 0
	ds_load_u16 v24, v17
	s_lshl_b64 s[0:1], s[0:1], 3
	v_mov_b32_e32 v2, v1
	s_add_nc_u64 s[0:1], s[4:5], s[0:1]
	s_lshl_b64 s[4:5], s[14:15], 3
	s_wait_loadcnt_dscnt 0x0
	s_wait_alu 0xfffe
	s_add_nc_u64 s[14:15], s[0:1], s[4:5]
	; wave barrier
	global_inv scope:SCOPE_SE
	s_and_saveexec_b32 s0, s2
	s_cbranch_execz .LBB119_24
; %bb.23:
	v_mad_co_u64_u32 v[2:3], null, s10, v0, 0
	s_delay_alu instid0(VALU_DEP_1) | instskip(NEXT) | instid1(VALU_DEP_1)
	v_mad_co_u64_u32 v[3:4], null, s11, v0, v[3:4]
	v_lshlrev_b64_e32 v[2:3], 3, v[2:3]
	s_delay_alu instid0(VALU_DEP_1) | instskip(NEXT) | instid1(VALU_DEP_1)
	v_add_co_u32 v2, vcc_lo, s14, v2
	v_add_co_ci_u32_e64 v3, null, s15, v3, vcc_lo
	global_load_b64 v[3:4], v[2:3], off
	v_mov_b32_e32 v2, v1
.LBB119_24:
	s_or_b32 exec_lo, exec_lo, s0
	s_xor_b32 s18, s7, -1
	s_and_saveexec_b32 s0, s3
	s_cbranch_execz .LBB119_26
; %bb.25:
	v_mad_co_u64_u32 v[1:2], null, s10, v5, 0
	s_wait_loadcnt 0x0
	s_delay_alu instid0(VALU_DEP_1) | instskip(NEXT) | instid1(VALU_DEP_1)
	v_mad_co_u64_u32 v[5:6], null, s11, v5, v[2:3]
	v_mov_b32_e32 v2, v5
	s_delay_alu instid0(VALU_DEP_1) | instskip(NEXT) | instid1(VALU_DEP_1)
	v_lshlrev_b64_e32 v[1:2], 3, v[1:2]
	v_add_co_u32 v1, vcc_lo, s14, v1
	s_wait_alu 0xfffd
	s_delay_alu instid0(VALU_DEP_2)
	v_add_co_ci_u32_e64 v2, null, s15, v2, vcc_lo
	global_load_b64 v[1:2], v[1:2], off
.LBB119_26:
	s_or_b32 exec_lo, exec_lo, s0
	v_mbcnt_lo_u32_b32 v5, -1, 0
	v_lshlrev_b32_e32 v19, 3, v17
	s_getpc_b64 s[0:1]
	s_sext_i32_i16 s1, s1
	s_add_co_u32 s0, s0, _ZN7rocprim17ROCPRIM_400000_NS16block_radix_sortIaLj16ELj2ElLj1ELj1ELj0ELNS0_26block_radix_rank_algorithmE1ELNS0_18block_padding_hintE2ELNS0_4arch9wavefront6targetE0EE19radix_bits_per_passE@rel32@lo+8
	s_add_co_ci_u32 s1, s1, _ZN7rocprim17ROCPRIM_400000_NS16block_radix_sortIaLj16ELj2ElLj1ELj1ELj0ELNS0_26block_radix_rank_algorithmE1ELNS0_18block_padding_hintE2ELNS0_4arch9wavefront6targetE0EE19radix_bits_per_passE@rel32@hi+16
	v_lshlrev_b32_e32 v22, 5, v0
	s_load_b32 s17, s[0:1], 0x0
	v_sub_co_u32 v7, s16, v5, 1
	v_and_b32_e32 v8, 16, v5
	v_and_b32_e32 v6, 15, v5
	v_mad_i32_i24 v21, 0xffffffe2, v0, v22
	v_lshrrev_b16 v25, 8, v24
	v_cmp_gt_u32_e64 s7, 0x80, v0
	v_cmp_lt_i32_e32 vcc_lo, v7, v8
	v_lshlrev_b32_e32 v18, 3, v0
	v_cmp_eq_u32_e64 s5, 0, v6
	v_cmp_lt_u32_e64 s1, 1, v6
	v_cmp_lt_u32_e64 s6, 3, v6
	s_wait_alu 0xfffd
	v_cndmask_b32_e32 v5, v7, v5, vcc_lo
	s_wait_loadcnt 0x0
	ds_store_2addr_b64 v18, v[3:4], v[1:2] offset1:16
	s_wait_dscnt 0x0
	; wave barrier
	global_inv scope:SCOPE_SE
	ds_load_2addr_b64 v[1:4], v19 offset1:1
	v_cmp_lt_u32_e64 s4, 7, v6
	v_cmp_eq_u32_e64 s0, 15, v0
	v_lshlrev_b32_e32 v23, 2, v5
	v_mad_u32_u24 v20, v0, 14, v21
	s_mov_b32 s19, -1
	s_and_b32 vcc_lo, exec_lo, s18
	s_wait_kmcnt 0x0
	s_min_u32 s18, s17, 8
	; wave barrier
	s_wait_loadcnt_dscnt 0x0
	global_inv scope:SCOPE_SE
	s_wait_alu 0xfffe
	s_cbranch_vccz .LBB119_50
; %bb.27:
	s_and_saveexec_b32 s19, s7
	s_cbranch_execz .LBB119_36
; %bb.28:
	v_dual_mov_b32 v6, 0 :: v_dual_lshlrev_b32 v5, 2, v0
	v_cmp_gt_u32_e32 vcc_lo, 0x70, v0
	ds_store_b32 v5, v6
	s_and_b32 exec_lo, exec_lo, vcc_lo
	s_cbranch_execz .LBB119_36
; %bb.29:
	v_cmp_gt_u32_e32 vcc_lo, 0x60, v0
	ds_store_b32 v5, v6 offset:64
	s_and_b32 exec_lo, exec_lo, vcc_lo
	s_cbranch_execz .LBB119_36
; %bb.30:
	v_mov_b32_e32 v6, 0
	v_cmp_gt_u32_e32 vcc_lo, 0x50, v0
	ds_store_b32 v5, v6 offset:128
	s_and_b32 exec_lo, exec_lo, vcc_lo
	s_cbranch_execz .LBB119_36
; %bb.31:
	v_cmp_gt_u32_e32 vcc_lo, 64, v0
	ds_store_b32 v5, v6 offset:192
	s_and_b32 exec_lo, exec_lo, vcc_lo
	s_cbranch_execz .LBB119_36
; %bb.32:
	v_mov_b32_e32 v6, 0
	v_cmp_gt_u32_e32 vcc_lo, 48, v0
	ds_store_b32 v5, v6 offset:256
	;; [unrolled: 11-line block ×3, first 2 shown]
	s_and_b32 exec_lo, exec_lo, vcc_lo
; %bb.35:
	ds_store_b32 v5, v6 offset:448
.LBB119_36:
	s_wait_alu 0xfffe
	s_or_b32 exec_lo, exec_lo, s19
	v_xor_b32_e32 v13, 0xffffff80, v24
	s_lshl_b32 s19, -1, s18
	v_xor_b32_e32 v14, 0xffffff80, v25
	s_wait_alu 0xfffe
	s_not_b32 s19, s19
	s_wait_alu 0xfffe
	v_and_b32_e32 v5, s19, v13
	s_delay_alu instid0(VALU_DEP_1) | instskip(SKIP_1) | instid1(VALU_DEP_2)
	v_lshlrev_b32_e32 v6, 4, v5
	v_lshrrev_b32_e32 v5, 2, v5
	v_and_or_b32 v6, 0x70, v6, v0
	s_delay_alu instid0(VALU_DEP_2) | instskip(NEXT) | instid1(VALU_DEP_1)
	v_and_b32_e32 v5, 62, v5
	v_lshl_add_u32 v16, v6, 2, v5
	v_and_b32_e32 v5, s19, v14
	ds_load_u16 v15, v16
	v_lshlrev_b32_e32 v6, 4, v5
	v_lshrrev_b32_e32 v5, 2, v5
	s_delay_alu instid0(VALU_DEP_2) | instskip(NEXT) | instid1(VALU_DEP_2)
	v_and_or_b32 v6, 0x70, v6, v0
	v_and_b32_e32 v5, 62, v5
	s_delay_alu instid0(VALU_DEP_1)
	v_lshl_add_u32 v26, v6, 2, v5
	s_wait_dscnt 0x0
	v_add_nc_u16 v7, v15, 1
	ds_store_b16 v16, v7
	ds_load_u16 v28, v26
	s_wait_dscnt 0x0
	v_add_nc_u16 v5, v28, 1
	ds_store_b16 v26, v5
	; wave barrier
	s_wait_loadcnt_dscnt 0x0
	global_inv scope:SCOPE_SE
	ds_load_b128 v[9:12], v22
	ds_load_b128 v[5:8], v22 offset:16
	s_wait_dscnt 0x1
	v_add_nc_u32_e32 v27, v10, v9
	s_delay_alu instid0(VALU_DEP_1) | instskip(SKIP_1) | instid1(VALU_DEP_1)
	v_add3_u32 v27, v27, v11, v12
	s_wait_dscnt 0x0
	v_add3_u32 v27, v27, v5, v6
	s_delay_alu instid0(VALU_DEP_1) | instskip(NEXT) | instid1(VALU_DEP_1)
	v_add3_u32 v8, v27, v7, v8
	v_mov_b32_dpp v27, v8 row_shr:1 row_mask:0xf bank_mask:0xf
	s_delay_alu instid0(VALU_DEP_1) | instskip(NEXT) | instid1(VALU_DEP_1)
	v_cndmask_b32_e64 v27, v27, 0, s5
	v_add_nc_u32_e32 v8, v27, v8
	s_delay_alu instid0(VALU_DEP_1) | instskip(NEXT) | instid1(VALU_DEP_1)
	v_mov_b32_dpp v27, v8 row_shr:2 row_mask:0xf bank_mask:0xf
	v_cndmask_b32_e64 v27, 0, v27, s1
	s_delay_alu instid0(VALU_DEP_1) | instskip(NEXT) | instid1(VALU_DEP_1)
	v_add_nc_u32_e32 v8, v8, v27
	v_mov_b32_dpp v27, v8 row_shr:4 row_mask:0xf bank_mask:0xf
	s_delay_alu instid0(VALU_DEP_1) | instskip(NEXT) | instid1(VALU_DEP_1)
	v_cndmask_b32_e64 v27, 0, v27, s6
	v_add_nc_u32_e32 v8, v8, v27
	s_delay_alu instid0(VALU_DEP_1) | instskip(NEXT) | instid1(VALU_DEP_1)
	v_mov_b32_dpp v27, v8 row_shr:8 row_mask:0xf bank_mask:0xf
	v_cndmask_b32_e64 v27, 0, v27, s4
	s_delay_alu instid0(VALU_DEP_1)
	v_add_nc_u32_e32 v8, v8, v27
	s_and_saveexec_b32 s19, s0
; %bb.37:
	v_mov_b32_e32 v27, 0
	ds_store_b32 v27, v8 offset:512
; %bb.38:
	s_wait_alu 0xfffe
	s_or_b32 exec_lo, exec_lo, s19
	ds_bpermute_b32 v8, v23, v8
	v_mov_b32_e32 v27, 0
	; wave barrier
	s_wait_loadcnt_dscnt 0x0
	global_inv scope:SCOPE_SE
	ds_load_b32 v29, v27 offset:512
	v_cndmask_b32_e64 v8, v8, 0, s16
	s_wait_dscnt 0x0
	s_delay_alu instid0(VALU_DEP_1) | instskip(NEXT) | instid1(VALU_DEP_1)
	v_lshl_add_u32 v8, v29, 16, v8
	v_add_nc_u32_e32 v9, v8, v9
	s_delay_alu instid0(VALU_DEP_1) | instskip(NEXT) | instid1(VALU_DEP_1)
	v_add_nc_u32_e32 v10, v9, v10
	v_add_nc_u32_e32 v11, v10, v11
	s_delay_alu instid0(VALU_DEP_1) | instskip(NEXT) | instid1(VALU_DEP_1)
	v_add_nc_u32_e32 v29, v11, v12
	;; [unrolled: 3-line block ×3, first 2 shown]
	v_add_nc_u32_e32 v32, v31, v7
	v_and_b32_e32 v7, 0xffff, v15
	ds_store_b128 v22, v[8:11]
	ds_store_b128 v22, v[29:32] offset:16
	; wave barrier
	s_wait_loadcnt_dscnt 0x0
	global_inv scope:SCOPE_SE
	ds_load_u16 v5, v16
	ds_load_u16 v6, v26
	v_and_b32_e32 v8, 0xffff, v28
	; wave barrier
	s_wait_loadcnt_dscnt 0x0
	global_inv scope:SCOPE_SE
	v_add_nc_u32_e32 v5, v5, v7
	v_add_nc_u32_e32 v6, v6, v8
	ds_store_b8 v5, v13
	ds_store_b8 v6, v14
	v_lshlrev_b32_e32 v5, 3, v5
	v_lshlrev_b32_e32 v6, 3, v6
	; wave barrier
	s_wait_loadcnt_dscnt 0x0
	global_inv scope:SCOPE_SE
	ds_load_u16 v26, v21
	; wave barrier
	s_wait_loadcnt_dscnt 0x0
	global_inv scope:SCOPE_SE
	ds_store_b64 v5, v[1:2]
	ds_store_b64 v6, v[3:4]
	; wave barrier
	s_wait_loadcnt_dscnt 0x0
	global_inv scope:SCOPE_SE
	ds_load_b128 v[5:8], v20
	; wave barrier
	s_wait_loadcnt_dscnt 0x0
	global_inv scope:SCOPE_SE
	s_and_saveexec_b32 s19, s7
	s_cbranch_execz .LBB119_47
; %bb.39:
	v_lshlrev_b32_e32 v9, 2, v0
	v_cmp_gt_u32_e32 vcc_lo, 0x70, v0
	ds_store_b32 v9, v27
	s_and_b32 exec_lo, exec_lo, vcc_lo
	s_cbranch_execz .LBB119_47
; %bb.40:
	v_mov_b32_e32 v10, 0
	v_cmp_gt_u32_e32 vcc_lo, 0x60, v0
	ds_store_b32 v9, v10 offset:64
	s_and_b32 exec_lo, exec_lo, vcc_lo
	s_cbranch_execz .LBB119_47
; %bb.41:
	v_cmp_gt_u32_e32 vcc_lo, 0x50, v0
	ds_store_b32 v9, v10 offset:128
	s_and_b32 exec_lo, exec_lo, vcc_lo
	s_cbranch_execz .LBB119_47
; %bb.42:
	v_mov_b32_e32 v10, 0
	v_cmp_gt_u32_e32 vcc_lo, 64, v0
	ds_store_b32 v9, v10 offset:192
	s_and_b32 exec_lo, exec_lo, vcc_lo
	s_cbranch_execz .LBB119_47
; %bb.43:
	v_cmp_gt_u32_e32 vcc_lo, 48, v0
	ds_store_b32 v9, v10 offset:256
	s_and_b32 exec_lo, exec_lo, vcc_lo
	s_cbranch_execz .LBB119_47
; %bb.44:
	v_mov_b32_e32 v10, 0
	v_cmp_gt_u32_e32 vcc_lo, 32, v0
	ds_store_b32 v9, v10 offset:320
	s_and_b32 exec_lo, exec_lo, vcc_lo
	s_cbranch_execz .LBB119_47
; %bb.45:
	v_cmp_gt_u32_e32 vcc_lo, 16, v0
	ds_store_b32 v9, v10 offset:384
	s_and_b32 exec_lo, exec_lo, vcc_lo
; %bb.46:
	v_mov_b32_e32 v10, 0
	ds_store_b32 v9, v10 offset:448
.LBB119_47:
	s_wait_alu 0xfffe
	s_or_b32 exec_lo, exec_lo, s19
	v_lshrrev_b16 v9, 4, v26
	s_min_u32 s19, s17, 4
	s_wait_alu 0xfffe
	s_lshl_b32 s19, -1, s19
	s_wait_alu 0xfffe
	s_not_b32 s19, s19
	v_and_b32_e32 v9, 15, v9
	s_delay_alu instid0(VALU_DEP_1) | instskip(SKIP_1) | instid1(VALU_DEP_1)
	v_and_b32_e32 v9, 0xffff, v9
	s_wait_alu 0xfffe
	v_and_b32_e32 v9, s19, v9
	s_delay_alu instid0(VALU_DEP_1) | instskip(SKIP_1) | instid1(VALU_DEP_2)
	v_lshlrev_b32_e32 v10, 4, v9
	v_lshrrev_b32_e32 v9, 2, v9
	v_and_or_b32 v10, 0x70, v10, v0
	s_delay_alu instid0(VALU_DEP_2) | instskip(NEXT) | instid1(VALU_DEP_1)
	v_and_b32_e32 v9, 2, v9
	v_lshl_or_b32 v27, v10, 2, v9
	v_lshrrev_b16 v9, 12, v26
	ds_load_u16 v28, v27
	v_and_b32_e32 v9, 0xffff, v9
	s_delay_alu instid0(VALU_DEP_1) | instskip(SKIP_1) | instid1(VALU_DEP_1)
	v_and_b32_e32 v9, s19, v9
	s_mov_b32 s19, 0
	v_lshlrev_b32_e32 v10, 4, v9
	v_lshrrev_b32_e32 v9, 2, v9
	s_delay_alu instid0(VALU_DEP_2) | instskip(NEXT) | instid1(VALU_DEP_2)
	v_and_or_b32 v10, 0x70, v10, v0
	v_and_b32_e32 v9, 2, v9
	s_wait_dscnt 0x0
	v_add_nc_u16 v11, v28, 1
	s_delay_alu instid0(VALU_DEP_2)
	v_lshl_or_b32 v29, v10, 2, v9
	ds_store_b16 v27, v11
	ds_load_u16 v30, v29
	s_wait_dscnt 0x0
	v_add_nc_u16 v9, v30, 1
	ds_store_b16 v29, v9
	; wave barrier
	s_wait_loadcnt_dscnt 0x0
	global_inv scope:SCOPE_SE
	ds_load_b128 v[13:16], v22
	ds_load_b128 v[9:12], v22 offset:16
	s_wait_dscnt 0x1
	v_add_nc_u32_e32 v31, v14, v13
	s_delay_alu instid0(VALU_DEP_1) | instskip(SKIP_1) | instid1(VALU_DEP_1)
	v_add3_u32 v31, v31, v15, v16
	s_wait_dscnt 0x0
	v_add3_u32 v31, v31, v9, v10
	s_delay_alu instid0(VALU_DEP_1) | instskip(NEXT) | instid1(VALU_DEP_1)
	v_add3_u32 v12, v31, v11, v12
	v_mov_b32_dpp v31, v12 row_shr:1 row_mask:0xf bank_mask:0xf
	s_delay_alu instid0(VALU_DEP_1) | instskip(NEXT) | instid1(VALU_DEP_1)
	v_cndmask_b32_e64 v31, v31, 0, s5
	v_add_nc_u32_e32 v12, v31, v12
	s_delay_alu instid0(VALU_DEP_1) | instskip(NEXT) | instid1(VALU_DEP_1)
	v_mov_b32_dpp v31, v12 row_shr:2 row_mask:0xf bank_mask:0xf
	v_cndmask_b32_e64 v31, 0, v31, s1
	s_delay_alu instid0(VALU_DEP_1) | instskip(NEXT) | instid1(VALU_DEP_1)
	v_add_nc_u32_e32 v12, v12, v31
	v_mov_b32_dpp v31, v12 row_shr:4 row_mask:0xf bank_mask:0xf
	s_delay_alu instid0(VALU_DEP_1) | instskip(NEXT) | instid1(VALU_DEP_1)
	v_cndmask_b32_e64 v31, 0, v31, s6
	v_add_nc_u32_e32 v31, v12, v31
	s_delay_alu instid0(VALU_DEP_1) | instskip(NEXT) | instid1(VALU_DEP_1)
	v_mov_b32_dpp v12, v31 row_shr:8 row_mask:0xf bank_mask:0xf
	v_cndmask_b32_e64 v32, 0, v12, s4
	v_lshrrev_b16 v12, 8, v26
	s_delay_alu instid0(VALU_DEP_2)
	v_add_nc_u32_e32 v31, v31, v32
	s_and_saveexec_b32 s20, s0
; %bb.48:
	v_mov_b32_e32 v32, 0
	ds_store_b32 v32, v31 offset:512
; %bb.49:
	s_or_b32 exec_lo, exec_lo, s20
	ds_bpermute_b32 v31, v23, v31
	v_mov_b32_e32 v32, 0
	; wave barrier
	s_wait_loadcnt_dscnt 0x0
	global_inv scope:SCOPE_SE
	ds_load_b32 v32, v32 offset:512
	v_cndmask_b32_e64 v31, v31, 0, s16
	s_wait_dscnt 0x0
	s_delay_alu instid0(VALU_DEP_1) | instskip(NEXT) | instid1(VALU_DEP_1)
	v_lshl_add_u32 v31, v32, 16, v31
	v_add_nc_u32_e32 v32, v31, v13
	s_delay_alu instid0(VALU_DEP_1) | instskip(NEXT) | instid1(VALU_DEP_1)
	v_add_nc_u32_e32 v33, v32, v14
	v_add_nc_u32_e32 v34, v33, v15
	s_delay_alu instid0(VALU_DEP_1) | instskip(NEXT) | instid1(VALU_DEP_1)
	v_add_nc_u32_e32 v13, v34, v16
	v_add_nc_u32_e32 v14, v13, v9
	s_delay_alu instid0(VALU_DEP_1) | instskip(NEXT) | instid1(VALU_DEP_1)
	v_add_nc_u32_e32 v15, v14, v10
	v_add_nc_u32_e32 v16, v15, v11
	v_and_b32_e32 v11, 0xffff, v28
	ds_store_b128 v22, v[31:34]
	ds_store_b128 v22, v[13:16] offset:16
	; wave barrier
	s_wait_loadcnt_dscnt 0x0
	global_inv scope:SCOPE_SE
	ds_load_u16 v9, v27
	ds_load_u16 v10, v29
	v_and_b32_e32 v13, 0xffff, v30
	; wave barrier
	s_wait_loadcnt_dscnt 0x0
	global_inv scope:SCOPE_SE
	v_add_nc_u32_e32 v9, v9, v11
	v_add_nc_u32_e32 v10, v10, v13
	ds_store_b8 v9, v26
	ds_store_b8 v10, v12
	; wave barrier
	s_wait_loadcnt_dscnt 0x0
	global_inv scope:SCOPE_SE
	ds_load_u16 v11, v21
	v_lshlrev_b32_e32 v9, 3, v9
	v_lshlrev_b32_e32 v10, 3, v10
	; wave barrier
	s_wait_loadcnt_dscnt 0x0
	global_inv scope:SCOPE_SE
	ds_store_b64 v9, v[5:6]
	ds_store_b64 v10, v[7:8]
	; wave barrier
	s_wait_loadcnt_dscnt 0x0
	global_inv scope:SCOPE_SE
	ds_load_b128 v[5:8], v20
	v_xor_b32_e32 v9, 0x80, v11
	v_and_b32_e32 v10, 0xffffff00, v11
	s_delay_alu instid0(VALU_DEP_2) | instskip(NEXT) | instid1(VALU_DEP_1)
	v_and_b32_e32 v9, 0xff, v9
	v_or_b32_e32 v9, v9, v10
	s_delay_alu instid0(VALU_DEP_1) | instskip(NEXT) | instid1(VALU_DEP_1)
	v_add_nc_u16 v9, 0x8000, v9
	v_and_b32_e32 v9, 0xffff, v9
	s_wait_alu 0xfffe
	s_and_b32 vcc_lo, exec_lo, s19
	s_wait_alu 0xfffe
	s_cbranch_vccnz .LBB119_51
	s_branch .LBB119_74
.LBB119_50:
                                        ; implicit-def: $vgpr7_vgpr8
                                        ; implicit-def: $vgpr9
	s_and_b32 vcc_lo, exec_lo, s19
	s_wait_alu 0xfffe
	s_cbranch_vccz .LBB119_74
.LBB119_51:
	s_and_saveexec_b32 s19, s7
	s_cbranch_execz .LBB119_60
; %bb.52:
	s_wait_dscnt 0x0
	v_mad_i32_i24 v5, v0, -12, v20
	v_mov_b32_e32 v6, 0
	v_cmp_gt_u32_e32 vcc_lo, 0x70, v0
	ds_store_b32 v5, v6
	s_and_b32 exec_lo, exec_lo, vcc_lo
	s_cbranch_execz .LBB119_60
; %bb.53:
	v_mul_i32_i24_e32 v5, -12, v0
	v_cmp_gt_u32_e32 vcc_lo, 0x60, v0
	s_delay_alu instid0(VALU_DEP_2)
	v_add_nc_u32_e32 v5, v20, v5
	ds_store_b32 v5, v6 offset:64
	s_and_b32 exec_lo, exec_lo, vcc_lo
	s_cbranch_execz .LBB119_60
; %bb.54:
	v_mov_b32_e32 v6, 0
	v_cmp_gt_u32_e32 vcc_lo, 0x50, v0
	ds_store_b32 v5, v6 offset:128
	s_and_b32 exec_lo, exec_lo, vcc_lo
	s_cbranch_execz .LBB119_60
; %bb.55:
	v_cmp_gt_u32_e32 vcc_lo, 64, v0
	ds_store_b32 v5, v6 offset:192
	s_and_b32 exec_lo, exec_lo, vcc_lo
	s_cbranch_execz .LBB119_60
; %bb.56:
	v_mov_b32_e32 v6, 0
	v_cmp_gt_u32_e32 vcc_lo, 48, v0
	ds_store_b32 v5, v6 offset:256
	s_and_b32 exec_lo, exec_lo, vcc_lo
	s_cbranch_execz .LBB119_60
; %bb.57:
	v_cmp_gt_u32_e32 vcc_lo, 32, v0
	ds_store_b32 v5, v6 offset:320
	s_and_b32 exec_lo, exec_lo, vcc_lo
	s_cbranch_execz .LBB119_60
; %bb.58:
	v_mov_b32_e32 v6, 0
	v_cmp_gt_u32_e32 vcc_lo, 16, v0
	ds_store_b32 v5, v6 offset:384
	s_and_b32 exec_lo, exec_lo, vcc_lo
; %bb.59:
	ds_store_b32 v5, v6 offset:448
.LBB119_60:
	s_wait_alu 0xfffe
	s_or_b32 exec_lo, exec_lo, s19
	v_xor_b32_e32 v13, 0x7f, v24
	s_lshl_b32 s18, -1, s18
	v_xor_b32_e32 v14, 0x7f, v25
	s_wait_alu 0xfffe
	s_not_b32 s18, s18
	s_wait_dscnt 0x0
	s_wait_alu 0xfffe
	v_and_b32_e32 v5, s18, v13
	s_delay_alu instid0(VALU_DEP_1) | instskip(SKIP_1) | instid1(VALU_DEP_2)
	v_lshlrev_b32_e32 v6, 4, v5
	v_lshrrev_b32_e32 v5, 2, v5
	v_and_or_b32 v6, 0x70, v6, v0
	s_delay_alu instid0(VALU_DEP_2) | instskip(NEXT) | instid1(VALU_DEP_1)
	v_and_b32_e32 v5, 62, v5
	v_lshl_add_u32 v16, v6, 2, v5
	v_and_b32_e32 v5, 0xffff, v14
	ds_load_u16 v15, v16
	v_and_b32_e32 v5, s18, v5
	s_delay_alu instid0(VALU_DEP_1) | instskip(SKIP_1) | instid1(VALU_DEP_2)
	v_lshlrev_b32_e32 v6, 4, v5
	v_lshrrev_b32_e32 v5, 2, v5
	v_and_or_b32 v6, 0x70, v6, v0
	s_delay_alu instid0(VALU_DEP_2) | instskip(NEXT) | instid1(VALU_DEP_1)
	v_and_b32_e32 v5, 62, v5
	v_lshl_add_u32 v24, v6, 2, v5
	s_wait_dscnt 0x0
	v_add_nc_u16 v7, v15, 1
	ds_store_b16 v16, v7
	ds_load_u16 v25, v24
	s_wait_dscnt 0x0
	v_add_nc_u16 v5, v25, 1
	ds_store_b16 v24, v5
	; wave barrier
	s_wait_loadcnt_dscnt 0x0
	global_inv scope:SCOPE_SE
	ds_load_b128 v[9:12], v22
	ds_load_b128 v[5:8], v22 offset:16
	s_wait_dscnt 0x1
	v_add_nc_u32_e32 v26, v10, v9
	s_delay_alu instid0(VALU_DEP_1) | instskip(SKIP_1) | instid1(VALU_DEP_1)
	v_add3_u32 v26, v26, v11, v12
	s_wait_dscnt 0x0
	v_add3_u32 v26, v26, v5, v6
	s_delay_alu instid0(VALU_DEP_1) | instskip(NEXT) | instid1(VALU_DEP_1)
	v_add3_u32 v8, v26, v7, v8
	v_mov_b32_dpp v26, v8 row_shr:1 row_mask:0xf bank_mask:0xf
	s_delay_alu instid0(VALU_DEP_1) | instskip(NEXT) | instid1(VALU_DEP_1)
	v_cndmask_b32_e64 v26, v26, 0, s5
	v_add_nc_u32_e32 v8, v26, v8
	s_delay_alu instid0(VALU_DEP_1) | instskip(NEXT) | instid1(VALU_DEP_1)
	v_mov_b32_dpp v26, v8 row_shr:2 row_mask:0xf bank_mask:0xf
	v_cndmask_b32_e64 v26, 0, v26, s1
	s_delay_alu instid0(VALU_DEP_1) | instskip(NEXT) | instid1(VALU_DEP_1)
	v_add_nc_u32_e32 v8, v8, v26
	v_mov_b32_dpp v26, v8 row_shr:4 row_mask:0xf bank_mask:0xf
	s_delay_alu instid0(VALU_DEP_1) | instskip(NEXT) | instid1(VALU_DEP_1)
	v_cndmask_b32_e64 v26, 0, v26, s6
	v_add_nc_u32_e32 v8, v8, v26
	s_delay_alu instid0(VALU_DEP_1) | instskip(NEXT) | instid1(VALU_DEP_1)
	v_mov_b32_dpp v26, v8 row_shr:8 row_mask:0xf bank_mask:0xf
	v_cndmask_b32_e64 v26, 0, v26, s4
	s_delay_alu instid0(VALU_DEP_1)
	v_add_nc_u32_e32 v8, v8, v26
	s_and_saveexec_b32 s18, s0
; %bb.61:
	v_mov_b32_e32 v26, 0
	ds_store_b32 v26, v8 offset:512
; %bb.62:
	s_wait_alu 0xfffe
	s_or_b32 exec_lo, exec_lo, s18
	ds_bpermute_b32 v26, v23, v8
	v_mov_b32_e32 v8, 0
	; wave barrier
	s_wait_loadcnt_dscnt 0x0
	global_inv scope:SCOPE_SE
	ds_load_b32 v27, v8 offset:512
	v_cndmask_b32_e64 v26, v26, 0, s16
	s_wait_dscnt 0x0
	s_delay_alu instid0(VALU_DEP_1) | instskip(NEXT) | instid1(VALU_DEP_1)
	v_lshl_add_u32 v26, v27, 16, v26
	v_add_nc_u32_e32 v27, v26, v9
	s_delay_alu instid0(VALU_DEP_1) | instskip(NEXT) | instid1(VALU_DEP_1)
	v_add_nc_u32_e32 v28, v27, v10
	v_add_nc_u32_e32 v29, v28, v11
	s_delay_alu instid0(VALU_DEP_1) | instskip(NEXT) | instid1(VALU_DEP_1)
	v_add_nc_u32_e32 v9, v29, v12
	;; [unrolled: 3-line block ×3, first 2 shown]
	v_add_nc_u32_e32 v12, v11, v7
	v_and_b32_e32 v7, 0xffff, v15
	ds_store_b128 v22, v[26:29]
	ds_store_b128 v22, v[9:12] offset:16
	; wave barrier
	s_wait_loadcnt_dscnt 0x0
	global_inv scope:SCOPE_SE
	ds_load_u16 v5, v16
	ds_load_u16 v6, v24
	v_and_b32_e32 v9, 0xffff, v25
	; wave barrier
	s_wait_loadcnt_dscnt 0x0
	global_inv scope:SCOPE_SE
	v_add_nc_u32_e32 v5, v5, v7
	v_add_nc_u32_e32 v6, v6, v9
	ds_store_b8 v5, v13
	ds_store_b8 v6, v14
	v_lshlrev_b32_e32 v5, 3, v5
	v_lshlrev_b32_e32 v6, 3, v6
	; wave barrier
	s_wait_loadcnt_dscnt 0x0
	global_inv scope:SCOPE_SE
	ds_load_u16 v13, v21
	; wave barrier
	s_wait_loadcnt_dscnt 0x0
	global_inv scope:SCOPE_SE
	ds_store_b64 v5, v[1:2]
	ds_store_b64 v6, v[3:4]
	; wave barrier
	s_wait_loadcnt_dscnt 0x0
	global_inv scope:SCOPE_SE
	ds_load_b128 v[1:4], v20
	; wave barrier
	s_wait_loadcnt_dscnt 0x0
	global_inv scope:SCOPE_SE
	s_and_saveexec_b32 s18, s7
	s_cbranch_execz .LBB119_71
; %bb.63:
	v_lshlrev_b32_e32 v5, 2, v0
	v_cmp_gt_u32_e32 vcc_lo, 0x70, v0
	ds_store_b32 v5, v8
	s_and_b32 exec_lo, exec_lo, vcc_lo
	s_cbranch_execz .LBB119_71
; %bb.64:
	v_mov_b32_e32 v6, 0
	v_cmp_gt_u32_e32 vcc_lo, 0x60, v0
	ds_store_b32 v5, v6 offset:64
	s_and_b32 exec_lo, exec_lo, vcc_lo
	s_cbranch_execz .LBB119_71
; %bb.65:
	v_cmp_gt_u32_e32 vcc_lo, 0x50, v0
	ds_store_b32 v5, v6 offset:128
	s_and_b32 exec_lo, exec_lo, vcc_lo
	s_cbranch_execz .LBB119_71
; %bb.66:
	v_mov_b32_e32 v6, 0
	v_cmp_gt_u32_e32 vcc_lo, 64, v0
	ds_store_b32 v5, v6 offset:192
	s_and_b32 exec_lo, exec_lo, vcc_lo
	s_cbranch_execz .LBB119_71
; %bb.67:
	v_cmp_gt_u32_e32 vcc_lo, 48, v0
	ds_store_b32 v5, v6 offset:256
	;; [unrolled: 11-line block ×3, first 2 shown]
	s_and_b32 exec_lo, exec_lo, vcc_lo
; %bb.70:
	v_mov_b32_e32 v6, 0
	ds_store_b32 v5, v6 offset:448
.LBB119_71:
	s_wait_alu 0xfffe
	s_or_b32 exec_lo, exec_lo, s18
	v_lshrrev_b16 v5, 4, v13
	s_min_u32 s7, s17, 4
	s_wait_alu 0xfffe
	s_lshl_b32 s7, -1, s7
	s_wait_alu 0xfffe
	s_not_b32 s7, s7
	v_and_b32_e32 v5, 15, v5
	s_delay_alu instid0(VALU_DEP_1) | instskip(SKIP_1) | instid1(VALU_DEP_1)
	v_and_b32_e32 v5, 0xffff, v5
	s_wait_alu 0xfffe
	v_and_b32_e32 v5, s7, v5
	s_delay_alu instid0(VALU_DEP_1) | instskip(SKIP_1) | instid1(VALU_DEP_2)
	v_lshlrev_b32_e32 v6, 4, v5
	v_lshrrev_b32_e32 v5, 2, v5
	v_and_or_b32 v6, 0x70, v6, v0
	s_delay_alu instid0(VALU_DEP_2) | instskip(NEXT) | instid1(VALU_DEP_1)
	v_and_b32_e32 v5, 2, v5
	v_lshl_or_b32 v14, v6, 2, v5
	v_lshrrev_b16 v5, 12, v13
	ds_load_u16 v15, v14
	v_and_b32_e32 v5, 0xffff, v5
	s_delay_alu instid0(VALU_DEP_1) | instskip(NEXT) | instid1(VALU_DEP_1)
	v_and_b32_e32 v5, s7, v5
	v_lshlrev_b32_e32 v6, 4, v5
	v_lshrrev_b32_e32 v5, 2, v5
	s_delay_alu instid0(VALU_DEP_2) | instskip(NEXT) | instid1(VALU_DEP_2)
	v_and_or_b32 v6, 0x70, v6, v0
	v_and_b32_e32 v5, 2, v5
	s_wait_dscnt 0x0
	v_add_nc_u16 v7, v15, 1
	s_delay_alu instid0(VALU_DEP_2)
	v_lshl_or_b32 v16, v6, 2, v5
	ds_store_b16 v14, v7
	ds_load_u16 v24, v16
	s_wait_dscnt 0x0
	v_add_nc_u16 v5, v24, 1
	ds_store_b16 v16, v5
	; wave barrier
	s_wait_loadcnt_dscnt 0x0
	global_inv scope:SCOPE_SE
	ds_load_b128 v[9:12], v22
	ds_load_b128 v[5:8], v22 offset:16
	s_wait_dscnt 0x1
	v_add_nc_u32_e32 v25, v10, v9
	s_delay_alu instid0(VALU_DEP_1) | instskip(SKIP_1) | instid1(VALU_DEP_1)
	v_add3_u32 v25, v25, v11, v12
	s_wait_dscnt 0x0
	v_add3_u32 v25, v25, v5, v6
	s_delay_alu instid0(VALU_DEP_1) | instskip(NEXT) | instid1(VALU_DEP_1)
	v_add3_u32 v8, v25, v7, v8
	v_mov_b32_dpp v25, v8 row_shr:1 row_mask:0xf bank_mask:0xf
	s_delay_alu instid0(VALU_DEP_1) | instskip(NEXT) | instid1(VALU_DEP_1)
	v_cndmask_b32_e64 v25, v25, 0, s5
	v_add_nc_u32_e32 v8, v25, v8
	s_delay_alu instid0(VALU_DEP_1) | instskip(NEXT) | instid1(VALU_DEP_1)
	v_mov_b32_dpp v25, v8 row_shr:2 row_mask:0xf bank_mask:0xf
	v_cndmask_b32_e64 v25, 0, v25, s1
	s_delay_alu instid0(VALU_DEP_1) | instskip(NEXT) | instid1(VALU_DEP_1)
	v_add_nc_u32_e32 v8, v8, v25
	v_mov_b32_dpp v25, v8 row_shr:4 row_mask:0xf bank_mask:0xf
	s_delay_alu instid0(VALU_DEP_1) | instskip(NEXT) | instid1(VALU_DEP_1)
	v_cndmask_b32_e64 v25, 0, v25, s6
	v_add_nc_u32_e32 v25, v8, v25
	s_delay_alu instid0(VALU_DEP_1) | instskip(NEXT) | instid1(VALU_DEP_1)
	v_mov_b32_dpp v8, v25 row_shr:8 row_mask:0xf bank_mask:0xf
	v_cndmask_b32_e64 v26, 0, v8, s4
	v_lshrrev_b16 v8, 8, v13
	s_delay_alu instid0(VALU_DEP_2)
	v_add_nc_u32_e32 v25, v25, v26
	s_and_saveexec_b32 s1, s0
; %bb.72:
	v_mov_b32_e32 v26, 0
	ds_store_b32 v26, v25 offset:512
; %bb.73:
	s_wait_alu 0xfffe
	s_or_b32 exec_lo, exec_lo, s1
	ds_bpermute_b32 v23, v23, v25
	v_mov_b32_e32 v25, 0
	; wave barrier
	s_wait_loadcnt_dscnt 0x0
	global_inv scope:SCOPE_SE
	ds_load_b32 v25, v25 offset:512
	v_cndmask_b32_e64 v23, v23, 0, s16
	s_wait_dscnt 0x0
	s_delay_alu instid0(VALU_DEP_1) | instskip(NEXT) | instid1(VALU_DEP_1)
	v_lshl_add_u32 v25, v25, 16, v23
	v_add_nc_u32_e32 v26, v25, v9
	s_delay_alu instid0(VALU_DEP_1) | instskip(NEXT) | instid1(VALU_DEP_1)
	v_add_nc_u32_e32 v27, v26, v10
	v_add_nc_u32_e32 v28, v27, v11
	s_delay_alu instid0(VALU_DEP_1) | instskip(NEXT) | instid1(VALU_DEP_1)
	v_add_nc_u32_e32 v9, v28, v12
	;; [unrolled: 3-line block ×3, first 2 shown]
	v_add_nc_u32_e32 v12, v11, v7
	v_and_b32_e32 v7, 0xffff, v15
	ds_store_b128 v22, v[25:28]
	ds_store_b128 v22, v[9:12] offset:16
	; wave barrier
	s_wait_loadcnt_dscnt 0x0
	global_inv scope:SCOPE_SE
	ds_load_u16 v5, v14
	ds_load_u16 v6, v16
	v_and_b32_e32 v9, 0xffff, v24
	; wave barrier
	s_wait_loadcnt_dscnt 0x0
	global_inv scope:SCOPE_SE
	v_add_nc_u32_e32 v5, v5, v7
	v_add_nc_u32_e32 v6, v6, v9
	ds_store_b8 v5, v13
	ds_store_b8 v6, v8
	; wave barrier
	s_wait_loadcnt_dscnt 0x0
	global_inv scope:SCOPE_SE
	ds_load_u16 v9, v21
	v_lshlrev_b32_e32 v5, 3, v5
	v_lshlrev_b32_e32 v6, 3, v6
	; wave barrier
	s_wait_loadcnt_dscnt 0x0
	global_inv scope:SCOPE_SE
	ds_store_b64 v5, v[1:2]
	ds_store_b64 v6, v[3:4]
	; wave barrier
	s_wait_loadcnt_dscnt 0x0
	global_inv scope:SCOPE_SE
	ds_load_b128 v[5:8], v20
	v_and_b32_e32 v1, 0xffffff00, v9
	v_xor_b32_e32 v2, 0x7f, v9
	s_delay_alu instid0(VALU_DEP_2) | instskip(NEXT) | instid1(VALU_DEP_2)
	v_xor_b32_e32 v1, 0x7f00, v1
	v_and_b32_e32 v2, 0xff, v2
	s_delay_alu instid0(VALU_DEP_1) | instskip(NEXT) | instid1(VALU_DEP_1)
	v_or_b32_e32 v1, v2, v1
	v_and_b32_e32 v9, 0xffff, v1
.LBB119_74:
	v_mad_co_u64_u32 v[1:2], null, s8, v0, s[12:13]
	; wave barrier
	s_wait_loadcnt_dscnt 0x0
	global_inv scope:SCOPE_SE
	ds_store_b16 v17, v9
	; wave barrier
	s_wait_loadcnt_dscnt 0x0
	global_inv scope:SCOPE_SE
	ds_load_u8 v9, v0 offset:16
	v_mad_co_u64_u32 v[3:4], null, s9, v0, v[2:3]
	s_delay_alu instid0(VALU_DEP_1)
	v_mov_b32_e32 v2, v3
	s_and_saveexec_b32 s0, s2
	s_cbranch_execz .LBB119_76
; %bb.75:
	ds_load_u8 v4, v0
	s_wait_dscnt 0x0
	global_store_b8 v[1:2], v4, off
.LBB119_76:
	s_wait_alu 0xfffe
	s_or_b32 exec_lo, exec_lo, s0
	s_and_saveexec_b32 s0, s3
	s_cbranch_execz .LBB119_78
; %bb.77:
	s_lshl_b64 s[4:5], s[8:9], 4
	s_wait_alu 0xfffe
	v_add_co_u32 v1, vcc_lo, v1, s4
	s_wait_alu 0xfffd
	v_add_co_ci_u32_e64 v2, null, s5, v3, vcc_lo
	s_wait_dscnt 0x0
	global_store_b8 v[1:2], v9, off
.LBB119_78:
	s_wait_alu 0xfffe
	s_or_b32 exec_lo, exec_lo, s0
	v_mad_co_u64_u32 v[2:3], null, s10, v0, 0
	s_wait_storecnt 0x0
	; wave barrier
	s_wait_loadcnt_dscnt 0x0
	global_inv scope:SCOPE_SE
	ds_store_2addr_b64 v19, v[5:6], v[7:8] offset1:1
	; wave barrier
	s_wait_loadcnt_dscnt 0x0
	global_inv scope:SCOPE_SE
	v_mov_b32_e32 v1, v3
	s_delay_alu instid0(VALU_DEP_1) | instskip(SKIP_2) | instid1(VALU_DEP_1)
	v_mad_co_u64_u32 v[3:4], null, s11, v0, v[1:2]
	ds_load_b64 v[0:1], v18 offset:128
	v_lshlrev_b64_e32 v[2:3], 3, v[2:3]
	v_add_co_u32 v2, vcc_lo, s14, v2
	s_wait_alu 0xfffd
	s_delay_alu instid0(VALU_DEP_2)
	v_add_co_ci_u32_e64 v3, null, s15, v3, vcc_lo
	s_and_saveexec_b32 s0, s2
	s_cbranch_execz .LBB119_80
; %bb.79:
	ds_load_b64 v[4:5], v18
	s_wait_dscnt 0x0
	global_store_b64 v[2:3], v[4:5], off
.LBB119_80:
	s_wait_alu 0xfffe
	s_or_b32 exec_lo, exec_lo, s0
	s_and_saveexec_b32 s0, s3
	s_cbranch_execz .LBB119_82
; %bb.81:
	s_lshl_b64 s[0:1], s[10:11], 7
	s_wait_alu 0xfffe
	v_add_co_u32 v2, vcc_lo, v2, s0
	s_wait_alu 0xfffd
	v_add_co_ci_u32_e64 v3, null, s1, v3, vcc_lo
	s_wait_dscnt 0x0
	global_store_b64 v[2:3], v[0:1], off
.LBB119_82:
	s_endpgm
	.section	.rodata,"a",@progbits
	.p2align	6, 0x0
	.amdhsa_kernel _ZN2at6native18radixSortKVInPlaceILin1ELin1ELi16ELi2EalmEEvNS_4cuda6detail10TensorInfoIT3_T5_EES6_S6_S6_NS4_IT4_S6_EES6_b
		.amdhsa_group_segment_fixed_size 528
		.amdhsa_private_segment_fixed_size 0
		.amdhsa_kernarg_size 1128
		.amdhsa_user_sgpr_count 2
		.amdhsa_user_sgpr_dispatch_ptr 0
		.amdhsa_user_sgpr_queue_ptr 0
		.amdhsa_user_sgpr_kernarg_segment_ptr 1
		.amdhsa_user_sgpr_dispatch_id 0
		.amdhsa_user_sgpr_private_segment_size 0
		.amdhsa_wavefront_size32 1
		.amdhsa_uses_dynamic_stack 0
		.amdhsa_enable_private_segment 0
		.amdhsa_system_sgpr_workgroup_id_x 1
		.amdhsa_system_sgpr_workgroup_id_y 1
		.amdhsa_system_sgpr_workgroup_id_z 1
		.amdhsa_system_sgpr_workgroup_info 0
		.amdhsa_system_vgpr_workitem_id 0
		.amdhsa_next_free_vgpr 35
		.amdhsa_next_free_sgpr 34
		.amdhsa_reserve_vcc 1
		.amdhsa_float_round_mode_32 0
		.amdhsa_float_round_mode_16_64 0
		.amdhsa_float_denorm_mode_32 3
		.amdhsa_float_denorm_mode_16_64 3
		.amdhsa_fp16_overflow 0
		.amdhsa_workgroup_processor_mode 1
		.amdhsa_memory_ordered 1
		.amdhsa_forward_progress 1
		.amdhsa_inst_pref_size 52
		.amdhsa_round_robin_scheduling 0
		.amdhsa_exception_fp_ieee_invalid_op 0
		.amdhsa_exception_fp_denorm_src 0
		.amdhsa_exception_fp_ieee_div_zero 0
		.amdhsa_exception_fp_ieee_overflow 0
		.amdhsa_exception_fp_ieee_underflow 0
		.amdhsa_exception_fp_ieee_inexact 0
		.amdhsa_exception_int_div_zero 0
	.end_amdhsa_kernel
	.section	.text._ZN2at6native18radixSortKVInPlaceILin1ELin1ELi16ELi2EalmEEvNS_4cuda6detail10TensorInfoIT3_T5_EES6_S6_S6_NS4_IT4_S6_EES6_b,"axG",@progbits,_ZN2at6native18radixSortKVInPlaceILin1ELin1ELi16ELi2EalmEEvNS_4cuda6detail10TensorInfoIT3_T5_EES6_S6_S6_NS4_IT4_S6_EES6_b,comdat
.Lfunc_end119:
	.size	_ZN2at6native18radixSortKVInPlaceILin1ELin1ELi16ELi2EalmEEvNS_4cuda6detail10TensorInfoIT3_T5_EES6_S6_S6_NS4_IT4_S6_EES6_b, .Lfunc_end119-_ZN2at6native18radixSortKVInPlaceILin1ELin1ELi16ELi2EalmEEvNS_4cuda6detail10TensorInfoIT3_T5_EES6_S6_S6_NS4_IT4_S6_EES6_b
                                        ; -- End function
	.set _ZN2at6native18radixSortKVInPlaceILin1ELin1ELi16ELi2EalmEEvNS_4cuda6detail10TensorInfoIT3_T5_EES6_S6_S6_NS4_IT4_S6_EES6_b.num_vgpr, 35
	.set _ZN2at6native18radixSortKVInPlaceILin1ELin1ELi16ELi2EalmEEvNS_4cuda6detail10TensorInfoIT3_T5_EES6_S6_S6_NS4_IT4_S6_EES6_b.num_agpr, 0
	.set _ZN2at6native18radixSortKVInPlaceILin1ELin1ELi16ELi2EalmEEvNS_4cuda6detail10TensorInfoIT3_T5_EES6_S6_S6_NS4_IT4_S6_EES6_b.numbered_sgpr, 34
	.set _ZN2at6native18radixSortKVInPlaceILin1ELin1ELi16ELi2EalmEEvNS_4cuda6detail10TensorInfoIT3_T5_EES6_S6_S6_NS4_IT4_S6_EES6_b.num_named_barrier, 0
	.set _ZN2at6native18radixSortKVInPlaceILin1ELin1ELi16ELi2EalmEEvNS_4cuda6detail10TensorInfoIT3_T5_EES6_S6_S6_NS4_IT4_S6_EES6_b.private_seg_size, 0
	.set _ZN2at6native18radixSortKVInPlaceILin1ELin1ELi16ELi2EalmEEvNS_4cuda6detail10TensorInfoIT3_T5_EES6_S6_S6_NS4_IT4_S6_EES6_b.uses_vcc, 1
	.set _ZN2at6native18radixSortKVInPlaceILin1ELin1ELi16ELi2EalmEEvNS_4cuda6detail10TensorInfoIT3_T5_EES6_S6_S6_NS4_IT4_S6_EES6_b.uses_flat_scratch, 0
	.set _ZN2at6native18radixSortKVInPlaceILin1ELin1ELi16ELi2EalmEEvNS_4cuda6detail10TensorInfoIT3_T5_EES6_S6_S6_NS4_IT4_S6_EES6_b.has_dyn_sized_stack, 0
	.set _ZN2at6native18radixSortKVInPlaceILin1ELin1ELi16ELi2EalmEEvNS_4cuda6detail10TensorInfoIT3_T5_EES6_S6_S6_NS4_IT4_S6_EES6_b.has_recursion, 0
	.set _ZN2at6native18radixSortKVInPlaceILin1ELin1ELi16ELi2EalmEEvNS_4cuda6detail10TensorInfoIT3_T5_EES6_S6_S6_NS4_IT4_S6_EES6_b.has_indirect_call, 0
	.section	.AMDGPU.csdata,"",@progbits
; Kernel info:
; codeLenInByte = 6632
; TotalNumSgprs: 36
; NumVgprs: 35
; ScratchSize: 0
; MemoryBound: 0
; FloatMode: 240
; IeeeMode: 1
; LDSByteSize: 528 bytes/workgroup (compile time only)
; SGPRBlocks: 0
; VGPRBlocks: 4
; NumSGPRsForWavesPerEU: 36
; NumVGPRsForWavesPerEU: 35
; Occupancy: 16
; WaveLimiterHint : 1
; COMPUTE_PGM_RSRC2:SCRATCH_EN: 0
; COMPUTE_PGM_RSRC2:USER_SGPR: 2
; COMPUTE_PGM_RSRC2:TRAP_HANDLER: 0
; COMPUTE_PGM_RSRC2:TGID_X_EN: 1
; COMPUTE_PGM_RSRC2:TGID_Y_EN: 1
; COMPUTE_PGM_RSRC2:TGID_Z_EN: 1
; COMPUTE_PGM_RSRC2:TIDIG_COMP_CNT: 0
	.section	.text._ZN2at6native18radixSortKVInPlaceILin2ELin1ELi512ELi8EiljEEvNS_4cuda6detail10TensorInfoIT3_T5_EES6_S6_S6_NS4_IT4_S6_EES6_b,"axG",@progbits,_ZN2at6native18radixSortKVInPlaceILin2ELin1ELi512ELi8EiljEEvNS_4cuda6detail10TensorInfoIT3_T5_EES6_S6_S6_NS4_IT4_S6_EES6_b,comdat
	.protected	_ZN2at6native18radixSortKVInPlaceILin2ELin1ELi512ELi8EiljEEvNS_4cuda6detail10TensorInfoIT3_T5_EES6_S6_S6_NS4_IT4_S6_EES6_b ; -- Begin function _ZN2at6native18radixSortKVInPlaceILin2ELin1ELi512ELi8EiljEEvNS_4cuda6detail10TensorInfoIT3_T5_EES6_S6_S6_NS4_IT4_S6_EES6_b
	.globl	_ZN2at6native18radixSortKVInPlaceILin2ELin1ELi512ELi8EiljEEvNS_4cuda6detail10TensorInfoIT3_T5_EES6_S6_S6_NS4_IT4_S6_EES6_b
	.p2align	8
	.type	_ZN2at6native18radixSortKVInPlaceILin2ELin1ELi512ELi8EiljEEvNS_4cuda6detail10TensorInfoIT3_T5_EES6_S6_S6_NS4_IT4_S6_EES6_b,@function
_ZN2at6native18radixSortKVInPlaceILin2ELin1ELi512ELi8EiljEEvNS_4cuda6detail10TensorInfoIT3_T5_EES6_S6_S6_NS4_IT4_S6_EES6_b: ; @_ZN2at6native18radixSortKVInPlaceILin2ELin1ELi512ELi8EiljEEvNS_4cuda6detail10TensorInfoIT3_T5_EES6_S6_S6_NS4_IT4_S6_EES6_b
; %bb.0:
	s_clause 0x1
	s_load_b64 s[2:3], s[0:1], 0x1c8
	s_load_b96 s[24:26], s[0:1], 0xd8
	s_lshr_b32 s4, ttmp7, 16
	s_wait_kmcnt 0x0
	s_mul_i32 s3, s3, s4
	s_and_b32 s4, ttmp7, 0xffff
	s_delay_alu instid0(SALU_CYCLE_1) | instskip(NEXT) | instid1(SALU_CYCLE_1)
	s_add_co_i32 s3, s3, s4
	s_mul_i32 s4, s3, s2
	s_delay_alu instid0(SALU_CYCLE_1) | instskip(NEXT) | instid1(SALU_CYCLE_1)
	s_add_co_i32 s4, s4, ttmp9
	s_cmp_ge_u32 s4, s24
	s_cbranch_scc1 .LBB120_110
; %bb.1:
	s_load_b32 s2, s[0:1], 0x1b8
	s_add_nc_u64 s[14:15], s[0:1], 0xe8
	s_mov_b32 s13, 0
	s_mov_b32 s16, s4
	s_wait_kmcnt 0x0
	s_cmp_lt_i32 s2, 2
	s_cbranch_scc1 .LBB120_4
; %bb.2:
	s_add_co_i32 s12, s2, -1
	s_add_co_i32 s5, s2, 1
	s_lshl_b64 s[6:7], s[12:13], 2
	s_mov_b32 s16, s4
	s_add_nc_u64 s[6:7], s[14:15], s[6:7]
	s_delay_alu instid0(SALU_CYCLE_1)
	s_add_nc_u64 s[2:3], s[6:7], 8
.LBB120_3:                              ; =>This Inner Loop Header: Depth=1
	s_clause 0x1
	s_load_b32 s6, s[2:3], 0x0
	s_load_b32 s7, s[2:3], 0x64
	s_mov_b32 s10, s16
	s_add_nc_u64 s[2:3], s[2:3], -4
	s_wait_kmcnt 0x0
	s_cvt_f32_u32 s8, s6
	s_sub_co_i32 s9, 0, s6
	s_wait_alu 0xfffe
	s_delay_alu instid0(SALU_CYCLE_1) | instskip(NEXT) | instid1(TRANS32_DEP_1)
	v_rcp_iflag_f32_e32 v1, s8
	v_readfirstlane_b32 s8, v1
	s_mul_f32 s8, s8, 0x4f7ffffe
	s_wait_alu 0xfffe
	s_delay_alu instid0(SALU_CYCLE_2) | instskip(SKIP_1) | instid1(SALU_CYCLE_2)
	s_cvt_u32_f32 s8, s8
	s_wait_alu 0xfffe
	s_mul_i32 s9, s9, s8
	s_wait_alu 0xfffe
	s_mul_hi_u32 s9, s8, s9
	s_wait_alu 0xfffe
	s_add_co_i32 s8, s8, s9
	s_wait_alu 0xfffe
	s_mul_hi_u32 s8, s16, s8
	s_wait_alu 0xfffe
	s_mul_i32 s9, s8, s6
	s_add_co_i32 s11, s8, 1
	s_wait_alu 0xfffe
	s_sub_co_i32 s9, s16, s9
	s_wait_alu 0xfffe
	s_sub_co_i32 s12, s9, s6
	s_cmp_ge_u32 s9, s6
	s_cselect_b32 s8, s11, s8
	s_cselect_b32 s9, s12, s9
	s_wait_alu 0xfffe
	s_add_co_i32 s11, s8, 1
	s_cmp_ge_u32 s9, s6
	s_cselect_b32 s16, s11, s8
	s_add_co_i32 s5, s5, -1
	s_mul_i32 s6, s16, s6
	s_delay_alu instid0(SALU_CYCLE_1) | instskip(NEXT) | instid1(SALU_CYCLE_1)
	s_sub_co_i32 s6, s10, s6
	s_mul_i32 s6, s7, s6
	s_delay_alu instid0(SALU_CYCLE_1)
	s_add_co_i32 s13, s6, s13
	s_cmp_gt_u32 s5, 2
	s_cbranch_scc1 .LBB120_3
.LBB120_4:
	s_clause 0x2
	s_load_b64 s[28:29], s[0:1], 0x1c0
	s_load_b64 s[2:3], s[0:1], 0x0
	s_load_b32 s5, s[0:1], 0x6c
	s_add_nc_u64 s[34:35], s[0:1], 0x1c8
	s_brev_b32 s0, 1
	s_mov_b32 s19, 0
	s_wait_kmcnt 0x0
	s_bitcmp1_b32 s29, 0
	s_mul_i32 s18, s5, s4
	s_cselect_b32 s12, -1, 0
	s_delay_alu instid0(SALU_CYCLE_1)
	s_and_b32 s1, s12, exec_lo
	s_cselect_b32 s4, s0, 0x7fffffff
	s_lshl_b64 s[18:19], s[18:19], 2
	s_mov_b32 s5, s4
	s_mov_b32 s6, s4
	;; [unrolled: 1-line block ×7, first 2 shown]
	v_dual_mov_b32 v1, s4 :: v_dual_and_b32 v42, 0x3ff, v0
	v_dual_mov_b32 v2, s5 :: v_dual_mov_b32 v3, s6
	s_wait_alu 0xfffe
	v_dual_mov_b32 v4, s7 :: v_dual_mov_b32 v5, s8
	s_delay_alu instid0(VALU_DEP_3)
	v_mul_lo_u32 v40, s26, v42
	v_cmp_gt_u32_e64 s0, s25, v42
	v_dual_mov_b32 v6, s9 :: v_dual_mov_b32 v7, s10
	v_dual_mov_b32 v8, s11 :: v_dual_mov_b32 v9, s4
	s_add_nc_u64 s[30:31], s[2:3], s[18:19]
	s_and_saveexec_b32 s1, s0
	s_cbranch_execz .LBB120_6
; %bb.5:
	v_mov_b32_e32 v41, 0
	s_delay_alu instid0(VALU_DEP_1) | instskip(NEXT) | instid1(VALU_DEP_1)
	v_lshlrev_b64_e32 v[1:2], 2, v[40:41]
	v_add_co_u32 v1, vcc_lo, s30, v1
	s_delay_alu instid0(VALU_DEP_1)
	v_add_co_ci_u32_e64 v2, null, s31, v2, vcc_lo
	global_load_b32 v9, v[1:2], off
	v_dual_mov_b32 v1, s4 :: v_dual_mov_b32 v4, s7
	v_dual_mov_b32 v2, s5 :: v_dual_mov_b32 v3, s6
	;; [unrolled: 1-line block ×4, first 2 shown]
.LBB120_6:
	s_or_b32 exec_lo, exec_lo, s1
	v_add_nc_u32_e32 v15, 0x200, v42
	s_delay_alu instid0(VALU_DEP_1)
	v_cmp_gt_u32_e64 s1, s25, v15
	s_and_saveexec_b32 s2, s1
	s_cbranch_execz .LBB120_8
; %bb.7:
	v_mul_lo_u32 v1, s26, v15
	v_mov_b32_e32 v2, 0
	s_delay_alu instid0(VALU_DEP_1) | instskip(NEXT) | instid1(VALU_DEP_1)
	v_lshlrev_b64_e32 v[1:2], 2, v[1:2]
	v_add_co_u32 v1, vcc_lo, s30, v1
	s_wait_alu 0xfffd
	s_delay_alu instid0(VALU_DEP_2)
	v_add_co_ci_u32_e64 v2, null, s31, v2, vcc_lo
	global_load_b32 v2, v[1:2], off
.LBB120_8:
	s_or_b32 exec_lo, exec_lo, s2
	v_or_b32_e32 v16, 0x400, v42
	s_delay_alu instid0(VALU_DEP_1)
	v_cmp_gt_u32_e64 s2, s25, v16
	s_and_saveexec_b32 s3, s2
	s_cbranch_execz .LBB120_10
; %bb.9:
	v_mul_lo_u32 v10, s26, v16
	v_mov_b32_e32 v11, 0
	s_delay_alu instid0(VALU_DEP_1) | instskip(NEXT) | instid1(VALU_DEP_1)
	v_lshlrev_b64_e32 v[10:11], 2, v[10:11]
	v_add_co_u32 v10, vcc_lo, s30, v10
	s_wait_alu 0xfffd
	s_delay_alu instid0(VALU_DEP_2)
	v_add_co_ci_u32_e64 v11, null, s31, v11, vcc_lo
	global_load_b32 v3, v[10:11], off
.LBB120_10:
	s_or_b32 exec_lo, exec_lo, s3
	v_add_nc_u32_e32 v19, 0x600, v42
	s_delay_alu instid0(VALU_DEP_1)
	v_cmp_gt_u32_e64 s3, s25, v19
	s_and_saveexec_b32 s4, s3
	s_cbranch_execz .LBB120_12
; %bb.11:
	v_mul_lo_u32 v10, s26, v19
	v_mov_b32_e32 v11, 0
	s_delay_alu instid0(VALU_DEP_1) | instskip(NEXT) | instid1(VALU_DEP_1)
	v_lshlrev_b64_e32 v[10:11], 2, v[10:11]
	v_add_co_u32 v10, vcc_lo, s30, v10
	s_wait_alu 0xfffd
	s_delay_alu instid0(VALU_DEP_2)
	v_add_co_ci_u32_e64 v11, null, s31, v11, vcc_lo
	global_load_b32 v4, v[10:11], off
.LBB120_12:
	s_wait_alu 0xfffe
	s_or_b32 exec_lo, exec_lo, s4
	v_or_b32_e32 v20, 0x800, v42
	s_delay_alu instid0(VALU_DEP_1)
	v_cmp_gt_u32_e64 s4, s25, v20
	s_and_saveexec_b32 s5, s4
	s_cbranch_execz .LBB120_14
; %bb.13:
	v_mul_lo_u32 v10, s26, v20
	v_mov_b32_e32 v11, 0
	s_delay_alu instid0(VALU_DEP_1) | instskip(NEXT) | instid1(VALU_DEP_1)
	v_lshlrev_b64_e32 v[10:11], 2, v[10:11]
	v_add_co_u32 v10, vcc_lo, s30, v10
	s_wait_alu 0xfffd
	s_delay_alu instid0(VALU_DEP_2)
	v_add_co_ci_u32_e64 v11, null, s31, v11, vcc_lo
	global_load_b32 v5, v[10:11], off
.LBB120_14:
	s_wait_alu 0xfffe
	s_or_b32 exec_lo, exec_lo, s5
	v_add_nc_u32_e32 v21, 0xa00, v42
	s_delay_alu instid0(VALU_DEP_1)
	v_cmp_gt_u32_e64 s5, s25, v21
	s_and_saveexec_b32 s6, s5
	s_cbranch_execz .LBB120_16
; %bb.15:
	v_mul_lo_u32 v10, s26, v21
	v_mov_b32_e32 v11, 0
	s_delay_alu instid0(VALU_DEP_1) | instskip(NEXT) | instid1(VALU_DEP_1)
	v_lshlrev_b64_e32 v[10:11], 2, v[10:11]
	v_add_co_u32 v10, vcc_lo, s30, v10
	s_wait_alu 0xfffd
	s_delay_alu instid0(VALU_DEP_2)
	v_add_co_ci_u32_e64 v11, null, s31, v11, vcc_lo
	global_load_b32 v6, v[10:11], off
.LBB120_16:
	s_wait_alu 0xfffe
	s_or_b32 exec_lo, exec_lo, s6
	v_or_b32_e32 v22, 0xc00, v42
	s_delay_alu instid0(VALU_DEP_1)
	v_cmp_gt_u32_e64 s6, s25, v22
	s_and_saveexec_b32 s7, s6
	s_cbranch_execz .LBB120_18
; %bb.17:
	v_mul_lo_u32 v10, s26, v22
	v_mov_b32_e32 v11, 0
	s_delay_alu instid0(VALU_DEP_1) | instskip(NEXT) | instid1(VALU_DEP_1)
	v_lshlrev_b64_e32 v[10:11], 2, v[10:11]
	v_add_co_u32 v10, vcc_lo, s30, v10
	s_wait_alu 0xfffd
	s_delay_alu instid0(VALU_DEP_2)
	v_add_co_ci_u32_e64 v11, null, s31, v11, vcc_lo
	global_load_b32 v7, v[10:11], off
.LBB120_18:
	s_wait_alu 0xfffe
	s_or_b32 exec_lo, exec_lo, s7
	s_clause 0x1
	s_load_b32 s10, s[14:15], 0x6c
	s_load_b64 s[8:9], s[14:15], 0x0
	v_add_nc_u32_e32 v23, 0xe00, v42
	s_delay_alu instid0(VALU_DEP_1)
	v_cmp_gt_u32_e64 s7, s25, v23
	s_and_saveexec_b32 s11, s7
	s_cbranch_execz .LBB120_20
; %bb.19:
	v_mul_lo_u32 v10, s26, v23
	v_mov_b32_e32 v11, 0
	s_delay_alu instid0(VALU_DEP_1) | instskip(NEXT) | instid1(VALU_DEP_1)
	v_lshlrev_b64_e32 v[10:11], 2, v[10:11]
	v_add_co_u32 v10, vcc_lo, s30, v10
	s_wait_alu 0xfffd
	s_delay_alu instid0(VALU_DEP_2)
	v_add_co_ci_u32_e64 v11, null, s31, v11, vcc_lo
	global_load_b32 v8, v[10:11], off
.LBB120_20:
	s_wait_alu 0xfffe
	s_or_b32 exec_lo, exec_lo, s11
	v_lshrrev_b32_e32 v17, 5, v42
	v_lshrrev_b32_e32 v1, 5, v15
	;; [unrolled: 1-line block ×3, first 2 shown]
	s_wait_kmcnt 0x0
	s_mul_i32 s10, s10, s16
	v_mul_lo_u32 v37, s28, v42
	v_dual_mov_b32 v38, 0 :: v_dual_add_nc_u32 v27, v17, v42
	v_add_nc_u32_e32 v26, v1, v42
	v_lshrrev_b32_e32 v1, 5, v19
	v_dual_mov_b32 v13, 0 :: v_dual_add_nc_u32 v24, v10, v42
	s_delay_alu instid0(VALU_DEP_4) | instskip(NEXT) | instid1(VALU_DEP_3)
	v_dual_mov_b32 v10, v38 :: v_dual_lshlrev_b32 v73, 2, v27
	v_add_nc_u32_e32 v25, v1, v42
	v_lshrrev_b32_e32 v1, 5, v20
	v_mov_b32_e32 v39, v38
	v_lshlrev_b32_e32 v41, 2, v26
	v_lshlrev_b32_e32 v74, 2, v24
	;; [unrolled: 1-line block ×3, first 2 shown]
	v_add_nc_u32_e32 v28, v1, v42
	v_lshrrev_b32_e32 v1, 5, v21
	s_wait_loadcnt 0x0
	ds_store_b32 v73, v9
	ds_store_b32 v41, v2 offset:2048
	ds_store_b32 v74, v3 offset:4096
	v_lshrrev_b32_e32 v2, 5, v22
	v_lshrrev_b32_e32 v3, 5, v23
	v_lshlrev_b32_e32 v75, 2, v25
	v_add_nc_u32_e32 v32, v1, v42
	v_lshrrev_b32_e32 v1, 2, v42
	v_add_nc_u32_e32 v30, v2, v42
	v_add_nc_u32_e32 v29, v3, v42
	ds_store_b32 v75, v4 offset:6144
	v_mov_b32_e32 v3, v38
	v_add_nc_u32_e32 v31, v1, v18
	v_dual_mov_b32 v1, v38 :: v_dual_lshlrev_b32 v76, 2, v28
	v_dual_mov_b32 v11, v38 :: v_dual_lshlrev_b32 v78, 2, v30
	s_delay_alu instid0(VALU_DEP_3)
	v_lshlrev_b32_e32 v80, 2, v31
	v_dual_mov_b32 v12, v38 :: v_dual_lshlrev_b32 v79, 2, v29
	ds_store_b32 v76, v5 offset:8192
	v_mov_b32_e32 v5, v38
	v_dual_mov_b32 v14, 0 :: v_dual_lshlrev_b32 v77, 2, v32
	ds_store_b32 v77, v6 offset:10240
	ds_store_b32 v78, v7 offset:12288
	ds_store_b32 v79, v8 offset:14336
	s_wait_dscnt 0x0
	s_barrier_signal -1
	s_barrier_wait -1
	global_inv scope:SCOPE_SE
	ds_load_2addr_b32 v[49:50], v80 offset1:1
	ds_load_2addr_b32 v[47:48], v80 offset0:2 offset1:3
	ds_load_2addr_b32 v[45:46], v80 offset0:4 offset1:5
	ds_load_2addr_b32 v[43:44], v80 offset0:6 offset1:7
	s_mov_b32 s11, 0
	s_wait_alu 0xfffe
	s_add_co_i32 s10, s10, s13
	v_dual_mov_b32 v9, v38 :: v_dual_mov_b32 v2, v38
	v_mov_b32_e32 v4, v38
	v_dual_mov_b32 v6, v38 :: v_dual_mov_b32 v7, v38
	v_mov_b32_e32 v8, v38
	s_wait_alu 0xfffe
	s_lshl_b64 s[10:11], s[10:11], 3
	s_wait_loadcnt_dscnt 0x0
	s_wait_alu 0xfffe
	s_add_nc_u64 s[24:25], s[8:9], s[10:11]
	s_barrier_signal -1
	s_barrier_wait -1
	global_inv scope:SCOPE_SE
	s_and_saveexec_b32 s8, s0
	s_cbranch_execnz .LBB120_56
; %bb.21:
	s_wait_alu 0xfffe
	s_or_b32 exec_lo, exec_lo, s8
	s_and_saveexec_b32 s8, s1
	s_cbranch_execnz .LBB120_57
.LBB120_22:
	s_wait_alu 0xfffe
	s_or_b32 exec_lo, exec_lo, s8
	s_and_saveexec_b32 s8, s2
	s_cbranch_execnz .LBB120_58
.LBB120_23:
	s_wait_alu 0xfffe
	s_or_b32 exec_lo, exec_lo, s8
	s_and_saveexec_b32 s8, s3
	s_cbranch_execnz .LBB120_59
.LBB120_24:
	s_wait_alu 0xfffe
	s_or_b32 exec_lo, exec_lo, s8
	s_and_saveexec_b32 s8, s4
	s_cbranch_execnz .LBB120_60
.LBB120_25:
	s_wait_alu 0xfffe
	s_or_b32 exec_lo, exec_lo, s8
	s_and_saveexec_b32 s8, s5
	s_cbranch_execnz .LBB120_61
.LBB120_26:
	s_wait_alu 0xfffe
	s_or_b32 exec_lo, exec_lo, s8
	s_and_saveexec_b32 s8, s6
	s_cbranch_execnz .LBB120_62
.LBB120_27:
	s_wait_alu 0xfffe
	s_or_b32 exec_lo, exec_lo, s8
	s_xor_b32 s8, s12, -1
	s_and_saveexec_b32 s9, s7
	s_cbranch_execz .LBB120_29
.LBB120_28:
	v_mul_lo_u32 v11, s28, v23
	v_mov_b32_e32 v12, 0
	s_delay_alu instid0(VALU_DEP_1) | instskip(NEXT) | instid1(VALU_DEP_1)
	v_lshlrev_b64_e32 v[11:12], 3, v[11:12]
	v_add_co_u32 v11, vcc_lo, s24, v11
	s_wait_alu 0xfffd
	s_delay_alu instid0(VALU_DEP_2)
	v_add_co_ci_u32_e64 v12, null, s25, v12, vcc_lo
	global_load_b64 v[11:12], v[11:12], off
.LBB120_29:
	s_wait_alu 0xfffe
	s_or_b32 exec_lo, exec_lo, s9
	v_lshlrev_b32_e32 v81, 3, v27
	v_lshlrev_b32_e32 v84, 3, v25
	;; [unrolled: 1-line block ×9, first 2 shown]
	s_wait_loadcnt 0x0
	ds_store_b64 v81, v[13:14]
	ds_store_b64 v82, v[38:39] offset:4096
	ds_store_b64 v83, v[9:10] offset:8192
	;; [unrolled: 1-line block ×7, first 2 shown]
	s_wait_dscnt 0x0
	s_barrier_signal -1
	s_barrier_wait -1
	global_inv scope:SCOPE_SE
	ds_load_2addr_b64 v[5:8], v89 offset1:1
	ds_load_2addr_b64 v[1:4], v89 offset0:2 offset1:3
	v_mbcnt_lo_u32_b32 v93, -1, 0
	v_and_b32_e32 v20, 0x1f00, v18
	ds_load_2addr_b64 v[13:16], v89 offset0:4 offset1:5
	ds_load_2addr_b64 v[9:12], v89 offset0:6 offset1:7
	v_and_b32_e32 v19, 0x3e0, v42
	s_and_b32 vcc_lo, exec_lo, s8
	v_bfe_u32 v97, v0, 10, 10
	v_or_b32_e32 v20, v93, v20
	v_bfe_u32 v98, v0, 20, 10
	v_or_b32_e32 v21, v93, v19
	v_lshlrev_b32_e32 v90, 2, v18
	v_and_b32_e32 v0, 15, v93
	v_lshlrev_b32_e32 v91, 2, v20
	v_and_b32_e32 v95, 16, v93
	v_lshlrev_b32_e32 v100, 3, v21
	v_lshlrev_b32_e32 v101, 5, v21
	v_min_u32_e32 v96, 0x1e0, v19
	v_lshl_add_u32 v99, v20, 2, v91
	v_cmp_gt_u32_e64 s8, 16, v42
	v_cmp_lt_u32_e64 s9, 31, v42
	v_cmp_eq_u32_e64 s10, 0, v42
	v_lshlrev_b32_e32 v92, 2, v17
	v_mul_i32_i24_e32 v94, 0xffffffe4, v42
	s_mov_b32 s20, 0
	s_mov_b32 s11, -1
	s_wait_loadcnt_dscnt 0x0
	s_barrier_signal -1
	s_barrier_wait -1
	global_inv scope:SCOPE_SE
	s_wait_alu 0xfffe
	s_cbranch_vccz .LBB120_63
; %bb.30:
	v_xor_b32_e32 v17, 0x80000000, v49
	v_xor_b32_e32 v18, 0x80000000, v50
	;; [unrolled: 1-line block ×8, first 2 shown]
	ds_store_b128 v101, v[17:20]
	ds_store_b128 v101, v[21:24] offset:16
	v_lshlrev_b32_e32 v17, 3, v100
	; wave barrier
	ds_load_2addr_b32 v[65:66], v91 offset1:32
	ds_load_2addr_b32 v[67:68], v91 offset0:64 offset1:96
	ds_load_2addr_b32 v[69:70], v91 offset0:128 offset1:160
	;; [unrolled: 1-line block ×3, first 2 shown]
	s_wait_loadcnt_dscnt 0x0
	s_barrier_signal -1
	s_barrier_wait -1
	global_inv scope:SCOPE_SE
	ds_store_b128 v17, v[5:8]
	ds_store_b128 v17, v[1:4] offset:16
	ds_store_b128 v17, v[13:16] offset:32
	;; [unrolled: 1-line block ×3, first 2 shown]
	; wave barrier
	ds_load_2addr_b64 v[21:24], v99 offset1:32
	ds_load_2addr_b64 v[25:28], v99 offset0:64 offset1:96
	ds_load_2addr_b64 v[29:32], v99 offset0:128 offset1:160
	;; [unrolled: 1-line block ×3, first 2 shown]
	s_wait_loadcnt_dscnt 0x0
	s_barrier_signal -1
	s_barrier_wait -1
	global_inv scope:SCOPE_SE
	s_load_b32 s11, s[34:35], 0xc
	s_getpc_b64 s[12:13]
	s_sext_i32_i16 s13, s13
	s_add_co_u32 s12, s12, _ZN7rocprim17ROCPRIM_400000_NS16block_radix_sortIiLj512ELj8ElLj1ELj1ELj0ELNS0_26block_radix_rank_algorithmE1ELNS0_18block_padding_hintE2ELNS0_4arch9wavefront6targetE0EE19radix_bits_per_passE@rel32@lo+8
	s_add_co_ci_u32 s13, s13, _ZN7rocprim17ROCPRIM_400000_NS16block_radix_sortIiLj512ELj8ElLj1ELj1ELj0ELNS0_26block_radix_rank_algorithmE1ELNS0_18block_padding_hintE2ELNS0_4arch9wavefront6targetE0EE19radix_bits_per_passE@rel32@hi+16
	v_or_b32_e32 v19, 31, v96
	s_load_b32 s19, s[12:13], 0x0
	s_mov_b32 s21, s20
	s_mov_b32 s22, s20
	;; [unrolled: 1-line block ×3, first 2 shown]
	v_cmp_eq_u32_e64 s17, v42, v19
	v_cmp_eq_u32_e64 s12, 0, v0
	v_cmp_lt_u32_e64 s13, 1, v0
	v_cmp_lt_u32_e64 s15, 7, v0
	v_cmp_eq_u32_e64 s16, 0, v95
	v_add_nc_u32_e32 v103, -4, v92
	v_add_nc_u32_e32 v106, v90, v94
	v_add_nc_u32_e32 v107, v91, v91
	v_mov_b32_e32 v105, 0
	s_wait_kmcnt 0x0
	s_lshr_b32 s14, s11, 16
	s_and_b32 s11, s11, 0xffff
	v_mad_u32_u24 v17, v98, s14, v97
	v_cmp_lt_u32_e64 s14, 3, v0
	s_wait_alu 0xfffe
	s_delay_alu instid0(VALU_DEP_2) | instskip(SKIP_1) | instid1(VALU_DEP_1)
	v_mad_co_u64_u32 v[17:18], null, v17, s11, v[42:43]
	v_sub_co_u32 v18, s11, v93, 1
	v_cmp_gt_i32_e32 vcc_lo, 0, v18
	s_delay_alu instid0(VALU_DEP_3) | instskip(SKIP_2) | instid1(VALU_DEP_2)
	v_lshrrev_b32_e32 v17, 3, v17
	s_wait_alu 0xfffd
	v_cndmask_b32_e32 v18, v18, v93, vcc_lo
	v_and_b32_e32 v104, 0x1ffffffc, v17
	s_delay_alu instid0(VALU_DEP_2)
	v_dual_mov_b32 v17, s20 :: v_dual_lshlrev_b32 v102, 2, v18
	v_dual_mov_b32 v18, s21 :: v_dual_mov_b32 v19, s22
	v_mov_b32_e32 v20, s23
	s_mov_b32 s20, 32
	s_branch .LBB120_32
.LBB120_31:                             ;   in Loop: Header=BB120_32 Depth=1
	s_wait_alu 0xfffe
	s_and_not1_b32 vcc_lo, exec_lo, s21
	s_mov_b32 s20, s18
	s_wait_alu 0xfffe
	s_cbranch_vccz .LBB120_64
.LBB120_32:                             ; =>This Inner Loop Header: Depth=1
	s_wait_alu 0xfffe
	s_min_u32 s18, s19, s20
	v_mov_b32_e32 v60, v26
	s_wait_alu 0xfffe
	s_lshl_b32 s18, -1, s18
	v_mov_b32_e32 v62, v24
	s_wait_alu 0xfffe
	s_not_b32 s21, s18
	v_mov_b32_e32 v108, v65
	v_dual_mov_b32 v64, v22 :: v_dual_mov_b32 v109, v72
	v_mov_b32_e32 v110, v71
	ds_store_b128 v90, v[17:20] offset:64
	ds_store_b128 v90, v[17:20] offset:80
	v_lshrrev_b32_e32 v38, v105, v108
	s_wait_loadcnt_dscnt 0x0
	s_barrier_signal -1
	s_barrier_wait -1
	global_inv scope:SCOPE_SE
	s_wait_alu 0xfffe
	v_and_b32_e32 v65, s21, v38
	v_mov_b32_e32 v111, v70
	; wave barrier
	s_delay_alu instid0(VALU_DEP_2) | instskip(SKIP_3) | instid1(VALU_DEP_3)
	v_dual_mov_b32 v112, v69 :: v_dual_lshlrev_b32 v39, 30, v65
	v_and_b32_e32 v38, 1, v65
	v_dual_mov_b32 v114, v67 :: v_dual_lshlrev_b32 v51, 29, v65
	v_dual_mov_b32 v113, v68 :: v_dual_lshlrev_b32 v52, 28, v65
	v_add_co_u32 v38, s18, v38, -1
	s_wait_alu 0xf1ff
	v_cndmask_b32_e64 v53, 0, 1, s18
	v_not_b32_e32 v57, v39
	v_cmp_gt_i32_e64 s18, 0, v39
	v_not_b32_e32 v39, v51
	v_dual_mov_b32 v115, v66 :: v_dual_lshlrev_b32 v54, 27, v65
	v_cmp_ne_u32_e32 vcc_lo, 0, v53
	v_ashrrev_i32_e32 v57, 31, v57
	s_delay_alu instid0(VALU_DEP_4)
	v_ashrrev_i32_e32 v39, 31, v39
	v_lshlrev_b32_e32 v55, 26, v65
	v_lshlrev_b32_e32 v56, 25, v65
	s_wait_alu 0xfffd
	v_xor_b32_e32 v38, vcc_lo, v38
	v_cmp_gt_i32_e32 vcc_lo, 0, v51
	v_not_b32_e32 v51, v52
	s_wait_alu 0xf1ff
	v_xor_b32_e32 v57, s18, v57
	v_cmp_gt_i32_e64 s18, 0, v52
	v_and_b32_e32 v38, exec_lo, v38
	v_not_b32_e32 v52, v54
	v_ashrrev_i32_e32 v51, 31, v51
	s_wait_alu 0xfffd
	v_xor_b32_e32 v39, vcc_lo, v39
	v_cmp_gt_i32_e32 vcc_lo, 0, v54
	v_and_b32_e32 v38, v38, v57
	v_ashrrev_i32_e32 v52, 31, v52
	v_not_b32_e32 v54, v55
	s_wait_alu 0xf1ff
	v_xor_b32_e32 v51, s18, v51
	v_cmp_gt_i32_e64 s18, 0, v55
	v_and_b32_e32 v38, v38, v39
	v_not_b32_e32 v39, v56
	s_wait_alu 0xfffd
	v_xor_b32_e32 v52, vcc_lo, v52
	v_cmp_gt_i32_e32 vcc_lo, 0, v56
	v_dual_mov_b32 v56, v30 :: v_dual_lshlrev_b32 v53, 24, v65
	v_ashrrev_i32_e32 v54, 31, v54
	v_dual_mov_b32 v55, v29 :: v_dual_and_b32 v38, v38, v51
	v_ashrrev_i32_e32 v39, 31, v39
	s_delay_alu instid0(VALU_DEP_4)
	v_not_b32_e32 v51, v53
	s_wait_alu 0xf1ff
	v_xor_b32_e32 v54, s18, v54
	v_cmp_gt_i32_e64 s18, 0, v53
	v_dual_mov_b32 v59, v25 :: v_dual_and_b32 v38, v38, v52
	v_ashrrev_i32_e32 v51, 31, v51
	s_wait_alu 0xfffd
	v_xor_b32_e32 v39, vcc_lo, v39
	s_delay_alu instid0(VALU_DEP_3)
	v_dual_mov_b32 v61, v23 :: v_dual_and_b32 v38, v38, v54
	v_mov_b32_e32 v63, v21
	s_wait_alu 0xf1ff
	v_xor_b32_e32 v57, s18, v51
	v_dual_mov_b32 v52, v34 :: v_dual_lshlrev_b32 v21, 6, v65
	v_and_b32_e32 v58, v38, v39
	v_dual_mov_b32 v54, v32 :: v_dual_mov_b32 v53, v31
	v_dual_mov_b32 v39, v36 :: v_dual_mov_b32 v38, v35
	s_delay_alu instid0(VALU_DEP_3) | instskip(SKIP_2) | instid1(VALU_DEP_3)
	v_dual_mov_b32 v58, v28 :: v_dual_and_b32 v31, v58, v57
	v_mov_b32_e32 v51, v33
	v_dual_mov_b32 v57, v27 :: v_dual_add_nc_u32 v30, v104, v21
	v_mbcnt_lo_u32_b32 v29, v31, 0
	v_cmp_ne_u32_e64 s18, 0, v31
	s_delay_alu instid0(VALU_DEP_2)
	v_cmp_eq_u32_e32 vcc_lo, 0, v29
	s_and_b32 s22, s18, vcc_lo
	s_wait_alu 0xfffe
	s_and_saveexec_b32 s18, s22
; %bb.33:                               ;   in Loop: Header=BB120_32 Depth=1
	v_bcnt_u32_b32 v21, v31, 0
	ds_store_b32 v30, v21 offset:64
; %bb.34:                               ;   in Loop: Header=BB120_32 Depth=1
	s_wait_alu 0xfffe
	s_or_b32 exec_lo, exec_lo, s18
	v_lshrrev_b32_e32 v21, v105, v115
	; wave barrier
	s_delay_alu instid0(VALU_DEP_1) | instskip(NEXT) | instid1(VALU_DEP_1)
	v_and_b32_e32 v21, s21, v21
	v_and_b32_e32 v22, 1, v21
	v_lshlrev_b32_e32 v23, 30, v21
	v_lshlrev_b32_e32 v24, 29, v21
	v_lshlrev_b32_e32 v25, 28, v21
	v_lshlrev_b32_e32 v27, 27, v21
	v_add_co_u32 v22, s18, v22, -1
	s_wait_alu 0xf1ff
	v_cndmask_b32_e64 v26, 0, 1, s18
	v_not_b32_e32 v32, v23
	v_cmp_gt_i32_e64 s18, 0, v23
	v_not_b32_e32 v23, v24
	v_lshlrev_b32_e32 v28, 26, v21
	v_cmp_ne_u32_e32 vcc_lo, 0, v26
	v_ashrrev_i32_e32 v32, 31, v32
	v_lshlrev_b32_e32 v31, 25, v21
	v_ashrrev_i32_e32 v23, 31, v23
	v_lshlrev_b32_e32 v26, 24, v21
	s_wait_alu 0xfffd
	v_xor_b32_e32 v22, vcc_lo, v22
	v_cmp_gt_i32_e32 vcc_lo, 0, v24
	v_not_b32_e32 v24, v25
	s_wait_alu 0xf1ff
	v_xor_b32_e32 v32, s18, v32
	v_cmp_gt_i32_e64 s18, 0, v25
	v_and_b32_e32 v22, exec_lo, v22
	v_not_b32_e32 v25, v27
	v_ashrrev_i32_e32 v24, 31, v24
	s_wait_alu 0xfffd
	v_xor_b32_e32 v23, vcc_lo, v23
	v_cmp_gt_i32_e32 vcc_lo, 0, v27
	v_and_b32_e32 v22, v22, v32
	v_not_b32_e32 v27, v28
	v_ashrrev_i32_e32 v25, 31, v25
	s_wait_alu 0xf1ff
	v_xor_b32_e32 v24, s18, v24
	v_cmp_gt_i32_e64 s18, 0, v28
	v_and_b32_e32 v22, v22, v23
	v_not_b32_e32 v23, v31
	v_ashrrev_i32_e32 v27, 31, v27
	s_wait_alu 0xfffd
	v_xor_b32_e32 v25, vcc_lo, v25
	v_cmp_gt_i32_e32 vcc_lo, 0, v31
	v_and_b32_e32 v22, v22, v24
	v_not_b32_e32 v24, v26
	v_ashrrev_i32_e32 v23, 31, v23
	s_wait_alu 0xf1ff
	v_xor_b32_e32 v27, s18, v27
	v_lshlrev_b32_e32 v21, 6, v21
	v_and_b32_e32 v22, v22, v25
	v_cmp_gt_i32_e64 s18, 0, v26
	v_ashrrev_i32_e32 v24, 31, v24
	s_wait_alu 0xfffd
	v_xor_b32_e32 v23, vcc_lo, v23
	v_add_nc_u32_e32 v33, v104, v21
	v_and_b32_e32 v22, v22, v27
	s_wait_alu 0xf1ff
	v_xor_b32_e32 v21, s18, v24
	ds_load_b32 v31, v33 offset:64
	v_and_b32_e32 v22, v22, v23
	; wave barrier
	s_delay_alu instid0(VALU_DEP_1) | instskip(NEXT) | instid1(VALU_DEP_1)
	v_and_b32_e32 v21, v22, v21
	v_mbcnt_lo_u32_b32 v32, v21, 0
	v_cmp_ne_u32_e64 s18, 0, v21
	s_delay_alu instid0(VALU_DEP_2)
	v_cmp_eq_u32_e32 vcc_lo, 0, v32
	s_and_b32 s22, s18, vcc_lo
	s_wait_alu 0xfffe
	s_and_saveexec_b32 s18, s22
	s_cbranch_execz .LBB120_36
; %bb.35:                               ;   in Loop: Header=BB120_32 Depth=1
	s_wait_dscnt 0x0
	v_bcnt_u32_b32 v21, v21, v31
	ds_store_b32 v33, v21 offset:64
.LBB120_36:                             ;   in Loop: Header=BB120_32 Depth=1
	s_wait_alu 0xfffe
	s_or_b32 exec_lo, exec_lo, s18
	v_lshrrev_b32_e32 v21, v105, v114
	; wave barrier
	s_delay_alu instid0(VALU_DEP_1) | instskip(NEXT) | instid1(VALU_DEP_1)
	v_and_b32_e32 v21, s21, v21
	v_and_b32_e32 v22, 1, v21
	v_lshlrev_b32_e32 v23, 30, v21
	v_lshlrev_b32_e32 v24, 29, v21
	;; [unrolled: 1-line block ×4, first 2 shown]
	v_add_co_u32 v22, s18, v22, -1
	s_wait_alu 0xf1ff
	v_cndmask_b32_e64 v26, 0, 1, s18
	v_not_b32_e32 v35, v23
	v_cmp_gt_i32_e64 s18, 0, v23
	v_not_b32_e32 v23, v24
	v_lshlrev_b32_e32 v28, 26, v21
	v_cmp_ne_u32_e32 vcc_lo, 0, v26
	v_ashrrev_i32_e32 v35, 31, v35
	v_lshlrev_b32_e32 v34, 25, v21
	v_ashrrev_i32_e32 v23, 31, v23
	v_lshlrev_b32_e32 v26, 24, v21
	s_wait_alu 0xfffd
	v_xor_b32_e32 v22, vcc_lo, v22
	v_cmp_gt_i32_e32 vcc_lo, 0, v24
	v_not_b32_e32 v24, v25
	s_wait_alu 0xf1ff
	v_xor_b32_e32 v35, s18, v35
	v_cmp_gt_i32_e64 s18, 0, v25
	v_and_b32_e32 v22, exec_lo, v22
	v_not_b32_e32 v25, v27
	v_ashrrev_i32_e32 v24, 31, v24
	s_wait_alu 0xfffd
	v_xor_b32_e32 v23, vcc_lo, v23
	v_cmp_gt_i32_e32 vcc_lo, 0, v27
	v_and_b32_e32 v22, v22, v35
	v_not_b32_e32 v27, v28
	v_ashrrev_i32_e32 v25, 31, v25
	s_wait_alu 0xf1ff
	v_xor_b32_e32 v24, s18, v24
	v_cmp_gt_i32_e64 s18, 0, v28
	v_and_b32_e32 v22, v22, v23
	v_not_b32_e32 v23, v34
	v_ashrrev_i32_e32 v27, 31, v27
	s_wait_alu 0xfffd
	v_xor_b32_e32 v25, vcc_lo, v25
	v_cmp_gt_i32_e32 vcc_lo, 0, v34
	v_and_b32_e32 v22, v22, v24
	v_not_b32_e32 v24, v26
	v_ashrrev_i32_e32 v23, 31, v23
	s_wait_alu 0xf1ff
	v_xor_b32_e32 v27, s18, v27
	v_lshlrev_b32_e32 v21, 6, v21
	v_and_b32_e32 v22, v22, v25
	v_cmp_gt_i32_e64 s18, 0, v26
	v_ashrrev_i32_e32 v24, 31, v24
	s_wait_alu 0xfffd
	v_xor_b32_e32 v23, vcc_lo, v23
	v_add_nc_u32_e32 v36, v104, v21
	v_and_b32_e32 v22, v22, v27
	s_wait_alu 0xf1ff
	v_xor_b32_e32 v21, s18, v24
	ds_load_b32 v34, v36 offset:64
	v_and_b32_e32 v22, v22, v23
	; wave barrier
	s_delay_alu instid0(VALU_DEP_1) | instskip(NEXT) | instid1(VALU_DEP_1)
	v_and_b32_e32 v21, v22, v21
	v_mbcnt_lo_u32_b32 v35, v21, 0
	v_cmp_ne_u32_e64 s18, 0, v21
	s_delay_alu instid0(VALU_DEP_2)
	v_cmp_eq_u32_e32 vcc_lo, 0, v35
	s_and_b32 s22, s18, vcc_lo
	s_wait_alu 0xfffe
	s_and_saveexec_b32 s18, s22
	s_cbranch_execz .LBB120_38
; %bb.37:                               ;   in Loop: Header=BB120_32 Depth=1
	s_wait_dscnt 0x0
	v_bcnt_u32_b32 v21, v21, v34
	ds_store_b32 v36, v21 offset:64
.LBB120_38:                             ;   in Loop: Header=BB120_32 Depth=1
	s_wait_alu 0xfffe
	s_or_b32 exec_lo, exec_lo, s18
	v_lshrrev_b32_e32 v21, v105, v113
	; wave barrier
	s_delay_alu instid0(VALU_DEP_1) | instskip(NEXT) | instid1(VALU_DEP_1)
	v_and_b32_e32 v21, s21, v21
	v_and_b32_e32 v22, 1, v21
	v_lshlrev_b32_e32 v23, 30, v21
	v_lshlrev_b32_e32 v24, 29, v21
	;; [unrolled: 1-line block ×4, first 2 shown]
	v_add_co_u32 v22, s18, v22, -1
	s_wait_alu 0xf1ff
	v_cndmask_b32_e64 v26, 0, 1, s18
	v_not_b32_e32 v66, v23
	v_cmp_gt_i32_e64 s18, 0, v23
	v_not_b32_e32 v23, v24
	v_lshlrev_b32_e32 v28, 26, v21
	v_cmp_ne_u32_e32 vcc_lo, 0, v26
	v_ashrrev_i32_e32 v66, 31, v66
	v_lshlrev_b32_e32 v65, 25, v21
	v_ashrrev_i32_e32 v23, 31, v23
	v_lshlrev_b32_e32 v26, 24, v21
	s_wait_alu 0xfffd
	v_xor_b32_e32 v22, vcc_lo, v22
	v_cmp_gt_i32_e32 vcc_lo, 0, v24
	v_not_b32_e32 v24, v25
	s_wait_alu 0xf1ff
	v_xor_b32_e32 v66, s18, v66
	v_cmp_gt_i32_e64 s18, 0, v25
	v_and_b32_e32 v22, exec_lo, v22
	v_not_b32_e32 v25, v27
	v_ashrrev_i32_e32 v24, 31, v24
	s_wait_alu 0xfffd
	v_xor_b32_e32 v23, vcc_lo, v23
	v_cmp_gt_i32_e32 vcc_lo, 0, v27
	v_and_b32_e32 v22, v22, v66
	v_not_b32_e32 v27, v28
	v_ashrrev_i32_e32 v25, 31, v25
	s_wait_alu 0xf1ff
	v_xor_b32_e32 v24, s18, v24
	v_cmp_gt_i32_e64 s18, 0, v28
	v_and_b32_e32 v22, v22, v23
	v_not_b32_e32 v23, v65
	v_ashrrev_i32_e32 v27, 31, v27
	s_wait_alu 0xfffd
	v_xor_b32_e32 v25, vcc_lo, v25
	v_cmp_gt_i32_e32 vcc_lo, 0, v65
	v_and_b32_e32 v22, v22, v24
	v_not_b32_e32 v24, v26
	v_ashrrev_i32_e32 v23, 31, v23
	s_wait_alu 0xf1ff
	v_xor_b32_e32 v27, s18, v27
	v_lshlrev_b32_e32 v21, 6, v21
	v_and_b32_e32 v22, v22, v25
	v_cmp_gt_i32_e64 s18, 0, v26
	v_ashrrev_i32_e32 v24, 31, v24
	s_wait_alu 0xfffd
	v_xor_b32_e32 v23, vcc_lo, v23
	v_add_nc_u32_e32 v67, v104, v21
	v_and_b32_e32 v22, v22, v27
	s_wait_alu 0xf1ff
	v_xor_b32_e32 v21, s18, v24
	ds_load_b32 v65, v67 offset:64
	v_and_b32_e32 v22, v22, v23
	; wave barrier
	s_delay_alu instid0(VALU_DEP_1) | instskip(NEXT) | instid1(VALU_DEP_1)
	v_and_b32_e32 v21, v22, v21
	v_mbcnt_lo_u32_b32 v66, v21, 0
	v_cmp_ne_u32_e64 s18, 0, v21
	s_delay_alu instid0(VALU_DEP_2)
	v_cmp_eq_u32_e32 vcc_lo, 0, v66
	s_and_b32 s22, s18, vcc_lo
	s_wait_alu 0xfffe
	s_and_saveexec_b32 s18, s22
	s_cbranch_execz .LBB120_40
; %bb.39:                               ;   in Loop: Header=BB120_32 Depth=1
	s_wait_dscnt 0x0
	v_bcnt_u32_b32 v21, v21, v65
	ds_store_b32 v67, v21 offset:64
.LBB120_40:                             ;   in Loop: Header=BB120_32 Depth=1
	s_wait_alu 0xfffe
	s_or_b32 exec_lo, exec_lo, s18
	v_lshrrev_b32_e32 v21, v105, v112
	; wave barrier
	s_delay_alu instid0(VALU_DEP_1) | instskip(NEXT) | instid1(VALU_DEP_1)
	v_and_b32_e32 v21, s21, v21
	v_and_b32_e32 v22, 1, v21
	v_lshlrev_b32_e32 v23, 30, v21
	v_lshlrev_b32_e32 v24, 29, v21
	;; [unrolled: 1-line block ×4, first 2 shown]
	v_add_co_u32 v22, s18, v22, -1
	s_wait_alu 0xf1ff
	v_cndmask_b32_e64 v26, 0, 1, s18
	v_not_b32_e32 v69, v23
	v_cmp_gt_i32_e64 s18, 0, v23
	v_not_b32_e32 v23, v24
	v_lshlrev_b32_e32 v28, 26, v21
	v_cmp_ne_u32_e32 vcc_lo, 0, v26
	v_ashrrev_i32_e32 v69, 31, v69
	v_lshlrev_b32_e32 v68, 25, v21
	v_ashrrev_i32_e32 v23, 31, v23
	v_lshlrev_b32_e32 v26, 24, v21
	s_wait_alu 0xfffd
	v_xor_b32_e32 v22, vcc_lo, v22
	v_cmp_gt_i32_e32 vcc_lo, 0, v24
	v_not_b32_e32 v24, v25
	s_wait_alu 0xf1ff
	v_xor_b32_e32 v69, s18, v69
	v_cmp_gt_i32_e64 s18, 0, v25
	v_and_b32_e32 v22, exec_lo, v22
	v_not_b32_e32 v25, v27
	v_ashrrev_i32_e32 v24, 31, v24
	s_wait_alu 0xfffd
	v_xor_b32_e32 v23, vcc_lo, v23
	v_cmp_gt_i32_e32 vcc_lo, 0, v27
	v_and_b32_e32 v22, v22, v69
	v_not_b32_e32 v27, v28
	v_ashrrev_i32_e32 v25, 31, v25
	s_wait_alu 0xf1ff
	v_xor_b32_e32 v24, s18, v24
	v_cmp_gt_i32_e64 s18, 0, v28
	v_and_b32_e32 v22, v22, v23
	v_not_b32_e32 v23, v68
	v_ashrrev_i32_e32 v27, 31, v27
	s_wait_alu 0xfffd
	v_xor_b32_e32 v25, vcc_lo, v25
	v_cmp_gt_i32_e32 vcc_lo, 0, v68
	v_and_b32_e32 v22, v22, v24
	v_not_b32_e32 v24, v26
	v_ashrrev_i32_e32 v23, 31, v23
	s_wait_alu 0xf1ff
	v_xor_b32_e32 v27, s18, v27
	v_lshlrev_b32_e32 v21, 6, v21
	v_and_b32_e32 v22, v22, v25
	v_cmp_gt_i32_e64 s18, 0, v26
	v_ashrrev_i32_e32 v24, 31, v24
	s_wait_alu 0xfffd
	v_xor_b32_e32 v23, vcc_lo, v23
	v_add_nc_u32_e32 v70, v104, v21
	v_and_b32_e32 v22, v22, v27
	s_wait_alu 0xf1ff
	v_xor_b32_e32 v21, s18, v24
	ds_load_b32 v68, v70 offset:64
	v_and_b32_e32 v22, v22, v23
	; wave barrier
	s_delay_alu instid0(VALU_DEP_1) | instskip(NEXT) | instid1(VALU_DEP_1)
	v_and_b32_e32 v21, v22, v21
	v_mbcnt_lo_u32_b32 v69, v21, 0
	v_cmp_ne_u32_e64 s18, 0, v21
	s_delay_alu instid0(VALU_DEP_2)
	v_cmp_eq_u32_e32 vcc_lo, 0, v69
	s_and_b32 s22, s18, vcc_lo
	s_wait_alu 0xfffe
	s_and_saveexec_b32 s18, s22
	s_cbranch_execz .LBB120_42
; %bb.41:                               ;   in Loop: Header=BB120_32 Depth=1
	s_wait_dscnt 0x0
	v_bcnt_u32_b32 v21, v21, v68
	ds_store_b32 v70, v21 offset:64
.LBB120_42:                             ;   in Loop: Header=BB120_32 Depth=1
	s_wait_alu 0xfffe
	s_or_b32 exec_lo, exec_lo, s18
	v_lshrrev_b32_e32 v21, v105, v111
	; wave barrier
	s_delay_alu instid0(VALU_DEP_1) | instskip(NEXT) | instid1(VALU_DEP_1)
	v_and_b32_e32 v21, s21, v21
	v_and_b32_e32 v22, 1, v21
	v_lshlrev_b32_e32 v23, 30, v21
	v_lshlrev_b32_e32 v24, 29, v21
	;; [unrolled: 1-line block ×4, first 2 shown]
	v_add_co_u32 v22, s18, v22, -1
	s_wait_alu 0xf1ff
	v_cndmask_b32_e64 v26, 0, 1, s18
	v_not_b32_e32 v72, v23
	v_cmp_gt_i32_e64 s18, 0, v23
	v_not_b32_e32 v23, v24
	v_lshlrev_b32_e32 v28, 26, v21
	v_cmp_ne_u32_e32 vcc_lo, 0, v26
	v_ashrrev_i32_e32 v72, 31, v72
	v_lshlrev_b32_e32 v71, 25, v21
	v_ashrrev_i32_e32 v23, 31, v23
	v_lshlrev_b32_e32 v26, 24, v21
	s_wait_alu 0xfffd
	v_xor_b32_e32 v22, vcc_lo, v22
	v_cmp_gt_i32_e32 vcc_lo, 0, v24
	v_not_b32_e32 v24, v25
	s_wait_alu 0xf1ff
	v_xor_b32_e32 v72, s18, v72
	v_cmp_gt_i32_e64 s18, 0, v25
	v_and_b32_e32 v22, exec_lo, v22
	v_not_b32_e32 v25, v27
	v_ashrrev_i32_e32 v24, 31, v24
	s_wait_alu 0xfffd
	v_xor_b32_e32 v23, vcc_lo, v23
	v_cmp_gt_i32_e32 vcc_lo, 0, v27
	v_and_b32_e32 v22, v22, v72
	v_not_b32_e32 v27, v28
	v_ashrrev_i32_e32 v25, 31, v25
	s_wait_alu 0xf1ff
	v_xor_b32_e32 v24, s18, v24
	v_cmp_gt_i32_e64 s18, 0, v28
	v_and_b32_e32 v22, v22, v23
	v_not_b32_e32 v23, v71
	v_ashrrev_i32_e32 v27, 31, v27
	s_wait_alu 0xfffd
	v_xor_b32_e32 v25, vcc_lo, v25
	v_cmp_gt_i32_e32 vcc_lo, 0, v71
	v_and_b32_e32 v22, v22, v24
	v_not_b32_e32 v24, v26
	v_ashrrev_i32_e32 v23, 31, v23
	s_wait_alu 0xf1ff
	v_xor_b32_e32 v27, s18, v27
	v_lshlrev_b32_e32 v21, 6, v21
	v_and_b32_e32 v22, v22, v25
	v_cmp_gt_i32_e64 s18, 0, v26
	v_ashrrev_i32_e32 v24, 31, v24
	s_wait_alu 0xfffd
	v_xor_b32_e32 v23, vcc_lo, v23
	v_add_nc_u32_e32 v116, v104, v21
	v_and_b32_e32 v22, v22, v27
	s_wait_alu 0xf1ff
	v_xor_b32_e32 v21, s18, v24
	ds_load_b32 v71, v116 offset:64
	v_and_b32_e32 v22, v22, v23
	; wave barrier
	s_delay_alu instid0(VALU_DEP_1) | instskip(NEXT) | instid1(VALU_DEP_1)
	v_and_b32_e32 v21, v22, v21
	v_mbcnt_lo_u32_b32 v72, v21, 0
	v_cmp_ne_u32_e64 s18, 0, v21
	s_delay_alu instid0(VALU_DEP_2)
	v_cmp_eq_u32_e32 vcc_lo, 0, v72
	s_and_b32 s22, s18, vcc_lo
	s_wait_alu 0xfffe
	s_and_saveexec_b32 s18, s22
	s_cbranch_execz .LBB120_44
; %bb.43:                               ;   in Loop: Header=BB120_32 Depth=1
	s_wait_dscnt 0x0
	v_bcnt_u32_b32 v21, v21, v71
	ds_store_b32 v116, v21 offset:64
.LBB120_44:                             ;   in Loop: Header=BB120_32 Depth=1
	s_wait_alu 0xfffe
	s_or_b32 exec_lo, exec_lo, s18
	v_lshrrev_b32_e32 v21, v105, v110
	; wave barrier
	s_delay_alu instid0(VALU_DEP_1) | instskip(NEXT) | instid1(VALU_DEP_1)
	v_and_b32_e32 v21, s21, v21
	v_and_b32_e32 v22, 1, v21
	v_lshlrev_b32_e32 v23, 30, v21
	v_lshlrev_b32_e32 v24, 29, v21
	;; [unrolled: 1-line block ×4, first 2 shown]
	v_add_co_u32 v22, s18, v22, -1
	s_wait_alu 0xf1ff
	v_cndmask_b32_e64 v26, 0, 1, s18
	v_not_b32_e32 v118, v23
	v_cmp_gt_i32_e64 s18, 0, v23
	v_not_b32_e32 v23, v24
	v_lshlrev_b32_e32 v28, 26, v21
	v_cmp_ne_u32_e32 vcc_lo, 0, v26
	v_ashrrev_i32_e32 v118, 31, v118
	v_lshlrev_b32_e32 v117, 25, v21
	v_ashrrev_i32_e32 v23, 31, v23
	v_lshlrev_b32_e32 v26, 24, v21
	s_wait_alu 0xfffd
	v_xor_b32_e32 v22, vcc_lo, v22
	v_cmp_gt_i32_e32 vcc_lo, 0, v24
	v_not_b32_e32 v24, v25
	s_wait_alu 0xf1ff
	v_xor_b32_e32 v118, s18, v118
	v_cmp_gt_i32_e64 s18, 0, v25
	v_and_b32_e32 v22, exec_lo, v22
	v_not_b32_e32 v25, v27
	v_ashrrev_i32_e32 v24, 31, v24
	s_wait_alu 0xfffd
	v_xor_b32_e32 v23, vcc_lo, v23
	v_cmp_gt_i32_e32 vcc_lo, 0, v27
	v_and_b32_e32 v22, v22, v118
	v_not_b32_e32 v27, v28
	v_ashrrev_i32_e32 v25, 31, v25
	s_wait_alu 0xf1ff
	v_xor_b32_e32 v24, s18, v24
	v_cmp_gt_i32_e64 s18, 0, v28
	v_and_b32_e32 v22, v22, v23
	v_not_b32_e32 v23, v117
	v_ashrrev_i32_e32 v27, 31, v27
	s_wait_alu 0xfffd
	v_xor_b32_e32 v25, vcc_lo, v25
	v_cmp_gt_i32_e32 vcc_lo, 0, v117
	v_and_b32_e32 v22, v22, v24
	v_not_b32_e32 v24, v26
	v_ashrrev_i32_e32 v23, 31, v23
	s_wait_alu 0xf1ff
	v_xor_b32_e32 v27, s18, v27
	v_lshlrev_b32_e32 v21, 6, v21
	v_and_b32_e32 v22, v22, v25
	v_cmp_gt_i32_e64 s18, 0, v26
	v_ashrrev_i32_e32 v24, 31, v24
	s_wait_alu 0xfffd
	v_xor_b32_e32 v23, vcc_lo, v23
	v_add_nc_u32_e32 v119, v104, v21
	v_and_b32_e32 v22, v22, v27
	s_wait_alu 0xf1ff
	v_xor_b32_e32 v21, s18, v24
	ds_load_b32 v117, v119 offset:64
	v_and_b32_e32 v22, v22, v23
	; wave barrier
	s_delay_alu instid0(VALU_DEP_1) | instskip(NEXT) | instid1(VALU_DEP_1)
	v_and_b32_e32 v21, v22, v21
	v_mbcnt_lo_u32_b32 v118, v21, 0
	v_cmp_ne_u32_e64 s18, 0, v21
	s_delay_alu instid0(VALU_DEP_2)
	v_cmp_eq_u32_e32 vcc_lo, 0, v118
	s_and_b32 s22, s18, vcc_lo
	s_wait_alu 0xfffe
	s_and_saveexec_b32 s18, s22
	s_cbranch_execz .LBB120_46
; %bb.45:                               ;   in Loop: Header=BB120_32 Depth=1
	s_wait_dscnt 0x0
	v_bcnt_u32_b32 v21, v21, v117
	ds_store_b32 v119, v21 offset:64
.LBB120_46:                             ;   in Loop: Header=BB120_32 Depth=1
	s_wait_alu 0xfffe
	s_or_b32 exec_lo, exec_lo, s18
	v_lshrrev_b32_e32 v21, v105, v109
	; wave barrier
	s_delay_alu instid0(VALU_DEP_1) | instskip(NEXT) | instid1(VALU_DEP_1)
	v_and_b32_e32 v21, s21, v21
	v_and_b32_e32 v22, 1, v21
	v_lshlrev_b32_e32 v23, 30, v21
	v_lshlrev_b32_e32 v24, 29, v21
	;; [unrolled: 1-line block ×4, first 2 shown]
	v_add_co_u32 v22, s18, v22, -1
	s_wait_alu 0xf1ff
	v_cndmask_b32_e64 v26, 0, 1, s18
	v_not_b32_e32 v121, v23
	v_cmp_gt_i32_e64 s18, 0, v23
	v_not_b32_e32 v23, v24
	v_lshlrev_b32_e32 v28, 26, v21
	v_cmp_ne_u32_e32 vcc_lo, 0, v26
	v_ashrrev_i32_e32 v121, 31, v121
	v_lshlrev_b32_e32 v120, 25, v21
	v_ashrrev_i32_e32 v23, 31, v23
	v_lshlrev_b32_e32 v26, 24, v21
	s_wait_alu 0xfffd
	v_xor_b32_e32 v22, vcc_lo, v22
	v_cmp_gt_i32_e32 vcc_lo, 0, v24
	v_not_b32_e32 v24, v25
	s_wait_alu 0xf1ff
	v_xor_b32_e32 v121, s18, v121
	v_cmp_gt_i32_e64 s18, 0, v25
	v_and_b32_e32 v22, exec_lo, v22
	v_not_b32_e32 v25, v27
	v_ashrrev_i32_e32 v24, 31, v24
	s_wait_alu 0xfffd
	v_xor_b32_e32 v23, vcc_lo, v23
	v_cmp_gt_i32_e32 vcc_lo, 0, v27
	v_and_b32_e32 v22, v22, v121
	v_not_b32_e32 v27, v28
	v_ashrrev_i32_e32 v25, 31, v25
	s_wait_alu 0xf1ff
	v_xor_b32_e32 v24, s18, v24
	v_cmp_gt_i32_e64 s18, 0, v28
	v_and_b32_e32 v22, v22, v23
	v_not_b32_e32 v23, v120
	v_ashrrev_i32_e32 v27, 31, v27
	s_wait_alu 0xfffd
	v_xor_b32_e32 v25, vcc_lo, v25
	v_cmp_gt_i32_e32 vcc_lo, 0, v120
	v_and_b32_e32 v22, v22, v24
	v_not_b32_e32 v24, v26
	v_ashrrev_i32_e32 v23, 31, v23
	s_wait_alu 0xf1ff
	v_xor_b32_e32 v27, s18, v27
	v_lshlrev_b32_e32 v21, 6, v21
	v_and_b32_e32 v22, v22, v25
	v_cmp_gt_i32_e64 s18, 0, v26
	v_ashrrev_i32_e32 v24, 31, v24
	s_wait_alu 0xfffd
	v_xor_b32_e32 v23, vcc_lo, v23
	v_add_nc_u32_e32 v120, v104, v21
	v_and_b32_e32 v22, v22, v27
	s_wait_alu 0xf1ff
	v_xor_b32_e32 v21, s18, v24
	ds_load_b32 v125, v120 offset:64
	v_and_b32_e32 v22, v22, v23
	; wave barrier
	s_delay_alu instid0(VALU_DEP_1) | instskip(NEXT) | instid1(VALU_DEP_1)
	v_and_b32_e32 v21, v22, v21
	v_mbcnt_lo_u32_b32 v126, v21, 0
	v_cmp_ne_u32_e64 s18, 0, v21
	s_delay_alu instid0(VALU_DEP_2)
	v_cmp_eq_u32_e32 vcc_lo, 0, v126
	s_and_b32 s21, s18, vcc_lo
	s_wait_alu 0xfffe
	s_and_saveexec_b32 s18, s21
	s_cbranch_execz .LBB120_48
; %bb.47:                               ;   in Loop: Header=BB120_32 Depth=1
	s_wait_dscnt 0x0
	v_bcnt_u32_b32 v21, v21, v125
	ds_store_b32 v120, v21 offset:64
.LBB120_48:                             ;   in Loop: Header=BB120_32 Depth=1
	s_wait_alu 0xfffe
	s_or_b32 exec_lo, exec_lo, s18
	; wave barrier
	s_wait_loadcnt_dscnt 0x0
	s_barrier_signal -1
	s_barrier_wait -1
	global_inv scope:SCOPE_SE
	ds_load_b128 v[25:28], v90 offset:64
	ds_load_b128 v[21:24], v90 offset:80
	s_wait_dscnt 0x1
	v_add_nc_u32_e32 v121, v26, v25
	s_delay_alu instid0(VALU_DEP_1) | instskip(SKIP_1) | instid1(VALU_DEP_1)
	v_add3_u32 v121, v121, v27, v28
	s_wait_dscnt 0x0
	v_add3_u32 v121, v121, v21, v22
	s_delay_alu instid0(VALU_DEP_1) | instskip(NEXT) | instid1(VALU_DEP_1)
	v_add3_u32 v24, v121, v23, v24
	v_mov_b32_dpp v121, v24 row_shr:1 row_mask:0xf bank_mask:0xf
	s_delay_alu instid0(VALU_DEP_1) | instskip(NEXT) | instid1(VALU_DEP_1)
	v_cndmask_b32_e64 v121, v121, 0, s12
	v_add_nc_u32_e32 v24, v121, v24
	s_delay_alu instid0(VALU_DEP_1) | instskip(NEXT) | instid1(VALU_DEP_1)
	v_mov_b32_dpp v121, v24 row_shr:2 row_mask:0xf bank_mask:0xf
	v_cndmask_b32_e64 v121, 0, v121, s13
	s_delay_alu instid0(VALU_DEP_1) | instskip(NEXT) | instid1(VALU_DEP_1)
	v_add_nc_u32_e32 v24, v24, v121
	v_mov_b32_dpp v121, v24 row_shr:4 row_mask:0xf bank_mask:0xf
	s_delay_alu instid0(VALU_DEP_1) | instskip(NEXT) | instid1(VALU_DEP_1)
	v_cndmask_b32_e64 v121, 0, v121, s14
	v_add_nc_u32_e32 v24, v24, v121
	s_delay_alu instid0(VALU_DEP_1) | instskip(NEXT) | instid1(VALU_DEP_1)
	v_mov_b32_dpp v121, v24 row_shr:8 row_mask:0xf bank_mask:0xf
	v_cndmask_b32_e64 v121, 0, v121, s15
	s_delay_alu instid0(VALU_DEP_1) | instskip(SKIP_3) | instid1(VALU_DEP_1)
	v_add_nc_u32_e32 v24, v24, v121
	ds_swizzle_b32 v121, v24 offset:swizzle(BROADCAST,32,15)
	s_wait_dscnt 0x0
	v_cndmask_b32_e64 v121, v121, 0, s16
	v_add_nc_u32_e32 v24, v24, v121
	s_and_saveexec_b32 s18, s17
; %bb.49:                               ;   in Loop: Header=BB120_32 Depth=1
	ds_store_b32 v92, v24
; %bb.50:                               ;   in Loop: Header=BB120_32 Depth=1
	s_wait_alu 0xfffe
	s_or_b32 exec_lo, exec_lo, s18
	s_wait_loadcnt_dscnt 0x0
	s_barrier_signal -1
	s_barrier_wait -1
	global_inv scope:SCOPE_SE
	s_and_saveexec_b32 s18, s8
	s_cbranch_execz .LBB120_52
; %bb.51:                               ;   in Loop: Header=BB120_32 Depth=1
	ds_load_b32 v121, v106
	s_wait_dscnt 0x0
	v_mov_b32_dpp v122, v121 row_shr:1 row_mask:0xf bank_mask:0xf
	s_delay_alu instid0(VALU_DEP_1) | instskip(NEXT) | instid1(VALU_DEP_1)
	v_cndmask_b32_e64 v122, v122, 0, s12
	v_add_nc_u32_e32 v121, v122, v121
	s_delay_alu instid0(VALU_DEP_1) | instskip(NEXT) | instid1(VALU_DEP_1)
	v_mov_b32_dpp v122, v121 row_shr:2 row_mask:0xf bank_mask:0xf
	v_cndmask_b32_e64 v122, 0, v122, s13
	s_delay_alu instid0(VALU_DEP_1) | instskip(NEXT) | instid1(VALU_DEP_1)
	v_add_nc_u32_e32 v121, v121, v122
	v_mov_b32_dpp v122, v121 row_shr:4 row_mask:0xf bank_mask:0xf
	s_delay_alu instid0(VALU_DEP_1) | instskip(NEXT) | instid1(VALU_DEP_1)
	v_cndmask_b32_e64 v122, 0, v122, s14
	v_add_nc_u32_e32 v121, v121, v122
	s_delay_alu instid0(VALU_DEP_1) | instskip(NEXT) | instid1(VALU_DEP_1)
	v_mov_b32_dpp v122, v121 row_shr:8 row_mask:0xf bank_mask:0xf
	v_cndmask_b32_e64 v122, 0, v122, s15
	s_delay_alu instid0(VALU_DEP_1)
	v_add_nc_u32_e32 v121, v121, v122
	ds_store_b32 v106, v121
.LBB120_52:                             ;   in Loop: Header=BB120_32 Depth=1
	s_wait_alu 0xfffe
	s_or_b32 exec_lo, exec_lo, s18
	v_mov_b32_e32 v121, 0
	s_wait_loadcnt_dscnt 0x0
	s_barrier_signal -1
	s_barrier_wait -1
	global_inv scope:SCOPE_SE
	s_and_saveexec_b32 s18, s9
; %bb.53:                               ;   in Loop: Header=BB120_32 Depth=1
	ds_load_b32 v121, v103
; %bb.54:                               ;   in Loop: Header=BB120_32 Depth=1
	s_wait_alu 0xfffe
	s_or_b32 exec_lo, exec_lo, s18
	s_wait_dscnt 0x0
	v_add_nc_u32_e32 v24, v121, v24
	v_cmp_lt_u32_e32 vcc_lo, 23, v105
	v_readfirstlane_b32 s18, v0
	s_mov_b32 s21, -1
	ds_bpermute_b32 v24, v102, v24
	s_and_b32 vcc_lo, exec_lo, vcc_lo
	s_wait_dscnt 0x0
	v_cndmask_b32_e64 v24, v24, v121, s11
	s_delay_alu instid0(VALU_DEP_1) | instskip(NEXT) | instid1(VALU_DEP_1)
	v_cndmask_b32_e64 v24, v24, 0, s10
	v_add_nc_u32_e32 v25, v24, v25
	s_delay_alu instid0(VALU_DEP_1) | instskip(NEXT) | instid1(VALU_DEP_1)
	v_add_nc_u32_e32 v26, v25, v26
	v_add_nc_u32_e32 v27, v26, v27
	s_delay_alu instid0(VALU_DEP_1) | instskip(NEXT) | instid1(VALU_DEP_1)
	v_add_nc_u32_e32 v121, v27, v28
	;; [unrolled: 3-line block ×3, first 2 shown]
	v_add_nc_u32_e32 v124, v123, v23
	ds_store_b128 v90, v[24:27] offset:64
	ds_store_b128 v90, v[121:124] offset:80
	s_wait_loadcnt_dscnt 0x0
	s_barrier_signal -1
	s_barrier_wait -1
	global_inv scope:SCOPE_SE
	ds_load_b32 v21, v30 offset:64
	ds_load_b32 v22, v33 offset:64
	;; [unrolled: 1-line block ×8, first 2 shown]
	s_wait_dscnt 0x7
	v_add_nc_u32_e32 v124, v21, v29
	s_wait_dscnt 0x6
	v_add3_u32 v123, v32, v31, v22
	s_wait_dscnt 0x5
	v_add3_u32 v122, v35, v34, v23
	;; [unrolled: 2-line block ×7, first 2 shown]
                                        ; implicit-def: $vgpr72
                                        ; implicit-def: $vgpr70
                                        ; implicit-def: $vgpr68
                                        ; implicit-def: $vgpr66
                                        ; implicit-def: $vgpr35_vgpr36
                                        ; implicit-def: $vgpr31_vgpr32
                                        ; implicit-def: $vgpr27_vgpr28
                                        ; implicit-def: $vgpr23_vgpr24
	s_wait_alu 0xfffe
	s_cbranch_vccnz .LBB120_31
; %bb.55:                               ;   in Loop: Header=BB120_32 Depth=1
	v_lshlrev_b32_e32 v21, 2, v124
	v_lshlrev_b32_e32 v22, 2, v123
	v_lshlrev_b32_e32 v23, 2, v122
	s_wait_loadcnt 0x0
	s_barrier_signal -1
	s_barrier_wait -1
	global_inv scope:SCOPE_SE
	ds_store_b32 v21, v108
	ds_store_b32 v22, v115
	;; [unrolled: 1-line block ×3, first 2 shown]
	v_lshlrev_b32_e32 v24, 2, v121
	v_add_nc_u32_e32 v21, v21, v21
	v_lshlrev_b32_e32 v25, 2, v120
	v_add_nc_u32_e32 v22, v22, v22
	;; [unrolled: 2-line block ×3, first 2 shown]
	v_lshlrev_b32_e32 v27, 2, v117
	v_lshlrev_b32_e32 v28, 2, v116
	ds_store_b32 v24, v113
	ds_store_b32 v25, v112
	;; [unrolled: 1-line block ×5, first 2 shown]
	s_wait_loadcnt_dscnt 0x0
	s_barrier_signal -1
	s_barrier_wait -1
	global_inv scope:SCOPE_SE
	ds_load_2addr_b32 v[65:66], v91 offset1:32
	ds_load_2addr_b32 v[67:68], v91 offset0:64 offset1:96
	ds_load_2addr_b32 v[69:70], v91 offset0:128 offset1:160
	;; [unrolled: 1-line block ×3, first 2 shown]
	s_wait_loadcnt_dscnt 0x0
	s_barrier_signal -1
	s_barrier_wait -1
	global_inv scope:SCOPE_SE
	ds_store_b64 v21, v[63:64]
	ds_store_b64 v22, v[61:62]
	ds_store_b64 v23, v[59:60]
	v_add_nc_u32_e32 v21, v24, v24
	v_add_nc_u32_e32 v22, v25, v25
	v_add_nc_u32_e32 v23, v26, v26
	v_add_nc_u32_e32 v24, v27, v27
	v_add_nc_u32_e32 v25, v28, v28
	ds_store_b64 v21, v[57:58]
	ds_store_b64 v22, v[55:56]
	;; [unrolled: 1-line block ×5, first 2 shown]
	s_wait_loadcnt_dscnt 0x0
	s_barrier_signal -1
	s_barrier_wait -1
	global_inv scope:SCOPE_SE
	ds_load_2addr_b64 v[21:24], v107 offset1:32
	ds_load_2addr_b64 v[25:28], v107 offset0:64 offset1:96
	ds_load_2addr_b64 v[29:32], v107 offset0:128 offset1:160
	;; [unrolled: 1-line block ×3, first 2 shown]
	v_add_nc_u32_e32 v105, 8, v105
	s_add_co_i32 s18, s20, -8
	s_mov_b32 s21, 0
	s_wait_loadcnt_dscnt 0x0
	s_barrier_signal -1
	s_barrier_wait -1
	global_inv scope:SCOPE_SE
	s_branch .LBB120_31
.LBB120_56:
	v_lshlrev_b64_e32 v[1:2], 3, v[37:38]
	v_dual_mov_b32 v39, v38 :: v_dual_mov_b32 v10, v38
	v_mov_b32_e32 v9, v38
	v_dual_mov_b32 v3, v38 :: v_dual_mov_b32 v6, v38
	s_wait_alu 0xfffe
	s_delay_alu instid0(VALU_DEP_4)
	v_add_co_u32 v1, vcc_lo, s24, v1
	s_wait_alu 0xfffd
	v_add_co_ci_u32_e64 v2, null, s25, v2, vcc_lo
	v_dual_mov_b32 v5, v38 :: v_dual_mov_b32 v8, v38
	v_dual_mov_b32 v7, v38 :: v_dual_mov_b32 v12, v38
	global_load_b64 v[13:14], v[1:2], off
	v_dual_mov_b32 v1, v38 :: v_dual_mov_b32 v4, v38
	v_dual_mov_b32 v2, v38 :: v_dual_mov_b32 v11, v38
	s_or_b32 exec_lo, exec_lo, s8
	s_and_saveexec_b32 s8, s1
	s_cbranch_execz .LBB120_22
.LBB120_57:
	v_mul_lo_u32 v33, s28, v15
	v_mov_b32_e32 v34, 0
	s_delay_alu instid0(VALU_DEP_1) | instskip(NEXT) | instid1(VALU_DEP_1)
	v_lshlrev_b64_e32 v[33:34], 3, v[33:34]
	v_add_co_u32 v33, vcc_lo, s24, v33
	s_wait_alu 0xfffd
	s_delay_alu instid0(VALU_DEP_2)
	v_add_co_ci_u32_e64 v34, null, s25, v34, vcc_lo
	global_load_b64 v[38:39], v[33:34], off
	s_wait_alu 0xfffe
	s_or_b32 exec_lo, exec_lo, s8
	s_and_saveexec_b32 s8, s2
	s_cbranch_execz .LBB120_23
.LBB120_58:
	v_mul_lo_u32 v9, s28, v16
	v_mov_b32_e32 v10, 0
	s_delay_alu instid0(VALU_DEP_1) | instskip(NEXT) | instid1(VALU_DEP_1)
	v_lshlrev_b64_e32 v[9:10], 3, v[9:10]
	v_add_co_u32 v9, vcc_lo, s24, v9
	s_wait_alu 0xfffd
	s_delay_alu instid0(VALU_DEP_2)
	v_add_co_ci_u32_e64 v10, null, s25, v10, vcc_lo
	global_load_b64 v[9:10], v[9:10], off
	s_wait_alu 0xfffe
	s_or_b32 exec_lo, exec_lo, s8
	s_and_saveexec_b32 s8, s3
	s_cbranch_execz .LBB120_24
.LBB120_59:
	v_mul_lo_u32 v1, s28, v19
	v_mov_b32_e32 v2, 0
	s_delay_alu instid0(VALU_DEP_1) | instskip(NEXT) | instid1(VALU_DEP_1)
	v_lshlrev_b64_e32 v[1:2], 3, v[1:2]
	v_add_co_u32 v1, vcc_lo, s24, v1
	s_wait_alu 0xfffd
	s_delay_alu instid0(VALU_DEP_2)
	v_add_co_ci_u32_e64 v2, null, s25, v2, vcc_lo
	global_load_b64 v[1:2], v[1:2], off
	s_wait_alu 0xfffe
	s_or_b32 exec_lo, exec_lo, s8
	s_and_saveexec_b32 s8, s4
	s_cbranch_execz .LBB120_25
.LBB120_60:
	v_mul_lo_u32 v3, s28, v20
	v_mov_b32_e32 v4, 0
	s_delay_alu instid0(VALU_DEP_1) | instskip(NEXT) | instid1(VALU_DEP_1)
	v_lshlrev_b64_e32 v[3:4], 3, v[3:4]
	v_add_co_u32 v3, vcc_lo, s24, v3
	s_wait_alu 0xfffd
	s_delay_alu instid0(VALU_DEP_2)
	v_add_co_ci_u32_e64 v4, null, s25, v4, vcc_lo
	global_load_b64 v[3:4], v[3:4], off
	s_wait_alu 0xfffe
	s_or_b32 exec_lo, exec_lo, s8
	s_and_saveexec_b32 s8, s5
	s_cbranch_execz .LBB120_26
.LBB120_61:
	v_mul_lo_u32 v5, s28, v21
	v_mov_b32_e32 v6, 0
	s_delay_alu instid0(VALU_DEP_1) | instskip(NEXT) | instid1(VALU_DEP_1)
	v_lshlrev_b64_e32 v[5:6], 3, v[5:6]
	v_add_co_u32 v5, vcc_lo, s24, v5
	s_wait_alu 0xfffd
	s_delay_alu instid0(VALU_DEP_2)
	v_add_co_ci_u32_e64 v6, null, s25, v6, vcc_lo
	global_load_b64 v[5:6], v[5:6], off
	s_wait_alu 0xfffe
	s_or_b32 exec_lo, exec_lo, s8
	s_and_saveexec_b32 s8, s6
	s_cbranch_execz .LBB120_27
.LBB120_62:
	v_mul_lo_u32 v7, s28, v22
	v_mov_b32_e32 v8, 0
	s_delay_alu instid0(VALU_DEP_1) | instskip(NEXT) | instid1(VALU_DEP_1)
	v_lshlrev_b64_e32 v[7:8], 3, v[7:8]
	v_add_co_u32 v7, vcc_lo, s24, v7
	s_wait_alu 0xfffd
	s_delay_alu instid0(VALU_DEP_2)
	v_add_co_ci_u32_e64 v8, null, s25, v8, vcc_lo
	global_load_b64 v[7:8], v[7:8], off
	s_wait_alu 0xfffe
	s_or_b32 exec_lo, exec_lo, s8
	s_xor_b32 s8, s12, -1
	s_and_saveexec_b32 s9, s7
	s_cbranch_execnz .LBB120_28
	s_branch .LBB120_29
.LBB120_63:
                                        ; implicit-def: $vgpr52
                                        ; implicit-def: $vgpr39
                                        ; implicit-def: $vgpr51
                                        ; implicit-def: $vgpr36
                                        ; implicit-def: $vgpr38
                                        ; implicit-def: $vgpr34
                                        ; implicit-def: $vgpr35
                                        ; implicit-def: $vgpr33
                                        ; implicit-def: $vgpr19_vgpr20
                                        ; implicit-def: $vgpr23_vgpr24
                                        ; implicit-def: $vgpr27_vgpr28
                                        ; implicit-def: $vgpr31_vgpr32
	s_and_b32 vcc_lo, exec_lo, s11
	s_wait_alu 0xfffe
	s_cbranch_vccnz .LBB120_65
	s_branch .LBB120_92
.LBB120_64:
	v_lshlrev_b32_e32 v17, 2, v124
	v_lshlrev_b32_e32 v18, 2, v123
	v_lshlrev_b32_e32 v19, 2, v122
	s_wait_loadcnt 0x0
	s_barrier_signal -1
	s_barrier_wait -1
	global_inv scope:SCOPE_SE
	ds_store_b32 v17, v108
	ds_store_b32 v18, v115
	;; [unrolled: 1-line block ×3, first 2 shown]
	v_lshlrev_b32_e32 v20, 2, v121
	v_add_nc_u32_e32 v17, v17, v17
	v_lshlrev_b32_e32 v21, 2, v120
	v_add_nc_u32_e32 v18, v18, v18
	;; [unrolled: 2-line block ×3, first 2 shown]
	v_lshlrev_b32_e32 v23, 2, v117
	v_lshlrev_b32_e32 v24, 2, v116
	ds_store_b32 v20, v113
	ds_store_b32 v21, v112
	;; [unrolled: 1-line block ×5, first 2 shown]
	s_wait_loadcnt_dscnt 0x0
	s_barrier_signal -1
	s_barrier_wait -1
	global_inv scope:SCOPE_SE
	ds_load_b128 v[65:68], v90
	ds_load_b128 v[69:72], v90 offset:16
	s_wait_loadcnt_dscnt 0x0
	s_barrier_signal -1
	s_barrier_wait -1
	global_inv scope:SCOPE_SE
	ds_store_b64 v17, v[63:64]
	ds_store_b64 v18, v[61:62]
	;; [unrolled: 1-line block ×3, first 2 shown]
	v_add_nc_u32_e32 v17, v20, v20
	v_add_nc_u32_e32 v18, v21, v21
	;; [unrolled: 1-line block ×5, first 2 shown]
	ds_store_b64 v17, v[57:58]
	ds_store_b64 v18, v[55:56]
	;; [unrolled: 1-line block ×5, first 2 shown]
	v_lshl_add_u32 v17, v42, 5, v90
	s_wait_loadcnt_dscnt 0x0
	s_barrier_signal -1
	s_barrier_wait -1
	global_inv scope:SCOPE_SE
	ds_load_b128 v[29:32], v17
	ds_load_b128 v[25:28], v17 offset:16
	ds_load_b128 v[21:24], v17 offset:32
	;; [unrolled: 1-line block ×3, first 2 shown]
	v_xor_b32_e32 v33, 0x80000000, v65
	v_xor_b32_e32 v35, 0x80000000, v66
	;; [unrolled: 1-line block ×8, first 2 shown]
	s_branch .LBB120_92
.LBB120_65:
	s_wait_dscnt 0x0
	v_xor_b32_e32 v17, 0x7fffffff, v49
	v_xor_b32_e32 v18, 0x7fffffff, v50
	;; [unrolled: 1-line block ×8, first 2 shown]
	ds_store_b128 v101, v[17:20]
	ds_store_b128 v101, v[21:24] offset:16
	v_lshl_add_u32 v17, v100, 2, v101
	; wave barrier
	ds_load_2addr_b32 v[38:39], v91 offset1:32
	ds_load_2addr_b32 v[43:44], v91 offset0:64 offset1:96
	ds_load_2addr_b32 v[45:46], v91 offset0:128 offset1:160
	;; [unrolled: 1-line block ×3, first 2 shown]
	s_wait_loadcnt_dscnt 0x0
	s_barrier_signal -1
	s_barrier_wait -1
	global_inv scope:SCOPE_SE
	ds_store_b128 v17, v[5:8]
	ds_store_b128 v17, v[1:4] offset:16
	ds_store_b128 v17, v[13:16] offset:32
	;; [unrolled: 1-line block ×3, first 2 shown]
	; wave barrier
	ds_load_2addr_b64 v[4:7], v99 offset1:32
	ds_load_2addr_b64 v[8:11], v99 offset0:64 offset1:96
	ds_load_2addr_b64 v[12:15], v99 offset0:128 offset1:160
	ds_load_2addr_b64 v[16:19], v99 offset0:192 offset1:224
	s_wait_loadcnt_dscnt 0x0
	s_barrier_signal -1
	s_barrier_wait -1
	global_inv scope:SCOPE_SE
	s_load_b32 s10, s[34:35], 0xc
	s_getpc_b64 s[8:9]
	s_wait_alu 0xfffe
	s_sext_i32_i16 s9, s9
	s_add_co_u32 s8, s8, _ZN7rocprim17ROCPRIM_400000_NS16block_radix_sortIiLj512ELj8ElLj1ELj1ELj0ELNS0_26block_radix_rank_algorithmE1ELNS0_18block_padding_hintE2ELNS0_4arch9wavefront6targetE0EE19radix_bits_per_passE@rel32@lo+12
	s_wait_alu 0xfffe
	s_add_co_ci_u32 s9, s9, _ZN7rocprim17ROCPRIM_400000_NS16block_radix_sortIiLj512ELj8ElLj1ELj1ELj0ELNS0_26block_radix_rank_algorithmE1ELNS0_18block_padding_hintE2ELNS0_4arch9wavefront6targetE0EE19radix_bits_per_passE@rel32@hi+24
	v_or_b32_e32 v3, 31, v96
	s_load_b32 s19, s[8:9], 0x0
	v_cmp_lt_u32_e64 s9, 1, v0
	v_cmp_lt_u32_e64 s12, 7, v0
	s_mov_b32 s20, 0
	v_cmp_eq_u32_e64 s14, v42, v3
	s_mov_b32 s21, s20
	s_mov_b32 s22, s20
	s_mov_b32 s23, s20
	v_cmp_eq_u32_e64 s13, 0, v95
	v_cmp_gt_u32_e64 s15, 16, v42
	v_cmp_lt_u32_e64 s16, 31, v42
	v_cmp_eq_u32_e64 s17, 0, v42
	v_add_nc_u32_e32 v52, v90, v94
	v_add_nc_u32_e32 v49, -4, v92
	v_mov_b32_e32 v51, 0
	v_add_nc_u32_e32 v53, v91, v91
	s_wait_kmcnt 0x0
	s_lshr_b32 s11, s10, 16
	s_and_b32 s8, s10, 0xffff
	s_wait_alu 0xfffe
	v_mad_u32_u24 v1, v98, s11, v97
	v_cmp_lt_u32_e64 s11, 3, v0
	s_delay_alu instid0(VALU_DEP_2) | instskip(SKIP_2) | instid1(VALU_DEP_2)
	v_mad_co_u64_u32 v[1:2], null, v1, s8, v[42:43]
	v_sub_co_u32 v2, s10, v93, 1
	v_cmp_eq_u32_e64 s8, 0, v0
	v_cmp_gt_i32_e32 vcc_lo, 0, v2
	s_delay_alu instid0(VALU_DEP_4) | instskip(SKIP_2) | instid1(VALU_DEP_2)
	v_lshrrev_b32_e32 v1, 3, v1
	s_wait_alu 0xfffd
	v_cndmask_b32_e32 v0, v2, v93, vcc_lo
	v_and_b32_e32 v50, 0x1ffffffc, v1
	s_delay_alu instid0(VALU_DEP_2)
	v_lshlrev_b32_e32 v36, 2, v0
	v_dual_mov_b32 v0, s20 :: v_dual_mov_b32 v3, s23
	v_dual_mov_b32 v1, s21 :: v_dual_mov_b32 v2, s22
	s_mov_b32 s20, 32
	s_branch .LBB120_67
.LBB120_66:                             ;   in Loop: Header=BB120_67 Depth=1
	s_wait_alu 0xfffe
	s_and_not1_b32 vcc_lo, exec_lo, s21
	s_mov_b32 s20, s18
	s_wait_alu 0xfffe
	s_cbranch_vccz .LBB120_91
.LBB120_67:                             ; =>This Inner Loop Header: Depth=1
	v_dual_mov_b32 v54, v38 :: v_dual_mov_b32 v55, v48
	s_wait_alu 0xfffe
	s_min_u32 s18, s19, s20
	ds_store_b128 v90, v[0:3] offset:64
	ds_store_b128 v90, v[0:3] offset:80
	s_wait_alu 0xfffe
	s_lshl_b32 s18, -1, s18
	v_lshrrev_b32_e32 v20, v51, v54
	s_wait_alu 0xfffe
	s_not_b32 s21, s18
	s_wait_loadcnt_dscnt 0x0
	s_barrier_signal -1
	s_barrier_wait -1
	s_wait_alu 0xfffe
	v_dual_mov_b32 v57, v46 :: v_dual_and_b32 v38, s21, v20
	v_mov_b32_e32 v56, v47
	global_inv scope:SCOPE_SE
	v_dual_mov_b32 v59, v44 :: v_dual_and_b32 v20, 1, v38
	v_lshlrev_b32_e32 v21, 30, v38
	v_dual_mov_b32 v61, v39 :: v_dual_lshlrev_b32 v22, 29, v38
	s_delay_alu instid0(VALU_DEP_3)
	v_add_co_u32 v20, s18, v20, -1
	s_wait_alu 0xf1ff
	v_cndmask_b32_e64 v24, 0, 1, s18
	v_not_b32_e32 v28, v21
	v_dual_mov_b32 v58, v45 :: v_dual_lshlrev_b32 v23, 28, v38
	v_cmp_gt_i32_e64 s18, 0, v21
	s_delay_alu instid0(VALU_DEP_4)
	v_cmp_ne_u32_e32 vcc_lo, 0, v24
	v_not_b32_e32 v21, v22
	v_ashrrev_i32_e32 v28, 31, v28
	v_dual_mov_b32 v60, v43 :: v_dual_lshlrev_b32 v25, 27, v38
	s_wait_alu 0xfffd
	v_xor_b32_e32 v20, vcc_lo, v20
	v_cmp_gt_i32_e32 vcc_lo, 0, v22
	v_not_b32_e32 v22, v23
	v_ashrrev_i32_e32 v21, 31, v21
	s_wait_alu 0xf1ff
	v_xor_b32_e32 v28, s18, v28
	v_and_b32_e32 v20, exec_lo, v20
	v_lshlrev_b32_e32 v26, 26, v38
	v_cmp_gt_i32_e64 s18, 0, v23
	v_not_b32_e32 v23, v25
	v_ashrrev_i32_e32 v22, 31, v22
	s_wait_alu 0xfffd
	v_xor_b32_e32 v21, vcc_lo, v21
	v_and_b32_e32 v20, v20, v28
	v_lshlrev_b32_e32 v27, 25, v38
	v_cmp_gt_i32_e32 vcc_lo, 0, v25
	v_not_b32_e32 v25, v26
	v_ashrrev_i32_e32 v23, 31, v23
	s_wait_alu 0xf1ff
	v_xor_b32_e32 v22, s18, v22
	v_and_b32_e32 v20, v20, v21
	v_lshlrev_b32_e32 v24, 24, v38
	v_cmp_gt_i32_e64 s18, 0, v26
	v_not_b32_e32 v21, v27
	v_ashrrev_i32_e32 v25, 31, v25
	s_wait_alu 0xfffd
	v_xor_b32_e32 v23, vcc_lo, v23
	v_dual_mov_b32 v31, v9 :: v_dual_and_b32 v20, v20, v22
	v_cmp_gt_i32_e32 vcc_lo, 0, v27
	v_not_b32_e32 v22, v24
	v_ashrrev_i32_e32 v21, 31, v21
	s_wait_alu 0xf1ff
	v_xor_b32_e32 v25, s18, v25
	v_dual_mov_b32 v33, v7 :: v_dual_and_b32 v20, v20, v23
	v_cmp_gt_i32_e64 s18, 0, v24
	v_ashrrev_i32_e32 v22, 31, v22
	s_wait_alu 0xfffd
	v_xor_b32_e32 v21, vcc_lo, v21
	v_dual_mov_b32 v35, v5 :: v_dual_and_b32 v20, v20, v25
	v_mov_b32_e32 v25, v15
	s_wait_alu 0xf1ff
	v_xor_b32_e32 v28, s18, v22
	s_delay_alu instid0(VALU_DEP_3) | instskip(SKIP_3) | instid1(VALU_DEP_4)
	v_dual_mov_b32 v24, v14 :: v_dual_and_b32 v29, v20, v21
	v_dual_mov_b32 v27, v13 :: v_dual_mov_b32 v26, v12
	v_mov_b32_e32 v34, v4
	v_lshlrev_b32_e32 v4, 6, v38
	v_dual_mov_b32 v21, v19 :: v_dual_and_b32 v14, v29, v28
	v_mov_b32_e32 v23, v17
	v_dual_mov_b32 v29, v11 :: v_dual_mov_b32 v20, v18
	s_delay_alu instid0(VALU_DEP_3) | instskip(SKIP_3) | instid1(VALU_DEP_4)
	v_mbcnt_lo_u32_b32 v12, v14, 0
	v_cmp_ne_u32_e64 s18, 0, v14
	v_dual_mov_b32 v22, v16 :: v_dual_add_nc_u32 v13, v50, v4
	v_mov_b32_e32 v28, v10
	v_cmp_eq_u32_e32 vcc_lo, 0, v12
	v_mov_b32_e32 v30, v8
	v_mov_b32_e32 v32, v6
	; wave barrier
	s_and_b32 s22, s18, vcc_lo
	s_wait_alu 0xfffe
	s_and_saveexec_b32 s18, s22
; %bb.68:                               ;   in Loop: Header=BB120_67 Depth=1
	v_bcnt_u32_b32 v4, v14, 0
	ds_store_b32 v13, v4 offset:64
; %bb.69:                               ;   in Loop: Header=BB120_67 Depth=1
	s_wait_alu 0xfffe
	s_or_b32 exec_lo, exec_lo, s18
	v_lshrrev_b32_e32 v4, v51, v61
	; wave barrier
	s_delay_alu instid0(VALU_DEP_1) | instskip(NEXT) | instid1(VALU_DEP_1)
	v_and_b32_e32 v4, s21, v4
	v_and_b32_e32 v5, 1, v4
	v_lshlrev_b32_e32 v6, 30, v4
	v_lshlrev_b32_e32 v7, 29, v4
	;; [unrolled: 1-line block ×4, first 2 shown]
	v_add_co_u32 v5, s18, v5, -1
	s_wait_alu 0xf1ff
	v_cndmask_b32_e64 v9, 0, 1, s18
	v_not_b32_e32 v15, v6
	v_cmp_gt_i32_e64 s18, 0, v6
	v_not_b32_e32 v6, v7
	v_lshlrev_b32_e32 v11, 26, v4
	v_cmp_ne_u32_e32 vcc_lo, 0, v9
	v_ashrrev_i32_e32 v15, 31, v15
	v_lshlrev_b32_e32 v14, 25, v4
	v_ashrrev_i32_e32 v6, 31, v6
	v_lshlrev_b32_e32 v9, 24, v4
	s_wait_alu 0xfffd
	v_xor_b32_e32 v5, vcc_lo, v5
	v_cmp_gt_i32_e32 vcc_lo, 0, v7
	v_not_b32_e32 v7, v8
	s_wait_alu 0xf1ff
	v_xor_b32_e32 v15, s18, v15
	v_cmp_gt_i32_e64 s18, 0, v8
	v_and_b32_e32 v5, exec_lo, v5
	v_not_b32_e32 v8, v10
	v_ashrrev_i32_e32 v7, 31, v7
	s_wait_alu 0xfffd
	v_xor_b32_e32 v6, vcc_lo, v6
	v_cmp_gt_i32_e32 vcc_lo, 0, v10
	v_and_b32_e32 v5, v5, v15
	v_not_b32_e32 v10, v11
	v_ashrrev_i32_e32 v8, 31, v8
	s_wait_alu 0xf1ff
	v_xor_b32_e32 v7, s18, v7
	v_cmp_gt_i32_e64 s18, 0, v11
	v_and_b32_e32 v5, v5, v6
	v_not_b32_e32 v6, v14
	v_ashrrev_i32_e32 v10, 31, v10
	s_wait_alu 0xfffd
	v_xor_b32_e32 v8, vcc_lo, v8
	v_cmp_gt_i32_e32 vcc_lo, 0, v14
	v_and_b32_e32 v5, v5, v7
	v_not_b32_e32 v7, v9
	v_ashrrev_i32_e32 v6, 31, v6
	s_wait_alu 0xf1ff
	v_xor_b32_e32 v10, s18, v10
	v_lshlrev_b32_e32 v4, 6, v4
	v_and_b32_e32 v5, v5, v8
	v_cmp_gt_i32_e64 s18, 0, v9
	v_ashrrev_i32_e32 v7, 31, v7
	s_wait_alu 0xfffd
	v_xor_b32_e32 v6, vcc_lo, v6
	v_add_nc_u32_e32 v16, v50, v4
	v_and_b32_e32 v5, v5, v10
	s_wait_alu 0xf1ff
	v_xor_b32_e32 v4, s18, v7
	ds_load_b32 v14, v16 offset:64
	v_and_b32_e32 v5, v5, v6
	; wave barrier
	s_delay_alu instid0(VALU_DEP_1) | instskip(NEXT) | instid1(VALU_DEP_1)
	v_and_b32_e32 v4, v5, v4
	v_mbcnt_lo_u32_b32 v15, v4, 0
	v_cmp_ne_u32_e64 s18, 0, v4
	s_delay_alu instid0(VALU_DEP_2)
	v_cmp_eq_u32_e32 vcc_lo, 0, v15
	s_and_b32 s22, s18, vcc_lo
	s_wait_alu 0xfffe
	s_and_saveexec_b32 s18, s22
	s_cbranch_execz .LBB120_71
; %bb.70:                               ;   in Loop: Header=BB120_67 Depth=1
	s_wait_dscnt 0x0
	v_bcnt_u32_b32 v4, v4, v14
	ds_store_b32 v16, v4 offset:64
.LBB120_71:                             ;   in Loop: Header=BB120_67 Depth=1
	s_wait_alu 0xfffe
	s_or_b32 exec_lo, exec_lo, s18
	v_lshrrev_b32_e32 v4, v51, v60
	; wave barrier
	s_delay_alu instid0(VALU_DEP_1) | instskip(NEXT) | instid1(VALU_DEP_1)
	v_and_b32_e32 v4, s21, v4
	v_and_b32_e32 v5, 1, v4
	v_lshlrev_b32_e32 v6, 30, v4
	v_lshlrev_b32_e32 v7, 29, v4
	;; [unrolled: 1-line block ×4, first 2 shown]
	v_add_co_u32 v5, s18, v5, -1
	s_wait_alu 0xf1ff
	v_cndmask_b32_e64 v9, 0, 1, s18
	v_not_b32_e32 v18, v6
	v_cmp_gt_i32_e64 s18, 0, v6
	v_not_b32_e32 v6, v7
	v_lshlrev_b32_e32 v11, 26, v4
	v_cmp_ne_u32_e32 vcc_lo, 0, v9
	v_ashrrev_i32_e32 v18, 31, v18
	v_lshlrev_b32_e32 v17, 25, v4
	v_ashrrev_i32_e32 v6, 31, v6
	v_lshlrev_b32_e32 v9, 24, v4
	s_wait_alu 0xfffd
	v_xor_b32_e32 v5, vcc_lo, v5
	v_cmp_gt_i32_e32 vcc_lo, 0, v7
	v_not_b32_e32 v7, v8
	s_wait_alu 0xf1ff
	v_xor_b32_e32 v18, s18, v18
	v_cmp_gt_i32_e64 s18, 0, v8
	v_and_b32_e32 v5, exec_lo, v5
	v_not_b32_e32 v8, v10
	v_ashrrev_i32_e32 v7, 31, v7
	s_wait_alu 0xfffd
	v_xor_b32_e32 v6, vcc_lo, v6
	v_cmp_gt_i32_e32 vcc_lo, 0, v10
	v_and_b32_e32 v5, v5, v18
	v_not_b32_e32 v10, v11
	v_ashrrev_i32_e32 v8, 31, v8
	s_wait_alu 0xf1ff
	v_xor_b32_e32 v7, s18, v7
	v_cmp_gt_i32_e64 s18, 0, v11
	v_and_b32_e32 v5, v5, v6
	v_not_b32_e32 v6, v17
	v_ashrrev_i32_e32 v10, 31, v10
	s_wait_alu 0xfffd
	v_xor_b32_e32 v8, vcc_lo, v8
	v_cmp_gt_i32_e32 vcc_lo, 0, v17
	v_and_b32_e32 v5, v5, v7
	v_not_b32_e32 v7, v9
	v_ashrrev_i32_e32 v6, 31, v6
	s_wait_alu 0xf1ff
	v_xor_b32_e32 v10, s18, v10
	v_lshlrev_b32_e32 v4, 6, v4
	v_and_b32_e32 v5, v5, v8
	v_cmp_gt_i32_e64 s18, 0, v9
	v_ashrrev_i32_e32 v7, 31, v7
	s_wait_alu 0xfffd
	v_xor_b32_e32 v6, vcc_lo, v6
	v_add_nc_u32_e32 v19, v50, v4
	v_and_b32_e32 v5, v5, v10
	s_wait_alu 0xf1ff
	v_xor_b32_e32 v4, s18, v7
	ds_load_b32 v17, v19 offset:64
	v_and_b32_e32 v5, v5, v6
	; wave barrier
	s_delay_alu instid0(VALU_DEP_1) | instskip(NEXT) | instid1(VALU_DEP_1)
	v_and_b32_e32 v4, v5, v4
	v_mbcnt_lo_u32_b32 v18, v4, 0
	v_cmp_ne_u32_e64 s18, 0, v4
	s_delay_alu instid0(VALU_DEP_2)
	v_cmp_eq_u32_e32 vcc_lo, 0, v18
	s_and_b32 s22, s18, vcc_lo
	s_wait_alu 0xfffe
	s_and_saveexec_b32 s18, s22
	s_cbranch_execz .LBB120_73
; %bb.72:                               ;   in Loop: Header=BB120_67 Depth=1
	s_wait_dscnt 0x0
	v_bcnt_u32_b32 v4, v4, v17
	ds_store_b32 v19, v4 offset:64
.LBB120_73:                             ;   in Loop: Header=BB120_67 Depth=1
	s_wait_alu 0xfffe
	s_or_b32 exec_lo, exec_lo, s18
	v_lshrrev_b32_e32 v4, v51, v59
	; wave barrier
	s_delay_alu instid0(VALU_DEP_1) | instskip(NEXT) | instid1(VALU_DEP_1)
	v_and_b32_e32 v4, s21, v4
	v_and_b32_e32 v5, 1, v4
	v_lshlrev_b32_e32 v6, 30, v4
	v_lshlrev_b32_e32 v7, 29, v4
	;; [unrolled: 1-line block ×4, first 2 shown]
	v_add_co_u32 v5, s18, v5, -1
	s_wait_alu 0xf1ff
	v_cndmask_b32_e64 v9, 0, 1, s18
	v_not_b32_e32 v39, v6
	v_cmp_gt_i32_e64 s18, 0, v6
	v_not_b32_e32 v6, v7
	v_lshlrev_b32_e32 v11, 26, v4
	v_cmp_ne_u32_e32 vcc_lo, 0, v9
	v_ashrrev_i32_e32 v39, 31, v39
	v_lshlrev_b32_e32 v38, 25, v4
	v_ashrrev_i32_e32 v6, 31, v6
	v_lshlrev_b32_e32 v9, 24, v4
	s_wait_alu 0xfffd
	v_xor_b32_e32 v5, vcc_lo, v5
	v_cmp_gt_i32_e32 vcc_lo, 0, v7
	v_not_b32_e32 v7, v8
	s_wait_alu 0xf1ff
	v_xor_b32_e32 v39, s18, v39
	v_cmp_gt_i32_e64 s18, 0, v8
	v_and_b32_e32 v5, exec_lo, v5
	v_not_b32_e32 v8, v10
	v_ashrrev_i32_e32 v7, 31, v7
	s_wait_alu 0xfffd
	v_xor_b32_e32 v6, vcc_lo, v6
	v_cmp_gt_i32_e32 vcc_lo, 0, v10
	v_and_b32_e32 v5, v5, v39
	v_not_b32_e32 v10, v11
	v_ashrrev_i32_e32 v8, 31, v8
	s_wait_alu 0xf1ff
	v_xor_b32_e32 v7, s18, v7
	v_cmp_gt_i32_e64 s18, 0, v11
	v_and_b32_e32 v5, v5, v6
	v_not_b32_e32 v6, v38
	v_ashrrev_i32_e32 v10, 31, v10
	s_wait_alu 0xfffd
	v_xor_b32_e32 v8, vcc_lo, v8
	v_cmp_gt_i32_e32 vcc_lo, 0, v38
	v_and_b32_e32 v5, v5, v7
	v_not_b32_e32 v7, v9
	v_ashrrev_i32_e32 v6, 31, v6
	s_wait_alu 0xf1ff
	v_xor_b32_e32 v10, s18, v10
	v_lshlrev_b32_e32 v4, 6, v4
	v_and_b32_e32 v5, v5, v8
	v_cmp_gt_i32_e64 s18, 0, v9
	v_ashrrev_i32_e32 v7, 31, v7
	s_wait_alu 0xfffd
	v_xor_b32_e32 v6, vcc_lo, v6
	v_add_nc_u32_e32 v43, v50, v4
	v_and_b32_e32 v5, v5, v10
	s_wait_alu 0xf1ff
	v_xor_b32_e32 v4, s18, v7
	ds_load_b32 v38, v43 offset:64
	v_and_b32_e32 v5, v5, v6
	; wave barrier
	s_delay_alu instid0(VALU_DEP_1) | instskip(NEXT) | instid1(VALU_DEP_1)
	v_and_b32_e32 v4, v5, v4
	v_mbcnt_lo_u32_b32 v39, v4, 0
	v_cmp_ne_u32_e64 s18, 0, v4
	s_delay_alu instid0(VALU_DEP_2)
	v_cmp_eq_u32_e32 vcc_lo, 0, v39
	s_and_b32 s22, s18, vcc_lo
	s_wait_alu 0xfffe
	s_and_saveexec_b32 s18, s22
	s_cbranch_execz .LBB120_75
; %bb.74:                               ;   in Loop: Header=BB120_67 Depth=1
	s_wait_dscnt 0x0
	v_bcnt_u32_b32 v4, v4, v38
	ds_store_b32 v43, v4 offset:64
.LBB120_75:                             ;   in Loop: Header=BB120_67 Depth=1
	s_wait_alu 0xfffe
	s_or_b32 exec_lo, exec_lo, s18
	v_lshrrev_b32_e32 v4, v51, v58
	; wave barrier
	s_delay_alu instid0(VALU_DEP_1) | instskip(NEXT) | instid1(VALU_DEP_1)
	v_and_b32_e32 v4, s21, v4
	v_and_b32_e32 v5, 1, v4
	v_lshlrev_b32_e32 v6, 30, v4
	v_lshlrev_b32_e32 v7, 29, v4
	;; [unrolled: 1-line block ×4, first 2 shown]
	v_add_co_u32 v5, s18, v5, -1
	s_wait_alu 0xf1ff
	v_cndmask_b32_e64 v9, 0, 1, s18
	v_not_b32_e32 v45, v6
	v_cmp_gt_i32_e64 s18, 0, v6
	v_not_b32_e32 v6, v7
	v_lshlrev_b32_e32 v11, 26, v4
	v_cmp_ne_u32_e32 vcc_lo, 0, v9
	v_ashrrev_i32_e32 v45, 31, v45
	v_lshlrev_b32_e32 v44, 25, v4
	v_ashrrev_i32_e32 v6, 31, v6
	v_lshlrev_b32_e32 v9, 24, v4
	s_wait_alu 0xfffd
	v_xor_b32_e32 v5, vcc_lo, v5
	v_cmp_gt_i32_e32 vcc_lo, 0, v7
	v_not_b32_e32 v7, v8
	s_wait_alu 0xf1ff
	v_xor_b32_e32 v45, s18, v45
	v_cmp_gt_i32_e64 s18, 0, v8
	v_and_b32_e32 v5, exec_lo, v5
	v_not_b32_e32 v8, v10
	v_ashrrev_i32_e32 v7, 31, v7
	s_wait_alu 0xfffd
	v_xor_b32_e32 v6, vcc_lo, v6
	v_cmp_gt_i32_e32 vcc_lo, 0, v10
	v_and_b32_e32 v5, v5, v45
	v_not_b32_e32 v10, v11
	v_ashrrev_i32_e32 v8, 31, v8
	s_wait_alu 0xf1ff
	v_xor_b32_e32 v7, s18, v7
	v_cmp_gt_i32_e64 s18, 0, v11
	v_and_b32_e32 v5, v5, v6
	v_not_b32_e32 v6, v44
	v_ashrrev_i32_e32 v10, 31, v10
	s_wait_alu 0xfffd
	v_xor_b32_e32 v8, vcc_lo, v8
	v_cmp_gt_i32_e32 vcc_lo, 0, v44
	v_and_b32_e32 v5, v5, v7
	v_not_b32_e32 v7, v9
	v_ashrrev_i32_e32 v6, 31, v6
	s_wait_alu 0xf1ff
	v_xor_b32_e32 v10, s18, v10
	v_lshlrev_b32_e32 v4, 6, v4
	v_and_b32_e32 v5, v5, v8
	v_cmp_gt_i32_e64 s18, 0, v9
	v_ashrrev_i32_e32 v7, 31, v7
	s_wait_alu 0xfffd
	v_xor_b32_e32 v6, vcc_lo, v6
	v_add_nc_u32_e32 v46, v50, v4
	v_and_b32_e32 v5, v5, v10
	s_wait_alu 0xf1ff
	v_xor_b32_e32 v4, s18, v7
	ds_load_b32 v44, v46 offset:64
	v_and_b32_e32 v5, v5, v6
	; wave barrier
	s_delay_alu instid0(VALU_DEP_1) | instskip(NEXT) | instid1(VALU_DEP_1)
	v_and_b32_e32 v4, v5, v4
	v_mbcnt_lo_u32_b32 v45, v4, 0
	v_cmp_ne_u32_e64 s18, 0, v4
	s_delay_alu instid0(VALU_DEP_2)
	v_cmp_eq_u32_e32 vcc_lo, 0, v45
	s_and_b32 s22, s18, vcc_lo
	s_wait_alu 0xfffe
	s_and_saveexec_b32 s18, s22
	s_cbranch_execz .LBB120_77
; %bb.76:                               ;   in Loop: Header=BB120_67 Depth=1
	s_wait_dscnt 0x0
	v_bcnt_u32_b32 v4, v4, v44
	ds_store_b32 v46, v4 offset:64
.LBB120_77:                             ;   in Loop: Header=BB120_67 Depth=1
	s_wait_alu 0xfffe
	s_or_b32 exec_lo, exec_lo, s18
	v_lshrrev_b32_e32 v4, v51, v57
	; wave barrier
	s_delay_alu instid0(VALU_DEP_1) | instskip(NEXT) | instid1(VALU_DEP_1)
	v_and_b32_e32 v4, s21, v4
	v_and_b32_e32 v5, 1, v4
	v_lshlrev_b32_e32 v6, 30, v4
	v_lshlrev_b32_e32 v7, 29, v4
	;; [unrolled: 1-line block ×4, first 2 shown]
	v_add_co_u32 v5, s18, v5, -1
	s_wait_alu 0xf1ff
	v_cndmask_b32_e64 v9, 0, 1, s18
	v_not_b32_e32 v48, v6
	v_cmp_gt_i32_e64 s18, 0, v6
	v_not_b32_e32 v6, v7
	v_lshlrev_b32_e32 v11, 26, v4
	v_cmp_ne_u32_e32 vcc_lo, 0, v9
	v_ashrrev_i32_e32 v48, 31, v48
	v_lshlrev_b32_e32 v47, 25, v4
	v_ashrrev_i32_e32 v6, 31, v6
	v_lshlrev_b32_e32 v9, 24, v4
	s_wait_alu 0xfffd
	v_xor_b32_e32 v5, vcc_lo, v5
	v_cmp_gt_i32_e32 vcc_lo, 0, v7
	v_not_b32_e32 v7, v8
	s_wait_alu 0xf1ff
	v_xor_b32_e32 v48, s18, v48
	v_cmp_gt_i32_e64 s18, 0, v8
	v_and_b32_e32 v5, exec_lo, v5
	v_not_b32_e32 v8, v10
	v_ashrrev_i32_e32 v7, 31, v7
	s_wait_alu 0xfffd
	v_xor_b32_e32 v6, vcc_lo, v6
	v_cmp_gt_i32_e32 vcc_lo, 0, v10
	v_and_b32_e32 v5, v5, v48
	v_not_b32_e32 v10, v11
	v_ashrrev_i32_e32 v8, 31, v8
	s_wait_alu 0xf1ff
	v_xor_b32_e32 v7, s18, v7
	v_cmp_gt_i32_e64 s18, 0, v11
	v_and_b32_e32 v5, v5, v6
	v_not_b32_e32 v6, v47
	v_ashrrev_i32_e32 v10, 31, v10
	s_wait_alu 0xfffd
	v_xor_b32_e32 v8, vcc_lo, v8
	v_cmp_gt_i32_e32 vcc_lo, 0, v47
	v_and_b32_e32 v5, v5, v7
	v_not_b32_e32 v7, v9
	v_ashrrev_i32_e32 v6, 31, v6
	s_wait_alu 0xf1ff
	v_xor_b32_e32 v10, s18, v10
	v_lshlrev_b32_e32 v4, 6, v4
	v_and_b32_e32 v5, v5, v8
	v_cmp_gt_i32_e64 s18, 0, v9
	v_ashrrev_i32_e32 v7, 31, v7
	s_wait_alu 0xfffd
	v_xor_b32_e32 v6, vcc_lo, v6
	v_add_nc_u32_e32 v62, v50, v4
	v_and_b32_e32 v5, v5, v10
	s_wait_alu 0xf1ff
	v_xor_b32_e32 v4, s18, v7
	ds_load_b32 v47, v62 offset:64
	v_and_b32_e32 v5, v5, v6
	; wave barrier
	s_delay_alu instid0(VALU_DEP_1) | instskip(NEXT) | instid1(VALU_DEP_1)
	v_and_b32_e32 v4, v5, v4
	v_mbcnt_lo_u32_b32 v48, v4, 0
	v_cmp_ne_u32_e64 s18, 0, v4
	s_delay_alu instid0(VALU_DEP_2)
	v_cmp_eq_u32_e32 vcc_lo, 0, v48
	s_and_b32 s22, s18, vcc_lo
	s_wait_alu 0xfffe
	s_and_saveexec_b32 s18, s22
	s_cbranch_execz .LBB120_79
; %bb.78:                               ;   in Loop: Header=BB120_67 Depth=1
	s_wait_dscnt 0x0
	v_bcnt_u32_b32 v4, v4, v47
	ds_store_b32 v62, v4 offset:64
.LBB120_79:                             ;   in Loop: Header=BB120_67 Depth=1
	s_wait_alu 0xfffe
	s_or_b32 exec_lo, exec_lo, s18
	v_lshrrev_b32_e32 v4, v51, v56
	; wave barrier
	s_delay_alu instid0(VALU_DEP_1) | instskip(NEXT) | instid1(VALU_DEP_1)
	v_and_b32_e32 v4, s21, v4
	v_and_b32_e32 v5, 1, v4
	v_lshlrev_b32_e32 v6, 30, v4
	v_lshlrev_b32_e32 v7, 29, v4
	;; [unrolled: 1-line block ×4, first 2 shown]
	v_add_co_u32 v5, s18, v5, -1
	s_wait_alu 0xf1ff
	v_cndmask_b32_e64 v9, 0, 1, s18
	v_not_b32_e32 v64, v6
	v_cmp_gt_i32_e64 s18, 0, v6
	v_not_b32_e32 v6, v7
	v_lshlrev_b32_e32 v11, 26, v4
	v_cmp_ne_u32_e32 vcc_lo, 0, v9
	v_ashrrev_i32_e32 v64, 31, v64
	v_lshlrev_b32_e32 v63, 25, v4
	v_ashrrev_i32_e32 v6, 31, v6
	v_lshlrev_b32_e32 v9, 24, v4
	s_wait_alu 0xfffd
	v_xor_b32_e32 v5, vcc_lo, v5
	v_cmp_gt_i32_e32 vcc_lo, 0, v7
	v_not_b32_e32 v7, v8
	s_wait_alu 0xf1ff
	v_xor_b32_e32 v64, s18, v64
	v_cmp_gt_i32_e64 s18, 0, v8
	v_and_b32_e32 v5, exec_lo, v5
	v_not_b32_e32 v8, v10
	v_ashrrev_i32_e32 v7, 31, v7
	s_wait_alu 0xfffd
	v_xor_b32_e32 v6, vcc_lo, v6
	v_cmp_gt_i32_e32 vcc_lo, 0, v10
	v_and_b32_e32 v5, v5, v64
	v_not_b32_e32 v10, v11
	v_ashrrev_i32_e32 v8, 31, v8
	s_wait_alu 0xf1ff
	v_xor_b32_e32 v7, s18, v7
	v_cmp_gt_i32_e64 s18, 0, v11
	v_and_b32_e32 v5, v5, v6
	v_not_b32_e32 v6, v63
	v_ashrrev_i32_e32 v10, 31, v10
	s_wait_alu 0xfffd
	v_xor_b32_e32 v8, vcc_lo, v8
	v_cmp_gt_i32_e32 vcc_lo, 0, v63
	v_and_b32_e32 v5, v5, v7
	v_not_b32_e32 v7, v9
	v_ashrrev_i32_e32 v6, 31, v6
	s_wait_alu 0xf1ff
	v_xor_b32_e32 v10, s18, v10
	v_lshlrev_b32_e32 v4, 6, v4
	v_and_b32_e32 v5, v5, v8
	v_cmp_gt_i32_e64 s18, 0, v9
	v_ashrrev_i32_e32 v7, 31, v7
	s_wait_alu 0xfffd
	v_xor_b32_e32 v6, vcc_lo, v6
	v_add_nc_u32_e32 v65, v50, v4
	v_and_b32_e32 v5, v5, v10
	s_wait_alu 0xf1ff
	v_xor_b32_e32 v4, s18, v7
	ds_load_b32 v63, v65 offset:64
	v_and_b32_e32 v5, v5, v6
	; wave barrier
	s_delay_alu instid0(VALU_DEP_1) | instskip(NEXT) | instid1(VALU_DEP_1)
	v_and_b32_e32 v4, v5, v4
	v_mbcnt_lo_u32_b32 v64, v4, 0
	v_cmp_ne_u32_e64 s18, 0, v4
	s_delay_alu instid0(VALU_DEP_2)
	v_cmp_eq_u32_e32 vcc_lo, 0, v64
	s_and_b32 s22, s18, vcc_lo
	s_wait_alu 0xfffe
	s_and_saveexec_b32 s18, s22
	s_cbranch_execz .LBB120_81
; %bb.80:                               ;   in Loop: Header=BB120_67 Depth=1
	s_wait_dscnt 0x0
	v_bcnt_u32_b32 v4, v4, v63
	ds_store_b32 v65, v4 offset:64
.LBB120_81:                             ;   in Loop: Header=BB120_67 Depth=1
	s_wait_alu 0xfffe
	s_or_b32 exec_lo, exec_lo, s18
	v_lshrrev_b32_e32 v4, v51, v55
	; wave barrier
	s_delay_alu instid0(VALU_DEP_1) | instskip(NEXT) | instid1(VALU_DEP_1)
	v_and_b32_e32 v4, s21, v4
	v_and_b32_e32 v5, 1, v4
	v_lshlrev_b32_e32 v6, 30, v4
	v_lshlrev_b32_e32 v7, 29, v4
	;; [unrolled: 1-line block ×4, first 2 shown]
	v_add_co_u32 v5, s18, v5, -1
	s_wait_alu 0xf1ff
	v_cndmask_b32_e64 v9, 0, 1, s18
	v_not_b32_e32 v67, v6
	v_cmp_gt_i32_e64 s18, 0, v6
	v_not_b32_e32 v6, v7
	v_lshlrev_b32_e32 v11, 26, v4
	v_cmp_ne_u32_e32 vcc_lo, 0, v9
	v_ashrrev_i32_e32 v67, 31, v67
	v_lshlrev_b32_e32 v66, 25, v4
	v_ashrrev_i32_e32 v6, 31, v6
	v_lshlrev_b32_e32 v9, 24, v4
	s_wait_alu 0xfffd
	v_xor_b32_e32 v5, vcc_lo, v5
	v_cmp_gt_i32_e32 vcc_lo, 0, v7
	v_not_b32_e32 v7, v8
	s_wait_alu 0xf1ff
	v_xor_b32_e32 v67, s18, v67
	v_cmp_gt_i32_e64 s18, 0, v8
	v_and_b32_e32 v5, exec_lo, v5
	v_not_b32_e32 v8, v10
	v_ashrrev_i32_e32 v7, 31, v7
	s_wait_alu 0xfffd
	v_xor_b32_e32 v6, vcc_lo, v6
	v_cmp_gt_i32_e32 vcc_lo, 0, v10
	v_and_b32_e32 v5, v5, v67
	v_not_b32_e32 v10, v11
	v_ashrrev_i32_e32 v8, 31, v8
	s_wait_alu 0xf1ff
	v_xor_b32_e32 v7, s18, v7
	v_cmp_gt_i32_e64 s18, 0, v11
	v_and_b32_e32 v5, v5, v6
	v_not_b32_e32 v6, v66
	v_ashrrev_i32_e32 v10, 31, v10
	s_wait_alu 0xfffd
	v_xor_b32_e32 v8, vcc_lo, v8
	v_cmp_gt_i32_e32 vcc_lo, 0, v66
	v_and_b32_e32 v5, v5, v7
	v_not_b32_e32 v7, v9
	v_ashrrev_i32_e32 v6, 31, v6
	s_wait_alu 0xf1ff
	v_xor_b32_e32 v10, s18, v10
	v_lshlrev_b32_e32 v4, 6, v4
	v_and_b32_e32 v5, v5, v8
	v_cmp_gt_i32_e64 s18, 0, v9
	v_ashrrev_i32_e32 v7, 31, v7
	s_wait_alu 0xfffd
	v_xor_b32_e32 v6, vcc_lo, v6
	v_add_nc_u32_e32 v66, v50, v4
	v_and_b32_e32 v5, v5, v10
	s_wait_alu 0xf1ff
	v_xor_b32_e32 v4, s18, v7
	ds_load_b32 v71, v66 offset:64
	v_and_b32_e32 v5, v5, v6
	; wave barrier
	s_delay_alu instid0(VALU_DEP_1) | instskip(NEXT) | instid1(VALU_DEP_1)
	v_and_b32_e32 v4, v5, v4
	v_mbcnt_lo_u32_b32 v72, v4, 0
	v_cmp_ne_u32_e64 s18, 0, v4
	s_delay_alu instid0(VALU_DEP_2)
	v_cmp_eq_u32_e32 vcc_lo, 0, v72
	s_and_b32 s21, s18, vcc_lo
	s_wait_alu 0xfffe
	s_and_saveexec_b32 s18, s21
	s_cbranch_execz .LBB120_83
; %bb.82:                               ;   in Loop: Header=BB120_67 Depth=1
	s_wait_dscnt 0x0
	v_bcnt_u32_b32 v4, v4, v71
	ds_store_b32 v66, v4 offset:64
.LBB120_83:                             ;   in Loop: Header=BB120_67 Depth=1
	s_wait_alu 0xfffe
	s_or_b32 exec_lo, exec_lo, s18
	; wave barrier
	s_wait_loadcnt_dscnt 0x0
	s_barrier_signal -1
	s_barrier_wait -1
	global_inv scope:SCOPE_SE
	ds_load_b128 v[8:11], v90 offset:64
	ds_load_b128 v[4:7], v90 offset:80
	s_wait_dscnt 0x1
	v_add_nc_u32_e32 v67, v9, v8
	s_delay_alu instid0(VALU_DEP_1) | instskip(SKIP_1) | instid1(VALU_DEP_1)
	v_add3_u32 v67, v67, v10, v11
	s_wait_dscnt 0x0
	v_add3_u32 v67, v67, v4, v5
	s_delay_alu instid0(VALU_DEP_1) | instskip(NEXT) | instid1(VALU_DEP_1)
	v_add3_u32 v7, v67, v6, v7
	v_mov_b32_dpp v67, v7 row_shr:1 row_mask:0xf bank_mask:0xf
	s_delay_alu instid0(VALU_DEP_1) | instskip(NEXT) | instid1(VALU_DEP_1)
	v_cndmask_b32_e64 v67, v67, 0, s8
	v_add_nc_u32_e32 v7, v67, v7
	s_delay_alu instid0(VALU_DEP_1) | instskip(NEXT) | instid1(VALU_DEP_1)
	v_mov_b32_dpp v67, v7 row_shr:2 row_mask:0xf bank_mask:0xf
	v_cndmask_b32_e64 v67, 0, v67, s9
	s_delay_alu instid0(VALU_DEP_1) | instskip(NEXT) | instid1(VALU_DEP_1)
	v_add_nc_u32_e32 v7, v7, v67
	v_mov_b32_dpp v67, v7 row_shr:4 row_mask:0xf bank_mask:0xf
	s_delay_alu instid0(VALU_DEP_1) | instskip(NEXT) | instid1(VALU_DEP_1)
	v_cndmask_b32_e64 v67, 0, v67, s11
	v_add_nc_u32_e32 v7, v7, v67
	s_delay_alu instid0(VALU_DEP_1) | instskip(NEXT) | instid1(VALU_DEP_1)
	v_mov_b32_dpp v67, v7 row_shr:8 row_mask:0xf bank_mask:0xf
	v_cndmask_b32_e64 v67, 0, v67, s12
	s_delay_alu instid0(VALU_DEP_1) | instskip(SKIP_3) | instid1(VALU_DEP_1)
	v_add_nc_u32_e32 v7, v7, v67
	ds_swizzle_b32 v67, v7 offset:swizzle(BROADCAST,32,15)
	s_wait_dscnt 0x0
	v_cndmask_b32_e64 v67, v67, 0, s13
	v_add_nc_u32_e32 v7, v7, v67
	s_and_saveexec_b32 s18, s14
; %bb.84:                               ;   in Loop: Header=BB120_67 Depth=1
	ds_store_b32 v92, v7
; %bb.85:                               ;   in Loop: Header=BB120_67 Depth=1
	s_wait_alu 0xfffe
	s_or_b32 exec_lo, exec_lo, s18
	s_wait_loadcnt_dscnt 0x0
	s_barrier_signal -1
	s_barrier_wait -1
	global_inv scope:SCOPE_SE
	s_and_saveexec_b32 s18, s15
	s_cbranch_execz .LBB120_87
; %bb.86:                               ;   in Loop: Header=BB120_67 Depth=1
	ds_load_b32 v67, v52
	s_wait_dscnt 0x0
	v_mov_b32_dpp v68, v67 row_shr:1 row_mask:0xf bank_mask:0xf
	s_delay_alu instid0(VALU_DEP_1) | instskip(NEXT) | instid1(VALU_DEP_1)
	v_cndmask_b32_e64 v68, v68, 0, s8
	v_add_nc_u32_e32 v67, v68, v67
	s_delay_alu instid0(VALU_DEP_1) | instskip(NEXT) | instid1(VALU_DEP_1)
	v_mov_b32_dpp v68, v67 row_shr:2 row_mask:0xf bank_mask:0xf
	v_cndmask_b32_e64 v68, 0, v68, s9
	s_delay_alu instid0(VALU_DEP_1) | instskip(NEXT) | instid1(VALU_DEP_1)
	v_add_nc_u32_e32 v67, v67, v68
	v_mov_b32_dpp v68, v67 row_shr:4 row_mask:0xf bank_mask:0xf
	s_delay_alu instid0(VALU_DEP_1) | instskip(NEXT) | instid1(VALU_DEP_1)
	v_cndmask_b32_e64 v68, 0, v68, s11
	v_add_nc_u32_e32 v67, v67, v68
	s_delay_alu instid0(VALU_DEP_1) | instskip(NEXT) | instid1(VALU_DEP_1)
	v_mov_b32_dpp v68, v67 row_shr:8 row_mask:0xf bank_mask:0xf
	v_cndmask_b32_e64 v68, 0, v68, s12
	s_delay_alu instid0(VALU_DEP_1)
	v_add_nc_u32_e32 v67, v67, v68
	ds_store_b32 v52, v67
.LBB120_87:                             ;   in Loop: Header=BB120_67 Depth=1
	s_wait_alu 0xfffe
	s_or_b32 exec_lo, exec_lo, s18
	v_mov_b32_e32 v67, 0
	s_wait_loadcnt_dscnt 0x0
	s_barrier_signal -1
	s_barrier_wait -1
	global_inv scope:SCOPE_SE
	s_and_saveexec_b32 s18, s16
; %bb.88:                               ;   in Loop: Header=BB120_67 Depth=1
	ds_load_b32 v67, v49
; %bb.89:                               ;   in Loop: Header=BB120_67 Depth=1
	s_wait_alu 0xfffe
	s_or_b32 exec_lo, exec_lo, s18
	s_wait_dscnt 0x0
	v_add_nc_u32_e32 v7, v67, v7
	v_cmp_lt_u32_e32 vcc_lo, 23, v51
	v_readfirstlane_b32 s18, v0
	s_mov_b32 s21, -1
	ds_bpermute_b32 v7, v36, v7
	s_and_b32 vcc_lo, exec_lo, vcc_lo
	s_wait_dscnt 0x0
	v_cndmask_b32_e64 v7, v7, v67, s10
	s_delay_alu instid0(VALU_DEP_1) | instskip(NEXT) | instid1(VALU_DEP_1)
	v_cndmask_b32_e64 v7, v7, 0, s17
	v_add_nc_u32_e32 v8, v7, v8
	s_delay_alu instid0(VALU_DEP_1) | instskip(NEXT) | instid1(VALU_DEP_1)
	v_add_nc_u32_e32 v9, v8, v9
	v_add_nc_u32_e32 v10, v9, v10
	s_delay_alu instid0(VALU_DEP_1) | instskip(NEXT) | instid1(VALU_DEP_1)
	v_add_nc_u32_e32 v67, v10, v11
	;; [unrolled: 3-line block ×3, first 2 shown]
	v_add_nc_u32_e32 v70, v69, v6
	ds_store_b128 v90, v[7:10] offset:64
	ds_store_b128 v90, v[67:70] offset:80
	s_wait_loadcnt_dscnt 0x0
	s_barrier_signal -1
	s_barrier_wait -1
	global_inv scope:SCOPE_SE
	ds_load_b32 v4, v13 offset:64
	ds_load_b32 v5, v16 offset:64
	;; [unrolled: 1-line block ×8, first 2 shown]
	s_wait_dscnt 0x7
	v_add_nc_u32_e32 v70, v4, v12
	s_wait_dscnt 0x6
	v_add3_u32 v69, v15, v14, v5
	s_wait_dscnt 0x5
	v_add3_u32 v68, v18, v17, v6
	;; [unrolled: 2-line block ×7, first 2 shown]
                                        ; implicit-def: $vgpr48
                                        ; implicit-def: $vgpr46
                                        ; implicit-def: $vgpr44
                                        ; implicit-def: $vgpr39
                                        ; implicit-def: $vgpr18_vgpr19
                                        ; implicit-def: $vgpr14_vgpr15
                                        ; implicit-def: $vgpr10_vgpr11
                                        ; implicit-def: $vgpr6_vgpr7
	s_wait_alu 0xfffe
	s_cbranch_vccnz .LBB120_66
; %bb.90:                               ;   in Loop: Header=BB120_67 Depth=1
	v_lshlrev_b32_e32 v4, 2, v70
	v_lshlrev_b32_e32 v5, 2, v69
	;; [unrolled: 1-line block ×3, first 2 shown]
	s_wait_loadcnt 0x0
	s_barrier_signal -1
	s_barrier_wait -1
	global_inv scope:SCOPE_SE
	ds_store_b32 v4, v54
	ds_store_b32 v5, v61
	;; [unrolled: 1-line block ×3, first 2 shown]
	v_lshlrev_b32_e32 v7, 2, v67
	v_add_nc_u32_e32 v4, v4, v4
	v_lshlrev_b32_e32 v8, 2, v66
	v_add_nc_u32_e32 v5, v5, v5
	;; [unrolled: 2-line block ×3, first 2 shown]
	v_lshlrev_b32_e32 v10, 2, v63
	v_lshlrev_b32_e32 v11, 2, v62
	ds_store_b32 v7, v59
	ds_store_b32 v8, v58
	;; [unrolled: 1-line block ×5, first 2 shown]
	s_wait_loadcnt_dscnt 0x0
	s_barrier_signal -1
	s_barrier_wait -1
	global_inv scope:SCOPE_SE
	ds_load_2addr_b32 v[38:39], v91 offset1:32
	ds_load_2addr_b32 v[43:44], v91 offset0:64 offset1:96
	ds_load_2addr_b32 v[45:46], v91 offset0:128 offset1:160
	;; [unrolled: 1-line block ×3, first 2 shown]
	s_wait_loadcnt_dscnt 0x0
	s_barrier_signal -1
	s_barrier_wait -1
	global_inv scope:SCOPE_SE
	ds_store_b64 v4, v[34:35]
	ds_store_b64 v5, v[32:33]
	;; [unrolled: 1-line block ×3, first 2 shown]
	v_add_nc_u32_e32 v4, v7, v7
	v_add_nc_u32_e32 v5, v8, v8
	;; [unrolled: 1-line block ×5, first 2 shown]
	ds_store_b64 v4, v[28:29]
	ds_store_b64 v5, v[26:27]
	;; [unrolled: 1-line block ×5, first 2 shown]
	s_wait_loadcnt_dscnt 0x0
	s_barrier_signal -1
	s_barrier_wait -1
	global_inv scope:SCOPE_SE
	ds_load_2addr_b64 v[4:7], v53 offset1:32
	ds_load_2addr_b64 v[8:11], v53 offset0:64 offset1:96
	ds_load_2addr_b64 v[12:15], v53 offset0:128 offset1:160
	;; [unrolled: 1-line block ×3, first 2 shown]
	v_add_nc_u32_e32 v51, 8, v51
	s_add_co_i32 s18, s20, -8
	s_mov_b32 s21, 0
	s_wait_loadcnt_dscnt 0x0
	s_barrier_signal -1
	s_barrier_wait -1
	global_inv scope:SCOPE_SE
	s_branch .LBB120_66
.LBB120_91:
	v_lshlrev_b32_e32 v8, 2, v70
	v_lshlrev_b32_e32 v9, 2, v69
	v_lshlrev_b32_e32 v10, 2, v68
	s_wait_loadcnt 0x0
	s_barrier_signal -1
	s_barrier_wait -1
	global_inv scope:SCOPE_SE
	ds_store_b32 v8, v54
	ds_store_b32 v9, v61
	;; [unrolled: 1-line block ×3, first 2 shown]
	v_lshlrev_b32_e32 v11, 2, v67
	v_add_nc_u32_e32 v8, v8, v8
	v_lshlrev_b32_e32 v12, 2, v66
	v_add_nc_u32_e32 v9, v9, v9
	;; [unrolled: 2-line block ×3, first 2 shown]
	v_lshlrev_b32_e32 v14, 2, v63
	v_lshlrev_b32_e32 v15, 2, v62
	ds_store_b32 v11, v59
	ds_store_b32 v12, v58
	;; [unrolled: 1-line block ×5, first 2 shown]
	s_wait_loadcnt_dscnt 0x0
	s_barrier_signal -1
	s_barrier_wait -1
	global_inv scope:SCOPE_SE
	ds_load_b128 v[0:3], v90
	ds_load_b128 v[4:7], v90 offset:16
	s_wait_loadcnt_dscnt 0x0
	s_barrier_signal -1
	s_barrier_wait -1
	global_inv scope:SCOPE_SE
	ds_store_b64 v8, v[34:35]
	ds_store_b64 v9, v[32:33]
	;; [unrolled: 1-line block ×3, first 2 shown]
	v_add_nc_u32_e32 v8, v11, v11
	v_add_nc_u32_e32 v9, v12, v12
	;; [unrolled: 1-line block ×5, first 2 shown]
	ds_store_b64 v8, v[28:29]
	ds_store_b64 v9, v[26:27]
	;; [unrolled: 1-line block ×5, first 2 shown]
	v_lshl_add_u32 v8, v42, 5, v90
	s_wait_loadcnt_dscnt 0x0
	s_barrier_signal -1
	s_barrier_wait -1
	global_inv scope:SCOPE_SE
	ds_load_b128 v[29:32], v8
	ds_load_b128 v[25:28], v8 offset:16
	ds_load_b128 v[21:24], v8 offset:32
	;; [unrolled: 1-line block ×3, first 2 shown]
	v_xor_b32_e32 v33, 0x7fffffff, v0
	v_xor_b32_e32 v35, 0x7fffffff, v1
	;; [unrolled: 1-line block ×8, first 2 shown]
.LBB120_92:
	s_wait_loadcnt_dscnt 0x0
	s_barrier_signal -1
	s_barrier_wait -1
	global_inv scope:SCOPE_SE
	ds_store_2addr_b32 v80, v33, v35 offset1:1
	ds_store_2addr_b32 v80, v34, v38 offset0:2 offset1:3
	ds_store_2addr_b32 v80, v36, v51 offset0:4 offset1:5
	ds_store_2addr_b32 v80, v39, v52 offset0:6 offset1:7
	s_wait_loadcnt_dscnt 0x0
	s_barrier_signal -1
	s_barrier_wait -1
	global_inv scope:SCOPE_SE
	ds_load_b32 v8, v41 offset:2048
	ds_load_b32 v7, v74 offset:4096
	;; [unrolled: 1-line block ×7, first 2 shown]
	v_mov_b32_e32 v41, 0
	s_delay_alu instid0(VALU_DEP_1) | instskip(NEXT) | instid1(VALU_DEP_1)
	v_lshlrev_b64_e32 v[0:1], 2, v[40:41]
	v_add_co_u32 v0, vcc_lo, s30, v0
	s_wait_alu 0xfffd
	s_delay_alu instid0(VALU_DEP_2)
	v_add_co_ci_u32_e64 v1, null, s31, v1, vcc_lo
	s_and_saveexec_b32 s8, s0
	s_cbranch_execnz .LBB120_111
; %bb.93:
	s_wait_alu 0xfffe
	s_or_b32 exec_lo, exec_lo, s8
	s_and_saveexec_b32 s8, s1
	s_cbranch_execnz .LBB120_112
.LBB120_94:
	s_wait_alu 0xfffe
	s_or_b32 exec_lo, exec_lo, s8
	s_and_saveexec_b32 s8, s2
	s_cbranch_execnz .LBB120_113
.LBB120_95:
	s_wait_alu 0xfffe
	s_or_b32 exec_lo, exec_lo, s8
	s_and_saveexec_b32 s8, s3
	s_cbranch_execnz .LBB120_114
.LBB120_96:
	s_wait_alu 0xfffe
	s_or_b32 exec_lo, exec_lo, s8
	s_and_saveexec_b32 s8, s4
	s_cbranch_execnz .LBB120_115
.LBB120_97:
	s_wait_alu 0xfffe
	s_or_b32 exec_lo, exec_lo, s8
	s_and_saveexec_b32 s8, s5
	s_cbranch_execnz .LBB120_116
.LBB120_98:
	s_wait_alu 0xfffe
	s_or_b32 exec_lo, exec_lo, s8
	s_and_saveexec_b32 s8, s6
	s_cbranch_execnz .LBB120_117
.LBB120_99:
	s_wait_alu 0xfffe
	s_or_b32 exec_lo, exec_lo, s8
	s_and_saveexec_b32 s8, s7
	s_cbranch_execz .LBB120_101
.LBB120_100:
	s_mul_i32 s10, s26, 0xe00
	s_mov_b32 s11, 0
	s_wait_alu 0xfffe
	s_lshl_b64 s[10:11], s[10:11], 2
	s_wait_alu 0xfffe
	v_add_co_u32 v0, vcc_lo, v0, s10
	s_wait_alu 0xfffd
	v_add_co_ci_u32_e64 v1, null, s11, v1, vcc_lo
	s_wait_dscnt 0x0
	global_store_b32 v[0:1], v2, off
.LBB120_101:
	s_wait_alu 0xfffe
	s_or_b32 exec_lo, exec_lo, s8
	s_wait_storecnt 0x0
	s_wait_loadcnt_dscnt 0x0
	s_barrier_signal -1
	s_barrier_wait -1
	global_inv scope:SCOPE_SE
	ds_store_2addr_b64 v89, v[29:30], v[31:32] offset1:1
	ds_store_2addr_b64 v89, v[25:26], v[27:28] offset0:2 offset1:3
	ds_store_2addr_b64 v89, v[21:22], v[23:24] offset0:4 offset1:5
	;; [unrolled: 1-line block ×3, first 2 shown]
	s_wait_loadcnt_dscnt 0x0
	s_barrier_signal -1
	s_barrier_wait -1
	global_inv scope:SCOPE_SE
	ds_load_b64 v[14:15], v82 offset:4096
	ds_load_b64 v[12:13], v83 offset:8192
	;; [unrolled: 1-line block ×7, first 2 shown]
	v_mov_b32_e32 v38, 0
	s_delay_alu instid0(VALU_DEP_1) | instskip(NEXT) | instid1(VALU_DEP_1)
	v_lshlrev_b64_e32 v[2:3], 3, v[37:38]
	v_add_co_u32 v2, vcc_lo, s24, v2
	s_wait_alu 0xfffd
	s_delay_alu instid0(VALU_DEP_2)
	v_add_co_ci_u32_e64 v3, null, s25, v3, vcc_lo
	s_and_saveexec_b32 s8, s0
	s_cbranch_execnz .LBB120_118
; %bb.102:
	s_wait_alu 0xfffe
	s_or_b32 exec_lo, exec_lo, s8
	s_and_saveexec_b32 s0, s1
	s_cbranch_execnz .LBB120_119
.LBB120_103:
	s_or_b32 exec_lo, exec_lo, s0
	s_and_saveexec_b32 s0, s2
	s_cbranch_execnz .LBB120_120
.LBB120_104:
	s_or_b32 exec_lo, exec_lo, s0
	s_and_saveexec_b32 s0, s3
	s_cbranch_execnz .LBB120_121
.LBB120_105:
	s_or_b32 exec_lo, exec_lo, s0
	s_and_saveexec_b32 s0, s4
	s_cbranch_execnz .LBB120_122
.LBB120_106:
	s_or_b32 exec_lo, exec_lo, s0
	s_and_saveexec_b32 s0, s5
	s_cbranch_execnz .LBB120_123
.LBB120_107:
	s_or_b32 exec_lo, exec_lo, s0
	s_and_saveexec_b32 s0, s6
	s_cbranch_execnz .LBB120_124
.LBB120_108:
	s_or_b32 exec_lo, exec_lo, s0
	s_and_saveexec_b32 s0, s7
	s_cbranch_execz .LBB120_110
.LBB120_109:
	s_mul_i32 s0, s28, 0xe00
	s_mov_b32 s1, 0
	s_delay_alu instid0(SALU_CYCLE_1) | instskip(NEXT) | instid1(SALU_CYCLE_1)
	s_lshl_b64 s[0:1], s[0:1], 3
	v_add_co_u32 v2, vcc_lo, v2, s0
	s_wait_alu 0xfffd
	v_add_co_ci_u32_e64 v3, null, s1, v3, vcc_lo
	s_wait_dscnt 0x0
	global_store_b64 v[2:3], v[0:1], off
.LBB120_110:
	s_nop 0
	s_sendmsg sendmsg(MSG_DEALLOC_VGPRS)
	s_endpgm
.LBB120_111:
	ds_load_b32 v9, v73
	s_wait_dscnt 0x0
	global_store_b32 v[0:1], v9, off
	s_wait_alu 0xfffe
	s_or_b32 exec_lo, exec_lo, s8
	s_and_saveexec_b32 s8, s1
	s_cbranch_execz .LBB120_94
.LBB120_112:
	s_lshl_b32 s10, s26, 9
	s_mov_b32 s11, 0
	s_wait_alu 0xfffe
	s_lshl_b64 s[10:11], s[10:11], 2
	s_wait_alu 0xfffe
	v_add_co_u32 v9, vcc_lo, v0, s10
	s_wait_alu 0xfffd
	v_add_co_ci_u32_e64 v10, null, s11, v1, vcc_lo
	s_wait_dscnt 0x6
	global_store_b32 v[9:10], v8, off
	s_or_b32 exec_lo, exec_lo, s8
	s_and_saveexec_b32 s8, s2
	s_cbranch_execz .LBB120_95
.LBB120_113:
	s_lshl_b32 s10, s26, 10
	s_mov_b32 s11, 0
	s_wait_alu 0xfffe
	s_lshl_b64 s[10:11], s[10:11], 2
	s_wait_dscnt 0x6
	s_wait_alu 0xfffe
	v_add_co_u32 v8, vcc_lo, v0, s10
	s_wait_alu 0xfffd
	v_add_co_ci_u32_e64 v9, null, s11, v1, vcc_lo
	s_wait_dscnt 0x5
	global_store_b32 v[8:9], v7, off
	s_or_b32 exec_lo, exec_lo, s8
	s_and_saveexec_b32 s8, s3
	s_cbranch_execz .LBB120_96
.LBB120_114:
	s_mul_i32 s10, s26, 0x600
	s_mov_b32 s11, 0
	s_wait_alu 0xfffe
	s_lshl_b64 s[10:11], s[10:11], 2
	s_wait_dscnt 0x5
	s_wait_alu 0xfffe
	v_add_co_u32 v7, vcc_lo, v0, s10
	s_wait_alu 0xfffd
	v_add_co_ci_u32_e64 v8, null, s11, v1, vcc_lo
	s_wait_dscnt 0x4
	global_store_b32 v[7:8], v6, off
	s_or_b32 exec_lo, exec_lo, s8
	s_and_saveexec_b32 s8, s4
	s_cbranch_execz .LBB120_97
.LBB120_115:
	s_lshl_b32 s10, s26, 11
	s_mov_b32 s11, 0
	s_wait_alu 0xfffe
	s_lshl_b64 s[10:11], s[10:11], 2
	s_wait_dscnt 0x4
	s_wait_alu 0xfffe
	v_add_co_u32 v6, vcc_lo, v0, s10
	s_wait_alu 0xfffd
	v_add_co_ci_u32_e64 v7, null, s11, v1, vcc_lo
	s_wait_dscnt 0x3
	global_store_b32 v[6:7], v5, off
	s_or_b32 exec_lo, exec_lo, s8
	s_and_saveexec_b32 s8, s5
	s_cbranch_execz .LBB120_98
.LBB120_116:
	s_mul_i32 s10, s26, 0xa00
	s_mov_b32 s11, 0
	s_wait_alu 0xfffe
	s_lshl_b64 s[10:11], s[10:11], 2
	s_wait_dscnt 0x3
	s_wait_alu 0xfffe
	v_add_co_u32 v5, vcc_lo, v0, s10
	s_wait_alu 0xfffd
	v_add_co_ci_u32_e64 v6, null, s11, v1, vcc_lo
	s_wait_dscnt 0x2
	global_store_b32 v[5:6], v4, off
	s_or_b32 exec_lo, exec_lo, s8
	s_and_saveexec_b32 s8, s6
	s_cbranch_execz .LBB120_99
.LBB120_117:
	s_mul_i32 s10, s26, 0xc00
	s_mov_b32 s11, 0
	s_wait_alu 0xfffe
	s_lshl_b64 s[10:11], s[10:11], 2
	s_wait_dscnt 0x2
	s_wait_alu 0xfffe
	v_add_co_u32 v4, vcc_lo, v0, s10
	s_wait_alu 0xfffd
	v_add_co_ci_u32_e64 v5, null, s11, v1, vcc_lo
	s_wait_dscnt 0x1
	global_store_b32 v[4:5], v3, off
	s_or_b32 exec_lo, exec_lo, s8
	s_and_saveexec_b32 s8, s7
	s_cbranch_execnz .LBB120_100
	s_branch .LBB120_101
.LBB120_118:
	ds_load_b64 v[16:17], v81
	s_wait_dscnt 0x0
	global_store_b64 v[2:3], v[16:17], off
	s_wait_alu 0xfffe
	s_or_b32 exec_lo, exec_lo, s8
	s_and_saveexec_b32 s0, s1
	s_cbranch_execz .LBB120_103
.LBB120_119:
	s_lshl_b32 s8, s28, 9
	s_mov_b32 s9, 0
	s_wait_alu 0xfffe
	s_lshl_b64 s[8:9], s[8:9], 3
	s_wait_alu 0xfffe
	v_add_co_u32 v16, vcc_lo, v2, s8
	s_wait_alu 0xfffd
	v_add_co_ci_u32_e64 v17, null, s9, v3, vcc_lo
	s_wait_dscnt 0x6
	global_store_b64 v[16:17], v[14:15], off
	s_or_b32 exec_lo, exec_lo, s0
	s_and_saveexec_b32 s0, s2
	s_cbranch_execz .LBB120_104
.LBB120_120:
	s_lshl_b32 s8, s28, 10
	s_mov_b32 s9, 0
	s_wait_alu 0xfffe
	s_lshl_b64 s[8:9], s[8:9], 3
	s_wait_dscnt 0x6
	s_wait_alu 0xfffe
	v_add_co_u32 v14, vcc_lo, v2, s8
	s_wait_alu 0xfffd
	v_add_co_ci_u32_e64 v15, null, s9, v3, vcc_lo
	s_wait_dscnt 0x5
	global_store_b64 v[14:15], v[12:13], off
	s_or_b32 exec_lo, exec_lo, s0
	s_and_saveexec_b32 s0, s3
	s_cbranch_execz .LBB120_105
.LBB120_121:
	s_mul_i32 s2, s28, 0x600
	s_mov_b32 s3, 0
	s_delay_alu instid0(SALU_CYCLE_1)
	s_lshl_b64 s[2:3], s[2:3], 3
	s_wait_dscnt 0x5
	v_add_co_u32 v12, vcc_lo, v2, s2
	s_wait_alu 0xfffd
	v_add_co_ci_u32_e64 v13, null, s3, v3, vcc_lo
	s_wait_dscnt 0x4
	global_store_b64 v[12:13], v[10:11], off
	s_or_b32 exec_lo, exec_lo, s0
	s_and_saveexec_b32 s0, s4
	s_cbranch_execz .LBB120_106
.LBB120_122:
	s_lshl_b32 s2, s28, 11
	s_mov_b32 s3, 0
	s_wait_alu 0xfffe
	s_lshl_b64 s[2:3], s[2:3], 3
	s_wait_dscnt 0x4
	s_wait_alu 0xfffe
	v_add_co_u32 v10, vcc_lo, v2, s2
	s_wait_alu 0xfffd
	v_add_co_ci_u32_e64 v11, null, s3, v3, vcc_lo
	s_wait_dscnt 0x3
	global_store_b64 v[10:11], v[8:9], off
	s_or_b32 exec_lo, exec_lo, s0
	s_and_saveexec_b32 s0, s5
	s_cbranch_execz .LBB120_107
.LBB120_123:
	s_mul_i32 s2, s28, 0xa00
	s_mov_b32 s3, 0
	s_wait_alu 0xfffe
	s_lshl_b64 s[2:3], s[2:3], 3
	s_wait_dscnt 0x3
	s_wait_alu 0xfffe
	v_add_co_u32 v8, vcc_lo, v2, s2
	s_wait_alu 0xfffd
	v_add_co_ci_u32_e64 v9, null, s3, v3, vcc_lo
	s_wait_dscnt 0x2
	global_store_b64 v[8:9], v[6:7], off
	s_or_b32 exec_lo, exec_lo, s0
	s_and_saveexec_b32 s0, s6
	s_cbranch_execz .LBB120_108
.LBB120_124:
	s_mul_i32 s2, s28, 0xc00
	s_mov_b32 s3, 0
	s_wait_alu 0xfffe
	s_lshl_b64 s[2:3], s[2:3], 3
	s_wait_dscnt 0x2
	s_wait_alu 0xfffe
	v_add_co_u32 v6, vcc_lo, v2, s2
	s_wait_alu 0xfffd
	v_add_co_ci_u32_e64 v7, null, s3, v3, vcc_lo
	s_wait_dscnt 0x1
	global_store_b64 v[6:7], v[4:5], off
	s_or_b32 exec_lo, exec_lo, s0
	s_and_saveexec_b32 s0, s7
	s_cbranch_execnz .LBB120_109
	s_branch .LBB120_110
	.section	.rodata,"a",@progbits
	.p2align	6, 0x0
	.amdhsa_kernel _ZN2at6native18radixSortKVInPlaceILin2ELin1ELi512ELi8EiljEEvNS_4cuda6detail10TensorInfoIT3_T5_EES6_S6_S6_NS4_IT4_S6_EES6_b
		.amdhsa_group_segment_fixed_size 33792
		.amdhsa_private_segment_fixed_size 0
		.amdhsa_kernarg_size 712
		.amdhsa_user_sgpr_count 2
		.amdhsa_user_sgpr_dispatch_ptr 0
		.amdhsa_user_sgpr_queue_ptr 0
		.amdhsa_user_sgpr_kernarg_segment_ptr 1
		.amdhsa_user_sgpr_dispatch_id 0
		.amdhsa_user_sgpr_private_segment_size 0
		.amdhsa_wavefront_size32 1
		.amdhsa_uses_dynamic_stack 0
		.amdhsa_enable_private_segment 0
		.amdhsa_system_sgpr_workgroup_id_x 1
		.amdhsa_system_sgpr_workgroup_id_y 1
		.amdhsa_system_sgpr_workgroup_id_z 1
		.amdhsa_system_sgpr_workgroup_info 0
		.amdhsa_system_vgpr_workitem_id 2
		.amdhsa_next_free_vgpr 127
		.amdhsa_next_free_sgpr 36
		.amdhsa_reserve_vcc 1
		.amdhsa_float_round_mode_32 0
		.amdhsa_float_round_mode_16_64 0
		.amdhsa_float_denorm_mode_32 3
		.amdhsa_float_denorm_mode_16_64 3
		.amdhsa_fp16_overflow 0
		.amdhsa_workgroup_processor_mode 1
		.amdhsa_memory_ordered 1
		.amdhsa_forward_progress 1
		.amdhsa_inst_pref_size 113
		.amdhsa_round_robin_scheduling 0
		.amdhsa_exception_fp_ieee_invalid_op 0
		.amdhsa_exception_fp_denorm_src 0
		.amdhsa_exception_fp_ieee_div_zero 0
		.amdhsa_exception_fp_ieee_overflow 0
		.amdhsa_exception_fp_ieee_underflow 0
		.amdhsa_exception_fp_ieee_inexact 0
		.amdhsa_exception_int_div_zero 0
	.end_amdhsa_kernel
	.section	.text._ZN2at6native18radixSortKVInPlaceILin2ELin1ELi512ELi8EiljEEvNS_4cuda6detail10TensorInfoIT3_T5_EES6_S6_S6_NS4_IT4_S6_EES6_b,"axG",@progbits,_ZN2at6native18radixSortKVInPlaceILin2ELin1ELi512ELi8EiljEEvNS_4cuda6detail10TensorInfoIT3_T5_EES6_S6_S6_NS4_IT4_S6_EES6_b,comdat
.Lfunc_end120:
	.size	_ZN2at6native18radixSortKVInPlaceILin2ELin1ELi512ELi8EiljEEvNS_4cuda6detail10TensorInfoIT3_T5_EES6_S6_S6_NS4_IT4_S6_EES6_b, .Lfunc_end120-_ZN2at6native18radixSortKVInPlaceILin2ELin1ELi512ELi8EiljEEvNS_4cuda6detail10TensorInfoIT3_T5_EES6_S6_S6_NS4_IT4_S6_EES6_b
                                        ; -- End function
	.set _ZN2at6native18radixSortKVInPlaceILin2ELin1ELi512ELi8EiljEEvNS_4cuda6detail10TensorInfoIT3_T5_EES6_S6_S6_NS4_IT4_S6_EES6_b.num_vgpr, 127
	.set _ZN2at6native18radixSortKVInPlaceILin2ELin1ELi512ELi8EiljEEvNS_4cuda6detail10TensorInfoIT3_T5_EES6_S6_S6_NS4_IT4_S6_EES6_b.num_agpr, 0
	.set _ZN2at6native18radixSortKVInPlaceILin2ELin1ELi512ELi8EiljEEvNS_4cuda6detail10TensorInfoIT3_T5_EES6_S6_S6_NS4_IT4_S6_EES6_b.numbered_sgpr, 36
	.set _ZN2at6native18radixSortKVInPlaceILin2ELin1ELi512ELi8EiljEEvNS_4cuda6detail10TensorInfoIT3_T5_EES6_S6_S6_NS4_IT4_S6_EES6_b.num_named_barrier, 0
	.set _ZN2at6native18radixSortKVInPlaceILin2ELin1ELi512ELi8EiljEEvNS_4cuda6detail10TensorInfoIT3_T5_EES6_S6_S6_NS4_IT4_S6_EES6_b.private_seg_size, 0
	.set _ZN2at6native18radixSortKVInPlaceILin2ELin1ELi512ELi8EiljEEvNS_4cuda6detail10TensorInfoIT3_T5_EES6_S6_S6_NS4_IT4_S6_EES6_b.uses_vcc, 1
	.set _ZN2at6native18radixSortKVInPlaceILin2ELin1ELi512ELi8EiljEEvNS_4cuda6detail10TensorInfoIT3_T5_EES6_S6_S6_NS4_IT4_S6_EES6_b.uses_flat_scratch, 0
	.set _ZN2at6native18radixSortKVInPlaceILin2ELin1ELi512ELi8EiljEEvNS_4cuda6detail10TensorInfoIT3_T5_EES6_S6_S6_NS4_IT4_S6_EES6_b.has_dyn_sized_stack, 0
	.set _ZN2at6native18radixSortKVInPlaceILin2ELin1ELi512ELi8EiljEEvNS_4cuda6detail10TensorInfoIT3_T5_EES6_S6_S6_NS4_IT4_S6_EES6_b.has_recursion, 0
	.set _ZN2at6native18radixSortKVInPlaceILin2ELin1ELi512ELi8EiljEEvNS_4cuda6detail10TensorInfoIT3_T5_EES6_S6_S6_NS4_IT4_S6_EES6_b.has_indirect_call, 0
	.section	.AMDGPU.csdata,"",@progbits
; Kernel info:
; codeLenInByte = 14408
; TotalNumSgprs: 38
; NumVgprs: 127
; ScratchSize: 0
; MemoryBound: 0
; FloatMode: 240
; IeeeMode: 1
; LDSByteSize: 33792 bytes/workgroup (compile time only)
; SGPRBlocks: 0
; VGPRBlocks: 15
; NumSGPRsForWavesPerEU: 38
; NumVGPRsForWavesPerEU: 127
; Occupancy: 10
; WaveLimiterHint : 1
; COMPUTE_PGM_RSRC2:SCRATCH_EN: 0
; COMPUTE_PGM_RSRC2:USER_SGPR: 2
; COMPUTE_PGM_RSRC2:TRAP_HANDLER: 0
; COMPUTE_PGM_RSRC2:TGID_X_EN: 1
; COMPUTE_PGM_RSRC2:TGID_Y_EN: 1
; COMPUTE_PGM_RSRC2:TGID_Z_EN: 1
; COMPUTE_PGM_RSRC2:TIDIG_COMP_CNT: 2
	.section	.text._ZN2at6native18radixSortKVInPlaceILin2ELin1ELi256ELi8EiljEEvNS_4cuda6detail10TensorInfoIT3_T5_EES6_S6_S6_NS4_IT4_S6_EES6_b,"axG",@progbits,_ZN2at6native18radixSortKVInPlaceILin2ELin1ELi256ELi8EiljEEvNS_4cuda6detail10TensorInfoIT3_T5_EES6_S6_S6_NS4_IT4_S6_EES6_b,comdat
	.protected	_ZN2at6native18radixSortKVInPlaceILin2ELin1ELi256ELi8EiljEEvNS_4cuda6detail10TensorInfoIT3_T5_EES6_S6_S6_NS4_IT4_S6_EES6_b ; -- Begin function _ZN2at6native18radixSortKVInPlaceILin2ELin1ELi256ELi8EiljEEvNS_4cuda6detail10TensorInfoIT3_T5_EES6_S6_S6_NS4_IT4_S6_EES6_b
	.globl	_ZN2at6native18radixSortKVInPlaceILin2ELin1ELi256ELi8EiljEEvNS_4cuda6detail10TensorInfoIT3_T5_EES6_S6_S6_NS4_IT4_S6_EES6_b
	.p2align	8
	.type	_ZN2at6native18radixSortKVInPlaceILin2ELin1ELi256ELi8EiljEEvNS_4cuda6detail10TensorInfoIT3_T5_EES6_S6_S6_NS4_IT4_S6_EES6_b,@function
_ZN2at6native18radixSortKVInPlaceILin2ELin1ELi256ELi8EiljEEvNS_4cuda6detail10TensorInfoIT3_T5_EES6_S6_S6_NS4_IT4_S6_EES6_b: ; @_ZN2at6native18radixSortKVInPlaceILin2ELin1ELi256ELi8EiljEEvNS_4cuda6detail10TensorInfoIT3_T5_EES6_S6_S6_NS4_IT4_S6_EES6_b
; %bb.0:
	s_clause 0x1
	s_load_b64 s[2:3], s[0:1], 0x1c8
	s_load_b96 s[20:22], s[0:1], 0xd8
	s_lshr_b32 s4, ttmp7, 16
	s_wait_kmcnt 0x0
	s_mul_i32 s3, s3, s4
	s_and_b32 s4, ttmp7, 0xffff
	s_delay_alu instid0(SALU_CYCLE_1) | instskip(NEXT) | instid1(SALU_CYCLE_1)
	s_add_co_i32 s3, s3, s4
	s_mul_i32 s4, s3, s2
	s_delay_alu instid0(SALU_CYCLE_1) | instskip(NEXT) | instid1(SALU_CYCLE_1)
	s_add_co_i32 s4, s4, ttmp9
	s_cmp_ge_u32 s4, s20
	s_cbranch_scc1 .LBB121_110
; %bb.1:
	s_load_b32 s2, s[0:1], 0x1b8
	s_add_nc_u64 s[14:15], s[0:1], 0xe8
	s_mov_b32 s13, 0
	s_mov_b32 s16, s4
	s_wait_kmcnt 0x0
	s_cmp_lt_i32 s2, 2
	s_cbranch_scc1 .LBB121_4
; %bb.2:
	s_add_co_i32 s12, s2, -1
	s_add_co_i32 s5, s2, 1
	s_lshl_b64 s[6:7], s[12:13], 2
	s_mov_b32 s16, s4
	s_add_nc_u64 s[6:7], s[14:15], s[6:7]
	s_delay_alu instid0(SALU_CYCLE_1)
	s_add_nc_u64 s[2:3], s[6:7], 8
.LBB121_3:                              ; =>This Inner Loop Header: Depth=1
	s_clause 0x1
	s_load_b32 s6, s[2:3], 0x0
	s_load_b32 s7, s[2:3], 0x64
	s_mov_b32 s10, s16
	s_add_nc_u64 s[2:3], s[2:3], -4
	s_wait_kmcnt 0x0
	s_cvt_f32_u32 s8, s6
	s_sub_co_i32 s9, 0, s6
	s_wait_alu 0xfffe
	s_delay_alu instid0(SALU_CYCLE_1) | instskip(NEXT) | instid1(TRANS32_DEP_1)
	v_rcp_iflag_f32_e32 v1, s8
	v_readfirstlane_b32 s8, v1
	s_mul_f32 s8, s8, 0x4f7ffffe
	s_wait_alu 0xfffe
	s_delay_alu instid0(SALU_CYCLE_2) | instskip(SKIP_1) | instid1(SALU_CYCLE_2)
	s_cvt_u32_f32 s8, s8
	s_wait_alu 0xfffe
	s_mul_i32 s9, s9, s8
	s_wait_alu 0xfffe
	s_mul_hi_u32 s9, s8, s9
	s_wait_alu 0xfffe
	s_add_co_i32 s8, s8, s9
	s_wait_alu 0xfffe
	s_mul_hi_u32 s8, s16, s8
	s_wait_alu 0xfffe
	s_mul_i32 s9, s8, s6
	s_add_co_i32 s11, s8, 1
	s_wait_alu 0xfffe
	s_sub_co_i32 s9, s16, s9
	s_wait_alu 0xfffe
	s_sub_co_i32 s12, s9, s6
	s_cmp_ge_u32 s9, s6
	s_cselect_b32 s8, s11, s8
	s_cselect_b32 s9, s12, s9
	s_wait_alu 0xfffe
	s_add_co_i32 s11, s8, 1
	s_cmp_ge_u32 s9, s6
	s_cselect_b32 s16, s11, s8
	s_add_co_i32 s5, s5, -1
	s_mul_i32 s6, s16, s6
	s_delay_alu instid0(SALU_CYCLE_1) | instskip(NEXT) | instid1(SALU_CYCLE_1)
	s_sub_co_i32 s6, s10, s6
	s_mul_i32 s6, s7, s6
	s_delay_alu instid0(SALU_CYCLE_1)
	s_add_co_i32 s13, s6, s13
	s_cmp_gt_u32 s5, 2
	s_cbranch_scc1 .LBB121_3
.LBB121_4:
	s_clause 0x2
	s_load_b64 s[28:29], s[0:1], 0x1c0
	s_load_b64 s[2:3], s[0:1], 0x0
	s_load_b32 s5, s[0:1], 0x6c
	s_add_nc_u64 s[36:37], s[0:1], 0x1c8
	s_brev_b32 s0, 1
	s_mov_b32 s19, 0
	s_wait_kmcnt 0x0
	s_bitcmp1_b32 s29, 0
	s_mul_i32 s18, s5, s4
	s_cselect_b32 s12, -1, 0
	s_delay_alu instid0(SALU_CYCLE_1)
	s_and_b32 s1, s12, exec_lo
	s_cselect_b32 s4, s0, 0x7fffffff
	s_lshl_b64 s[18:19], s[18:19], 2
	s_mov_b32 s5, s4
	s_mov_b32 s6, s4
	;; [unrolled: 1-line block ×7, first 2 shown]
	v_dual_mov_b32 v1, s4 :: v_dual_and_b32 v42, 0x3ff, v0
	v_dual_mov_b32 v2, s5 :: v_dual_mov_b32 v3, s6
	s_wait_alu 0xfffe
	v_dual_mov_b32 v4, s7 :: v_dual_mov_b32 v5, s8
	s_delay_alu instid0(VALU_DEP_3)
	v_mul_lo_u32 v40, s22, v42
	v_cmp_gt_u32_e64 s0, s21, v42
	v_dual_mov_b32 v6, s9 :: v_dual_mov_b32 v7, s10
	v_dual_mov_b32 v8, s11 :: v_dual_mov_b32 v9, s4
	s_add_nc_u64 s[30:31], s[2:3], s[18:19]
	s_and_saveexec_b32 s1, s0
	s_cbranch_execz .LBB121_6
; %bb.5:
	v_mov_b32_e32 v41, 0
	s_delay_alu instid0(VALU_DEP_1) | instskip(NEXT) | instid1(VALU_DEP_1)
	v_lshlrev_b64_e32 v[1:2], 2, v[40:41]
	v_add_co_u32 v1, vcc_lo, s30, v1
	s_delay_alu instid0(VALU_DEP_1)
	v_add_co_ci_u32_e64 v2, null, s31, v2, vcc_lo
	global_load_b32 v9, v[1:2], off
	v_dual_mov_b32 v1, s4 :: v_dual_mov_b32 v4, s7
	v_dual_mov_b32 v2, s5 :: v_dual_mov_b32 v3, s6
	;; [unrolled: 1-line block ×4, first 2 shown]
.LBB121_6:
	s_or_b32 exec_lo, exec_lo, s1
	v_add_nc_u32_e32 v15, 0x100, v42
	s_delay_alu instid0(VALU_DEP_1)
	v_cmp_gt_u32_e64 s1, s21, v15
	s_and_saveexec_b32 s2, s1
	s_cbranch_execz .LBB121_8
; %bb.7:
	v_mul_lo_u32 v1, s22, v15
	v_mov_b32_e32 v2, 0
	s_delay_alu instid0(VALU_DEP_1) | instskip(NEXT) | instid1(VALU_DEP_1)
	v_lshlrev_b64_e32 v[1:2], 2, v[1:2]
	v_add_co_u32 v1, vcc_lo, s30, v1
	s_wait_alu 0xfffd
	s_delay_alu instid0(VALU_DEP_2)
	v_add_co_ci_u32_e64 v2, null, s31, v2, vcc_lo
	global_load_b32 v2, v[1:2], off
.LBB121_8:
	s_or_b32 exec_lo, exec_lo, s2
	v_add_nc_u32_e32 v16, 0x200, v42
	s_delay_alu instid0(VALU_DEP_1)
	v_cmp_gt_u32_e64 s2, s21, v16
	s_and_saveexec_b32 s3, s2
	s_cbranch_execz .LBB121_10
; %bb.9:
	v_mul_lo_u32 v10, s22, v16
	v_mov_b32_e32 v11, 0
	s_delay_alu instid0(VALU_DEP_1) | instskip(NEXT) | instid1(VALU_DEP_1)
	v_lshlrev_b64_e32 v[10:11], 2, v[10:11]
	v_add_co_u32 v10, vcc_lo, s30, v10
	s_wait_alu 0xfffd
	s_delay_alu instid0(VALU_DEP_2)
	v_add_co_ci_u32_e64 v11, null, s31, v11, vcc_lo
	global_load_b32 v3, v[10:11], off
.LBB121_10:
	;; [unrolled: 17-line block ×3, first 2 shown]
	s_wait_alu 0xfffe
	s_or_b32 exec_lo, exec_lo, s4
	v_or_b32_e32 v20, 0x400, v42
	s_delay_alu instid0(VALU_DEP_1)
	v_cmp_gt_u32_e64 s4, s21, v20
	s_and_saveexec_b32 s5, s4
	s_cbranch_execz .LBB121_14
; %bb.13:
	v_mul_lo_u32 v10, s22, v20
	v_mov_b32_e32 v11, 0
	s_delay_alu instid0(VALU_DEP_1) | instskip(NEXT) | instid1(VALU_DEP_1)
	v_lshlrev_b64_e32 v[10:11], 2, v[10:11]
	v_add_co_u32 v10, vcc_lo, s30, v10
	s_wait_alu 0xfffd
	s_delay_alu instid0(VALU_DEP_2)
	v_add_co_ci_u32_e64 v11, null, s31, v11, vcc_lo
	global_load_b32 v5, v[10:11], off
.LBB121_14:
	s_wait_alu 0xfffe
	s_or_b32 exec_lo, exec_lo, s5
	v_add_nc_u32_e32 v21, 0x500, v42
	s_delay_alu instid0(VALU_DEP_1)
	v_cmp_gt_u32_e64 s5, s21, v21
	s_and_saveexec_b32 s6, s5
	s_cbranch_execz .LBB121_16
; %bb.15:
	v_mul_lo_u32 v10, s22, v21
	v_mov_b32_e32 v11, 0
	s_delay_alu instid0(VALU_DEP_1) | instskip(NEXT) | instid1(VALU_DEP_1)
	v_lshlrev_b64_e32 v[10:11], 2, v[10:11]
	v_add_co_u32 v10, vcc_lo, s30, v10
	s_wait_alu 0xfffd
	s_delay_alu instid0(VALU_DEP_2)
	v_add_co_ci_u32_e64 v11, null, s31, v11, vcc_lo
	global_load_b32 v6, v[10:11], off
.LBB121_16:
	s_wait_alu 0xfffe
	s_or_b32 exec_lo, exec_lo, s6
	v_add_nc_u32_e32 v22, 0x600, v42
	s_delay_alu instid0(VALU_DEP_1)
	v_cmp_gt_u32_e64 s6, s21, v22
	s_and_saveexec_b32 s7, s6
	s_cbranch_execz .LBB121_18
; %bb.17:
	v_mul_lo_u32 v10, s22, v22
	v_mov_b32_e32 v11, 0
	s_delay_alu instid0(VALU_DEP_1) | instskip(NEXT) | instid1(VALU_DEP_1)
	v_lshlrev_b64_e32 v[10:11], 2, v[10:11]
	v_add_co_u32 v10, vcc_lo, s30, v10
	s_wait_alu 0xfffd
	s_delay_alu instid0(VALU_DEP_2)
	v_add_co_ci_u32_e64 v11, null, s31, v11, vcc_lo
	global_load_b32 v7, v[10:11], off
.LBB121_18:
	s_wait_alu 0xfffe
	s_or_b32 exec_lo, exec_lo, s7
	s_clause 0x1
	s_load_b32 s10, s[14:15], 0x6c
	s_load_b64 s[8:9], s[14:15], 0x0
	v_add_nc_u32_e32 v23, 0x700, v42
	s_delay_alu instid0(VALU_DEP_1)
	v_cmp_gt_u32_e64 s7, s21, v23
	s_and_saveexec_b32 s11, s7
	s_cbranch_execz .LBB121_20
; %bb.19:
	v_mul_lo_u32 v10, s22, v23
	v_mov_b32_e32 v11, 0
	s_delay_alu instid0(VALU_DEP_1) | instskip(NEXT) | instid1(VALU_DEP_1)
	v_lshlrev_b64_e32 v[10:11], 2, v[10:11]
	v_add_co_u32 v10, vcc_lo, s30, v10
	s_wait_alu 0xfffd
	s_delay_alu instid0(VALU_DEP_2)
	v_add_co_ci_u32_e64 v11, null, s31, v11, vcc_lo
	global_load_b32 v8, v[10:11], off
.LBB121_20:
	s_wait_alu 0xfffe
	s_or_b32 exec_lo, exec_lo, s11
	v_lshrrev_b32_e32 v17, 5, v42
	v_lshrrev_b32_e32 v1, 5, v15
	;; [unrolled: 1-line block ×3, first 2 shown]
	s_wait_kmcnt 0x0
	s_mul_i32 s10, s10, s16
	v_mul_lo_u32 v37, s28, v42
	v_dual_mov_b32 v38, 0 :: v_dual_add_nc_u32 v27, v17, v42
	v_add_nc_u32_e32 v26, v1, v42
	v_lshrrev_b32_e32 v1, 5, v19
	v_dual_mov_b32 v13, 0 :: v_dual_add_nc_u32 v24, v10, v42
	s_delay_alu instid0(VALU_DEP_4) | instskip(NEXT) | instid1(VALU_DEP_3)
	v_dual_mov_b32 v10, v38 :: v_dual_lshlrev_b32 v73, 2, v27
	v_add_nc_u32_e32 v25, v1, v42
	v_lshrrev_b32_e32 v1, 5, v20
	v_mov_b32_e32 v39, v38
	v_lshlrev_b32_e32 v41, 2, v26
	v_lshlrev_b32_e32 v74, 2, v24
	;; [unrolled: 1-line block ×3, first 2 shown]
	v_add_nc_u32_e32 v28, v1, v42
	v_lshrrev_b32_e32 v1, 5, v21
	s_wait_loadcnt 0x0
	ds_store_b32 v73, v9
	ds_store_b32 v41, v2 offset:1024
	ds_store_b32 v74, v3 offset:2048
	v_lshrrev_b32_e32 v2, 5, v22
	v_lshrrev_b32_e32 v3, 5, v23
	v_lshlrev_b32_e32 v75, 2, v25
	v_add_nc_u32_e32 v32, v1, v42
	v_lshrrev_b32_e32 v1, 2, v42
	v_add_nc_u32_e32 v30, v2, v42
	v_add_nc_u32_e32 v29, v3, v42
	ds_store_b32 v75, v4 offset:3072
	v_mov_b32_e32 v3, v38
	v_add_nc_u32_e32 v31, v1, v18
	v_dual_mov_b32 v1, v38 :: v_dual_lshlrev_b32 v76, 2, v28
	v_dual_mov_b32 v11, v38 :: v_dual_lshlrev_b32 v78, 2, v30
	s_delay_alu instid0(VALU_DEP_3)
	v_lshlrev_b32_e32 v80, 2, v31
	v_dual_mov_b32 v12, v38 :: v_dual_lshlrev_b32 v79, 2, v29
	ds_store_b32 v76, v5 offset:4096
	v_mov_b32_e32 v5, v38
	v_dual_mov_b32 v14, 0 :: v_dual_lshlrev_b32 v77, 2, v32
	ds_store_b32 v77, v6 offset:5120
	ds_store_b32 v78, v7 offset:6144
	;; [unrolled: 1-line block ×3, first 2 shown]
	s_wait_dscnt 0x0
	s_barrier_signal -1
	s_barrier_wait -1
	global_inv scope:SCOPE_SE
	ds_load_2addr_b32 v[49:50], v80 offset1:1
	ds_load_2addr_b32 v[47:48], v80 offset0:2 offset1:3
	ds_load_2addr_b32 v[45:46], v80 offset0:4 offset1:5
	;; [unrolled: 1-line block ×3, first 2 shown]
	s_mov_b32 s11, 0
	s_wait_alu 0xfffe
	s_add_co_i32 s10, s10, s13
	v_dual_mov_b32 v9, v38 :: v_dual_mov_b32 v2, v38
	v_mov_b32_e32 v4, v38
	v_dual_mov_b32 v6, v38 :: v_dual_mov_b32 v7, v38
	v_mov_b32_e32 v8, v38
	s_wait_alu 0xfffe
	s_lshl_b64 s[10:11], s[10:11], 3
	s_wait_loadcnt_dscnt 0x0
	s_wait_alu 0xfffe
	s_add_nc_u64 s[34:35], s[8:9], s[10:11]
	s_barrier_signal -1
	s_barrier_wait -1
	global_inv scope:SCOPE_SE
	s_and_saveexec_b32 s8, s0
	s_cbranch_execnz .LBB121_56
; %bb.21:
	s_wait_alu 0xfffe
	s_or_b32 exec_lo, exec_lo, s8
	s_and_saveexec_b32 s8, s1
	s_cbranch_execnz .LBB121_57
.LBB121_22:
	s_wait_alu 0xfffe
	s_or_b32 exec_lo, exec_lo, s8
	s_and_saveexec_b32 s8, s2
	s_cbranch_execnz .LBB121_58
.LBB121_23:
	s_wait_alu 0xfffe
	s_or_b32 exec_lo, exec_lo, s8
	s_and_saveexec_b32 s8, s3
	s_cbranch_execnz .LBB121_59
.LBB121_24:
	s_wait_alu 0xfffe
	s_or_b32 exec_lo, exec_lo, s8
	s_and_saveexec_b32 s8, s4
	s_cbranch_execnz .LBB121_60
.LBB121_25:
	s_wait_alu 0xfffe
	s_or_b32 exec_lo, exec_lo, s8
	s_and_saveexec_b32 s8, s5
	s_cbranch_execnz .LBB121_61
.LBB121_26:
	s_wait_alu 0xfffe
	s_or_b32 exec_lo, exec_lo, s8
	s_and_saveexec_b32 s8, s6
	s_cbranch_execnz .LBB121_62
.LBB121_27:
	s_wait_alu 0xfffe
	s_or_b32 exec_lo, exec_lo, s8
	s_xor_b32 s8, s12, -1
	s_and_saveexec_b32 s9, s7
	s_cbranch_execz .LBB121_29
.LBB121_28:
	v_mul_lo_u32 v11, s28, v23
	v_mov_b32_e32 v12, 0
	s_delay_alu instid0(VALU_DEP_1) | instskip(NEXT) | instid1(VALU_DEP_1)
	v_lshlrev_b64_e32 v[11:12], 3, v[11:12]
	v_add_co_u32 v11, vcc_lo, s34, v11
	s_wait_alu 0xfffd
	s_delay_alu instid0(VALU_DEP_2)
	v_add_co_ci_u32_e64 v12, null, s35, v12, vcc_lo
	global_load_b64 v[11:12], v[11:12], off
.LBB121_29:
	s_wait_alu 0xfffe
	s_or_b32 exec_lo, exec_lo, s9
	v_lshlrev_b32_e32 v81, 3, v27
	v_lshlrev_b32_e32 v84, 3, v25
	;; [unrolled: 1-line block ×9, first 2 shown]
	s_wait_loadcnt 0x0
	ds_store_b64 v81, v[13:14]
	ds_store_b64 v82, v[38:39] offset:2048
	ds_store_b64 v83, v[9:10] offset:4096
	;; [unrolled: 1-line block ×7, first 2 shown]
	s_wait_dscnt 0x0
	s_barrier_signal -1
	s_barrier_wait -1
	global_inv scope:SCOPE_SE
	ds_load_2addr_b64 v[5:8], v89 offset1:1
	ds_load_2addr_b64 v[1:4], v89 offset0:2 offset1:3
	v_mbcnt_lo_u32_b32 v93, -1, 0
	v_and_b32_e32 v20, 0x1f00, v18
	ds_load_2addr_b64 v[13:16], v89 offset0:4 offset1:5
	ds_load_2addr_b64 v[9:12], v89 offset0:6 offset1:7
	v_and_b32_e32 v19, 0x3e0, v42
	s_and_b32 vcc_lo, exec_lo, s8
	v_bfe_u32 v98, v0, 10, 10
	v_or_b32_e32 v20, v93, v20
	v_bfe_u32 v99, v0, 20, 10
	v_or_b32_e32 v21, v93, v19
	v_lshlrev_b32_e32 v90, 2, v18
	v_and_b32_e32 v96, 15, v93
	v_lshlrev_b32_e32 v91, 2, v20
	v_and_b32_e32 v95, 16, v93
	v_lshlrev_b32_e32 v101, 3, v21
	v_lshlrev_b32_e32 v102, 5, v21
	v_min_u32_e32 v97, 0xe0, v19
	v_lshl_add_u32 v100, v20, 2, v91
	v_cmp_gt_u32_e64 s8, 8, v42
	v_cmp_lt_u32_e64 s9, 31, v42
	v_cmp_eq_u32_e64 s10, 0, v42
	v_lshlrev_b32_e32 v92, 2, v17
	v_mul_i32_i24_e32 v94, 0xffffffe4, v42
	v_and_b32_e32 v0, 7, v93
	s_mov_b32 s24, 0
	s_mov_b32 s11, -1
	s_wait_loadcnt_dscnt 0x0
	s_barrier_signal -1
	s_barrier_wait -1
	global_inv scope:SCOPE_SE
	s_wait_alu 0xfffe
	s_cbranch_vccz .LBB121_63
; %bb.30:
	v_xor_b32_e32 v17, 0x80000000, v49
	v_xor_b32_e32 v18, 0x80000000, v50
	;; [unrolled: 1-line block ×8, first 2 shown]
	ds_store_b128 v102, v[17:20]
	ds_store_b128 v102, v[21:24] offset:16
	v_dual_mov_b32 v106, 0 :: v_dual_lshlrev_b32 v17, 3, v101
	; wave barrier
	ds_load_2addr_b32 v[65:66], v91 offset1:32
	ds_load_2addr_b32 v[67:68], v91 offset0:64 offset1:96
	ds_load_2addr_b32 v[69:70], v91 offset0:128 offset1:160
	;; [unrolled: 1-line block ×3, first 2 shown]
	s_wait_loadcnt_dscnt 0x0
	s_barrier_signal -1
	s_barrier_wait -1
	global_inv scope:SCOPE_SE
	ds_store_b128 v17, v[5:8]
	ds_store_b128 v17, v[1:4] offset:16
	ds_store_b128 v17, v[13:16] offset:32
	;; [unrolled: 1-line block ×3, first 2 shown]
	; wave barrier
	ds_load_2addr_b64 v[21:24], v100 offset1:32
	ds_load_2addr_b64 v[25:28], v100 offset0:64 offset1:96
	ds_load_2addr_b64 v[29:32], v100 offset0:128 offset1:160
	;; [unrolled: 1-line block ×3, first 2 shown]
	s_wait_loadcnt_dscnt 0x0
	s_barrier_signal -1
	s_barrier_wait -1
	global_inv scope:SCOPE_SE
	s_load_b32 s11, s[36:37], 0xc
	s_getpc_b64 s[12:13]
	s_sext_i32_i16 s13, s13
	s_add_co_u32 s12, s12, _ZN7rocprim17ROCPRIM_400000_NS16block_radix_sortIiLj256ELj8ElLj1ELj1ELj0ELNS0_26block_radix_rank_algorithmE1ELNS0_18block_padding_hintE2ELNS0_4arch9wavefront6targetE0EE19radix_bits_per_passE@rel32@lo+8
	s_add_co_ci_u32 s13, s13, _ZN7rocprim17ROCPRIM_400000_NS16block_radix_sortIiLj256ELj8ElLj1ELj1ELj0ELNS0_26block_radix_rank_algorithmE1ELNS0_18block_padding_hintE2ELNS0_4arch9wavefront6targetE0EE19radix_bits_per_passE@rel32@hi+16
	s_mov_b32 s25, s24
	s_load_b32 s23, s[12:13], 0x0
	s_mov_b32 s26, s24
	s_mov_b32 s27, s24
	v_cmp_lt_u32_e64 s13, 1, v96
	v_cmp_lt_u32_e64 s15, 7, v96
	v_cmp_eq_u32_e64 s16, 0, v95
	v_cmp_eq_u32_e64 s18, 0, v0
	v_cmp_lt_u32_e64 s19, 1, v0
	v_add_nc_u32_e32 v104, -4, v92
	v_cmp_lt_u32_e64 s20, 3, v0
	v_add_nc_u32_e32 v107, v90, v94
	v_add_nc_u32_e32 v108, v91, v91
	s_wait_kmcnt 0x0
	s_lshr_b32 s14, s11, 16
	s_and_b32 s12, s11, 0xffff
	v_mad_u32_u24 v17, v99, s14, v98
	v_sub_co_u32 v19, s11, v93, 1
	v_cmp_lt_u32_e64 s14, 3, v96
	s_delay_alu instid0(VALU_DEP_3) | instskip(NEXT) | instid1(VALU_DEP_3)
	v_mad_co_u64_u32 v[17:18], null, v17, s12, v[42:43]
	v_cmp_gt_i32_e32 vcc_lo, 0, v19
	v_or_b32_e32 v18, 31, v97
	v_cmp_eq_u32_e64 s12, 0, v96
	s_wait_alu 0xfffd
	v_cndmask_b32_e32 v19, v19, v93, vcc_lo
	v_lshrrev_b32_e32 v17, 3, v17
	v_cmp_eq_u32_e64 s17, v42, v18
	s_delay_alu instid0(VALU_DEP_3) | instskip(NEXT) | instid1(VALU_DEP_3)
	v_lshlrev_b32_e32 v103, 2, v19
	v_and_b32_e32 v105, 0x1ffffffc, v17
	v_dual_mov_b32 v17, s24 :: v_dual_mov_b32 v18, s25
	v_dual_mov_b32 v19, s26 :: v_dual_mov_b32 v20, s27
	s_mov_b32 s24, 32
	s_branch .LBB121_32
.LBB121_31:                             ;   in Loop: Header=BB121_32 Depth=1
	s_wait_alu 0xfffe
	s_and_not1_b32 vcc_lo, exec_lo, s25
	s_mov_b32 s24, s21
	s_wait_alu 0xfffe
	s_cbranch_vccz .LBB121_64
.LBB121_32:                             ; =>This Inner Loop Header: Depth=1
	v_dual_mov_b32 v109, v65 :: v_dual_mov_b32 v110, v72
	s_wait_alu 0xfffe
	s_min_u32 s21, s23, s24
	v_mov_b32_e32 v60, v26
	s_wait_alu 0xfffe
	s_lshl_b32 s21, -1, s21
	v_lshrrev_b32_e32 v38, v106, v109
	s_wait_alu 0xfffe
	s_not_b32 s25, s21
	v_mov_b32_e32 v62, v24
	v_mov_b32_e32 v64, v22
	ds_store_b128 v90, v[17:20] offset:32
	ds_store_b128 v90, v[17:20] offset:48
	s_wait_alu 0xfffe
	v_dual_mov_b32 v112, v70 :: v_dual_and_b32 v65, s25, v38
	v_mov_b32_e32 v111, v71
	s_wait_loadcnt_dscnt 0x0
	s_barrier_signal -1
	s_delay_alu instid0(VALU_DEP_2) | instskip(SKIP_2) | instid1(VALU_DEP_3)
	v_and_b32_e32 v38, 1, v65
	v_dual_mov_b32 v114, v68 :: v_dual_lshlrev_b32 v39, 30, v65
	v_dual_mov_b32 v116, v66 :: v_dual_lshlrev_b32 v51, 29, v65
	v_add_co_u32 v38, s21, v38, -1
	s_wait_alu 0xf1ff
	v_cndmask_b32_e64 v53, 0, 1, s21
	v_not_b32_e32 v57, v39
	v_dual_mov_b32 v113, v69 :: v_dual_lshlrev_b32 v52, 28, v65
	v_cmp_gt_i32_e64 s21, 0, v39
	s_delay_alu instid0(VALU_DEP_4)
	v_cmp_ne_u32_e32 vcc_lo, 0, v53
	v_not_b32_e32 v39, v51
	v_ashrrev_i32_e32 v57, 31, v57
	v_dual_mov_b32 v115, v67 :: v_dual_lshlrev_b32 v54, 27, v65
	s_wait_alu 0xfffd
	v_xor_b32_e32 v38, vcc_lo, v38
	v_cmp_gt_i32_e32 vcc_lo, 0, v51
	v_not_b32_e32 v51, v52
	v_ashrrev_i32_e32 v39, 31, v39
	s_wait_alu 0xf1ff
	v_xor_b32_e32 v57, s21, v57
	v_and_b32_e32 v38, exec_lo, v38
	v_cmp_gt_i32_e64 s21, 0, v52
	v_not_b32_e32 v52, v54
	v_lshlrev_b32_e32 v55, 26, v65
	v_ashrrev_i32_e32 v51, 31, v51
	s_wait_alu 0xfffd
	v_xor_b32_e32 v39, vcc_lo, v39
	v_and_b32_e32 v38, v38, v57
	v_lshlrev_b32_e32 v56, 25, v65
	v_cmp_gt_i32_e32 vcc_lo, 0, v54
	v_ashrrev_i32_e32 v52, 31, v52
	v_not_b32_e32 v54, v55
	s_wait_alu 0xf1ff
	v_xor_b32_e32 v51, s21, v51
	v_and_b32_e32 v38, v38, v39
	v_cmp_gt_i32_e64 s21, 0, v55
	v_not_b32_e32 v39, v56
	s_wait_alu 0xfffd
	v_xor_b32_e32 v52, vcc_lo, v52
	v_cmp_gt_i32_e32 vcc_lo, 0, v56
	v_dual_mov_b32 v56, v30 :: v_dual_lshlrev_b32 v53, 24, v65
	v_ashrrev_i32_e32 v54, 31, v54
	v_dual_mov_b32 v55, v29 :: v_dual_and_b32 v38, v38, v51
	v_ashrrev_i32_e32 v39, 31, v39
	s_delay_alu instid0(VALU_DEP_4)
	v_not_b32_e32 v51, v53
	s_wait_alu 0xf1ff
	v_xor_b32_e32 v54, s21, v54
	v_cmp_gt_i32_e64 s21, 0, v53
	v_dual_mov_b32 v59, v25 :: v_dual_and_b32 v38, v38, v52
	v_ashrrev_i32_e32 v51, 31, v51
	s_wait_alu 0xfffd
	v_xor_b32_e32 v39, vcc_lo, v39
	s_delay_alu instid0(VALU_DEP_3)
	v_dual_mov_b32 v61, v23 :: v_dual_and_b32 v38, v38, v54
	v_mov_b32_e32 v63, v21
	s_wait_alu 0xf1ff
	v_xor_b32_e32 v57, s21, v51
	v_dual_mov_b32 v52, v34 :: v_dual_lshlrev_b32 v21, 5, v65
	v_and_b32_e32 v58, v38, v39
	v_dual_mov_b32 v54, v32 :: v_dual_mov_b32 v53, v31
	v_dual_mov_b32 v39, v36 :: v_dual_mov_b32 v38, v35
	s_delay_alu instid0(VALU_DEP_3) | instskip(SKIP_2) | instid1(VALU_DEP_3)
	v_dual_mov_b32 v58, v28 :: v_dual_and_b32 v31, v58, v57
	v_mov_b32_e32 v51, v33
	v_dual_mov_b32 v57, v27 :: v_dual_add_nc_u32 v30, v105, v21
	v_mbcnt_lo_u32_b32 v29, v31, 0
	v_cmp_ne_u32_e64 s21, 0, v31
	s_barrier_wait -1
	global_inv scope:SCOPE_SE
	v_cmp_eq_u32_e32 vcc_lo, 0, v29
	; wave barrier
	s_and_b32 s26, s21, vcc_lo
	s_wait_alu 0xfffe
	s_and_saveexec_b32 s21, s26
; %bb.33:                               ;   in Loop: Header=BB121_32 Depth=1
	v_bcnt_u32_b32 v21, v31, 0
	ds_store_b32 v30, v21 offset:32
; %bb.34:                               ;   in Loop: Header=BB121_32 Depth=1
	s_wait_alu 0xfffe
	s_or_b32 exec_lo, exec_lo, s21
	v_lshrrev_b32_e32 v21, v106, v116
	; wave barrier
	s_delay_alu instid0(VALU_DEP_1) | instskip(NEXT) | instid1(VALU_DEP_1)
	v_and_b32_e32 v21, s25, v21
	v_and_b32_e32 v22, 1, v21
	v_lshlrev_b32_e32 v23, 30, v21
	v_lshlrev_b32_e32 v24, 29, v21
	;; [unrolled: 1-line block ×4, first 2 shown]
	v_add_co_u32 v22, s21, v22, -1
	s_wait_alu 0xf1ff
	v_cndmask_b32_e64 v26, 0, 1, s21
	v_not_b32_e32 v32, v23
	v_cmp_gt_i32_e64 s21, 0, v23
	v_not_b32_e32 v23, v24
	v_lshlrev_b32_e32 v28, 26, v21
	v_cmp_ne_u32_e32 vcc_lo, 0, v26
	v_ashrrev_i32_e32 v32, 31, v32
	v_lshlrev_b32_e32 v31, 25, v21
	v_ashrrev_i32_e32 v23, 31, v23
	v_lshlrev_b32_e32 v26, 24, v21
	s_wait_alu 0xfffd
	v_xor_b32_e32 v22, vcc_lo, v22
	v_cmp_gt_i32_e32 vcc_lo, 0, v24
	v_not_b32_e32 v24, v25
	s_wait_alu 0xf1ff
	v_xor_b32_e32 v32, s21, v32
	v_cmp_gt_i32_e64 s21, 0, v25
	v_and_b32_e32 v22, exec_lo, v22
	v_not_b32_e32 v25, v27
	v_ashrrev_i32_e32 v24, 31, v24
	s_wait_alu 0xfffd
	v_xor_b32_e32 v23, vcc_lo, v23
	v_cmp_gt_i32_e32 vcc_lo, 0, v27
	v_and_b32_e32 v22, v22, v32
	v_not_b32_e32 v27, v28
	v_ashrrev_i32_e32 v25, 31, v25
	s_wait_alu 0xf1ff
	v_xor_b32_e32 v24, s21, v24
	v_cmp_gt_i32_e64 s21, 0, v28
	v_and_b32_e32 v22, v22, v23
	v_not_b32_e32 v23, v31
	v_ashrrev_i32_e32 v27, 31, v27
	s_wait_alu 0xfffd
	v_xor_b32_e32 v25, vcc_lo, v25
	v_cmp_gt_i32_e32 vcc_lo, 0, v31
	v_and_b32_e32 v22, v22, v24
	v_not_b32_e32 v24, v26
	v_ashrrev_i32_e32 v23, 31, v23
	s_wait_alu 0xf1ff
	v_xor_b32_e32 v27, s21, v27
	v_lshlrev_b32_e32 v21, 5, v21
	v_and_b32_e32 v22, v22, v25
	v_cmp_gt_i32_e64 s21, 0, v26
	v_ashrrev_i32_e32 v24, 31, v24
	s_wait_alu 0xfffd
	v_xor_b32_e32 v23, vcc_lo, v23
	v_add_nc_u32_e32 v33, v105, v21
	v_and_b32_e32 v22, v22, v27
	s_wait_alu 0xf1ff
	v_xor_b32_e32 v21, s21, v24
	ds_load_b32 v31, v33 offset:32
	v_and_b32_e32 v22, v22, v23
	; wave barrier
	s_delay_alu instid0(VALU_DEP_1) | instskip(NEXT) | instid1(VALU_DEP_1)
	v_and_b32_e32 v21, v22, v21
	v_mbcnt_lo_u32_b32 v32, v21, 0
	v_cmp_ne_u32_e64 s21, 0, v21
	s_delay_alu instid0(VALU_DEP_2)
	v_cmp_eq_u32_e32 vcc_lo, 0, v32
	s_and_b32 s26, s21, vcc_lo
	s_wait_alu 0xfffe
	s_and_saveexec_b32 s21, s26
	s_cbranch_execz .LBB121_36
; %bb.35:                               ;   in Loop: Header=BB121_32 Depth=1
	s_wait_dscnt 0x0
	v_bcnt_u32_b32 v21, v21, v31
	ds_store_b32 v33, v21 offset:32
.LBB121_36:                             ;   in Loop: Header=BB121_32 Depth=1
	s_wait_alu 0xfffe
	s_or_b32 exec_lo, exec_lo, s21
	v_lshrrev_b32_e32 v21, v106, v115
	; wave barrier
	s_delay_alu instid0(VALU_DEP_1) | instskip(NEXT) | instid1(VALU_DEP_1)
	v_and_b32_e32 v21, s25, v21
	v_and_b32_e32 v22, 1, v21
	v_lshlrev_b32_e32 v23, 30, v21
	v_lshlrev_b32_e32 v24, 29, v21
	;; [unrolled: 1-line block ×4, first 2 shown]
	v_add_co_u32 v22, s21, v22, -1
	s_wait_alu 0xf1ff
	v_cndmask_b32_e64 v26, 0, 1, s21
	v_not_b32_e32 v35, v23
	v_cmp_gt_i32_e64 s21, 0, v23
	v_not_b32_e32 v23, v24
	v_lshlrev_b32_e32 v28, 26, v21
	v_cmp_ne_u32_e32 vcc_lo, 0, v26
	v_ashrrev_i32_e32 v35, 31, v35
	v_lshlrev_b32_e32 v34, 25, v21
	v_ashrrev_i32_e32 v23, 31, v23
	v_lshlrev_b32_e32 v26, 24, v21
	s_wait_alu 0xfffd
	v_xor_b32_e32 v22, vcc_lo, v22
	v_cmp_gt_i32_e32 vcc_lo, 0, v24
	v_not_b32_e32 v24, v25
	s_wait_alu 0xf1ff
	v_xor_b32_e32 v35, s21, v35
	v_cmp_gt_i32_e64 s21, 0, v25
	v_and_b32_e32 v22, exec_lo, v22
	v_not_b32_e32 v25, v27
	v_ashrrev_i32_e32 v24, 31, v24
	s_wait_alu 0xfffd
	v_xor_b32_e32 v23, vcc_lo, v23
	v_cmp_gt_i32_e32 vcc_lo, 0, v27
	v_and_b32_e32 v22, v22, v35
	v_not_b32_e32 v27, v28
	v_ashrrev_i32_e32 v25, 31, v25
	s_wait_alu 0xf1ff
	v_xor_b32_e32 v24, s21, v24
	v_cmp_gt_i32_e64 s21, 0, v28
	v_and_b32_e32 v22, v22, v23
	v_not_b32_e32 v23, v34
	v_ashrrev_i32_e32 v27, 31, v27
	s_wait_alu 0xfffd
	v_xor_b32_e32 v25, vcc_lo, v25
	v_cmp_gt_i32_e32 vcc_lo, 0, v34
	v_and_b32_e32 v22, v22, v24
	v_not_b32_e32 v24, v26
	v_ashrrev_i32_e32 v23, 31, v23
	s_wait_alu 0xf1ff
	v_xor_b32_e32 v27, s21, v27
	v_lshlrev_b32_e32 v21, 5, v21
	v_and_b32_e32 v22, v22, v25
	v_cmp_gt_i32_e64 s21, 0, v26
	v_ashrrev_i32_e32 v24, 31, v24
	s_wait_alu 0xfffd
	v_xor_b32_e32 v23, vcc_lo, v23
	v_add_nc_u32_e32 v36, v105, v21
	v_and_b32_e32 v22, v22, v27
	s_wait_alu 0xf1ff
	v_xor_b32_e32 v21, s21, v24
	ds_load_b32 v34, v36 offset:32
	v_and_b32_e32 v22, v22, v23
	; wave barrier
	s_delay_alu instid0(VALU_DEP_1) | instskip(NEXT) | instid1(VALU_DEP_1)
	v_and_b32_e32 v21, v22, v21
	v_mbcnt_lo_u32_b32 v35, v21, 0
	v_cmp_ne_u32_e64 s21, 0, v21
	s_delay_alu instid0(VALU_DEP_2)
	v_cmp_eq_u32_e32 vcc_lo, 0, v35
	s_and_b32 s26, s21, vcc_lo
	s_wait_alu 0xfffe
	s_and_saveexec_b32 s21, s26
	s_cbranch_execz .LBB121_38
; %bb.37:                               ;   in Loop: Header=BB121_32 Depth=1
	s_wait_dscnt 0x0
	v_bcnt_u32_b32 v21, v21, v34
	ds_store_b32 v36, v21 offset:32
.LBB121_38:                             ;   in Loop: Header=BB121_32 Depth=1
	s_wait_alu 0xfffe
	s_or_b32 exec_lo, exec_lo, s21
	v_lshrrev_b32_e32 v21, v106, v114
	; wave barrier
	s_delay_alu instid0(VALU_DEP_1) | instskip(NEXT) | instid1(VALU_DEP_1)
	v_and_b32_e32 v21, s25, v21
	v_and_b32_e32 v22, 1, v21
	v_lshlrev_b32_e32 v23, 30, v21
	v_lshlrev_b32_e32 v24, 29, v21
	;; [unrolled: 1-line block ×4, first 2 shown]
	v_add_co_u32 v22, s21, v22, -1
	s_wait_alu 0xf1ff
	v_cndmask_b32_e64 v26, 0, 1, s21
	v_not_b32_e32 v66, v23
	v_cmp_gt_i32_e64 s21, 0, v23
	v_not_b32_e32 v23, v24
	v_lshlrev_b32_e32 v28, 26, v21
	v_cmp_ne_u32_e32 vcc_lo, 0, v26
	v_ashrrev_i32_e32 v66, 31, v66
	v_lshlrev_b32_e32 v65, 25, v21
	v_ashrrev_i32_e32 v23, 31, v23
	v_lshlrev_b32_e32 v26, 24, v21
	s_wait_alu 0xfffd
	v_xor_b32_e32 v22, vcc_lo, v22
	v_cmp_gt_i32_e32 vcc_lo, 0, v24
	v_not_b32_e32 v24, v25
	s_wait_alu 0xf1ff
	v_xor_b32_e32 v66, s21, v66
	v_cmp_gt_i32_e64 s21, 0, v25
	v_and_b32_e32 v22, exec_lo, v22
	v_not_b32_e32 v25, v27
	v_ashrrev_i32_e32 v24, 31, v24
	s_wait_alu 0xfffd
	v_xor_b32_e32 v23, vcc_lo, v23
	v_cmp_gt_i32_e32 vcc_lo, 0, v27
	v_and_b32_e32 v22, v22, v66
	v_not_b32_e32 v27, v28
	v_ashrrev_i32_e32 v25, 31, v25
	s_wait_alu 0xf1ff
	v_xor_b32_e32 v24, s21, v24
	v_cmp_gt_i32_e64 s21, 0, v28
	v_and_b32_e32 v22, v22, v23
	v_not_b32_e32 v23, v65
	v_ashrrev_i32_e32 v27, 31, v27
	s_wait_alu 0xfffd
	v_xor_b32_e32 v25, vcc_lo, v25
	v_cmp_gt_i32_e32 vcc_lo, 0, v65
	v_and_b32_e32 v22, v22, v24
	v_not_b32_e32 v24, v26
	v_ashrrev_i32_e32 v23, 31, v23
	s_wait_alu 0xf1ff
	v_xor_b32_e32 v27, s21, v27
	v_lshlrev_b32_e32 v21, 5, v21
	v_and_b32_e32 v22, v22, v25
	v_cmp_gt_i32_e64 s21, 0, v26
	v_ashrrev_i32_e32 v24, 31, v24
	s_wait_alu 0xfffd
	v_xor_b32_e32 v23, vcc_lo, v23
	v_add_nc_u32_e32 v67, v105, v21
	v_and_b32_e32 v22, v22, v27
	s_wait_alu 0xf1ff
	v_xor_b32_e32 v21, s21, v24
	ds_load_b32 v65, v67 offset:32
	v_and_b32_e32 v22, v22, v23
	; wave barrier
	s_delay_alu instid0(VALU_DEP_1) | instskip(NEXT) | instid1(VALU_DEP_1)
	v_and_b32_e32 v21, v22, v21
	v_mbcnt_lo_u32_b32 v66, v21, 0
	v_cmp_ne_u32_e64 s21, 0, v21
	s_delay_alu instid0(VALU_DEP_2)
	v_cmp_eq_u32_e32 vcc_lo, 0, v66
	s_and_b32 s26, s21, vcc_lo
	s_wait_alu 0xfffe
	s_and_saveexec_b32 s21, s26
	s_cbranch_execz .LBB121_40
; %bb.39:                               ;   in Loop: Header=BB121_32 Depth=1
	s_wait_dscnt 0x0
	v_bcnt_u32_b32 v21, v21, v65
	ds_store_b32 v67, v21 offset:32
.LBB121_40:                             ;   in Loop: Header=BB121_32 Depth=1
	s_wait_alu 0xfffe
	s_or_b32 exec_lo, exec_lo, s21
	v_lshrrev_b32_e32 v21, v106, v113
	; wave barrier
	s_delay_alu instid0(VALU_DEP_1) | instskip(NEXT) | instid1(VALU_DEP_1)
	v_and_b32_e32 v21, s25, v21
	v_and_b32_e32 v22, 1, v21
	v_lshlrev_b32_e32 v23, 30, v21
	v_lshlrev_b32_e32 v24, 29, v21
	;; [unrolled: 1-line block ×4, first 2 shown]
	v_add_co_u32 v22, s21, v22, -1
	s_wait_alu 0xf1ff
	v_cndmask_b32_e64 v26, 0, 1, s21
	v_not_b32_e32 v69, v23
	v_cmp_gt_i32_e64 s21, 0, v23
	v_not_b32_e32 v23, v24
	v_lshlrev_b32_e32 v28, 26, v21
	v_cmp_ne_u32_e32 vcc_lo, 0, v26
	v_ashrrev_i32_e32 v69, 31, v69
	v_lshlrev_b32_e32 v68, 25, v21
	v_ashrrev_i32_e32 v23, 31, v23
	v_lshlrev_b32_e32 v26, 24, v21
	s_wait_alu 0xfffd
	v_xor_b32_e32 v22, vcc_lo, v22
	v_cmp_gt_i32_e32 vcc_lo, 0, v24
	v_not_b32_e32 v24, v25
	s_wait_alu 0xf1ff
	v_xor_b32_e32 v69, s21, v69
	v_cmp_gt_i32_e64 s21, 0, v25
	v_and_b32_e32 v22, exec_lo, v22
	v_not_b32_e32 v25, v27
	v_ashrrev_i32_e32 v24, 31, v24
	s_wait_alu 0xfffd
	v_xor_b32_e32 v23, vcc_lo, v23
	v_cmp_gt_i32_e32 vcc_lo, 0, v27
	v_and_b32_e32 v22, v22, v69
	v_not_b32_e32 v27, v28
	v_ashrrev_i32_e32 v25, 31, v25
	s_wait_alu 0xf1ff
	v_xor_b32_e32 v24, s21, v24
	v_cmp_gt_i32_e64 s21, 0, v28
	v_and_b32_e32 v22, v22, v23
	v_not_b32_e32 v23, v68
	v_ashrrev_i32_e32 v27, 31, v27
	s_wait_alu 0xfffd
	v_xor_b32_e32 v25, vcc_lo, v25
	v_cmp_gt_i32_e32 vcc_lo, 0, v68
	v_and_b32_e32 v22, v22, v24
	v_not_b32_e32 v24, v26
	v_ashrrev_i32_e32 v23, 31, v23
	s_wait_alu 0xf1ff
	v_xor_b32_e32 v27, s21, v27
	v_lshlrev_b32_e32 v21, 5, v21
	v_and_b32_e32 v22, v22, v25
	v_cmp_gt_i32_e64 s21, 0, v26
	v_ashrrev_i32_e32 v24, 31, v24
	s_wait_alu 0xfffd
	v_xor_b32_e32 v23, vcc_lo, v23
	v_add_nc_u32_e32 v70, v105, v21
	v_and_b32_e32 v22, v22, v27
	s_wait_alu 0xf1ff
	v_xor_b32_e32 v21, s21, v24
	ds_load_b32 v68, v70 offset:32
	v_and_b32_e32 v22, v22, v23
	; wave barrier
	s_delay_alu instid0(VALU_DEP_1) | instskip(NEXT) | instid1(VALU_DEP_1)
	v_and_b32_e32 v21, v22, v21
	v_mbcnt_lo_u32_b32 v69, v21, 0
	v_cmp_ne_u32_e64 s21, 0, v21
	s_delay_alu instid0(VALU_DEP_2)
	v_cmp_eq_u32_e32 vcc_lo, 0, v69
	s_and_b32 s26, s21, vcc_lo
	s_wait_alu 0xfffe
	s_and_saveexec_b32 s21, s26
	s_cbranch_execz .LBB121_42
; %bb.41:                               ;   in Loop: Header=BB121_32 Depth=1
	s_wait_dscnt 0x0
	v_bcnt_u32_b32 v21, v21, v68
	ds_store_b32 v70, v21 offset:32
.LBB121_42:                             ;   in Loop: Header=BB121_32 Depth=1
	s_wait_alu 0xfffe
	s_or_b32 exec_lo, exec_lo, s21
	v_lshrrev_b32_e32 v21, v106, v112
	; wave barrier
	s_delay_alu instid0(VALU_DEP_1) | instskip(NEXT) | instid1(VALU_DEP_1)
	v_and_b32_e32 v21, s25, v21
	v_and_b32_e32 v22, 1, v21
	v_lshlrev_b32_e32 v23, 30, v21
	v_lshlrev_b32_e32 v24, 29, v21
	;; [unrolled: 1-line block ×4, first 2 shown]
	v_add_co_u32 v22, s21, v22, -1
	s_wait_alu 0xf1ff
	v_cndmask_b32_e64 v26, 0, 1, s21
	v_not_b32_e32 v72, v23
	v_cmp_gt_i32_e64 s21, 0, v23
	v_not_b32_e32 v23, v24
	v_lshlrev_b32_e32 v28, 26, v21
	v_cmp_ne_u32_e32 vcc_lo, 0, v26
	v_ashrrev_i32_e32 v72, 31, v72
	v_lshlrev_b32_e32 v71, 25, v21
	v_ashrrev_i32_e32 v23, 31, v23
	v_lshlrev_b32_e32 v26, 24, v21
	s_wait_alu 0xfffd
	v_xor_b32_e32 v22, vcc_lo, v22
	v_cmp_gt_i32_e32 vcc_lo, 0, v24
	v_not_b32_e32 v24, v25
	s_wait_alu 0xf1ff
	v_xor_b32_e32 v72, s21, v72
	v_cmp_gt_i32_e64 s21, 0, v25
	v_and_b32_e32 v22, exec_lo, v22
	v_not_b32_e32 v25, v27
	v_ashrrev_i32_e32 v24, 31, v24
	s_wait_alu 0xfffd
	v_xor_b32_e32 v23, vcc_lo, v23
	v_cmp_gt_i32_e32 vcc_lo, 0, v27
	v_and_b32_e32 v22, v22, v72
	v_not_b32_e32 v27, v28
	v_ashrrev_i32_e32 v25, 31, v25
	s_wait_alu 0xf1ff
	v_xor_b32_e32 v24, s21, v24
	v_cmp_gt_i32_e64 s21, 0, v28
	v_and_b32_e32 v22, v22, v23
	v_not_b32_e32 v23, v71
	v_ashrrev_i32_e32 v27, 31, v27
	s_wait_alu 0xfffd
	v_xor_b32_e32 v25, vcc_lo, v25
	v_cmp_gt_i32_e32 vcc_lo, 0, v71
	v_and_b32_e32 v22, v22, v24
	v_not_b32_e32 v24, v26
	v_ashrrev_i32_e32 v23, 31, v23
	s_wait_alu 0xf1ff
	v_xor_b32_e32 v27, s21, v27
	v_lshlrev_b32_e32 v21, 5, v21
	v_and_b32_e32 v22, v22, v25
	v_cmp_gt_i32_e64 s21, 0, v26
	v_ashrrev_i32_e32 v24, 31, v24
	s_wait_alu 0xfffd
	v_xor_b32_e32 v23, vcc_lo, v23
	v_add_nc_u32_e32 v117, v105, v21
	v_and_b32_e32 v22, v22, v27
	s_wait_alu 0xf1ff
	v_xor_b32_e32 v21, s21, v24
	ds_load_b32 v71, v117 offset:32
	v_and_b32_e32 v22, v22, v23
	; wave barrier
	s_delay_alu instid0(VALU_DEP_1) | instskip(NEXT) | instid1(VALU_DEP_1)
	v_and_b32_e32 v21, v22, v21
	v_mbcnt_lo_u32_b32 v72, v21, 0
	v_cmp_ne_u32_e64 s21, 0, v21
	s_delay_alu instid0(VALU_DEP_2)
	v_cmp_eq_u32_e32 vcc_lo, 0, v72
	s_and_b32 s26, s21, vcc_lo
	s_wait_alu 0xfffe
	s_and_saveexec_b32 s21, s26
	s_cbranch_execz .LBB121_44
; %bb.43:                               ;   in Loop: Header=BB121_32 Depth=1
	s_wait_dscnt 0x0
	v_bcnt_u32_b32 v21, v21, v71
	ds_store_b32 v117, v21 offset:32
.LBB121_44:                             ;   in Loop: Header=BB121_32 Depth=1
	s_wait_alu 0xfffe
	s_or_b32 exec_lo, exec_lo, s21
	v_lshrrev_b32_e32 v21, v106, v111
	; wave barrier
	s_delay_alu instid0(VALU_DEP_1) | instskip(NEXT) | instid1(VALU_DEP_1)
	v_and_b32_e32 v21, s25, v21
	v_and_b32_e32 v22, 1, v21
	v_lshlrev_b32_e32 v23, 30, v21
	v_lshlrev_b32_e32 v24, 29, v21
	;; [unrolled: 1-line block ×4, first 2 shown]
	v_add_co_u32 v22, s21, v22, -1
	s_wait_alu 0xf1ff
	v_cndmask_b32_e64 v26, 0, 1, s21
	v_not_b32_e32 v119, v23
	v_cmp_gt_i32_e64 s21, 0, v23
	v_not_b32_e32 v23, v24
	v_lshlrev_b32_e32 v28, 26, v21
	v_cmp_ne_u32_e32 vcc_lo, 0, v26
	v_ashrrev_i32_e32 v119, 31, v119
	v_lshlrev_b32_e32 v118, 25, v21
	v_ashrrev_i32_e32 v23, 31, v23
	v_lshlrev_b32_e32 v26, 24, v21
	s_wait_alu 0xfffd
	v_xor_b32_e32 v22, vcc_lo, v22
	v_cmp_gt_i32_e32 vcc_lo, 0, v24
	v_not_b32_e32 v24, v25
	s_wait_alu 0xf1ff
	v_xor_b32_e32 v119, s21, v119
	v_cmp_gt_i32_e64 s21, 0, v25
	v_and_b32_e32 v22, exec_lo, v22
	v_not_b32_e32 v25, v27
	v_ashrrev_i32_e32 v24, 31, v24
	s_wait_alu 0xfffd
	v_xor_b32_e32 v23, vcc_lo, v23
	v_cmp_gt_i32_e32 vcc_lo, 0, v27
	v_and_b32_e32 v22, v22, v119
	v_not_b32_e32 v27, v28
	v_ashrrev_i32_e32 v25, 31, v25
	s_wait_alu 0xf1ff
	v_xor_b32_e32 v24, s21, v24
	v_cmp_gt_i32_e64 s21, 0, v28
	v_and_b32_e32 v22, v22, v23
	v_not_b32_e32 v23, v118
	v_ashrrev_i32_e32 v27, 31, v27
	s_wait_alu 0xfffd
	v_xor_b32_e32 v25, vcc_lo, v25
	v_cmp_gt_i32_e32 vcc_lo, 0, v118
	v_and_b32_e32 v22, v22, v24
	v_not_b32_e32 v24, v26
	v_ashrrev_i32_e32 v23, 31, v23
	s_wait_alu 0xf1ff
	v_xor_b32_e32 v27, s21, v27
	v_lshlrev_b32_e32 v21, 5, v21
	v_and_b32_e32 v22, v22, v25
	v_cmp_gt_i32_e64 s21, 0, v26
	v_ashrrev_i32_e32 v24, 31, v24
	s_wait_alu 0xfffd
	v_xor_b32_e32 v23, vcc_lo, v23
	v_add_nc_u32_e32 v120, v105, v21
	v_and_b32_e32 v22, v22, v27
	s_wait_alu 0xf1ff
	v_xor_b32_e32 v21, s21, v24
	ds_load_b32 v118, v120 offset:32
	v_and_b32_e32 v22, v22, v23
	; wave barrier
	s_delay_alu instid0(VALU_DEP_1) | instskip(NEXT) | instid1(VALU_DEP_1)
	v_and_b32_e32 v21, v22, v21
	v_mbcnt_lo_u32_b32 v119, v21, 0
	v_cmp_ne_u32_e64 s21, 0, v21
	s_delay_alu instid0(VALU_DEP_2)
	v_cmp_eq_u32_e32 vcc_lo, 0, v119
	s_and_b32 s26, s21, vcc_lo
	s_wait_alu 0xfffe
	s_and_saveexec_b32 s21, s26
	s_cbranch_execz .LBB121_46
; %bb.45:                               ;   in Loop: Header=BB121_32 Depth=1
	s_wait_dscnt 0x0
	v_bcnt_u32_b32 v21, v21, v118
	ds_store_b32 v120, v21 offset:32
.LBB121_46:                             ;   in Loop: Header=BB121_32 Depth=1
	s_wait_alu 0xfffe
	s_or_b32 exec_lo, exec_lo, s21
	v_lshrrev_b32_e32 v21, v106, v110
	; wave barrier
	s_delay_alu instid0(VALU_DEP_1) | instskip(NEXT) | instid1(VALU_DEP_1)
	v_and_b32_e32 v21, s25, v21
	v_and_b32_e32 v22, 1, v21
	v_lshlrev_b32_e32 v23, 30, v21
	v_lshlrev_b32_e32 v24, 29, v21
	;; [unrolled: 1-line block ×4, first 2 shown]
	v_add_co_u32 v22, s21, v22, -1
	s_wait_alu 0xf1ff
	v_cndmask_b32_e64 v26, 0, 1, s21
	v_not_b32_e32 v122, v23
	v_cmp_gt_i32_e64 s21, 0, v23
	v_not_b32_e32 v23, v24
	v_lshlrev_b32_e32 v28, 26, v21
	v_cmp_ne_u32_e32 vcc_lo, 0, v26
	v_ashrrev_i32_e32 v122, 31, v122
	v_lshlrev_b32_e32 v121, 25, v21
	v_ashrrev_i32_e32 v23, 31, v23
	v_lshlrev_b32_e32 v26, 24, v21
	s_wait_alu 0xfffd
	v_xor_b32_e32 v22, vcc_lo, v22
	v_cmp_gt_i32_e32 vcc_lo, 0, v24
	v_not_b32_e32 v24, v25
	s_wait_alu 0xf1ff
	v_xor_b32_e32 v122, s21, v122
	v_cmp_gt_i32_e64 s21, 0, v25
	v_and_b32_e32 v22, exec_lo, v22
	v_not_b32_e32 v25, v27
	v_ashrrev_i32_e32 v24, 31, v24
	s_wait_alu 0xfffd
	v_xor_b32_e32 v23, vcc_lo, v23
	v_cmp_gt_i32_e32 vcc_lo, 0, v27
	v_and_b32_e32 v22, v22, v122
	v_not_b32_e32 v27, v28
	v_ashrrev_i32_e32 v25, 31, v25
	s_wait_alu 0xf1ff
	v_xor_b32_e32 v24, s21, v24
	v_cmp_gt_i32_e64 s21, 0, v28
	v_and_b32_e32 v22, v22, v23
	v_not_b32_e32 v23, v121
	v_ashrrev_i32_e32 v27, 31, v27
	s_wait_alu 0xfffd
	v_xor_b32_e32 v25, vcc_lo, v25
	v_cmp_gt_i32_e32 vcc_lo, 0, v121
	v_and_b32_e32 v22, v22, v24
	v_not_b32_e32 v24, v26
	v_ashrrev_i32_e32 v23, 31, v23
	s_wait_alu 0xf1ff
	v_xor_b32_e32 v27, s21, v27
	v_lshlrev_b32_e32 v21, 5, v21
	v_and_b32_e32 v22, v22, v25
	v_cmp_gt_i32_e64 s21, 0, v26
	v_ashrrev_i32_e32 v24, 31, v24
	s_wait_alu 0xfffd
	v_xor_b32_e32 v23, vcc_lo, v23
	v_add_nc_u32_e32 v121, v105, v21
	v_and_b32_e32 v22, v22, v27
	s_wait_alu 0xf1ff
	v_xor_b32_e32 v21, s21, v24
	ds_load_b32 v126, v121 offset:32
	v_and_b32_e32 v22, v22, v23
	; wave barrier
	s_delay_alu instid0(VALU_DEP_1) | instskip(NEXT) | instid1(VALU_DEP_1)
	v_and_b32_e32 v21, v22, v21
	v_mbcnt_lo_u32_b32 v127, v21, 0
	v_cmp_ne_u32_e64 s21, 0, v21
	s_delay_alu instid0(VALU_DEP_2)
	v_cmp_eq_u32_e32 vcc_lo, 0, v127
	s_and_b32 s25, s21, vcc_lo
	s_wait_alu 0xfffe
	s_and_saveexec_b32 s21, s25
	s_cbranch_execz .LBB121_48
; %bb.47:                               ;   in Loop: Header=BB121_32 Depth=1
	s_wait_dscnt 0x0
	v_bcnt_u32_b32 v21, v21, v126
	ds_store_b32 v121, v21 offset:32
.LBB121_48:                             ;   in Loop: Header=BB121_32 Depth=1
	s_wait_alu 0xfffe
	s_or_b32 exec_lo, exec_lo, s21
	; wave barrier
	s_wait_loadcnt_dscnt 0x0
	s_barrier_signal -1
	s_barrier_wait -1
	global_inv scope:SCOPE_SE
	ds_load_b128 v[25:28], v90 offset:32
	ds_load_b128 v[21:24], v90 offset:48
	s_wait_dscnt 0x1
	v_add_nc_u32_e32 v122, v26, v25
	s_delay_alu instid0(VALU_DEP_1) | instskip(SKIP_1) | instid1(VALU_DEP_1)
	v_add3_u32 v122, v122, v27, v28
	s_wait_dscnt 0x0
	v_add3_u32 v122, v122, v21, v22
	s_delay_alu instid0(VALU_DEP_1) | instskip(NEXT) | instid1(VALU_DEP_1)
	v_add3_u32 v24, v122, v23, v24
	v_mov_b32_dpp v122, v24 row_shr:1 row_mask:0xf bank_mask:0xf
	s_delay_alu instid0(VALU_DEP_1) | instskip(NEXT) | instid1(VALU_DEP_1)
	v_cndmask_b32_e64 v122, v122, 0, s12
	v_add_nc_u32_e32 v24, v122, v24
	s_delay_alu instid0(VALU_DEP_1) | instskip(NEXT) | instid1(VALU_DEP_1)
	v_mov_b32_dpp v122, v24 row_shr:2 row_mask:0xf bank_mask:0xf
	v_cndmask_b32_e64 v122, 0, v122, s13
	s_delay_alu instid0(VALU_DEP_1) | instskip(NEXT) | instid1(VALU_DEP_1)
	v_add_nc_u32_e32 v24, v24, v122
	v_mov_b32_dpp v122, v24 row_shr:4 row_mask:0xf bank_mask:0xf
	s_delay_alu instid0(VALU_DEP_1) | instskip(NEXT) | instid1(VALU_DEP_1)
	v_cndmask_b32_e64 v122, 0, v122, s14
	v_add_nc_u32_e32 v24, v24, v122
	s_delay_alu instid0(VALU_DEP_1) | instskip(NEXT) | instid1(VALU_DEP_1)
	v_mov_b32_dpp v122, v24 row_shr:8 row_mask:0xf bank_mask:0xf
	v_cndmask_b32_e64 v122, 0, v122, s15
	s_delay_alu instid0(VALU_DEP_1) | instskip(SKIP_3) | instid1(VALU_DEP_1)
	v_add_nc_u32_e32 v24, v24, v122
	ds_swizzle_b32 v122, v24 offset:swizzle(BROADCAST,32,15)
	s_wait_dscnt 0x0
	v_cndmask_b32_e64 v122, v122, 0, s16
	v_add_nc_u32_e32 v24, v24, v122
	s_and_saveexec_b32 s21, s17
; %bb.49:                               ;   in Loop: Header=BB121_32 Depth=1
	ds_store_b32 v92, v24
; %bb.50:                               ;   in Loop: Header=BB121_32 Depth=1
	s_wait_alu 0xfffe
	s_or_b32 exec_lo, exec_lo, s21
	s_wait_loadcnt_dscnt 0x0
	s_barrier_signal -1
	s_barrier_wait -1
	global_inv scope:SCOPE_SE
	s_and_saveexec_b32 s21, s8
	s_cbranch_execz .LBB121_52
; %bb.51:                               ;   in Loop: Header=BB121_32 Depth=1
	ds_load_b32 v122, v107
	s_wait_dscnt 0x0
	v_mov_b32_dpp v123, v122 row_shr:1 row_mask:0xf bank_mask:0xf
	s_delay_alu instid0(VALU_DEP_1) | instskip(NEXT) | instid1(VALU_DEP_1)
	v_cndmask_b32_e64 v123, v123, 0, s18
	v_add_nc_u32_e32 v122, v123, v122
	s_delay_alu instid0(VALU_DEP_1) | instskip(NEXT) | instid1(VALU_DEP_1)
	v_mov_b32_dpp v123, v122 row_shr:2 row_mask:0xf bank_mask:0xf
	v_cndmask_b32_e64 v123, 0, v123, s19
	s_delay_alu instid0(VALU_DEP_1) | instskip(NEXT) | instid1(VALU_DEP_1)
	v_add_nc_u32_e32 v122, v122, v123
	v_mov_b32_dpp v123, v122 row_shr:4 row_mask:0xf bank_mask:0xf
	s_delay_alu instid0(VALU_DEP_1) | instskip(NEXT) | instid1(VALU_DEP_1)
	v_cndmask_b32_e64 v123, 0, v123, s20
	v_add_nc_u32_e32 v122, v122, v123
	ds_store_b32 v107, v122
.LBB121_52:                             ;   in Loop: Header=BB121_32 Depth=1
	s_wait_alu 0xfffe
	s_or_b32 exec_lo, exec_lo, s21
	v_mov_b32_e32 v122, 0
	s_wait_loadcnt_dscnt 0x0
	s_barrier_signal -1
	s_barrier_wait -1
	global_inv scope:SCOPE_SE
	s_and_saveexec_b32 s21, s9
; %bb.53:                               ;   in Loop: Header=BB121_32 Depth=1
	ds_load_b32 v122, v104
; %bb.54:                               ;   in Loop: Header=BB121_32 Depth=1
	s_wait_alu 0xfffe
	s_or_b32 exec_lo, exec_lo, s21
	s_wait_dscnt 0x0
	v_add_nc_u32_e32 v24, v122, v24
	v_cmp_lt_u32_e32 vcc_lo, 23, v106
	v_readfirstlane_b32 s21, v0
	s_mov_b32 s25, -1
	ds_bpermute_b32 v24, v103, v24
	s_and_b32 vcc_lo, exec_lo, vcc_lo
	s_wait_dscnt 0x0
	v_cndmask_b32_e64 v24, v24, v122, s11
	s_delay_alu instid0(VALU_DEP_1) | instskip(NEXT) | instid1(VALU_DEP_1)
	v_cndmask_b32_e64 v24, v24, 0, s10
	v_add_nc_u32_e32 v25, v24, v25
	s_delay_alu instid0(VALU_DEP_1) | instskip(NEXT) | instid1(VALU_DEP_1)
	v_add_nc_u32_e32 v26, v25, v26
	v_add_nc_u32_e32 v27, v26, v27
	s_delay_alu instid0(VALU_DEP_1) | instskip(NEXT) | instid1(VALU_DEP_1)
	v_add_nc_u32_e32 v122, v27, v28
	;; [unrolled: 3-line block ×3, first 2 shown]
	v_add_nc_u32_e32 v125, v124, v23
	ds_store_b128 v90, v[24:27] offset:32
	ds_store_b128 v90, v[122:125] offset:48
	s_wait_loadcnt_dscnt 0x0
	s_barrier_signal -1
	s_barrier_wait -1
	global_inv scope:SCOPE_SE
	ds_load_b32 v21, v30 offset:32
	ds_load_b32 v22, v33 offset:32
	;; [unrolled: 1-line block ×8, first 2 shown]
	s_wait_dscnt 0x7
	v_add_nc_u32_e32 v125, v21, v29
	s_wait_dscnt 0x6
	v_add3_u32 v124, v32, v31, v22
	s_wait_dscnt 0x5
	v_add3_u32 v123, v35, v34, v23
	;; [unrolled: 2-line block ×7, first 2 shown]
                                        ; implicit-def: $vgpr72
                                        ; implicit-def: $vgpr70
                                        ; implicit-def: $vgpr68
                                        ; implicit-def: $vgpr66
                                        ; implicit-def: $vgpr35_vgpr36
                                        ; implicit-def: $vgpr31_vgpr32
                                        ; implicit-def: $vgpr27_vgpr28
                                        ; implicit-def: $vgpr23_vgpr24
	s_wait_alu 0xfffe
	s_cbranch_vccnz .LBB121_31
; %bb.55:                               ;   in Loop: Header=BB121_32 Depth=1
	v_lshlrev_b32_e32 v21, 2, v125
	v_lshlrev_b32_e32 v22, 2, v124
	;; [unrolled: 1-line block ×3, first 2 shown]
	s_wait_loadcnt 0x0
	s_barrier_signal -1
	s_barrier_wait -1
	global_inv scope:SCOPE_SE
	ds_store_b32 v21, v109
	ds_store_b32 v22, v116
	;; [unrolled: 1-line block ×3, first 2 shown]
	v_lshlrev_b32_e32 v24, 2, v122
	v_add_nc_u32_e32 v21, v21, v21
	v_lshlrev_b32_e32 v25, 2, v121
	v_add_nc_u32_e32 v22, v22, v22
	v_lshlrev_b32_e32 v26, 2, v120
	v_add_nc_u32_e32 v23, v23, v23
	v_lshlrev_b32_e32 v27, 2, v118
	v_lshlrev_b32_e32 v28, 2, v117
	ds_store_b32 v24, v114
	ds_store_b32 v25, v113
	;; [unrolled: 1-line block ×5, first 2 shown]
	s_wait_loadcnt_dscnt 0x0
	s_barrier_signal -1
	s_barrier_wait -1
	global_inv scope:SCOPE_SE
	ds_load_2addr_b32 v[65:66], v91 offset1:32
	ds_load_2addr_b32 v[67:68], v91 offset0:64 offset1:96
	ds_load_2addr_b32 v[69:70], v91 offset0:128 offset1:160
	;; [unrolled: 1-line block ×3, first 2 shown]
	s_wait_loadcnt_dscnt 0x0
	s_barrier_signal -1
	s_barrier_wait -1
	global_inv scope:SCOPE_SE
	ds_store_b64 v21, v[63:64]
	ds_store_b64 v22, v[61:62]
	;; [unrolled: 1-line block ×3, first 2 shown]
	v_add_nc_u32_e32 v21, v24, v24
	v_add_nc_u32_e32 v22, v25, v25
	;; [unrolled: 1-line block ×5, first 2 shown]
	ds_store_b64 v21, v[57:58]
	ds_store_b64 v22, v[55:56]
	;; [unrolled: 1-line block ×5, first 2 shown]
	s_wait_loadcnt_dscnt 0x0
	s_barrier_signal -1
	s_barrier_wait -1
	global_inv scope:SCOPE_SE
	ds_load_2addr_b64 v[21:24], v108 offset1:32
	ds_load_2addr_b64 v[25:28], v108 offset0:64 offset1:96
	ds_load_2addr_b64 v[29:32], v108 offset0:128 offset1:160
	;; [unrolled: 1-line block ×3, first 2 shown]
	v_add_nc_u32_e32 v106, 8, v106
	s_add_co_i32 s21, s24, -8
	s_mov_b32 s25, 0
	s_wait_loadcnt_dscnt 0x0
	s_barrier_signal -1
	s_barrier_wait -1
	global_inv scope:SCOPE_SE
	s_branch .LBB121_31
.LBB121_56:
	v_lshlrev_b64_e32 v[1:2], 3, v[37:38]
	v_dual_mov_b32 v39, v38 :: v_dual_mov_b32 v10, v38
	v_mov_b32_e32 v9, v38
	v_dual_mov_b32 v3, v38 :: v_dual_mov_b32 v6, v38
	s_delay_alu instid0(VALU_DEP_4)
	v_add_co_u32 v1, vcc_lo, s34, v1
	s_wait_alu 0xfffd
	v_add_co_ci_u32_e64 v2, null, s35, v2, vcc_lo
	v_dual_mov_b32 v5, v38 :: v_dual_mov_b32 v8, v38
	v_dual_mov_b32 v7, v38 :: v_dual_mov_b32 v12, v38
	global_load_b64 v[13:14], v[1:2], off
	v_dual_mov_b32 v1, v38 :: v_dual_mov_b32 v4, v38
	v_dual_mov_b32 v2, v38 :: v_dual_mov_b32 v11, v38
	s_wait_alu 0xfffe
	s_or_b32 exec_lo, exec_lo, s8
	s_and_saveexec_b32 s8, s1
	s_cbranch_execz .LBB121_22
.LBB121_57:
	v_mul_lo_u32 v33, s28, v15
	v_mov_b32_e32 v34, 0
	s_delay_alu instid0(VALU_DEP_1) | instskip(NEXT) | instid1(VALU_DEP_1)
	v_lshlrev_b64_e32 v[33:34], 3, v[33:34]
	v_add_co_u32 v33, vcc_lo, s34, v33
	s_wait_alu 0xfffd
	s_delay_alu instid0(VALU_DEP_2)
	v_add_co_ci_u32_e64 v34, null, s35, v34, vcc_lo
	global_load_b64 v[38:39], v[33:34], off
	s_wait_alu 0xfffe
	s_or_b32 exec_lo, exec_lo, s8
	s_and_saveexec_b32 s8, s2
	s_cbranch_execz .LBB121_23
.LBB121_58:
	v_mul_lo_u32 v9, s28, v16
	v_mov_b32_e32 v10, 0
	s_delay_alu instid0(VALU_DEP_1) | instskip(NEXT) | instid1(VALU_DEP_1)
	v_lshlrev_b64_e32 v[9:10], 3, v[9:10]
	v_add_co_u32 v9, vcc_lo, s34, v9
	s_wait_alu 0xfffd
	s_delay_alu instid0(VALU_DEP_2)
	v_add_co_ci_u32_e64 v10, null, s35, v10, vcc_lo
	global_load_b64 v[9:10], v[9:10], off
	s_wait_alu 0xfffe
	s_or_b32 exec_lo, exec_lo, s8
	s_and_saveexec_b32 s8, s3
	s_cbranch_execz .LBB121_24
.LBB121_59:
	v_mul_lo_u32 v1, s28, v19
	v_mov_b32_e32 v2, 0
	s_delay_alu instid0(VALU_DEP_1) | instskip(NEXT) | instid1(VALU_DEP_1)
	v_lshlrev_b64_e32 v[1:2], 3, v[1:2]
	v_add_co_u32 v1, vcc_lo, s34, v1
	s_wait_alu 0xfffd
	s_delay_alu instid0(VALU_DEP_2)
	v_add_co_ci_u32_e64 v2, null, s35, v2, vcc_lo
	global_load_b64 v[1:2], v[1:2], off
	s_wait_alu 0xfffe
	s_or_b32 exec_lo, exec_lo, s8
	s_and_saveexec_b32 s8, s4
	s_cbranch_execz .LBB121_25
.LBB121_60:
	v_mul_lo_u32 v3, s28, v20
	v_mov_b32_e32 v4, 0
	s_delay_alu instid0(VALU_DEP_1) | instskip(NEXT) | instid1(VALU_DEP_1)
	v_lshlrev_b64_e32 v[3:4], 3, v[3:4]
	v_add_co_u32 v3, vcc_lo, s34, v3
	s_wait_alu 0xfffd
	s_delay_alu instid0(VALU_DEP_2)
	v_add_co_ci_u32_e64 v4, null, s35, v4, vcc_lo
	global_load_b64 v[3:4], v[3:4], off
	s_wait_alu 0xfffe
	s_or_b32 exec_lo, exec_lo, s8
	s_and_saveexec_b32 s8, s5
	s_cbranch_execz .LBB121_26
.LBB121_61:
	v_mul_lo_u32 v5, s28, v21
	v_mov_b32_e32 v6, 0
	s_delay_alu instid0(VALU_DEP_1) | instskip(NEXT) | instid1(VALU_DEP_1)
	v_lshlrev_b64_e32 v[5:6], 3, v[5:6]
	v_add_co_u32 v5, vcc_lo, s34, v5
	s_wait_alu 0xfffd
	s_delay_alu instid0(VALU_DEP_2)
	v_add_co_ci_u32_e64 v6, null, s35, v6, vcc_lo
	global_load_b64 v[5:6], v[5:6], off
	s_wait_alu 0xfffe
	s_or_b32 exec_lo, exec_lo, s8
	s_and_saveexec_b32 s8, s6
	s_cbranch_execz .LBB121_27
.LBB121_62:
	v_mul_lo_u32 v7, s28, v22
	v_mov_b32_e32 v8, 0
	s_delay_alu instid0(VALU_DEP_1) | instskip(NEXT) | instid1(VALU_DEP_1)
	v_lshlrev_b64_e32 v[7:8], 3, v[7:8]
	v_add_co_u32 v7, vcc_lo, s34, v7
	s_wait_alu 0xfffd
	s_delay_alu instid0(VALU_DEP_2)
	v_add_co_ci_u32_e64 v8, null, s35, v8, vcc_lo
	global_load_b64 v[7:8], v[7:8], off
	s_wait_alu 0xfffe
	s_or_b32 exec_lo, exec_lo, s8
	s_xor_b32 s8, s12, -1
	s_and_saveexec_b32 s9, s7
	s_cbranch_execnz .LBB121_28
	s_branch .LBB121_29
.LBB121_63:
                                        ; implicit-def: $vgpr52
                                        ; implicit-def: $vgpr39
                                        ; implicit-def: $vgpr51
                                        ; implicit-def: $vgpr36
                                        ; implicit-def: $vgpr38
                                        ; implicit-def: $vgpr34
                                        ; implicit-def: $vgpr35
                                        ; implicit-def: $vgpr33
                                        ; implicit-def: $vgpr19_vgpr20
                                        ; implicit-def: $vgpr23_vgpr24
                                        ; implicit-def: $vgpr27_vgpr28
                                        ; implicit-def: $vgpr31_vgpr32
	s_and_b32 vcc_lo, exec_lo, s11
	s_wait_alu 0xfffe
	s_cbranch_vccnz .LBB121_65
	s_branch .LBB121_92
.LBB121_64:
	v_lshlrev_b32_e32 v17, 2, v125
	v_lshlrev_b32_e32 v18, 2, v124
	;; [unrolled: 1-line block ×3, first 2 shown]
	s_wait_loadcnt 0x0
	s_barrier_signal -1
	s_barrier_wait -1
	global_inv scope:SCOPE_SE
	ds_store_b32 v17, v109
	ds_store_b32 v18, v116
	;; [unrolled: 1-line block ×3, first 2 shown]
	v_lshlrev_b32_e32 v20, 2, v122
	v_add_nc_u32_e32 v17, v17, v17
	v_lshlrev_b32_e32 v21, 2, v121
	v_add_nc_u32_e32 v18, v18, v18
	;; [unrolled: 2-line block ×3, first 2 shown]
	v_lshlrev_b32_e32 v23, 2, v118
	v_lshlrev_b32_e32 v24, 2, v117
	ds_store_b32 v20, v114
	ds_store_b32 v21, v113
	;; [unrolled: 1-line block ×5, first 2 shown]
	s_wait_loadcnt_dscnt 0x0
	s_barrier_signal -1
	s_barrier_wait -1
	global_inv scope:SCOPE_SE
	ds_load_b128 v[65:68], v90
	ds_load_b128 v[69:72], v90 offset:16
	s_wait_loadcnt_dscnt 0x0
	s_barrier_signal -1
	s_barrier_wait -1
	global_inv scope:SCOPE_SE
	ds_store_b64 v17, v[63:64]
	ds_store_b64 v18, v[61:62]
	;; [unrolled: 1-line block ×3, first 2 shown]
	v_add_nc_u32_e32 v17, v20, v20
	v_add_nc_u32_e32 v18, v21, v21
	;; [unrolled: 1-line block ×5, first 2 shown]
	ds_store_b64 v17, v[57:58]
	ds_store_b64 v18, v[55:56]
	;; [unrolled: 1-line block ×5, first 2 shown]
	v_lshl_add_u32 v17, v42, 5, v90
	s_wait_loadcnt_dscnt 0x0
	s_barrier_signal -1
	s_barrier_wait -1
	global_inv scope:SCOPE_SE
	ds_load_b128 v[29:32], v17
	ds_load_b128 v[25:28], v17 offset:16
	ds_load_b128 v[21:24], v17 offset:32
	;; [unrolled: 1-line block ×3, first 2 shown]
	v_xor_b32_e32 v33, 0x80000000, v65
	v_xor_b32_e32 v35, 0x80000000, v66
	;; [unrolled: 1-line block ×8, first 2 shown]
	s_branch .LBB121_92
.LBB121_65:
	s_wait_dscnt 0x0
	v_xor_b32_e32 v17, 0x7fffffff, v49
	v_xor_b32_e32 v18, 0x7fffffff, v50
	;; [unrolled: 1-line block ×8, first 2 shown]
	ds_store_b128 v102, v[17:20]
	ds_store_b128 v102, v[21:24] offset:16
	v_lshl_add_u32 v17, v101, 2, v102
	; wave barrier
	ds_load_2addr_b32 v[38:39], v91 offset1:32
	ds_load_2addr_b32 v[43:44], v91 offset0:64 offset1:96
	ds_load_2addr_b32 v[45:46], v91 offset0:128 offset1:160
	ds_load_2addr_b32 v[47:48], v91 offset0:192 offset1:224
	s_wait_loadcnt_dscnt 0x0
	s_barrier_signal -1
	s_barrier_wait -1
	global_inv scope:SCOPE_SE
	ds_store_b128 v17, v[5:8]
	ds_store_b128 v17, v[1:4] offset:16
	ds_store_b128 v17, v[13:16] offset:32
	;; [unrolled: 1-line block ×3, first 2 shown]
	; wave barrier
	ds_load_2addr_b64 v[4:7], v100 offset1:32
	ds_load_2addr_b64 v[8:11], v100 offset0:64 offset1:96
	ds_load_2addr_b64 v[12:15], v100 offset0:128 offset1:160
	;; [unrolled: 1-line block ×3, first 2 shown]
	s_wait_loadcnt_dscnt 0x0
	s_barrier_signal -1
	s_barrier_wait -1
	global_inv scope:SCOPE_SE
	s_load_b32 s10, s[36:37], 0xc
	s_getpc_b64 s[8:9]
	s_wait_alu 0xfffe
	s_sext_i32_i16 s9, s9
	s_add_co_u32 s8, s8, _ZN7rocprim17ROCPRIM_400000_NS16block_radix_sortIiLj256ELj8ElLj1ELj1ELj0ELNS0_26block_radix_rank_algorithmE1ELNS0_18block_padding_hintE2ELNS0_4arch9wavefront6targetE0EE19radix_bits_per_passE@rel32@lo+12
	s_wait_alu 0xfffe
	s_add_co_ci_u32 s9, s9, _ZN7rocprim17ROCPRIM_400000_NS16block_radix_sortIiLj256ELj8ElLj1ELj1ELj0ELNS0_26block_radix_rank_algorithmE1ELNS0_18block_padding_hintE2ELNS0_4arch9wavefront6targetE0EE19radix_bits_per_passE@rel32@hi+24
	v_or_b32_e32 v3, 31, v97
	s_load_b32 s23, s[8:9], 0x0
	s_mov_b32 s24, 0
	v_cmp_eq_u32_e64 s18, 0, v0
	s_mov_b32 s25, s24
	s_mov_b32 s26, s24
	;; [unrolled: 1-line block ×3, first 2 shown]
	v_cmp_eq_u32_e64 s14, v42, v3
	v_cmp_lt_u32_e64 s19, 1, v0
	v_cmp_lt_u32_e64 s20, 3, v0
	;; [unrolled: 1-line block ×3, first 2 shown]
	v_cmp_eq_u32_e64 s13, 0, v95
	v_cmp_gt_u32_e64 s15, 8, v42
	v_cmp_lt_u32_e64 s16, 31, v42
	v_cmp_eq_u32_e64 s17, 0, v42
	v_add_nc_u32_e32 v52, v90, v94
	v_add_nc_u32_e32 v49, -4, v92
	v_mov_b32_e32 v51, 0
	s_wait_kmcnt 0x0
	s_lshr_b32 s11, s10, 16
	s_and_b32 s8, s10, 0xffff
	s_wait_alu 0xfffe
	v_mad_u32_u24 v1, v99, s11, v98
	v_cmp_lt_u32_e64 s10, 1, v96
	v_cmp_lt_u32_e64 s11, 3, v96
	v_add_nc_u32_e32 v53, v91, v91
	s_delay_alu instid0(VALU_DEP_4) | instskip(SKIP_2) | instid1(VALU_DEP_2)
	v_mad_co_u64_u32 v[1:2], null, v1, s8, v[42:43]
	v_sub_co_u32 v2, s9, v93, 1
	v_cmp_eq_u32_e64 s8, 0, v96
	v_cmp_gt_i32_e32 vcc_lo, 0, v2
	s_delay_alu instid0(VALU_DEP_4) | instskip(SKIP_2) | instid1(VALU_DEP_2)
	v_lshrrev_b32_e32 v1, 3, v1
	s_wait_alu 0xfffd
	v_cndmask_b32_e32 v2, v2, v93, vcc_lo
	v_and_b32_e32 v50, 0x1ffffffc, v1
	s_delay_alu instid0(VALU_DEP_2)
	v_lshlrev_b32_e32 v36, 2, v2
	v_dual_mov_b32 v0, s24 :: v_dual_mov_b32 v3, s27
	v_dual_mov_b32 v1, s25 :: v_dual_mov_b32 v2, s26
	s_mov_b32 s24, 32
	s_branch .LBB121_67
.LBB121_66:                             ;   in Loop: Header=BB121_67 Depth=1
	s_wait_alu 0xfffe
	s_and_not1_b32 vcc_lo, exec_lo, s25
	s_mov_b32 s24, s21
	s_wait_alu 0xfffe
	s_cbranch_vccz .LBB121_91
.LBB121_67:                             ; =>This Inner Loop Header: Depth=1
	v_dual_mov_b32 v54, v38 :: v_dual_mov_b32 v55, v48
	s_wait_alu 0xfffe
	s_min_u32 s21, s23, s24
	ds_store_b128 v90, v[0:3] offset:32
	ds_store_b128 v90, v[0:3] offset:48
	s_wait_alu 0xfffe
	s_lshl_b32 s21, -1, s21
	v_lshrrev_b32_e32 v20, v51, v54
	s_wait_alu 0xfffe
	s_not_b32 s25, s21
	s_wait_loadcnt_dscnt 0x0
	s_barrier_signal -1
	s_barrier_wait -1
	s_wait_alu 0xfffe
	v_dual_mov_b32 v57, v46 :: v_dual_and_b32 v38, s25, v20
	v_mov_b32_e32 v56, v47
	global_inv scope:SCOPE_SE
	v_dual_mov_b32 v59, v44 :: v_dual_and_b32 v20, 1, v38
	v_lshlrev_b32_e32 v21, 30, v38
	v_dual_mov_b32 v61, v39 :: v_dual_lshlrev_b32 v22, 29, v38
	s_delay_alu instid0(VALU_DEP_3)
	v_add_co_u32 v20, s21, v20, -1
	s_wait_alu 0xf1ff
	v_cndmask_b32_e64 v24, 0, 1, s21
	v_not_b32_e32 v28, v21
	v_dual_mov_b32 v58, v45 :: v_dual_lshlrev_b32 v23, 28, v38
	v_cmp_gt_i32_e64 s21, 0, v21
	s_delay_alu instid0(VALU_DEP_4)
	v_cmp_ne_u32_e32 vcc_lo, 0, v24
	v_not_b32_e32 v21, v22
	v_ashrrev_i32_e32 v28, 31, v28
	v_dual_mov_b32 v60, v43 :: v_dual_lshlrev_b32 v25, 27, v38
	s_wait_alu 0xfffd
	v_xor_b32_e32 v20, vcc_lo, v20
	v_cmp_gt_i32_e32 vcc_lo, 0, v22
	v_not_b32_e32 v22, v23
	v_ashrrev_i32_e32 v21, 31, v21
	s_wait_alu 0xf1ff
	v_xor_b32_e32 v28, s21, v28
	v_and_b32_e32 v20, exec_lo, v20
	v_lshlrev_b32_e32 v26, 26, v38
	v_cmp_gt_i32_e64 s21, 0, v23
	v_not_b32_e32 v23, v25
	v_ashrrev_i32_e32 v22, 31, v22
	s_wait_alu 0xfffd
	v_xor_b32_e32 v21, vcc_lo, v21
	v_and_b32_e32 v20, v20, v28
	v_lshlrev_b32_e32 v27, 25, v38
	v_cmp_gt_i32_e32 vcc_lo, 0, v25
	v_not_b32_e32 v25, v26
	v_ashrrev_i32_e32 v23, 31, v23
	s_wait_alu 0xf1ff
	v_xor_b32_e32 v22, s21, v22
	v_and_b32_e32 v20, v20, v21
	v_lshlrev_b32_e32 v24, 24, v38
	v_cmp_gt_i32_e64 s21, 0, v26
	v_not_b32_e32 v21, v27
	v_ashrrev_i32_e32 v25, 31, v25
	s_wait_alu 0xfffd
	v_xor_b32_e32 v23, vcc_lo, v23
	v_dual_mov_b32 v31, v9 :: v_dual_and_b32 v20, v20, v22
	v_cmp_gt_i32_e32 vcc_lo, 0, v27
	v_not_b32_e32 v22, v24
	v_ashrrev_i32_e32 v21, 31, v21
	s_wait_alu 0xf1ff
	v_xor_b32_e32 v25, s21, v25
	v_dual_mov_b32 v33, v7 :: v_dual_and_b32 v20, v20, v23
	v_cmp_gt_i32_e64 s21, 0, v24
	v_ashrrev_i32_e32 v22, 31, v22
	s_wait_alu 0xfffd
	v_xor_b32_e32 v21, vcc_lo, v21
	v_dual_mov_b32 v35, v5 :: v_dual_and_b32 v20, v20, v25
	v_mov_b32_e32 v25, v15
	s_wait_alu 0xf1ff
	v_xor_b32_e32 v28, s21, v22
	s_delay_alu instid0(VALU_DEP_3) | instskip(SKIP_3) | instid1(VALU_DEP_4)
	v_dual_mov_b32 v24, v14 :: v_dual_and_b32 v29, v20, v21
	v_dual_mov_b32 v27, v13 :: v_dual_mov_b32 v26, v12
	v_mov_b32_e32 v34, v4
	v_lshlrev_b32_e32 v4, 5, v38
	v_dual_mov_b32 v21, v19 :: v_dual_and_b32 v14, v29, v28
	v_mov_b32_e32 v23, v17
	v_dual_mov_b32 v29, v11 :: v_dual_mov_b32 v20, v18
	s_delay_alu instid0(VALU_DEP_3) | instskip(SKIP_3) | instid1(VALU_DEP_4)
	v_mbcnt_lo_u32_b32 v12, v14, 0
	v_cmp_ne_u32_e64 s21, 0, v14
	v_dual_mov_b32 v22, v16 :: v_dual_add_nc_u32 v13, v50, v4
	v_mov_b32_e32 v28, v10
	v_cmp_eq_u32_e32 vcc_lo, 0, v12
	v_mov_b32_e32 v30, v8
	v_mov_b32_e32 v32, v6
	; wave barrier
	s_and_b32 s26, s21, vcc_lo
	s_wait_alu 0xfffe
	s_and_saveexec_b32 s21, s26
; %bb.68:                               ;   in Loop: Header=BB121_67 Depth=1
	v_bcnt_u32_b32 v4, v14, 0
	ds_store_b32 v13, v4 offset:32
; %bb.69:                               ;   in Loop: Header=BB121_67 Depth=1
	s_wait_alu 0xfffe
	s_or_b32 exec_lo, exec_lo, s21
	v_lshrrev_b32_e32 v4, v51, v61
	; wave barrier
	s_delay_alu instid0(VALU_DEP_1) | instskip(NEXT) | instid1(VALU_DEP_1)
	v_and_b32_e32 v4, s25, v4
	v_and_b32_e32 v5, 1, v4
	v_lshlrev_b32_e32 v6, 30, v4
	v_lshlrev_b32_e32 v7, 29, v4
	;; [unrolled: 1-line block ×4, first 2 shown]
	v_add_co_u32 v5, s21, v5, -1
	s_wait_alu 0xf1ff
	v_cndmask_b32_e64 v9, 0, 1, s21
	v_not_b32_e32 v15, v6
	v_cmp_gt_i32_e64 s21, 0, v6
	v_not_b32_e32 v6, v7
	v_lshlrev_b32_e32 v11, 26, v4
	v_cmp_ne_u32_e32 vcc_lo, 0, v9
	v_ashrrev_i32_e32 v15, 31, v15
	v_lshlrev_b32_e32 v14, 25, v4
	v_ashrrev_i32_e32 v6, 31, v6
	v_lshlrev_b32_e32 v9, 24, v4
	s_wait_alu 0xfffd
	v_xor_b32_e32 v5, vcc_lo, v5
	v_cmp_gt_i32_e32 vcc_lo, 0, v7
	v_not_b32_e32 v7, v8
	s_wait_alu 0xf1ff
	v_xor_b32_e32 v15, s21, v15
	v_cmp_gt_i32_e64 s21, 0, v8
	v_and_b32_e32 v5, exec_lo, v5
	v_not_b32_e32 v8, v10
	v_ashrrev_i32_e32 v7, 31, v7
	s_wait_alu 0xfffd
	v_xor_b32_e32 v6, vcc_lo, v6
	v_cmp_gt_i32_e32 vcc_lo, 0, v10
	v_and_b32_e32 v5, v5, v15
	v_not_b32_e32 v10, v11
	v_ashrrev_i32_e32 v8, 31, v8
	s_wait_alu 0xf1ff
	v_xor_b32_e32 v7, s21, v7
	v_cmp_gt_i32_e64 s21, 0, v11
	v_and_b32_e32 v5, v5, v6
	v_not_b32_e32 v6, v14
	v_ashrrev_i32_e32 v10, 31, v10
	s_wait_alu 0xfffd
	v_xor_b32_e32 v8, vcc_lo, v8
	v_cmp_gt_i32_e32 vcc_lo, 0, v14
	v_and_b32_e32 v5, v5, v7
	v_not_b32_e32 v7, v9
	v_ashrrev_i32_e32 v6, 31, v6
	s_wait_alu 0xf1ff
	v_xor_b32_e32 v10, s21, v10
	v_lshlrev_b32_e32 v4, 5, v4
	v_and_b32_e32 v5, v5, v8
	v_cmp_gt_i32_e64 s21, 0, v9
	v_ashrrev_i32_e32 v7, 31, v7
	s_wait_alu 0xfffd
	v_xor_b32_e32 v6, vcc_lo, v6
	v_add_nc_u32_e32 v16, v50, v4
	v_and_b32_e32 v5, v5, v10
	s_wait_alu 0xf1ff
	v_xor_b32_e32 v4, s21, v7
	ds_load_b32 v14, v16 offset:32
	v_and_b32_e32 v5, v5, v6
	; wave barrier
	s_delay_alu instid0(VALU_DEP_1) | instskip(NEXT) | instid1(VALU_DEP_1)
	v_and_b32_e32 v4, v5, v4
	v_mbcnt_lo_u32_b32 v15, v4, 0
	v_cmp_ne_u32_e64 s21, 0, v4
	s_delay_alu instid0(VALU_DEP_2)
	v_cmp_eq_u32_e32 vcc_lo, 0, v15
	s_and_b32 s26, s21, vcc_lo
	s_wait_alu 0xfffe
	s_and_saveexec_b32 s21, s26
	s_cbranch_execz .LBB121_71
; %bb.70:                               ;   in Loop: Header=BB121_67 Depth=1
	s_wait_dscnt 0x0
	v_bcnt_u32_b32 v4, v4, v14
	ds_store_b32 v16, v4 offset:32
.LBB121_71:                             ;   in Loop: Header=BB121_67 Depth=1
	s_wait_alu 0xfffe
	s_or_b32 exec_lo, exec_lo, s21
	v_lshrrev_b32_e32 v4, v51, v60
	; wave barrier
	s_delay_alu instid0(VALU_DEP_1) | instskip(NEXT) | instid1(VALU_DEP_1)
	v_and_b32_e32 v4, s25, v4
	v_and_b32_e32 v5, 1, v4
	v_lshlrev_b32_e32 v6, 30, v4
	v_lshlrev_b32_e32 v7, 29, v4
	;; [unrolled: 1-line block ×4, first 2 shown]
	v_add_co_u32 v5, s21, v5, -1
	s_wait_alu 0xf1ff
	v_cndmask_b32_e64 v9, 0, 1, s21
	v_not_b32_e32 v18, v6
	v_cmp_gt_i32_e64 s21, 0, v6
	v_not_b32_e32 v6, v7
	v_lshlrev_b32_e32 v11, 26, v4
	v_cmp_ne_u32_e32 vcc_lo, 0, v9
	v_ashrrev_i32_e32 v18, 31, v18
	v_lshlrev_b32_e32 v17, 25, v4
	v_ashrrev_i32_e32 v6, 31, v6
	v_lshlrev_b32_e32 v9, 24, v4
	s_wait_alu 0xfffd
	v_xor_b32_e32 v5, vcc_lo, v5
	v_cmp_gt_i32_e32 vcc_lo, 0, v7
	v_not_b32_e32 v7, v8
	s_wait_alu 0xf1ff
	v_xor_b32_e32 v18, s21, v18
	v_cmp_gt_i32_e64 s21, 0, v8
	v_and_b32_e32 v5, exec_lo, v5
	v_not_b32_e32 v8, v10
	v_ashrrev_i32_e32 v7, 31, v7
	s_wait_alu 0xfffd
	v_xor_b32_e32 v6, vcc_lo, v6
	v_cmp_gt_i32_e32 vcc_lo, 0, v10
	v_and_b32_e32 v5, v5, v18
	v_not_b32_e32 v10, v11
	v_ashrrev_i32_e32 v8, 31, v8
	s_wait_alu 0xf1ff
	v_xor_b32_e32 v7, s21, v7
	v_cmp_gt_i32_e64 s21, 0, v11
	v_and_b32_e32 v5, v5, v6
	v_not_b32_e32 v6, v17
	v_ashrrev_i32_e32 v10, 31, v10
	s_wait_alu 0xfffd
	v_xor_b32_e32 v8, vcc_lo, v8
	v_cmp_gt_i32_e32 vcc_lo, 0, v17
	v_and_b32_e32 v5, v5, v7
	v_not_b32_e32 v7, v9
	v_ashrrev_i32_e32 v6, 31, v6
	s_wait_alu 0xf1ff
	v_xor_b32_e32 v10, s21, v10
	v_lshlrev_b32_e32 v4, 5, v4
	v_and_b32_e32 v5, v5, v8
	v_cmp_gt_i32_e64 s21, 0, v9
	v_ashrrev_i32_e32 v7, 31, v7
	s_wait_alu 0xfffd
	v_xor_b32_e32 v6, vcc_lo, v6
	v_add_nc_u32_e32 v19, v50, v4
	v_and_b32_e32 v5, v5, v10
	s_wait_alu 0xf1ff
	v_xor_b32_e32 v4, s21, v7
	ds_load_b32 v17, v19 offset:32
	v_and_b32_e32 v5, v5, v6
	; wave barrier
	s_delay_alu instid0(VALU_DEP_1) | instskip(NEXT) | instid1(VALU_DEP_1)
	v_and_b32_e32 v4, v5, v4
	v_mbcnt_lo_u32_b32 v18, v4, 0
	v_cmp_ne_u32_e64 s21, 0, v4
	s_delay_alu instid0(VALU_DEP_2)
	v_cmp_eq_u32_e32 vcc_lo, 0, v18
	s_and_b32 s26, s21, vcc_lo
	s_wait_alu 0xfffe
	s_and_saveexec_b32 s21, s26
	s_cbranch_execz .LBB121_73
; %bb.72:                               ;   in Loop: Header=BB121_67 Depth=1
	s_wait_dscnt 0x0
	v_bcnt_u32_b32 v4, v4, v17
	ds_store_b32 v19, v4 offset:32
.LBB121_73:                             ;   in Loop: Header=BB121_67 Depth=1
	s_wait_alu 0xfffe
	s_or_b32 exec_lo, exec_lo, s21
	v_lshrrev_b32_e32 v4, v51, v59
	; wave barrier
	s_delay_alu instid0(VALU_DEP_1) | instskip(NEXT) | instid1(VALU_DEP_1)
	v_and_b32_e32 v4, s25, v4
	v_and_b32_e32 v5, 1, v4
	v_lshlrev_b32_e32 v6, 30, v4
	v_lshlrev_b32_e32 v7, 29, v4
	;; [unrolled: 1-line block ×4, first 2 shown]
	v_add_co_u32 v5, s21, v5, -1
	s_wait_alu 0xf1ff
	v_cndmask_b32_e64 v9, 0, 1, s21
	v_not_b32_e32 v39, v6
	v_cmp_gt_i32_e64 s21, 0, v6
	v_not_b32_e32 v6, v7
	v_lshlrev_b32_e32 v11, 26, v4
	v_cmp_ne_u32_e32 vcc_lo, 0, v9
	v_ashrrev_i32_e32 v39, 31, v39
	v_lshlrev_b32_e32 v38, 25, v4
	v_ashrrev_i32_e32 v6, 31, v6
	v_lshlrev_b32_e32 v9, 24, v4
	s_wait_alu 0xfffd
	v_xor_b32_e32 v5, vcc_lo, v5
	v_cmp_gt_i32_e32 vcc_lo, 0, v7
	v_not_b32_e32 v7, v8
	s_wait_alu 0xf1ff
	v_xor_b32_e32 v39, s21, v39
	v_cmp_gt_i32_e64 s21, 0, v8
	v_and_b32_e32 v5, exec_lo, v5
	v_not_b32_e32 v8, v10
	v_ashrrev_i32_e32 v7, 31, v7
	s_wait_alu 0xfffd
	v_xor_b32_e32 v6, vcc_lo, v6
	v_cmp_gt_i32_e32 vcc_lo, 0, v10
	v_and_b32_e32 v5, v5, v39
	v_not_b32_e32 v10, v11
	v_ashrrev_i32_e32 v8, 31, v8
	s_wait_alu 0xf1ff
	v_xor_b32_e32 v7, s21, v7
	v_cmp_gt_i32_e64 s21, 0, v11
	v_and_b32_e32 v5, v5, v6
	v_not_b32_e32 v6, v38
	v_ashrrev_i32_e32 v10, 31, v10
	s_wait_alu 0xfffd
	v_xor_b32_e32 v8, vcc_lo, v8
	v_cmp_gt_i32_e32 vcc_lo, 0, v38
	v_and_b32_e32 v5, v5, v7
	v_not_b32_e32 v7, v9
	v_ashrrev_i32_e32 v6, 31, v6
	s_wait_alu 0xf1ff
	v_xor_b32_e32 v10, s21, v10
	v_lshlrev_b32_e32 v4, 5, v4
	v_and_b32_e32 v5, v5, v8
	v_cmp_gt_i32_e64 s21, 0, v9
	v_ashrrev_i32_e32 v7, 31, v7
	s_wait_alu 0xfffd
	v_xor_b32_e32 v6, vcc_lo, v6
	v_add_nc_u32_e32 v43, v50, v4
	v_and_b32_e32 v5, v5, v10
	s_wait_alu 0xf1ff
	v_xor_b32_e32 v4, s21, v7
	ds_load_b32 v38, v43 offset:32
	v_and_b32_e32 v5, v5, v6
	; wave barrier
	s_delay_alu instid0(VALU_DEP_1) | instskip(NEXT) | instid1(VALU_DEP_1)
	v_and_b32_e32 v4, v5, v4
	v_mbcnt_lo_u32_b32 v39, v4, 0
	v_cmp_ne_u32_e64 s21, 0, v4
	s_delay_alu instid0(VALU_DEP_2)
	v_cmp_eq_u32_e32 vcc_lo, 0, v39
	s_and_b32 s26, s21, vcc_lo
	s_wait_alu 0xfffe
	s_and_saveexec_b32 s21, s26
	s_cbranch_execz .LBB121_75
; %bb.74:                               ;   in Loop: Header=BB121_67 Depth=1
	s_wait_dscnt 0x0
	v_bcnt_u32_b32 v4, v4, v38
	ds_store_b32 v43, v4 offset:32
.LBB121_75:                             ;   in Loop: Header=BB121_67 Depth=1
	s_wait_alu 0xfffe
	s_or_b32 exec_lo, exec_lo, s21
	v_lshrrev_b32_e32 v4, v51, v58
	; wave barrier
	s_delay_alu instid0(VALU_DEP_1) | instskip(NEXT) | instid1(VALU_DEP_1)
	v_and_b32_e32 v4, s25, v4
	v_and_b32_e32 v5, 1, v4
	v_lshlrev_b32_e32 v6, 30, v4
	v_lshlrev_b32_e32 v7, 29, v4
	;; [unrolled: 1-line block ×4, first 2 shown]
	v_add_co_u32 v5, s21, v5, -1
	s_wait_alu 0xf1ff
	v_cndmask_b32_e64 v9, 0, 1, s21
	v_not_b32_e32 v45, v6
	v_cmp_gt_i32_e64 s21, 0, v6
	v_not_b32_e32 v6, v7
	v_lshlrev_b32_e32 v11, 26, v4
	v_cmp_ne_u32_e32 vcc_lo, 0, v9
	v_ashrrev_i32_e32 v45, 31, v45
	v_lshlrev_b32_e32 v44, 25, v4
	v_ashrrev_i32_e32 v6, 31, v6
	v_lshlrev_b32_e32 v9, 24, v4
	s_wait_alu 0xfffd
	v_xor_b32_e32 v5, vcc_lo, v5
	v_cmp_gt_i32_e32 vcc_lo, 0, v7
	v_not_b32_e32 v7, v8
	s_wait_alu 0xf1ff
	v_xor_b32_e32 v45, s21, v45
	v_cmp_gt_i32_e64 s21, 0, v8
	v_and_b32_e32 v5, exec_lo, v5
	v_not_b32_e32 v8, v10
	v_ashrrev_i32_e32 v7, 31, v7
	s_wait_alu 0xfffd
	v_xor_b32_e32 v6, vcc_lo, v6
	v_cmp_gt_i32_e32 vcc_lo, 0, v10
	v_and_b32_e32 v5, v5, v45
	v_not_b32_e32 v10, v11
	v_ashrrev_i32_e32 v8, 31, v8
	s_wait_alu 0xf1ff
	v_xor_b32_e32 v7, s21, v7
	v_cmp_gt_i32_e64 s21, 0, v11
	v_and_b32_e32 v5, v5, v6
	v_not_b32_e32 v6, v44
	v_ashrrev_i32_e32 v10, 31, v10
	s_wait_alu 0xfffd
	v_xor_b32_e32 v8, vcc_lo, v8
	v_cmp_gt_i32_e32 vcc_lo, 0, v44
	v_and_b32_e32 v5, v5, v7
	v_not_b32_e32 v7, v9
	v_ashrrev_i32_e32 v6, 31, v6
	s_wait_alu 0xf1ff
	v_xor_b32_e32 v10, s21, v10
	v_lshlrev_b32_e32 v4, 5, v4
	v_and_b32_e32 v5, v5, v8
	v_cmp_gt_i32_e64 s21, 0, v9
	v_ashrrev_i32_e32 v7, 31, v7
	s_wait_alu 0xfffd
	v_xor_b32_e32 v6, vcc_lo, v6
	v_add_nc_u32_e32 v46, v50, v4
	v_and_b32_e32 v5, v5, v10
	s_wait_alu 0xf1ff
	v_xor_b32_e32 v4, s21, v7
	ds_load_b32 v44, v46 offset:32
	v_and_b32_e32 v5, v5, v6
	; wave barrier
	s_delay_alu instid0(VALU_DEP_1) | instskip(NEXT) | instid1(VALU_DEP_1)
	v_and_b32_e32 v4, v5, v4
	v_mbcnt_lo_u32_b32 v45, v4, 0
	v_cmp_ne_u32_e64 s21, 0, v4
	s_delay_alu instid0(VALU_DEP_2)
	v_cmp_eq_u32_e32 vcc_lo, 0, v45
	s_and_b32 s26, s21, vcc_lo
	s_wait_alu 0xfffe
	s_and_saveexec_b32 s21, s26
	s_cbranch_execz .LBB121_77
; %bb.76:                               ;   in Loop: Header=BB121_67 Depth=1
	s_wait_dscnt 0x0
	v_bcnt_u32_b32 v4, v4, v44
	ds_store_b32 v46, v4 offset:32
.LBB121_77:                             ;   in Loop: Header=BB121_67 Depth=1
	s_wait_alu 0xfffe
	s_or_b32 exec_lo, exec_lo, s21
	v_lshrrev_b32_e32 v4, v51, v57
	; wave barrier
	s_delay_alu instid0(VALU_DEP_1) | instskip(NEXT) | instid1(VALU_DEP_1)
	v_and_b32_e32 v4, s25, v4
	v_and_b32_e32 v5, 1, v4
	v_lshlrev_b32_e32 v6, 30, v4
	v_lshlrev_b32_e32 v7, 29, v4
	;; [unrolled: 1-line block ×4, first 2 shown]
	v_add_co_u32 v5, s21, v5, -1
	s_wait_alu 0xf1ff
	v_cndmask_b32_e64 v9, 0, 1, s21
	v_not_b32_e32 v48, v6
	v_cmp_gt_i32_e64 s21, 0, v6
	v_not_b32_e32 v6, v7
	v_lshlrev_b32_e32 v11, 26, v4
	v_cmp_ne_u32_e32 vcc_lo, 0, v9
	v_ashrrev_i32_e32 v48, 31, v48
	v_lshlrev_b32_e32 v47, 25, v4
	v_ashrrev_i32_e32 v6, 31, v6
	v_lshlrev_b32_e32 v9, 24, v4
	s_wait_alu 0xfffd
	v_xor_b32_e32 v5, vcc_lo, v5
	v_cmp_gt_i32_e32 vcc_lo, 0, v7
	v_not_b32_e32 v7, v8
	s_wait_alu 0xf1ff
	v_xor_b32_e32 v48, s21, v48
	v_cmp_gt_i32_e64 s21, 0, v8
	v_and_b32_e32 v5, exec_lo, v5
	v_not_b32_e32 v8, v10
	v_ashrrev_i32_e32 v7, 31, v7
	s_wait_alu 0xfffd
	v_xor_b32_e32 v6, vcc_lo, v6
	v_cmp_gt_i32_e32 vcc_lo, 0, v10
	v_and_b32_e32 v5, v5, v48
	v_not_b32_e32 v10, v11
	v_ashrrev_i32_e32 v8, 31, v8
	s_wait_alu 0xf1ff
	v_xor_b32_e32 v7, s21, v7
	v_cmp_gt_i32_e64 s21, 0, v11
	v_and_b32_e32 v5, v5, v6
	v_not_b32_e32 v6, v47
	v_ashrrev_i32_e32 v10, 31, v10
	s_wait_alu 0xfffd
	v_xor_b32_e32 v8, vcc_lo, v8
	v_cmp_gt_i32_e32 vcc_lo, 0, v47
	v_and_b32_e32 v5, v5, v7
	v_not_b32_e32 v7, v9
	v_ashrrev_i32_e32 v6, 31, v6
	s_wait_alu 0xf1ff
	v_xor_b32_e32 v10, s21, v10
	v_lshlrev_b32_e32 v4, 5, v4
	v_and_b32_e32 v5, v5, v8
	v_cmp_gt_i32_e64 s21, 0, v9
	v_ashrrev_i32_e32 v7, 31, v7
	s_wait_alu 0xfffd
	v_xor_b32_e32 v6, vcc_lo, v6
	v_add_nc_u32_e32 v62, v50, v4
	v_and_b32_e32 v5, v5, v10
	s_wait_alu 0xf1ff
	v_xor_b32_e32 v4, s21, v7
	ds_load_b32 v47, v62 offset:32
	v_and_b32_e32 v5, v5, v6
	; wave barrier
	s_delay_alu instid0(VALU_DEP_1) | instskip(NEXT) | instid1(VALU_DEP_1)
	v_and_b32_e32 v4, v5, v4
	v_mbcnt_lo_u32_b32 v48, v4, 0
	v_cmp_ne_u32_e64 s21, 0, v4
	s_delay_alu instid0(VALU_DEP_2)
	v_cmp_eq_u32_e32 vcc_lo, 0, v48
	s_and_b32 s26, s21, vcc_lo
	s_wait_alu 0xfffe
	s_and_saveexec_b32 s21, s26
	s_cbranch_execz .LBB121_79
; %bb.78:                               ;   in Loop: Header=BB121_67 Depth=1
	s_wait_dscnt 0x0
	v_bcnt_u32_b32 v4, v4, v47
	ds_store_b32 v62, v4 offset:32
.LBB121_79:                             ;   in Loop: Header=BB121_67 Depth=1
	s_wait_alu 0xfffe
	s_or_b32 exec_lo, exec_lo, s21
	v_lshrrev_b32_e32 v4, v51, v56
	; wave barrier
	s_delay_alu instid0(VALU_DEP_1) | instskip(NEXT) | instid1(VALU_DEP_1)
	v_and_b32_e32 v4, s25, v4
	v_and_b32_e32 v5, 1, v4
	v_lshlrev_b32_e32 v6, 30, v4
	v_lshlrev_b32_e32 v7, 29, v4
	;; [unrolled: 1-line block ×4, first 2 shown]
	v_add_co_u32 v5, s21, v5, -1
	s_wait_alu 0xf1ff
	v_cndmask_b32_e64 v9, 0, 1, s21
	v_not_b32_e32 v64, v6
	v_cmp_gt_i32_e64 s21, 0, v6
	v_not_b32_e32 v6, v7
	v_lshlrev_b32_e32 v11, 26, v4
	v_cmp_ne_u32_e32 vcc_lo, 0, v9
	v_ashrrev_i32_e32 v64, 31, v64
	v_lshlrev_b32_e32 v63, 25, v4
	v_ashrrev_i32_e32 v6, 31, v6
	v_lshlrev_b32_e32 v9, 24, v4
	s_wait_alu 0xfffd
	v_xor_b32_e32 v5, vcc_lo, v5
	v_cmp_gt_i32_e32 vcc_lo, 0, v7
	v_not_b32_e32 v7, v8
	s_wait_alu 0xf1ff
	v_xor_b32_e32 v64, s21, v64
	v_cmp_gt_i32_e64 s21, 0, v8
	v_and_b32_e32 v5, exec_lo, v5
	v_not_b32_e32 v8, v10
	v_ashrrev_i32_e32 v7, 31, v7
	s_wait_alu 0xfffd
	v_xor_b32_e32 v6, vcc_lo, v6
	v_cmp_gt_i32_e32 vcc_lo, 0, v10
	v_and_b32_e32 v5, v5, v64
	v_not_b32_e32 v10, v11
	v_ashrrev_i32_e32 v8, 31, v8
	s_wait_alu 0xf1ff
	v_xor_b32_e32 v7, s21, v7
	v_cmp_gt_i32_e64 s21, 0, v11
	v_and_b32_e32 v5, v5, v6
	v_not_b32_e32 v6, v63
	v_ashrrev_i32_e32 v10, 31, v10
	s_wait_alu 0xfffd
	v_xor_b32_e32 v8, vcc_lo, v8
	v_cmp_gt_i32_e32 vcc_lo, 0, v63
	v_and_b32_e32 v5, v5, v7
	v_not_b32_e32 v7, v9
	v_ashrrev_i32_e32 v6, 31, v6
	s_wait_alu 0xf1ff
	v_xor_b32_e32 v10, s21, v10
	v_lshlrev_b32_e32 v4, 5, v4
	v_and_b32_e32 v5, v5, v8
	v_cmp_gt_i32_e64 s21, 0, v9
	v_ashrrev_i32_e32 v7, 31, v7
	s_wait_alu 0xfffd
	v_xor_b32_e32 v6, vcc_lo, v6
	v_add_nc_u32_e32 v65, v50, v4
	v_and_b32_e32 v5, v5, v10
	s_wait_alu 0xf1ff
	v_xor_b32_e32 v4, s21, v7
	ds_load_b32 v63, v65 offset:32
	v_and_b32_e32 v5, v5, v6
	; wave barrier
	s_delay_alu instid0(VALU_DEP_1) | instskip(NEXT) | instid1(VALU_DEP_1)
	v_and_b32_e32 v4, v5, v4
	v_mbcnt_lo_u32_b32 v64, v4, 0
	v_cmp_ne_u32_e64 s21, 0, v4
	s_delay_alu instid0(VALU_DEP_2)
	v_cmp_eq_u32_e32 vcc_lo, 0, v64
	s_and_b32 s26, s21, vcc_lo
	s_wait_alu 0xfffe
	s_and_saveexec_b32 s21, s26
	s_cbranch_execz .LBB121_81
; %bb.80:                               ;   in Loop: Header=BB121_67 Depth=1
	s_wait_dscnt 0x0
	v_bcnt_u32_b32 v4, v4, v63
	ds_store_b32 v65, v4 offset:32
.LBB121_81:                             ;   in Loop: Header=BB121_67 Depth=1
	s_wait_alu 0xfffe
	s_or_b32 exec_lo, exec_lo, s21
	v_lshrrev_b32_e32 v4, v51, v55
	; wave barrier
	s_delay_alu instid0(VALU_DEP_1) | instskip(NEXT) | instid1(VALU_DEP_1)
	v_and_b32_e32 v4, s25, v4
	v_and_b32_e32 v5, 1, v4
	v_lshlrev_b32_e32 v6, 30, v4
	v_lshlrev_b32_e32 v7, 29, v4
	;; [unrolled: 1-line block ×4, first 2 shown]
	v_add_co_u32 v5, s21, v5, -1
	s_wait_alu 0xf1ff
	v_cndmask_b32_e64 v9, 0, 1, s21
	v_not_b32_e32 v67, v6
	v_cmp_gt_i32_e64 s21, 0, v6
	v_not_b32_e32 v6, v7
	v_lshlrev_b32_e32 v11, 26, v4
	v_cmp_ne_u32_e32 vcc_lo, 0, v9
	v_ashrrev_i32_e32 v67, 31, v67
	v_lshlrev_b32_e32 v66, 25, v4
	v_ashrrev_i32_e32 v6, 31, v6
	v_lshlrev_b32_e32 v9, 24, v4
	s_wait_alu 0xfffd
	v_xor_b32_e32 v5, vcc_lo, v5
	v_cmp_gt_i32_e32 vcc_lo, 0, v7
	v_not_b32_e32 v7, v8
	s_wait_alu 0xf1ff
	v_xor_b32_e32 v67, s21, v67
	v_cmp_gt_i32_e64 s21, 0, v8
	v_and_b32_e32 v5, exec_lo, v5
	v_not_b32_e32 v8, v10
	v_ashrrev_i32_e32 v7, 31, v7
	s_wait_alu 0xfffd
	v_xor_b32_e32 v6, vcc_lo, v6
	v_cmp_gt_i32_e32 vcc_lo, 0, v10
	v_and_b32_e32 v5, v5, v67
	v_not_b32_e32 v10, v11
	v_ashrrev_i32_e32 v8, 31, v8
	s_wait_alu 0xf1ff
	v_xor_b32_e32 v7, s21, v7
	v_cmp_gt_i32_e64 s21, 0, v11
	v_and_b32_e32 v5, v5, v6
	v_not_b32_e32 v6, v66
	v_ashrrev_i32_e32 v10, 31, v10
	s_wait_alu 0xfffd
	v_xor_b32_e32 v8, vcc_lo, v8
	v_cmp_gt_i32_e32 vcc_lo, 0, v66
	v_and_b32_e32 v5, v5, v7
	v_not_b32_e32 v7, v9
	v_ashrrev_i32_e32 v6, 31, v6
	s_wait_alu 0xf1ff
	v_xor_b32_e32 v10, s21, v10
	v_lshlrev_b32_e32 v4, 5, v4
	v_and_b32_e32 v5, v5, v8
	v_cmp_gt_i32_e64 s21, 0, v9
	v_ashrrev_i32_e32 v7, 31, v7
	s_wait_alu 0xfffd
	v_xor_b32_e32 v6, vcc_lo, v6
	v_add_nc_u32_e32 v66, v50, v4
	v_and_b32_e32 v5, v5, v10
	s_wait_alu 0xf1ff
	v_xor_b32_e32 v4, s21, v7
	ds_load_b32 v71, v66 offset:32
	v_and_b32_e32 v5, v5, v6
	; wave barrier
	s_delay_alu instid0(VALU_DEP_1) | instskip(NEXT) | instid1(VALU_DEP_1)
	v_and_b32_e32 v4, v5, v4
	v_mbcnt_lo_u32_b32 v72, v4, 0
	v_cmp_ne_u32_e64 s21, 0, v4
	s_delay_alu instid0(VALU_DEP_2)
	v_cmp_eq_u32_e32 vcc_lo, 0, v72
	s_and_b32 s25, s21, vcc_lo
	s_wait_alu 0xfffe
	s_and_saveexec_b32 s21, s25
	s_cbranch_execz .LBB121_83
; %bb.82:                               ;   in Loop: Header=BB121_67 Depth=1
	s_wait_dscnt 0x0
	v_bcnt_u32_b32 v4, v4, v71
	ds_store_b32 v66, v4 offset:32
.LBB121_83:                             ;   in Loop: Header=BB121_67 Depth=1
	s_wait_alu 0xfffe
	s_or_b32 exec_lo, exec_lo, s21
	; wave barrier
	s_wait_loadcnt_dscnt 0x0
	s_barrier_signal -1
	s_barrier_wait -1
	global_inv scope:SCOPE_SE
	ds_load_b128 v[8:11], v90 offset:32
	ds_load_b128 v[4:7], v90 offset:48
	s_wait_dscnt 0x1
	v_add_nc_u32_e32 v67, v9, v8
	s_delay_alu instid0(VALU_DEP_1) | instskip(SKIP_1) | instid1(VALU_DEP_1)
	v_add3_u32 v67, v67, v10, v11
	s_wait_dscnt 0x0
	v_add3_u32 v67, v67, v4, v5
	s_delay_alu instid0(VALU_DEP_1) | instskip(NEXT) | instid1(VALU_DEP_1)
	v_add3_u32 v7, v67, v6, v7
	v_mov_b32_dpp v67, v7 row_shr:1 row_mask:0xf bank_mask:0xf
	s_delay_alu instid0(VALU_DEP_1) | instskip(NEXT) | instid1(VALU_DEP_1)
	v_cndmask_b32_e64 v67, v67, 0, s8
	v_add_nc_u32_e32 v7, v67, v7
	s_delay_alu instid0(VALU_DEP_1) | instskip(NEXT) | instid1(VALU_DEP_1)
	v_mov_b32_dpp v67, v7 row_shr:2 row_mask:0xf bank_mask:0xf
	v_cndmask_b32_e64 v67, 0, v67, s10
	s_delay_alu instid0(VALU_DEP_1) | instskip(NEXT) | instid1(VALU_DEP_1)
	v_add_nc_u32_e32 v7, v7, v67
	v_mov_b32_dpp v67, v7 row_shr:4 row_mask:0xf bank_mask:0xf
	s_delay_alu instid0(VALU_DEP_1) | instskip(NEXT) | instid1(VALU_DEP_1)
	v_cndmask_b32_e64 v67, 0, v67, s11
	v_add_nc_u32_e32 v7, v7, v67
	s_delay_alu instid0(VALU_DEP_1) | instskip(NEXT) | instid1(VALU_DEP_1)
	v_mov_b32_dpp v67, v7 row_shr:8 row_mask:0xf bank_mask:0xf
	v_cndmask_b32_e64 v67, 0, v67, s12
	s_delay_alu instid0(VALU_DEP_1) | instskip(SKIP_3) | instid1(VALU_DEP_1)
	v_add_nc_u32_e32 v7, v7, v67
	ds_swizzle_b32 v67, v7 offset:swizzle(BROADCAST,32,15)
	s_wait_dscnt 0x0
	v_cndmask_b32_e64 v67, v67, 0, s13
	v_add_nc_u32_e32 v7, v7, v67
	s_and_saveexec_b32 s21, s14
; %bb.84:                               ;   in Loop: Header=BB121_67 Depth=1
	ds_store_b32 v92, v7
; %bb.85:                               ;   in Loop: Header=BB121_67 Depth=1
	s_wait_alu 0xfffe
	s_or_b32 exec_lo, exec_lo, s21
	s_wait_loadcnt_dscnt 0x0
	s_barrier_signal -1
	s_barrier_wait -1
	global_inv scope:SCOPE_SE
	s_and_saveexec_b32 s21, s15
	s_cbranch_execz .LBB121_87
; %bb.86:                               ;   in Loop: Header=BB121_67 Depth=1
	ds_load_b32 v67, v52
	s_wait_dscnt 0x0
	v_mov_b32_dpp v68, v67 row_shr:1 row_mask:0xf bank_mask:0xf
	s_delay_alu instid0(VALU_DEP_1) | instskip(NEXT) | instid1(VALU_DEP_1)
	v_cndmask_b32_e64 v68, v68, 0, s18
	v_add_nc_u32_e32 v67, v68, v67
	s_delay_alu instid0(VALU_DEP_1) | instskip(NEXT) | instid1(VALU_DEP_1)
	v_mov_b32_dpp v68, v67 row_shr:2 row_mask:0xf bank_mask:0xf
	v_cndmask_b32_e64 v68, 0, v68, s19
	s_delay_alu instid0(VALU_DEP_1) | instskip(NEXT) | instid1(VALU_DEP_1)
	v_add_nc_u32_e32 v67, v67, v68
	v_mov_b32_dpp v68, v67 row_shr:4 row_mask:0xf bank_mask:0xf
	s_delay_alu instid0(VALU_DEP_1) | instskip(NEXT) | instid1(VALU_DEP_1)
	v_cndmask_b32_e64 v68, 0, v68, s20
	v_add_nc_u32_e32 v67, v67, v68
	ds_store_b32 v52, v67
.LBB121_87:                             ;   in Loop: Header=BB121_67 Depth=1
	s_wait_alu 0xfffe
	s_or_b32 exec_lo, exec_lo, s21
	v_mov_b32_e32 v67, 0
	s_wait_loadcnt_dscnt 0x0
	s_barrier_signal -1
	s_barrier_wait -1
	global_inv scope:SCOPE_SE
	s_and_saveexec_b32 s21, s16
; %bb.88:                               ;   in Loop: Header=BB121_67 Depth=1
	ds_load_b32 v67, v49
; %bb.89:                               ;   in Loop: Header=BB121_67 Depth=1
	s_wait_alu 0xfffe
	s_or_b32 exec_lo, exec_lo, s21
	s_wait_dscnt 0x0
	v_add_nc_u32_e32 v7, v67, v7
	v_cmp_lt_u32_e32 vcc_lo, 23, v51
	v_readfirstlane_b32 s21, v0
	s_mov_b32 s25, -1
	ds_bpermute_b32 v7, v36, v7
	s_and_b32 vcc_lo, exec_lo, vcc_lo
	s_wait_dscnt 0x0
	v_cndmask_b32_e64 v7, v7, v67, s9
	s_delay_alu instid0(VALU_DEP_1) | instskip(NEXT) | instid1(VALU_DEP_1)
	v_cndmask_b32_e64 v7, v7, 0, s17
	v_add_nc_u32_e32 v8, v7, v8
	s_delay_alu instid0(VALU_DEP_1) | instskip(NEXT) | instid1(VALU_DEP_1)
	v_add_nc_u32_e32 v9, v8, v9
	v_add_nc_u32_e32 v10, v9, v10
	s_delay_alu instid0(VALU_DEP_1) | instskip(NEXT) | instid1(VALU_DEP_1)
	v_add_nc_u32_e32 v67, v10, v11
	;; [unrolled: 3-line block ×3, first 2 shown]
	v_add_nc_u32_e32 v70, v69, v6
	ds_store_b128 v90, v[7:10] offset:32
	ds_store_b128 v90, v[67:70] offset:48
	s_wait_loadcnt_dscnt 0x0
	s_barrier_signal -1
	s_barrier_wait -1
	global_inv scope:SCOPE_SE
	ds_load_b32 v4, v13 offset:32
	ds_load_b32 v5, v16 offset:32
	;; [unrolled: 1-line block ×8, first 2 shown]
	s_wait_dscnt 0x7
	v_add_nc_u32_e32 v70, v4, v12
	s_wait_dscnt 0x6
	v_add3_u32 v69, v15, v14, v5
	s_wait_dscnt 0x5
	v_add3_u32 v68, v18, v17, v6
	;; [unrolled: 2-line block ×7, first 2 shown]
                                        ; implicit-def: $vgpr48
                                        ; implicit-def: $vgpr46
                                        ; implicit-def: $vgpr44
                                        ; implicit-def: $vgpr39
                                        ; implicit-def: $vgpr18_vgpr19
                                        ; implicit-def: $vgpr14_vgpr15
                                        ; implicit-def: $vgpr10_vgpr11
                                        ; implicit-def: $vgpr6_vgpr7
	s_wait_alu 0xfffe
	s_cbranch_vccnz .LBB121_66
; %bb.90:                               ;   in Loop: Header=BB121_67 Depth=1
	v_lshlrev_b32_e32 v4, 2, v70
	v_lshlrev_b32_e32 v5, 2, v69
	;; [unrolled: 1-line block ×3, first 2 shown]
	s_wait_loadcnt 0x0
	s_barrier_signal -1
	s_barrier_wait -1
	global_inv scope:SCOPE_SE
	ds_store_b32 v4, v54
	ds_store_b32 v5, v61
	;; [unrolled: 1-line block ×3, first 2 shown]
	v_lshlrev_b32_e32 v7, 2, v67
	v_add_nc_u32_e32 v4, v4, v4
	v_lshlrev_b32_e32 v8, 2, v66
	v_add_nc_u32_e32 v5, v5, v5
	;; [unrolled: 2-line block ×3, first 2 shown]
	v_lshlrev_b32_e32 v10, 2, v63
	v_lshlrev_b32_e32 v11, 2, v62
	ds_store_b32 v7, v59
	ds_store_b32 v8, v58
	;; [unrolled: 1-line block ×5, first 2 shown]
	s_wait_loadcnt_dscnt 0x0
	s_barrier_signal -1
	s_barrier_wait -1
	global_inv scope:SCOPE_SE
	ds_load_2addr_b32 v[38:39], v91 offset1:32
	ds_load_2addr_b32 v[43:44], v91 offset0:64 offset1:96
	ds_load_2addr_b32 v[45:46], v91 offset0:128 offset1:160
	;; [unrolled: 1-line block ×3, first 2 shown]
	s_wait_loadcnt_dscnt 0x0
	s_barrier_signal -1
	s_barrier_wait -1
	global_inv scope:SCOPE_SE
	ds_store_b64 v4, v[34:35]
	ds_store_b64 v5, v[32:33]
	;; [unrolled: 1-line block ×3, first 2 shown]
	v_add_nc_u32_e32 v4, v7, v7
	v_add_nc_u32_e32 v5, v8, v8
	v_add_nc_u32_e32 v6, v9, v9
	v_add_nc_u32_e32 v7, v10, v10
	v_add_nc_u32_e32 v8, v11, v11
	ds_store_b64 v4, v[28:29]
	ds_store_b64 v5, v[26:27]
	;; [unrolled: 1-line block ×5, first 2 shown]
	s_wait_loadcnt_dscnt 0x0
	s_barrier_signal -1
	s_barrier_wait -1
	global_inv scope:SCOPE_SE
	ds_load_2addr_b64 v[4:7], v53 offset1:32
	ds_load_2addr_b64 v[8:11], v53 offset0:64 offset1:96
	ds_load_2addr_b64 v[12:15], v53 offset0:128 offset1:160
	;; [unrolled: 1-line block ×3, first 2 shown]
	v_add_nc_u32_e32 v51, 8, v51
	s_add_co_i32 s21, s24, -8
	s_mov_b32 s25, 0
	s_wait_loadcnt_dscnt 0x0
	s_barrier_signal -1
	s_barrier_wait -1
	global_inv scope:SCOPE_SE
	s_branch .LBB121_66
.LBB121_91:
	v_lshlrev_b32_e32 v8, 2, v70
	v_lshlrev_b32_e32 v9, 2, v69
	;; [unrolled: 1-line block ×3, first 2 shown]
	s_wait_loadcnt 0x0
	s_barrier_signal -1
	s_barrier_wait -1
	global_inv scope:SCOPE_SE
	ds_store_b32 v8, v54
	ds_store_b32 v9, v61
	;; [unrolled: 1-line block ×3, first 2 shown]
	v_lshlrev_b32_e32 v11, 2, v67
	v_add_nc_u32_e32 v8, v8, v8
	v_lshlrev_b32_e32 v12, 2, v66
	v_add_nc_u32_e32 v9, v9, v9
	;; [unrolled: 2-line block ×3, first 2 shown]
	v_lshlrev_b32_e32 v14, 2, v63
	v_lshlrev_b32_e32 v15, 2, v62
	ds_store_b32 v11, v59
	ds_store_b32 v12, v58
	;; [unrolled: 1-line block ×5, first 2 shown]
	s_wait_loadcnt_dscnt 0x0
	s_barrier_signal -1
	s_barrier_wait -1
	global_inv scope:SCOPE_SE
	ds_load_b128 v[0:3], v90
	ds_load_b128 v[4:7], v90 offset:16
	s_wait_loadcnt_dscnt 0x0
	s_barrier_signal -1
	s_barrier_wait -1
	global_inv scope:SCOPE_SE
	ds_store_b64 v8, v[34:35]
	ds_store_b64 v9, v[32:33]
	ds_store_b64 v10, v[30:31]
	v_add_nc_u32_e32 v8, v11, v11
	v_add_nc_u32_e32 v9, v12, v12
	;; [unrolled: 1-line block ×5, first 2 shown]
	ds_store_b64 v8, v[28:29]
	ds_store_b64 v9, v[26:27]
	;; [unrolled: 1-line block ×5, first 2 shown]
	v_lshl_add_u32 v8, v42, 5, v90
	s_wait_loadcnt_dscnt 0x0
	s_barrier_signal -1
	s_barrier_wait -1
	global_inv scope:SCOPE_SE
	ds_load_b128 v[29:32], v8
	ds_load_b128 v[25:28], v8 offset:16
	ds_load_b128 v[21:24], v8 offset:32
	;; [unrolled: 1-line block ×3, first 2 shown]
	v_xor_b32_e32 v33, 0x7fffffff, v0
	v_xor_b32_e32 v35, 0x7fffffff, v1
	;; [unrolled: 1-line block ×8, first 2 shown]
.LBB121_92:
	s_wait_loadcnt_dscnt 0x0
	s_barrier_signal -1
	s_barrier_wait -1
	global_inv scope:SCOPE_SE
	ds_store_2addr_b32 v80, v33, v35 offset1:1
	ds_store_2addr_b32 v80, v34, v38 offset0:2 offset1:3
	ds_store_2addr_b32 v80, v36, v51 offset0:4 offset1:5
	;; [unrolled: 1-line block ×3, first 2 shown]
	s_wait_loadcnt_dscnt 0x0
	s_barrier_signal -1
	s_barrier_wait -1
	global_inv scope:SCOPE_SE
	ds_load_b32 v8, v41 offset:1024
	ds_load_b32 v7, v74 offset:2048
	;; [unrolled: 1-line block ×7, first 2 shown]
	v_mov_b32_e32 v41, 0
	s_delay_alu instid0(VALU_DEP_1) | instskip(NEXT) | instid1(VALU_DEP_1)
	v_lshlrev_b64_e32 v[0:1], 2, v[40:41]
	v_add_co_u32 v0, vcc_lo, s30, v0
	s_wait_alu 0xfffd
	s_delay_alu instid0(VALU_DEP_2)
	v_add_co_ci_u32_e64 v1, null, s31, v1, vcc_lo
	s_and_saveexec_b32 s8, s0
	s_cbranch_execnz .LBB121_111
; %bb.93:
	s_wait_alu 0xfffe
	s_or_b32 exec_lo, exec_lo, s8
	s_and_saveexec_b32 s8, s1
	s_cbranch_execnz .LBB121_112
.LBB121_94:
	s_wait_alu 0xfffe
	s_or_b32 exec_lo, exec_lo, s8
	s_and_saveexec_b32 s8, s2
	s_cbranch_execnz .LBB121_113
.LBB121_95:
	s_wait_alu 0xfffe
	s_or_b32 exec_lo, exec_lo, s8
	s_and_saveexec_b32 s8, s3
	s_cbranch_execnz .LBB121_114
.LBB121_96:
	s_wait_alu 0xfffe
	s_or_b32 exec_lo, exec_lo, s8
	s_and_saveexec_b32 s8, s4
	s_cbranch_execnz .LBB121_115
.LBB121_97:
	s_wait_alu 0xfffe
	s_or_b32 exec_lo, exec_lo, s8
	s_and_saveexec_b32 s8, s5
	s_cbranch_execnz .LBB121_116
.LBB121_98:
	s_wait_alu 0xfffe
	s_or_b32 exec_lo, exec_lo, s8
	s_and_saveexec_b32 s8, s6
	s_cbranch_execnz .LBB121_117
.LBB121_99:
	s_wait_alu 0xfffe
	s_or_b32 exec_lo, exec_lo, s8
	s_and_saveexec_b32 s8, s7
	s_cbranch_execz .LBB121_101
.LBB121_100:
	s_mul_i32 s10, s22, 0x700
	s_mov_b32 s11, 0
	s_wait_alu 0xfffe
	s_lshl_b64 s[10:11], s[10:11], 2
	s_wait_alu 0xfffe
	v_add_co_u32 v0, vcc_lo, v0, s10
	s_wait_alu 0xfffd
	v_add_co_ci_u32_e64 v1, null, s11, v1, vcc_lo
	s_wait_dscnt 0x0
	global_store_b32 v[0:1], v2, off
.LBB121_101:
	s_wait_alu 0xfffe
	s_or_b32 exec_lo, exec_lo, s8
	s_wait_storecnt 0x0
	s_wait_loadcnt_dscnt 0x0
	s_barrier_signal -1
	s_barrier_wait -1
	global_inv scope:SCOPE_SE
	ds_store_2addr_b64 v89, v[29:30], v[31:32] offset1:1
	ds_store_2addr_b64 v89, v[25:26], v[27:28] offset0:2 offset1:3
	ds_store_2addr_b64 v89, v[21:22], v[23:24] offset0:4 offset1:5
	;; [unrolled: 1-line block ×3, first 2 shown]
	s_wait_loadcnt_dscnt 0x0
	s_barrier_signal -1
	s_barrier_wait -1
	global_inv scope:SCOPE_SE
	ds_load_b64 v[14:15], v82 offset:2048
	ds_load_b64 v[12:13], v83 offset:4096
	;; [unrolled: 1-line block ×7, first 2 shown]
	v_mov_b32_e32 v38, 0
	s_delay_alu instid0(VALU_DEP_1) | instskip(NEXT) | instid1(VALU_DEP_1)
	v_lshlrev_b64_e32 v[2:3], 3, v[37:38]
	v_add_co_u32 v2, vcc_lo, s34, v2
	s_wait_alu 0xfffd
	s_delay_alu instid0(VALU_DEP_2)
	v_add_co_ci_u32_e64 v3, null, s35, v3, vcc_lo
	s_and_saveexec_b32 s8, s0
	s_cbranch_execnz .LBB121_118
; %bb.102:
	s_wait_alu 0xfffe
	s_or_b32 exec_lo, exec_lo, s8
	s_and_saveexec_b32 s0, s1
	s_cbranch_execnz .LBB121_119
.LBB121_103:
	s_or_b32 exec_lo, exec_lo, s0
	s_and_saveexec_b32 s0, s2
	s_cbranch_execnz .LBB121_120
.LBB121_104:
	s_or_b32 exec_lo, exec_lo, s0
	s_and_saveexec_b32 s0, s3
	s_cbranch_execnz .LBB121_121
.LBB121_105:
	s_or_b32 exec_lo, exec_lo, s0
	s_and_saveexec_b32 s0, s4
	s_cbranch_execnz .LBB121_122
.LBB121_106:
	s_or_b32 exec_lo, exec_lo, s0
	s_and_saveexec_b32 s0, s5
	s_cbranch_execnz .LBB121_123
.LBB121_107:
	s_or_b32 exec_lo, exec_lo, s0
	s_and_saveexec_b32 s0, s6
	s_cbranch_execnz .LBB121_124
.LBB121_108:
	s_or_b32 exec_lo, exec_lo, s0
	s_and_saveexec_b32 s0, s7
	s_cbranch_execz .LBB121_110
.LBB121_109:
	s_mul_i32 s0, s28, 0x700
	s_mov_b32 s1, 0
	s_delay_alu instid0(SALU_CYCLE_1) | instskip(NEXT) | instid1(SALU_CYCLE_1)
	s_lshl_b64 s[0:1], s[0:1], 3
	v_add_co_u32 v2, vcc_lo, v2, s0
	s_wait_alu 0xfffd
	v_add_co_ci_u32_e64 v3, null, s1, v3, vcc_lo
	s_wait_dscnt 0x0
	global_store_b64 v[2:3], v[0:1], off
.LBB121_110:
	s_nop 0
	s_sendmsg sendmsg(MSG_DEALLOC_VGPRS)
	s_endpgm
.LBB121_111:
	ds_load_b32 v9, v73
	s_wait_dscnt 0x0
	global_store_b32 v[0:1], v9, off
	s_wait_alu 0xfffe
	s_or_b32 exec_lo, exec_lo, s8
	s_and_saveexec_b32 s8, s1
	s_cbranch_execz .LBB121_94
.LBB121_112:
	s_lshl_b32 s10, s22, 8
	s_mov_b32 s11, 0
	s_wait_alu 0xfffe
	s_lshl_b64 s[10:11], s[10:11], 2
	s_wait_alu 0xfffe
	v_add_co_u32 v9, vcc_lo, v0, s10
	s_wait_alu 0xfffd
	v_add_co_ci_u32_e64 v10, null, s11, v1, vcc_lo
	s_wait_dscnt 0x6
	global_store_b32 v[9:10], v8, off
	s_or_b32 exec_lo, exec_lo, s8
	s_and_saveexec_b32 s8, s2
	s_cbranch_execz .LBB121_95
.LBB121_113:
	s_lshl_b32 s10, s22, 9
	s_mov_b32 s11, 0
	s_wait_alu 0xfffe
	s_lshl_b64 s[10:11], s[10:11], 2
	s_wait_dscnt 0x6
	s_wait_alu 0xfffe
	v_add_co_u32 v8, vcc_lo, v0, s10
	s_wait_alu 0xfffd
	v_add_co_ci_u32_e64 v9, null, s11, v1, vcc_lo
	s_wait_dscnt 0x5
	global_store_b32 v[8:9], v7, off
	s_or_b32 exec_lo, exec_lo, s8
	s_and_saveexec_b32 s8, s3
	s_cbranch_execz .LBB121_96
.LBB121_114:
	s_mul_i32 s10, s22, 0x300
	s_mov_b32 s11, 0
	s_wait_alu 0xfffe
	s_lshl_b64 s[10:11], s[10:11], 2
	s_wait_dscnt 0x5
	s_wait_alu 0xfffe
	v_add_co_u32 v7, vcc_lo, v0, s10
	s_wait_alu 0xfffd
	v_add_co_ci_u32_e64 v8, null, s11, v1, vcc_lo
	s_wait_dscnt 0x4
	global_store_b32 v[7:8], v6, off
	s_or_b32 exec_lo, exec_lo, s8
	s_and_saveexec_b32 s8, s4
	s_cbranch_execz .LBB121_97
.LBB121_115:
	s_lshl_b32 s10, s22, 10
	s_mov_b32 s11, 0
	s_wait_alu 0xfffe
	s_lshl_b64 s[10:11], s[10:11], 2
	s_wait_dscnt 0x4
	s_wait_alu 0xfffe
	v_add_co_u32 v6, vcc_lo, v0, s10
	s_wait_alu 0xfffd
	v_add_co_ci_u32_e64 v7, null, s11, v1, vcc_lo
	s_wait_dscnt 0x3
	global_store_b32 v[6:7], v5, off
	s_or_b32 exec_lo, exec_lo, s8
	s_and_saveexec_b32 s8, s5
	s_cbranch_execz .LBB121_98
.LBB121_116:
	s_mul_i32 s10, s22, 0x500
	s_mov_b32 s11, 0
	s_wait_alu 0xfffe
	s_lshl_b64 s[10:11], s[10:11], 2
	s_wait_dscnt 0x3
	s_wait_alu 0xfffe
	v_add_co_u32 v5, vcc_lo, v0, s10
	s_wait_alu 0xfffd
	v_add_co_ci_u32_e64 v6, null, s11, v1, vcc_lo
	s_wait_dscnt 0x2
	global_store_b32 v[5:6], v4, off
	s_or_b32 exec_lo, exec_lo, s8
	s_and_saveexec_b32 s8, s6
	s_cbranch_execz .LBB121_99
.LBB121_117:
	s_mul_i32 s10, s22, 0x600
	s_mov_b32 s11, 0
	s_wait_alu 0xfffe
	s_lshl_b64 s[10:11], s[10:11], 2
	s_wait_dscnt 0x2
	s_wait_alu 0xfffe
	v_add_co_u32 v4, vcc_lo, v0, s10
	s_wait_alu 0xfffd
	v_add_co_ci_u32_e64 v5, null, s11, v1, vcc_lo
	s_wait_dscnt 0x1
	global_store_b32 v[4:5], v3, off
	s_or_b32 exec_lo, exec_lo, s8
	s_and_saveexec_b32 s8, s7
	s_cbranch_execnz .LBB121_100
	s_branch .LBB121_101
.LBB121_118:
	ds_load_b64 v[16:17], v81
	s_wait_dscnt 0x0
	global_store_b64 v[2:3], v[16:17], off
	s_wait_alu 0xfffe
	s_or_b32 exec_lo, exec_lo, s8
	s_and_saveexec_b32 s0, s1
	s_cbranch_execz .LBB121_103
.LBB121_119:
	s_lshl_b32 s8, s28, 8
	s_mov_b32 s9, 0
	s_wait_alu 0xfffe
	s_lshl_b64 s[8:9], s[8:9], 3
	s_wait_alu 0xfffe
	v_add_co_u32 v16, vcc_lo, v2, s8
	s_wait_alu 0xfffd
	v_add_co_ci_u32_e64 v17, null, s9, v3, vcc_lo
	s_wait_dscnt 0x6
	global_store_b64 v[16:17], v[14:15], off
	s_or_b32 exec_lo, exec_lo, s0
	s_and_saveexec_b32 s0, s2
	s_cbranch_execz .LBB121_104
.LBB121_120:
	s_lshl_b32 s8, s28, 9
	s_mov_b32 s9, 0
	s_wait_alu 0xfffe
	s_lshl_b64 s[8:9], s[8:9], 3
	s_wait_dscnt 0x6
	s_wait_alu 0xfffe
	v_add_co_u32 v14, vcc_lo, v2, s8
	s_wait_alu 0xfffd
	v_add_co_ci_u32_e64 v15, null, s9, v3, vcc_lo
	s_wait_dscnt 0x5
	global_store_b64 v[14:15], v[12:13], off
	s_or_b32 exec_lo, exec_lo, s0
	s_and_saveexec_b32 s0, s3
	s_cbranch_execz .LBB121_105
.LBB121_121:
	s_mul_i32 s2, s28, 0x300
	s_mov_b32 s3, 0
	s_delay_alu instid0(SALU_CYCLE_1)
	s_lshl_b64 s[2:3], s[2:3], 3
	s_wait_dscnt 0x5
	v_add_co_u32 v12, vcc_lo, v2, s2
	s_wait_alu 0xfffd
	v_add_co_ci_u32_e64 v13, null, s3, v3, vcc_lo
	s_wait_dscnt 0x4
	global_store_b64 v[12:13], v[10:11], off
	s_or_b32 exec_lo, exec_lo, s0
	s_and_saveexec_b32 s0, s4
	s_cbranch_execz .LBB121_106
.LBB121_122:
	s_lshl_b32 s2, s28, 10
	s_mov_b32 s3, 0
	s_wait_alu 0xfffe
	s_lshl_b64 s[2:3], s[2:3], 3
	s_wait_dscnt 0x4
	s_wait_alu 0xfffe
	v_add_co_u32 v10, vcc_lo, v2, s2
	s_wait_alu 0xfffd
	v_add_co_ci_u32_e64 v11, null, s3, v3, vcc_lo
	s_wait_dscnt 0x3
	global_store_b64 v[10:11], v[8:9], off
	s_or_b32 exec_lo, exec_lo, s0
	s_and_saveexec_b32 s0, s5
	s_cbranch_execz .LBB121_107
.LBB121_123:
	s_mul_i32 s2, s28, 0x500
	s_mov_b32 s3, 0
	s_wait_alu 0xfffe
	s_lshl_b64 s[2:3], s[2:3], 3
	s_wait_dscnt 0x3
	s_wait_alu 0xfffe
	v_add_co_u32 v8, vcc_lo, v2, s2
	s_wait_alu 0xfffd
	v_add_co_ci_u32_e64 v9, null, s3, v3, vcc_lo
	s_wait_dscnt 0x2
	global_store_b64 v[8:9], v[6:7], off
	s_or_b32 exec_lo, exec_lo, s0
	s_and_saveexec_b32 s0, s6
	s_cbranch_execz .LBB121_108
.LBB121_124:
	s_mul_i32 s2, s28, 0x600
	s_mov_b32 s3, 0
	s_wait_alu 0xfffe
	s_lshl_b64 s[2:3], s[2:3], 3
	s_wait_dscnt 0x2
	s_wait_alu 0xfffe
	v_add_co_u32 v6, vcc_lo, v2, s2
	s_wait_alu 0xfffd
	v_add_co_ci_u32_e64 v7, null, s3, v3, vcc_lo
	s_wait_dscnt 0x1
	global_store_b64 v[6:7], v[4:5], off
	s_or_b32 exec_lo, exec_lo, s0
	s_and_saveexec_b32 s0, s7
	s_cbranch_execnz .LBB121_109
	s_branch .LBB121_110
	.section	.rodata,"a",@progbits
	.p2align	6, 0x0
	.amdhsa_kernel _ZN2at6native18radixSortKVInPlaceILin2ELin1ELi256ELi8EiljEEvNS_4cuda6detail10TensorInfoIT3_T5_EES6_S6_S6_NS4_IT4_S6_EES6_b
		.amdhsa_group_segment_fixed_size 16896
		.amdhsa_private_segment_fixed_size 0
		.amdhsa_kernarg_size 712
		.amdhsa_user_sgpr_count 2
		.amdhsa_user_sgpr_dispatch_ptr 0
		.amdhsa_user_sgpr_queue_ptr 0
		.amdhsa_user_sgpr_kernarg_segment_ptr 1
		.amdhsa_user_sgpr_dispatch_id 0
		.amdhsa_user_sgpr_private_segment_size 0
		.amdhsa_wavefront_size32 1
		.amdhsa_uses_dynamic_stack 0
		.amdhsa_enable_private_segment 0
		.amdhsa_system_sgpr_workgroup_id_x 1
		.amdhsa_system_sgpr_workgroup_id_y 1
		.amdhsa_system_sgpr_workgroup_id_z 1
		.amdhsa_system_sgpr_workgroup_info 0
		.amdhsa_system_vgpr_workitem_id 2
		.amdhsa_next_free_vgpr 128
		.amdhsa_next_free_sgpr 38
		.amdhsa_reserve_vcc 1
		.amdhsa_float_round_mode_32 0
		.amdhsa_float_round_mode_16_64 0
		.amdhsa_float_denorm_mode_32 3
		.amdhsa_float_denorm_mode_16_64 3
		.amdhsa_fp16_overflow 0
		.amdhsa_workgroup_processor_mode 1
		.amdhsa_memory_ordered 1
		.amdhsa_forward_progress 1
		.amdhsa_inst_pref_size 113
		.amdhsa_round_robin_scheduling 0
		.amdhsa_exception_fp_ieee_invalid_op 0
		.amdhsa_exception_fp_denorm_src 0
		.amdhsa_exception_fp_ieee_div_zero 0
		.amdhsa_exception_fp_ieee_overflow 0
		.amdhsa_exception_fp_ieee_underflow 0
		.amdhsa_exception_fp_ieee_inexact 0
		.amdhsa_exception_int_div_zero 0
	.end_amdhsa_kernel
	.section	.text._ZN2at6native18radixSortKVInPlaceILin2ELin1ELi256ELi8EiljEEvNS_4cuda6detail10TensorInfoIT3_T5_EES6_S6_S6_NS4_IT4_S6_EES6_b,"axG",@progbits,_ZN2at6native18radixSortKVInPlaceILin2ELin1ELi256ELi8EiljEEvNS_4cuda6detail10TensorInfoIT3_T5_EES6_S6_S6_NS4_IT4_S6_EES6_b,comdat
.Lfunc_end121:
	.size	_ZN2at6native18radixSortKVInPlaceILin2ELin1ELi256ELi8EiljEEvNS_4cuda6detail10TensorInfoIT3_T5_EES6_S6_S6_NS4_IT4_S6_EES6_b, .Lfunc_end121-_ZN2at6native18radixSortKVInPlaceILin2ELin1ELi256ELi8EiljEEvNS_4cuda6detail10TensorInfoIT3_T5_EES6_S6_S6_NS4_IT4_S6_EES6_b
                                        ; -- End function
	.set _ZN2at6native18radixSortKVInPlaceILin2ELin1ELi256ELi8EiljEEvNS_4cuda6detail10TensorInfoIT3_T5_EES6_S6_S6_NS4_IT4_S6_EES6_b.num_vgpr, 128
	.set _ZN2at6native18radixSortKVInPlaceILin2ELin1ELi256ELi8EiljEEvNS_4cuda6detail10TensorInfoIT3_T5_EES6_S6_S6_NS4_IT4_S6_EES6_b.num_agpr, 0
	.set _ZN2at6native18radixSortKVInPlaceILin2ELin1ELi256ELi8EiljEEvNS_4cuda6detail10TensorInfoIT3_T5_EES6_S6_S6_NS4_IT4_S6_EES6_b.numbered_sgpr, 38
	.set _ZN2at6native18radixSortKVInPlaceILin2ELin1ELi256ELi8EiljEEvNS_4cuda6detail10TensorInfoIT3_T5_EES6_S6_S6_NS4_IT4_S6_EES6_b.num_named_barrier, 0
	.set _ZN2at6native18radixSortKVInPlaceILin2ELin1ELi256ELi8EiljEEvNS_4cuda6detail10TensorInfoIT3_T5_EES6_S6_S6_NS4_IT4_S6_EES6_b.private_seg_size, 0
	.set _ZN2at6native18radixSortKVInPlaceILin2ELin1ELi256ELi8EiljEEvNS_4cuda6detail10TensorInfoIT3_T5_EES6_S6_S6_NS4_IT4_S6_EES6_b.uses_vcc, 1
	.set _ZN2at6native18radixSortKVInPlaceILin2ELin1ELi256ELi8EiljEEvNS_4cuda6detail10TensorInfoIT3_T5_EES6_S6_S6_NS4_IT4_S6_EES6_b.uses_flat_scratch, 0
	.set _ZN2at6native18radixSortKVInPlaceILin2ELin1ELi256ELi8EiljEEvNS_4cuda6detail10TensorInfoIT3_T5_EES6_S6_S6_NS4_IT4_S6_EES6_b.has_dyn_sized_stack, 0
	.set _ZN2at6native18radixSortKVInPlaceILin2ELin1ELi256ELi8EiljEEvNS_4cuda6detail10TensorInfoIT3_T5_EES6_S6_S6_NS4_IT4_S6_EES6_b.has_recursion, 0
	.set _ZN2at6native18radixSortKVInPlaceILin2ELin1ELi256ELi8EiljEEvNS_4cuda6detail10TensorInfoIT3_T5_EES6_S6_S6_NS4_IT4_S6_EES6_b.has_indirect_call, 0
	.section	.AMDGPU.csdata,"",@progbits
; Kernel info:
; codeLenInByte = 14392
; TotalNumSgprs: 40
; NumVgprs: 128
; ScratchSize: 0
; MemoryBound: 0
; FloatMode: 240
; IeeeMode: 1
; LDSByteSize: 16896 bytes/workgroup (compile time only)
; SGPRBlocks: 0
; VGPRBlocks: 15
; NumSGPRsForWavesPerEU: 40
; NumVGPRsForWavesPerEU: 128
; Occupancy: 10
; WaveLimiterHint : 1
; COMPUTE_PGM_RSRC2:SCRATCH_EN: 0
; COMPUTE_PGM_RSRC2:USER_SGPR: 2
; COMPUTE_PGM_RSRC2:TRAP_HANDLER: 0
; COMPUTE_PGM_RSRC2:TGID_X_EN: 1
; COMPUTE_PGM_RSRC2:TGID_Y_EN: 1
; COMPUTE_PGM_RSRC2:TGID_Z_EN: 1
; COMPUTE_PGM_RSRC2:TIDIG_COMP_CNT: 2
	.section	.text._ZN2at6native18radixSortKVInPlaceILin2ELin1ELi128ELi8EiljEEvNS_4cuda6detail10TensorInfoIT3_T5_EES6_S6_S6_NS4_IT4_S6_EES6_b,"axG",@progbits,_ZN2at6native18radixSortKVInPlaceILin2ELin1ELi128ELi8EiljEEvNS_4cuda6detail10TensorInfoIT3_T5_EES6_S6_S6_NS4_IT4_S6_EES6_b,comdat
	.protected	_ZN2at6native18radixSortKVInPlaceILin2ELin1ELi128ELi8EiljEEvNS_4cuda6detail10TensorInfoIT3_T5_EES6_S6_S6_NS4_IT4_S6_EES6_b ; -- Begin function _ZN2at6native18radixSortKVInPlaceILin2ELin1ELi128ELi8EiljEEvNS_4cuda6detail10TensorInfoIT3_T5_EES6_S6_S6_NS4_IT4_S6_EES6_b
	.globl	_ZN2at6native18radixSortKVInPlaceILin2ELin1ELi128ELi8EiljEEvNS_4cuda6detail10TensorInfoIT3_T5_EES6_S6_S6_NS4_IT4_S6_EES6_b
	.p2align	8
	.type	_ZN2at6native18radixSortKVInPlaceILin2ELin1ELi128ELi8EiljEEvNS_4cuda6detail10TensorInfoIT3_T5_EES6_S6_S6_NS4_IT4_S6_EES6_b,@function
_ZN2at6native18radixSortKVInPlaceILin2ELin1ELi128ELi8EiljEEvNS_4cuda6detail10TensorInfoIT3_T5_EES6_S6_S6_NS4_IT4_S6_EES6_b: ; @_ZN2at6native18radixSortKVInPlaceILin2ELin1ELi128ELi8EiljEEvNS_4cuda6detail10TensorInfoIT3_T5_EES6_S6_S6_NS4_IT4_S6_EES6_b
; %bb.0:
	s_clause 0x1
	s_load_b64 s[2:3], s[0:1], 0x1c8
	s_load_b96 s[24:26], s[0:1], 0xd8
	s_lshr_b32 s4, ttmp7, 16
	s_wait_kmcnt 0x0
	s_mul_i32 s3, s3, s4
	s_and_b32 s4, ttmp7, 0xffff
	s_delay_alu instid0(SALU_CYCLE_1) | instskip(NEXT) | instid1(SALU_CYCLE_1)
	s_add_co_i32 s3, s3, s4
	s_mul_i32 s4, s3, s2
	s_delay_alu instid0(SALU_CYCLE_1) | instskip(NEXT) | instid1(SALU_CYCLE_1)
	s_add_co_i32 s4, s4, ttmp9
	s_cmp_ge_u32 s4, s24
	s_cbranch_scc1 .LBB122_110
; %bb.1:
	s_load_b32 s2, s[0:1], 0x1b8
	s_add_nc_u64 s[14:15], s[0:1], 0xe8
	s_mov_b32 s13, 0
	s_mov_b32 s16, s4
	s_wait_kmcnt 0x0
	s_cmp_lt_i32 s2, 2
	s_cbranch_scc1 .LBB122_4
; %bb.2:
	s_add_co_i32 s12, s2, -1
	s_add_co_i32 s5, s2, 1
	s_lshl_b64 s[6:7], s[12:13], 2
	s_mov_b32 s16, s4
	s_add_nc_u64 s[6:7], s[14:15], s[6:7]
	s_delay_alu instid0(SALU_CYCLE_1)
	s_add_nc_u64 s[2:3], s[6:7], 8
.LBB122_3:                              ; =>This Inner Loop Header: Depth=1
	s_clause 0x1
	s_load_b32 s6, s[2:3], 0x0
	s_load_b32 s7, s[2:3], 0x64
	s_mov_b32 s10, s16
	s_add_nc_u64 s[2:3], s[2:3], -4
	s_wait_kmcnt 0x0
	s_cvt_f32_u32 s8, s6
	s_sub_co_i32 s9, 0, s6
	s_wait_alu 0xfffe
	s_delay_alu instid0(SALU_CYCLE_1) | instskip(NEXT) | instid1(TRANS32_DEP_1)
	v_rcp_iflag_f32_e32 v1, s8
	v_readfirstlane_b32 s8, v1
	s_mul_f32 s8, s8, 0x4f7ffffe
	s_wait_alu 0xfffe
	s_delay_alu instid0(SALU_CYCLE_2) | instskip(SKIP_1) | instid1(SALU_CYCLE_2)
	s_cvt_u32_f32 s8, s8
	s_wait_alu 0xfffe
	s_mul_i32 s9, s9, s8
	s_wait_alu 0xfffe
	s_mul_hi_u32 s9, s8, s9
	s_wait_alu 0xfffe
	s_add_co_i32 s8, s8, s9
	s_wait_alu 0xfffe
	s_mul_hi_u32 s8, s16, s8
	s_wait_alu 0xfffe
	s_mul_i32 s9, s8, s6
	s_add_co_i32 s11, s8, 1
	s_wait_alu 0xfffe
	s_sub_co_i32 s9, s16, s9
	s_wait_alu 0xfffe
	s_sub_co_i32 s12, s9, s6
	s_cmp_ge_u32 s9, s6
	s_cselect_b32 s8, s11, s8
	s_cselect_b32 s9, s12, s9
	s_wait_alu 0xfffe
	s_add_co_i32 s11, s8, 1
	s_cmp_ge_u32 s9, s6
	s_cselect_b32 s16, s11, s8
	s_add_co_i32 s5, s5, -1
	s_mul_i32 s6, s16, s6
	s_delay_alu instid0(SALU_CYCLE_1) | instskip(NEXT) | instid1(SALU_CYCLE_1)
	s_sub_co_i32 s6, s10, s6
	s_mul_i32 s6, s7, s6
	s_delay_alu instid0(SALU_CYCLE_1)
	s_add_co_i32 s13, s6, s13
	s_cmp_gt_u32 s5, 2
	s_cbranch_scc1 .LBB122_3
.LBB122_4:
	s_clause 0x2
	s_load_b64 s[28:29], s[0:1], 0x1c0
	s_load_b64 s[2:3], s[0:1], 0x0
	s_load_b32 s5, s[0:1], 0x6c
	s_add_nc_u64 s[34:35], s[0:1], 0x1c8
	s_brev_b32 s0, 1
	s_mov_b32 s19, 0
	s_wait_kmcnt 0x0
	s_bitcmp1_b32 s29, 0
	s_mul_i32 s18, s5, s4
	s_cselect_b32 s12, -1, 0
	s_delay_alu instid0(SALU_CYCLE_1)
	s_and_b32 s1, s12, exec_lo
	s_cselect_b32 s4, s0, 0x7fffffff
	s_lshl_b64 s[18:19], s[18:19], 2
	s_mov_b32 s5, s4
	s_mov_b32 s6, s4
	;; [unrolled: 1-line block ×7, first 2 shown]
	v_dual_mov_b32 v1, s4 :: v_dual_and_b32 v42, 0x3ff, v0
	v_dual_mov_b32 v2, s5 :: v_dual_mov_b32 v3, s6
	s_wait_alu 0xfffe
	v_dual_mov_b32 v4, s7 :: v_dual_mov_b32 v5, s8
	s_delay_alu instid0(VALU_DEP_3)
	v_mul_lo_u32 v40, s26, v42
	v_cmp_gt_u32_e64 s0, s25, v42
	v_dual_mov_b32 v6, s9 :: v_dual_mov_b32 v7, s10
	v_dual_mov_b32 v8, s11 :: v_dual_mov_b32 v9, s4
	s_add_nc_u64 s[30:31], s[2:3], s[18:19]
	s_and_saveexec_b32 s1, s0
	s_cbranch_execz .LBB122_6
; %bb.5:
	v_mov_b32_e32 v41, 0
	s_delay_alu instid0(VALU_DEP_1) | instskip(NEXT) | instid1(VALU_DEP_1)
	v_lshlrev_b64_e32 v[1:2], 2, v[40:41]
	v_add_co_u32 v1, vcc_lo, s30, v1
	s_delay_alu instid0(VALU_DEP_1)
	v_add_co_ci_u32_e64 v2, null, s31, v2, vcc_lo
	global_load_b32 v9, v[1:2], off
	v_dual_mov_b32 v1, s4 :: v_dual_mov_b32 v4, s7
	v_dual_mov_b32 v2, s5 :: v_dual_mov_b32 v3, s6
	;; [unrolled: 1-line block ×4, first 2 shown]
.LBB122_6:
	s_or_b32 exec_lo, exec_lo, s1
	v_add_nc_u32_e32 v15, 0x80, v42
	s_delay_alu instid0(VALU_DEP_1)
	v_cmp_gt_u32_e64 s1, s25, v15
	s_and_saveexec_b32 s2, s1
	s_cbranch_execz .LBB122_8
; %bb.7:
	v_mul_lo_u32 v1, s26, v15
	v_mov_b32_e32 v2, 0
	s_delay_alu instid0(VALU_DEP_1) | instskip(NEXT) | instid1(VALU_DEP_1)
	v_lshlrev_b64_e32 v[1:2], 2, v[1:2]
	v_add_co_u32 v1, vcc_lo, s30, v1
	s_wait_alu 0xfffd
	s_delay_alu instid0(VALU_DEP_2)
	v_add_co_ci_u32_e64 v2, null, s31, v2, vcc_lo
	global_load_b32 v2, v[1:2], off
.LBB122_8:
	s_or_b32 exec_lo, exec_lo, s2
	v_add_nc_u32_e32 v16, 0x100, v42
	s_delay_alu instid0(VALU_DEP_1)
	v_cmp_gt_u32_e64 s2, s25, v16
	s_and_saveexec_b32 s3, s2
	s_cbranch_execz .LBB122_10
; %bb.9:
	v_mul_lo_u32 v10, s26, v16
	v_mov_b32_e32 v11, 0
	s_delay_alu instid0(VALU_DEP_1) | instskip(NEXT) | instid1(VALU_DEP_1)
	v_lshlrev_b64_e32 v[10:11], 2, v[10:11]
	v_add_co_u32 v10, vcc_lo, s30, v10
	s_wait_alu 0xfffd
	s_delay_alu instid0(VALU_DEP_2)
	v_add_co_ci_u32_e64 v11, null, s31, v11, vcc_lo
	global_load_b32 v3, v[10:11], off
.LBB122_10:
	;; [unrolled: 17-line block ×3, first 2 shown]
	s_wait_alu 0xfffe
	s_or_b32 exec_lo, exec_lo, s4
	v_add_nc_u32_e32 v20, 0x200, v42
	s_delay_alu instid0(VALU_DEP_1)
	v_cmp_gt_u32_e64 s4, s25, v20
	s_and_saveexec_b32 s5, s4
	s_cbranch_execz .LBB122_14
; %bb.13:
	v_mul_lo_u32 v10, s26, v20
	v_mov_b32_e32 v11, 0
	s_delay_alu instid0(VALU_DEP_1) | instskip(NEXT) | instid1(VALU_DEP_1)
	v_lshlrev_b64_e32 v[10:11], 2, v[10:11]
	v_add_co_u32 v10, vcc_lo, s30, v10
	s_wait_alu 0xfffd
	s_delay_alu instid0(VALU_DEP_2)
	v_add_co_ci_u32_e64 v11, null, s31, v11, vcc_lo
	global_load_b32 v5, v[10:11], off
.LBB122_14:
	s_wait_alu 0xfffe
	s_or_b32 exec_lo, exec_lo, s5
	v_add_nc_u32_e32 v21, 0x280, v42
	s_delay_alu instid0(VALU_DEP_1)
	v_cmp_gt_u32_e64 s5, s25, v21
	s_and_saveexec_b32 s6, s5
	s_cbranch_execz .LBB122_16
; %bb.15:
	v_mul_lo_u32 v10, s26, v21
	v_mov_b32_e32 v11, 0
	s_delay_alu instid0(VALU_DEP_1) | instskip(NEXT) | instid1(VALU_DEP_1)
	v_lshlrev_b64_e32 v[10:11], 2, v[10:11]
	v_add_co_u32 v10, vcc_lo, s30, v10
	s_wait_alu 0xfffd
	s_delay_alu instid0(VALU_DEP_2)
	v_add_co_ci_u32_e64 v11, null, s31, v11, vcc_lo
	global_load_b32 v6, v[10:11], off
.LBB122_16:
	;; [unrolled: 18-line block ×3, first 2 shown]
	s_wait_alu 0xfffe
	s_or_b32 exec_lo, exec_lo, s7
	s_clause 0x1
	s_load_b32 s10, s[14:15], 0x6c
	s_load_b64 s[8:9], s[14:15], 0x0
	v_add_nc_u32_e32 v23, 0x380, v42
	s_delay_alu instid0(VALU_DEP_1)
	v_cmp_gt_u32_e64 s7, s25, v23
	s_and_saveexec_b32 s11, s7
	s_cbranch_execz .LBB122_20
; %bb.19:
	v_mul_lo_u32 v10, s26, v23
	v_mov_b32_e32 v11, 0
	s_delay_alu instid0(VALU_DEP_1) | instskip(NEXT) | instid1(VALU_DEP_1)
	v_lshlrev_b64_e32 v[10:11], 2, v[10:11]
	v_add_co_u32 v10, vcc_lo, s30, v10
	s_wait_alu 0xfffd
	s_delay_alu instid0(VALU_DEP_2)
	v_add_co_ci_u32_e64 v11, null, s31, v11, vcc_lo
	global_load_b32 v8, v[10:11], off
.LBB122_20:
	s_wait_alu 0xfffe
	s_or_b32 exec_lo, exec_lo, s11
	v_lshrrev_b32_e32 v17, 5, v42
	v_lshrrev_b32_e32 v1, 5, v15
	;; [unrolled: 1-line block ×3, first 2 shown]
	s_wait_kmcnt 0x0
	s_mul_i32 s10, s10, s16
	v_mul_lo_u32 v37, s28, v42
	v_dual_mov_b32 v38, 0 :: v_dual_add_nc_u32 v27, v17, v42
	v_add_nc_u32_e32 v26, v1, v42
	v_lshrrev_b32_e32 v1, 5, v19
	v_dual_mov_b32 v13, 0 :: v_dual_add_nc_u32 v24, v10, v42
	s_delay_alu instid0(VALU_DEP_4) | instskip(NEXT) | instid1(VALU_DEP_3)
	v_dual_mov_b32 v10, v38 :: v_dual_lshlrev_b32 v73, 2, v27
	v_add_nc_u32_e32 v25, v1, v42
	v_lshrrev_b32_e32 v1, 5, v20
	v_mov_b32_e32 v39, v38
	v_lshlrev_b32_e32 v41, 2, v26
	v_lshlrev_b32_e32 v74, 2, v24
	;; [unrolled: 1-line block ×3, first 2 shown]
	v_add_nc_u32_e32 v28, v1, v42
	v_lshrrev_b32_e32 v1, 5, v21
	s_wait_loadcnt 0x0
	ds_store_b32 v73, v9
	ds_store_b32 v41, v2 offset:512
	ds_store_b32 v74, v3 offset:1024
	v_lshrrev_b32_e32 v2, 5, v22
	v_lshrrev_b32_e32 v3, 5, v23
	v_lshlrev_b32_e32 v75, 2, v25
	v_add_nc_u32_e32 v32, v1, v42
	v_lshrrev_b32_e32 v1, 2, v42
	v_add_nc_u32_e32 v30, v2, v42
	v_add_nc_u32_e32 v29, v3, v42
	ds_store_b32 v75, v4 offset:1536
	v_mov_b32_e32 v3, v38
	v_add_nc_u32_e32 v31, v1, v18
	v_dual_mov_b32 v1, v38 :: v_dual_lshlrev_b32 v76, 2, v28
	v_dual_mov_b32 v11, v38 :: v_dual_lshlrev_b32 v78, 2, v30
	s_delay_alu instid0(VALU_DEP_3)
	v_lshlrev_b32_e32 v80, 2, v31
	v_dual_mov_b32 v12, v38 :: v_dual_lshlrev_b32 v79, 2, v29
	ds_store_b32 v76, v5 offset:2048
	v_mov_b32_e32 v5, v38
	v_dual_mov_b32 v14, 0 :: v_dual_lshlrev_b32 v77, 2, v32
	ds_store_b32 v77, v6 offset:2560
	ds_store_b32 v78, v7 offset:3072
	;; [unrolled: 1-line block ×3, first 2 shown]
	s_wait_dscnt 0x0
	s_barrier_signal -1
	s_barrier_wait -1
	global_inv scope:SCOPE_SE
	ds_load_2addr_b32 v[49:50], v80 offset1:1
	ds_load_2addr_b32 v[47:48], v80 offset0:2 offset1:3
	ds_load_2addr_b32 v[45:46], v80 offset0:4 offset1:5
	;; [unrolled: 1-line block ×3, first 2 shown]
	s_mov_b32 s11, 0
	s_wait_alu 0xfffe
	s_add_co_i32 s10, s10, s13
	v_dual_mov_b32 v9, v38 :: v_dual_mov_b32 v2, v38
	v_mov_b32_e32 v4, v38
	v_dual_mov_b32 v6, v38 :: v_dual_mov_b32 v7, v38
	v_mov_b32_e32 v8, v38
	s_wait_alu 0xfffe
	s_lshl_b64 s[10:11], s[10:11], 3
	s_wait_loadcnt_dscnt 0x0
	s_wait_alu 0xfffe
	s_add_nc_u64 s[24:25], s[8:9], s[10:11]
	s_barrier_signal -1
	s_barrier_wait -1
	global_inv scope:SCOPE_SE
	s_and_saveexec_b32 s8, s0
	s_cbranch_execnz .LBB122_56
; %bb.21:
	s_wait_alu 0xfffe
	s_or_b32 exec_lo, exec_lo, s8
	s_and_saveexec_b32 s8, s1
	s_cbranch_execnz .LBB122_57
.LBB122_22:
	s_wait_alu 0xfffe
	s_or_b32 exec_lo, exec_lo, s8
	s_and_saveexec_b32 s8, s2
	s_cbranch_execnz .LBB122_58
.LBB122_23:
	s_wait_alu 0xfffe
	s_or_b32 exec_lo, exec_lo, s8
	s_and_saveexec_b32 s8, s3
	s_cbranch_execnz .LBB122_59
.LBB122_24:
	s_wait_alu 0xfffe
	s_or_b32 exec_lo, exec_lo, s8
	s_and_saveexec_b32 s8, s4
	s_cbranch_execnz .LBB122_60
.LBB122_25:
	s_wait_alu 0xfffe
	s_or_b32 exec_lo, exec_lo, s8
	s_and_saveexec_b32 s8, s5
	s_cbranch_execnz .LBB122_61
.LBB122_26:
	s_wait_alu 0xfffe
	s_or_b32 exec_lo, exec_lo, s8
	s_and_saveexec_b32 s8, s6
	s_cbranch_execnz .LBB122_62
.LBB122_27:
	s_wait_alu 0xfffe
	s_or_b32 exec_lo, exec_lo, s8
	s_xor_b32 s8, s12, -1
	s_and_saveexec_b32 s9, s7
	s_cbranch_execz .LBB122_29
.LBB122_28:
	v_mul_lo_u32 v11, s28, v23
	v_mov_b32_e32 v12, 0
	s_delay_alu instid0(VALU_DEP_1) | instskip(NEXT) | instid1(VALU_DEP_1)
	v_lshlrev_b64_e32 v[11:12], 3, v[11:12]
	v_add_co_u32 v11, vcc_lo, s24, v11
	s_wait_alu 0xfffd
	s_delay_alu instid0(VALU_DEP_2)
	v_add_co_ci_u32_e64 v12, null, s25, v12, vcc_lo
	global_load_b64 v[11:12], v[11:12], off
.LBB122_29:
	s_wait_alu 0xfffe
	s_or_b32 exec_lo, exec_lo, s9
	v_lshlrev_b32_e32 v81, 3, v27
	v_lshlrev_b32_e32 v84, 3, v25
	;; [unrolled: 1-line block ×9, first 2 shown]
	s_wait_loadcnt 0x0
	ds_store_b64 v81, v[13:14]
	ds_store_b64 v82, v[38:39] offset:1024
	ds_store_b64 v83, v[9:10] offset:2048
	;; [unrolled: 1-line block ×7, first 2 shown]
	s_wait_dscnt 0x0
	s_barrier_signal -1
	s_barrier_wait -1
	global_inv scope:SCOPE_SE
	ds_load_2addr_b64 v[5:8], v89 offset1:1
	ds_load_2addr_b64 v[1:4], v89 offset0:2 offset1:3
	v_mbcnt_lo_u32_b32 v93, -1, 0
	v_and_b32_e32 v20, 0x1f00, v18
	ds_load_2addr_b64 v[13:16], v89 offset0:4 offset1:5
	ds_load_2addr_b64 v[9:12], v89 offset0:6 offset1:7
	v_and_b32_e32 v19, 0x3e0, v42
	s_and_b32 vcc_lo, exec_lo, s8
	v_bfe_u32 v98, v0, 10, 10
	v_or_b32_e32 v20, v93, v20
	v_bfe_u32 v99, v0, 20, 10
	v_or_b32_e32 v21, v93, v19
	v_lshlrev_b32_e32 v90, 2, v18
	v_and_b32_e32 v96, 15, v93
	v_lshlrev_b32_e32 v91, 2, v20
	v_and_b32_e32 v95, 16, v93
	v_lshlrev_b32_e32 v101, 3, v21
	v_lshlrev_b32_e32 v102, 5, v21
	v_min_u32_e32 v97, 0x60, v19
	v_lshl_add_u32 v100, v20, 2, v91
	v_cmp_gt_u32_e64 s8, 4, v42
	v_cmp_lt_u32_e64 s9, 31, v42
	v_cmp_eq_u32_e64 s10, 0, v42
	v_lshlrev_b32_e32 v92, 2, v17
	v_mul_i32_i24_e32 v94, 0xffffffe4, v42
	v_and_b32_e32 v0, 3, v93
	s_mov_b32 s20, 0
	s_mov_b32 s11, -1
	s_wait_loadcnt_dscnt 0x0
	s_barrier_signal -1
	s_barrier_wait -1
	global_inv scope:SCOPE_SE
	s_wait_alu 0xfffe
	s_cbranch_vccz .LBB122_63
; %bb.30:
	v_xor_b32_e32 v17, 0x80000000, v49
	v_xor_b32_e32 v18, 0x80000000, v50
	;; [unrolled: 1-line block ×8, first 2 shown]
	ds_store_b128 v102, v[17:20]
	ds_store_b128 v102, v[21:24] offset:16
	v_dual_mov_b32 v106, 0 :: v_dual_lshlrev_b32 v17, 3, v101
	; wave barrier
	ds_load_2addr_b32 v[65:66], v91 offset1:32
	ds_load_2addr_b32 v[67:68], v91 offset0:64 offset1:96
	ds_load_2addr_b32 v[69:70], v91 offset0:128 offset1:160
	;; [unrolled: 1-line block ×3, first 2 shown]
	s_wait_loadcnt_dscnt 0x0
	s_barrier_signal -1
	s_barrier_wait -1
	global_inv scope:SCOPE_SE
	ds_store_b128 v17, v[5:8]
	ds_store_b128 v17, v[1:4] offset:16
	ds_store_b128 v17, v[13:16] offset:32
	;; [unrolled: 1-line block ×3, first 2 shown]
	; wave barrier
	ds_load_2addr_b64 v[21:24], v100 offset1:32
	ds_load_2addr_b64 v[25:28], v100 offset0:64 offset1:96
	ds_load_2addr_b64 v[29:32], v100 offset0:128 offset1:160
	;; [unrolled: 1-line block ×3, first 2 shown]
	s_wait_loadcnt_dscnt 0x0
	s_barrier_signal -1
	s_barrier_wait -1
	global_inv scope:SCOPE_SE
	s_load_b32 s11, s[34:35], 0xc
	s_getpc_b64 s[12:13]
	s_sext_i32_i16 s13, s13
	s_add_co_u32 s12, s12, _ZN7rocprim17ROCPRIM_400000_NS16block_radix_sortIiLj128ELj8ElLj1ELj1ELj0ELNS0_26block_radix_rank_algorithmE1ELNS0_18block_padding_hintE2ELNS0_4arch9wavefront6targetE0EE19radix_bits_per_passE@rel32@lo+8
	s_add_co_ci_u32 s13, s13, _ZN7rocprim17ROCPRIM_400000_NS16block_radix_sortIiLj128ELj8ElLj1ELj1ELj0ELNS0_26block_radix_rank_algorithmE1ELNS0_18block_padding_hintE2ELNS0_4arch9wavefront6targetE0EE19radix_bits_per_passE@rel32@hi+16
	v_or_b32_e32 v19, 31, v97
	s_load_b32 s27, s[12:13], 0x0
	s_mov_b32 s21, s20
	s_mov_b32 s22, s20
	;; [unrolled: 1-line block ×3, first 2 shown]
	v_cmp_eq_u32_e64 s17, v42, v19
	v_add_nc_u32_e32 v104, -4, v92
	v_cmp_eq_u32_e64 s12, 0, v96
	v_cmp_lt_u32_e64 s13, 1, v96
	v_cmp_lt_u32_e64 s15, 7, v96
	v_cmp_eq_u32_e64 s16, 0, v95
	v_cmp_eq_u32_e64 s18, 0, v0
	v_cmp_lt_u32_e64 s19, 1, v0
	v_add_nc_u32_e32 v107, v90, v94
	v_add_nc_u32_e32 v108, v91, v91
	s_wait_kmcnt 0x0
	s_lshr_b32 s14, s11, 16
	s_and_b32 s11, s11, 0xffff
	v_mad_u32_u24 v17, v99, s14, v98
	v_cmp_lt_u32_e64 s14, 3, v96
	s_wait_alu 0xfffe
	s_delay_alu instid0(VALU_DEP_2) | instskip(SKIP_1) | instid1(VALU_DEP_1)
	v_mad_co_u64_u32 v[17:18], null, v17, s11, v[42:43]
	v_sub_co_u32 v18, s11, v93, 1
	v_cmp_gt_i32_e32 vcc_lo, 0, v18
	s_delay_alu instid0(VALU_DEP_3) | instskip(SKIP_2) | instid1(VALU_DEP_2)
	v_lshrrev_b32_e32 v17, 3, v17
	s_wait_alu 0xfffd
	v_cndmask_b32_e32 v18, v18, v93, vcc_lo
	v_and_b32_e32 v105, 0x1ffffffc, v17
	s_delay_alu instid0(VALU_DEP_2)
	v_lshlrev_b32_e32 v103, 2, v18
	v_dual_mov_b32 v17, s20 :: v_dual_mov_b32 v18, s21
	v_dual_mov_b32 v19, s22 :: v_dual_mov_b32 v20, s23
	s_mov_b32 s21, 32
	s_branch .LBB122_32
.LBB122_31:                             ;   in Loop: Header=BB122_32 Depth=1
	s_wait_alu 0xfffe
	s_and_not1_b32 vcc_lo, exec_lo, s22
	s_mov_b32 s21, s20
	s_wait_alu 0xfffe
	s_cbranch_vccz .LBB122_64
.LBB122_32:                             ; =>This Inner Loop Header: Depth=1
	v_dual_mov_b32 v109, v65 :: v_dual_mov_b32 v110, v72
	s_wait_alu 0xfffe
	s_min_u32 s20, s27, s21
	v_mov_b32_e32 v60, v26
	s_wait_alu 0xfffe
	s_lshl_b32 s20, -1, s20
	v_lshrrev_b32_e32 v38, v106, v109
	s_wait_alu 0xfffe
	s_not_b32 s22, s20
	v_mov_b32_e32 v62, v24
	v_mov_b32_e32 v64, v22
	ds_store_b128 v90, v[17:20] offset:16
	ds_store_b128 v90, v[17:20] offset:32
	s_wait_alu 0xfffe
	v_dual_mov_b32 v112, v70 :: v_dual_and_b32 v65, s22, v38
	v_mov_b32_e32 v111, v71
	s_wait_loadcnt_dscnt 0x0
	s_barrier_signal -1
	s_delay_alu instid0(VALU_DEP_2) | instskip(SKIP_2) | instid1(VALU_DEP_3)
	v_and_b32_e32 v38, 1, v65
	v_dual_mov_b32 v114, v68 :: v_dual_lshlrev_b32 v39, 30, v65
	v_dual_mov_b32 v116, v66 :: v_dual_lshlrev_b32 v51, 29, v65
	v_add_co_u32 v38, s20, v38, -1
	s_wait_alu 0xf1ff
	v_cndmask_b32_e64 v53, 0, 1, s20
	v_not_b32_e32 v57, v39
	v_dual_mov_b32 v113, v69 :: v_dual_lshlrev_b32 v52, 28, v65
	v_cmp_gt_i32_e64 s20, 0, v39
	s_delay_alu instid0(VALU_DEP_4)
	v_cmp_ne_u32_e32 vcc_lo, 0, v53
	v_not_b32_e32 v39, v51
	v_ashrrev_i32_e32 v57, 31, v57
	v_dual_mov_b32 v115, v67 :: v_dual_lshlrev_b32 v54, 27, v65
	s_wait_alu 0xfffd
	v_xor_b32_e32 v38, vcc_lo, v38
	v_cmp_gt_i32_e32 vcc_lo, 0, v51
	v_not_b32_e32 v51, v52
	v_ashrrev_i32_e32 v39, 31, v39
	s_wait_alu 0xf1ff
	v_xor_b32_e32 v57, s20, v57
	v_and_b32_e32 v38, exec_lo, v38
	v_cmp_gt_i32_e64 s20, 0, v52
	v_not_b32_e32 v52, v54
	v_lshlrev_b32_e32 v55, 26, v65
	v_ashrrev_i32_e32 v51, 31, v51
	s_wait_alu 0xfffd
	v_xor_b32_e32 v39, vcc_lo, v39
	v_and_b32_e32 v38, v38, v57
	v_lshlrev_b32_e32 v56, 25, v65
	v_cmp_gt_i32_e32 vcc_lo, 0, v54
	v_ashrrev_i32_e32 v52, 31, v52
	v_not_b32_e32 v54, v55
	s_wait_alu 0xf1ff
	v_xor_b32_e32 v51, s20, v51
	v_and_b32_e32 v38, v38, v39
	v_cmp_gt_i32_e64 s20, 0, v55
	v_not_b32_e32 v39, v56
	s_wait_alu 0xfffd
	v_xor_b32_e32 v52, vcc_lo, v52
	v_cmp_gt_i32_e32 vcc_lo, 0, v56
	v_dual_mov_b32 v56, v30 :: v_dual_lshlrev_b32 v53, 24, v65
	v_ashrrev_i32_e32 v54, 31, v54
	v_dual_mov_b32 v55, v29 :: v_dual_and_b32 v38, v38, v51
	v_ashrrev_i32_e32 v39, 31, v39
	s_delay_alu instid0(VALU_DEP_4)
	v_not_b32_e32 v51, v53
	s_wait_alu 0xf1ff
	v_xor_b32_e32 v54, s20, v54
	v_cmp_gt_i32_e64 s20, 0, v53
	v_dual_mov_b32 v59, v25 :: v_dual_and_b32 v38, v38, v52
	v_ashrrev_i32_e32 v51, 31, v51
	s_wait_alu 0xfffd
	v_xor_b32_e32 v39, vcc_lo, v39
	s_delay_alu instid0(VALU_DEP_3)
	v_dual_mov_b32 v61, v23 :: v_dual_and_b32 v38, v38, v54
	v_mov_b32_e32 v63, v21
	s_wait_alu 0xf1ff
	v_xor_b32_e32 v57, s20, v51
	v_dual_mov_b32 v52, v34 :: v_dual_lshlrev_b32 v21, 4, v65
	v_and_b32_e32 v58, v38, v39
	v_dual_mov_b32 v54, v32 :: v_dual_mov_b32 v53, v31
	v_dual_mov_b32 v39, v36 :: v_dual_mov_b32 v38, v35
	s_delay_alu instid0(VALU_DEP_3) | instskip(SKIP_2) | instid1(VALU_DEP_3)
	v_dual_mov_b32 v58, v28 :: v_dual_and_b32 v31, v58, v57
	v_mov_b32_e32 v51, v33
	v_dual_mov_b32 v57, v27 :: v_dual_add_nc_u32 v30, v105, v21
	v_mbcnt_lo_u32_b32 v29, v31, 0
	v_cmp_ne_u32_e64 s20, 0, v31
	s_barrier_wait -1
	global_inv scope:SCOPE_SE
	v_cmp_eq_u32_e32 vcc_lo, 0, v29
	; wave barrier
	s_and_b32 s23, s20, vcc_lo
	s_wait_alu 0xfffe
	s_and_saveexec_b32 s20, s23
; %bb.33:                               ;   in Loop: Header=BB122_32 Depth=1
	v_bcnt_u32_b32 v21, v31, 0
	ds_store_b32 v30, v21 offset:16
; %bb.34:                               ;   in Loop: Header=BB122_32 Depth=1
	s_wait_alu 0xfffe
	s_or_b32 exec_lo, exec_lo, s20
	v_lshrrev_b32_e32 v21, v106, v116
	; wave barrier
	s_delay_alu instid0(VALU_DEP_1) | instskip(NEXT) | instid1(VALU_DEP_1)
	v_and_b32_e32 v21, s22, v21
	v_and_b32_e32 v22, 1, v21
	v_lshlrev_b32_e32 v23, 30, v21
	v_lshlrev_b32_e32 v24, 29, v21
	;; [unrolled: 1-line block ×4, first 2 shown]
	v_add_co_u32 v22, s20, v22, -1
	s_wait_alu 0xf1ff
	v_cndmask_b32_e64 v26, 0, 1, s20
	v_not_b32_e32 v32, v23
	v_cmp_gt_i32_e64 s20, 0, v23
	v_not_b32_e32 v23, v24
	v_lshlrev_b32_e32 v28, 26, v21
	v_cmp_ne_u32_e32 vcc_lo, 0, v26
	v_ashrrev_i32_e32 v32, 31, v32
	v_lshlrev_b32_e32 v31, 25, v21
	v_ashrrev_i32_e32 v23, 31, v23
	v_lshlrev_b32_e32 v26, 24, v21
	s_wait_alu 0xfffd
	v_xor_b32_e32 v22, vcc_lo, v22
	v_cmp_gt_i32_e32 vcc_lo, 0, v24
	v_not_b32_e32 v24, v25
	s_wait_alu 0xf1ff
	v_xor_b32_e32 v32, s20, v32
	v_cmp_gt_i32_e64 s20, 0, v25
	v_and_b32_e32 v22, exec_lo, v22
	v_not_b32_e32 v25, v27
	v_ashrrev_i32_e32 v24, 31, v24
	s_wait_alu 0xfffd
	v_xor_b32_e32 v23, vcc_lo, v23
	v_cmp_gt_i32_e32 vcc_lo, 0, v27
	v_and_b32_e32 v22, v22, v32
	v_not_b32_e32 v27, v28
	v_ashrrev_i32_e32 v25, 31, v25
	s_wait_alu 0xf1ff
	v_xor_b32_e32 v24, s20, v24
	v_cmp_gt_i32_e64 s20, 0, v28
	v_and_b32_e32 v22, v22, v23
	v_not_b32_e32 v23, v31
	v_ashrrev_i32_e32 v27, 31, v27
	s_wait_alu 0xfffd
	v_xor_b32_e32 v25, vcc_lo, v25
	v_cmp_gt_i32_e32 vcc_lo, 0, v31
	v_and_b32_e32 v22, v22, v24
	v_not_b32_e32 v24, v26
	v_ashrrev_i32_e32 v23, 31, v23
	s_wait_alu 0xf1ff
	v_xor_b32_e32 v27, s20, v27
	v_lshlrev_b32_e32 v21, 4, v21
	v_and_b32_e32 v22, v22, v25
	v_cmp_gt_i32_e64 s20, 0, v26
	v_ashrrev_i32_e32 v24, 31, v24
	s_wait_alu 0xfffd
	v_xor_b32_e32 v23, vcc_lo, v23
	v_add_nc_u32_e32 v33, v105, v21
	v_and_b32_e32 v22, v22, v27
	s_wait_alu 0xf1ff
	v_xor_b32_e32 v21, s20, v24
	ds_load_b32 v31, v33 offset:16
	v_and_b32_e32 v22, v22, v23
	; wave barrier
	s_delay_alu instid0(VALU_DEP_1) | instskip(NEXT) | instid1(VALU_DEP_1)
	v_and_b32_e32 v21, v22, v21
	v_mbcnt_lo_u32_b32 v32, v21, 0
	v_cmp_ne_u32_e64 s20, 0, v21
	s_delay_alu instid0(VALU_DEP_2)
	v_cmp_eq_u32_e32 vcc_lo, 0, v32
	s_and_b32 s23, s20, vcc_lo
	s_wait_alu 0xfffe
	s_and_saveexec_b32 s20, s23
	s_cbranch_execz .LBB122_36
; %bb.35:                               ;   in Loop: Header=BB122_32 Depth=1
	s_wait_dscnt 0x0
	v_bcnt_u32_b32 v21, v21, v31
	ds_store_b32 v33, v21 offset:16
.LBB122_36:                             ;   in Loop: Header=BB122_32 Depth=1
	s_wait_alu 0xfffe
	s_or_b32 exec_lo, exec_lo, s20
	v_lshrrev_b32_e32 v21, v106, v115
	; wave barrier
	s_delay_alu instid0(VALU_DEP_1) | instskip(NEXT) | instid1(VALU_DEP_1)
	v_and_b32_e32 v21, s22, v21
	v_and_b32_e32 v22, 1, v21
	v_lshlrev_b32_e32 v23, 30, v21
	v_lshlrev_b32_e32 v24, 29, v21
	;; [unrolled: 1-line block ×4, first 2 shown]
	v_add_co_u32 v22, s20, v22, -1
	s_wait_alu 0xf1ff
	v_cndmask_b32_e64 v26, 0, 1, s20
	v_not_b32_e32 v35, v23
	v_cmp_gt_i32_e64 s20, 0, v23
	v_not_b32_e32 v23, v24
	v_lshlrev_b32_e32 v28, 26, v21
	v_cmp_ne_u32_e32 vcc_lo, 0, v26
	v_ashrrev_i32_e32 v35, 31, v35
	v_lshlrev_b32_e32 v34, 25, v21
	v_ashrrev_i32_e32 v23, 31, v23
	v_lshlrev_b32_e32 v26, 24, v21
	s_wait_alu 0xfffd
	v_xor_b32_e32 v22, vcc_lo, v22
	v_cmp_gt_i32_e32 vcc_lo, 0, v24
	v_not_b32_e32 v24, v25
	s_wait_alu 0xf1ff
	v_xor_b32_e32 v35, s20, v35
	v_cmp_gt_i32_e64 s20, 0, v25
	v_and_b32_e32 v22, exec_lo, v22
	v_not_b32_e32 v25, v27
	v_ashrrev_i32_e32 v24, 31, v24
	s_wait_alu 0xfffd
	v_xor_b32_e32 v23, vcc_lo, v23
	v_cmp_gt_i32_e32 vcc_lo, 0, v27
	v_and_b32_e32 v22, v22, v35
	v_not_b32_e32 v27, v28
	v_ashrrev_i32_e32 v25, 31, v25
	s_wait_alu 0xf1ff
	v_xor_b32_e32 v24, s20, v24
	v_cmp_gt_i32_e64 s20, 0, v28
	v_and_b32_e32 v22, v22, v23
	v_not_b32_e32 v23, v34
	v_ashrrev_i32_e32 v27, 31, v27
	s_wait_alu 0xfffd
	v_xor_b32_e32 v25, vcc_lo, v25
	v_cmp_gt_i32_e32 vcc_lo, 0, v34
	v_and_b32_e32 v22, v22, v24
	v_not_b32_e32 v24, v26
	v_ashrrev_i32_e32 v23, 31, v23
	s_wait_alu 0xf1ff
	v_xor_b32_e32 v27, s20, v27
	v_lshlrev_b32_e32 v21, 4, v21
	v_and_b32_e32 v22, v22, v25
	v_cmp_gt_i32_e64 s20, 0, v26
	v_ashrrev_i32_e32 v24, 31, v24
	s_wait_alu 0xfffd
	v_xor_b32_e32 v23, vcc_lo, v23
	v_add_nc_u32_e32 v36, v105, v21
	v_and_b32_e32 v22, v22, v27
	s_wait_alu 0xf1ff
	v_xor_b32_e32 v21, s20, v24
	ds_load_b32 v34, v36 offset:16
	v_and_b32_e32 v22, v22, v23
	; wave barrier
	s_delay_alu instid0(VALU_DEP_1) | instskip(NEXT) | instid1(VALU_DEP_1)
	v_and_b32_e32 v21, v22, v21
	v_mbcnt_lo_u32_b32 v35, v21, 0
	v_cmp_ne_u32_e64 s20, 0, v21
	s_delay_alu instid0(VALU_DEP_2)
	v_cmp_eq_u32_e32 vcc_lo, 0, v35
	s_and_b32 s23, s20, vcc_lo
	s_wait_alu 0xfffe
	s_and_saveexec_b32 s20, s23
	s_cbranch_execz .LBB122_38
; %bb.37:                               ;   in Loop: Header=BB122_32 Depth=1
	s_wait_dscnt 0x0
	v_bcnt_u32_b32 v21, v21, v34
	ds_store_b32 v36, v21 offset:16
.LBB122_38:                             ;   in Loop: Header=BB122_32 Depth=1
	s_wait_alu 0xfffe
	s_or_b32 exec_lo, exec_lo, s20
	v_lshrrev_b32_e32 v21, v106, v114
	; wave barrier
	s_delay_alu instid0(VALU_DEP_1) | instskip(NEXT) | instid1(VALU_DEP_1)
	v_and_b32_e32 v21, s22, v21
	v_and_b32_e32 v22, 1, v21
	v_lshlrev_b32_e32 v23, 30, v21
	v_lshlrev_b32_e32 v24, 29, v21
	;; [unrolled: 1-line block ×4, first 2 shown]
	v_add_co_u32 v22, s20, v22, -1
	s_wait_alu 0xf1ff
	v_cndmask_b32_e64 v26, 0, 1, s20
	v_not_b32_e32 v66, v23
	v_cmp_gt_i32_e64 s20, 0, v23
	v_not_b32_e32 v23, v24
	v_lshlrev_b32_e32 v28, 26, v21
	v_cmp_ne_u32_e32 vcc_lo, 0, v26
	v_ashrrev_i32_e32 v66, 31, v66
	v_lshlrev_b32_e32 v65, 25, v21
	v_ashrrev_i32_e32 v23, 31, v23
	v_lshlrev_b32_e32 v26, 24, v21
	s_wait_alu 0xfffd
	v_xor_b32_e32 v22, vcc_lo, v22
	v_cmp_gt_i32_e32 vcc_lo, 0, v24
	v_not_b32_e32 v24, v25
	s_wait_alu 0xf1ff
	v_xor_b32_e32 v66, s20, v66
	v_cmp_gt_i32_e64 s20, 0, v25
	v_and_b32_e32 v22, exec_lo, v22
	v_not_b32_e32 v25, v27
	v_ashrrev_i32_e32 v24, 31, v24
	s_wait_alu 0xfffd
	v_xor_b32_e32 v23, vcc_lo, v23
	v_cmp_gt_i32_e32 vcc_lo, 0, v27
	v_and_b32_e32 v22, v22, v66
	v_not_b32_e32 v27, v28
	v_ashrrev_i32_e32 v25, 31, v25
	s_wait_alu 0xf1ff
	v_xor_b32_e32 v24, s20, v24
	v_cmp_gt_i32_e64 s20, 0, v28
	v_and_b32_e32 v22, v22, v23
	v_not_b32_e32 v23, v65
	v_ashrrev_i32_e32 v27, 31, v27
	s_wait_alu 0xfffd
	v_xor_b32_e32 v25, vcc_lo, v25
	v_cmp_gt_i32_e32 vcc_lo, 0, v65
	v_and_b32_e32 v22, v22, v24
	v_not_b32_e32 v24, v26
	v_ashrrev_i32_e32 v23, 31, v23
	s_wait_alu 0xf1ff
	v_xor_b32_e32 v27, s20, v27
	v_lshlrev_b32_e32 v21, 4, v21
	v_and_b32_e32 v22, v22, v25
	v_cmp_gt_i32_e64 s20, 0, v26
	v_ashrrev_i32_e32 v24, 31, v24
	s_wait_alu 0xfffd
	v_xor_b32_e32 v23, vcc_lo, v23
	v_add_nc_u32_e32 v67, v105, v21
	v_and_b32_e32 v22, v22, v27
	s_wait_alu 0xf1ff
	v_xor_b32_e32 v21, s20, v24
	ds_load_b32 v65, v67 offset:16
	v_and_b32_e32 v22, v22, v23
	; wave barrier
	s_delay_alu instid0(VALU_DEP_1) | instskip(NEXT) | instid1(VALU_DEP_1)
	v_and_b32_e32 v21, v22, v21
	v_mbcnt_lo_u32_b32 v66, v21, 0
	v_cmp_ne_u32_e64 s20, 0, v21
	s_delay_alu instid0(VALU_DEP_2)
	v_cmp_eq_u32_e32 vcc_lo, 0, v66
	s_and_b32 s23, s20, vcc_lo
	s_wait_alu 0xfffe
	s_and_saveexec_b32 s20, s23
	s_cbranch_execz .LBB122_40
; %bb.39:                               ;   in Loop: Header=BB122_32 Depth=1
	s_wait_dscnt 0x0
	v_bcnt_u32_b32 v21, v21, v65
	ds_store_b32 v67, v21 offset:16
.LBB122_40:                             ;   in Loop: Header=BB122_32 Depth=1
	s_wait_alu 0xfffe
	s_or_b32 exec_lo, exec_lo, s20
	v_lshrrev_b32_e32 v21, v106, v113
	; wave barrier
	s_delay_alu instid0(VALU_DEP_1) | instskip(NEXT) | instid1(VALU_DEP_1)
	v_and_b32_e32 v21, s22, v21
	v_and_b32_e32 v22, 1, v21
	v_lshlrev_b32_e32 v23, 30, v21
	v_lshlrev_b32_e32 v24, 29, v21
	;; [unrolled: 1-line block ×4, first 2 shown]
	v_add_co_u32 v22, s20, v22, -1
	s_wait_alu 0xf1ff
	v_cndmask_b32_e64 v26, 0, 1, s20
	v_not_b32_e32 v69, v23
	v_cmp_gt_i32_e64 s20, 0, v23
	v_not_b32_e32 v23, v24
	v_lshlrev_b32_e32 v28, 26, v21
	v_cmp_ne_u32_e32 vcc_lo, 0, v26
	v_ashrrev_i32_e32 v69, 31, v69
	v_lshlrev_b32_e32 v68, 25, v21
	v_ashrrev_i32_e32 v23, 31, v23
	v_lshlrev_b32_e32 v26, 24, v21
	s_wait_alu 0xfffd
	v_xor_b32_e32 v22, vcc_lo, v22
	v_cmp_gt_i32_e32 vcc_lo, 0, v24
	v_not_b32_e32 v24, v25
	s_wait_alu 0xf1ff
	v_xor_b32_e32 v69, s20, v69
	v_cmp_gt_i32_e64 s20, 0, v25
	v_and_b32_e32 v22, exec_lo, v22
	v_not_b32_e32 v25, v27
	v_ashrrev_i32_e32 v24, 31, v24
	s_wait_alu 0xfffd
	v_xor_b32_e32 v23, vcc_lo, v23
	v_cmp_gt_i32_e32 vcc_lo, 0, v27
	v_and_b32_e32 v22, v22, v69
	v_not_b32_e32 v27, v28
	v_ashrrev_i32_e32 v25, 31, v25
	s_wait_alu 0xf1ff
	v_xor_b32_e32 v24, s20, v24
	v_cmp_gt_i32_e64 s20, 0, v28
	v_and_b32_e32 v22, v22, v23
	v_not_b32_e32 v23, v68
	v_ashrrev_i32_e32 v27, 31, v27
	s_wait_alu 0xfffd
	v_xor_b32_e32 v25, vcc_lo, v25
	v_cmp_gt_i32_e32 vcc_lo, 0, v68
	v_and_b32_e32 v22, v22, v24
	v_not_b32_e32 v24, v26
	v_ashrrev_i32_e32 v23, 31, v23
	s_wait_alu 0xf1ff
	v_xor_b32_e32 v27, s20, v27
	v_lshlrev_b32_e32 v21, 4, v21
	v_and_b32_e32 v22, v22, v25
	v_cmp_gt_i32_e64 s20, 0, v26
	v_ashrrev_i32_e32 v24, 31, v24
	s_wait_alu 0xfffd
	v_xor_b32_e32 v23, vcc_lo, v23
	v_add_nc_u32_e32 v70, v105, v21
	v_and_b32_e32 v22, v22, v27
	s_wait_alu 0xf1ff
	v_xor_b32_e32 v21, s20, v24
	ds_load_b32 v68, v70 offset:16
	v_and_b32_e32 v22, v22, v23
	; wave barrier
	s_delay_alu instid0(VALU_DEP_1) | instskip(NEXT) | instid1(VALU_DEP_1)
	v_and_b32_e32 v21, v22, v21
	v_mbcnt_lo_u32_b32 v69, v21, 0
	v_cmp_ne_u32_e64 s20, 0, v21
	s_delay_alu instid0(VALU_DEP_2)
	v_cmp_eq_u32_e32 vcc_lo, 0, v69
	s_and_b32 s23, s20, vcc_lo
	s_wait_alu 0xfffe
	s_and_saveexec_b32 s20, s23
	s_cbranch_execz .LBB122_42
; %bb.41:                               ;   in Loop: Header=BB122_32 Depth=1
	s_wait_dscnt 0x0
	v_bcnt_u32_b32 v21, v21, v68
	ds_store_b32 v70, v21 offset:16
.LBB122_42:                             ;   in Loop: Header=BB122_32 Depth=1
	s_wait_alu 0xfffe
	s_or_b32 exec_lo, exec_lo, s20
	v_lshrrev_b32_e32 v21, v106, v112
	; wave barrier
	s_delay_alu instid0(VALU_DEP_1) | instskip(NEXT) | instid1(VALU_DEP_1)
	v_and_b32_e32 v21, s22, v21
	v_and_b32_e32 v22, 1, v21
	v_lshlrev_b32_e32 v23, 30, v21
	v_lshlrev_b32_e32 v24, 29, v21
	v_lshlrev_b32_e32 v25, 28, v21
	v_lshlrev_b32_e32 v27, 27, v21
	v_add_co_u32 v22, s20, v22, -1
	s_wait_alu 0xf1ff
	v_cndmask_b32_e64 v26, 0, 1, s20
	v_not_b32_e32 v72, v23
	v_cmp_gt_i32_e64 s20, 0, v23
	v_not_b32_e32 v23, v24
	v_lshlrev_b32_e32 v28, 26, v21
	v_cmp_ne_u32_e32 vcc_lo, 0, v26
	v_ashrrev_i32_e32 v72, 31, v72
	v_lshlrev_b32_e32 v71, 25, v21
	v_ashrrev_i32_e32 v23, 31, v23
	v_lshlrev_b32_e32 v26, 24, v21
	s_wait_alu 0xfffd
	v_xor_b32_e32 v22, vcc_lo, v22
	v_cmp_gt_i32_e32 vcc_lo, 0, v24
	v_not_b32_e32 v24, v25
	s_wait_alu 0xf1ff
	v_xor_b32_e32 v72, s20, v72
	v_cmp_gt_i32_e64 s20, 0, v25
	v_and_b32_e32 v22, exec_lo, v22
	v_not_b32_e32 v25, v27
	v_ashrrev_i32_e32 v24, 31, v24
	s_wait_alu 0xfffd
	v_xor_b32_e32 v23, vcc_lo, v23
	v_cmp_gt_i32_e32 vcc_lo, 0, v27
	v_and_b32_e32 v22, v22, v72
	v_not_b32_e32 v27, v28
	v_ashrrev_i32_e32 v25, 31, v25
	s_wait_alu 0xf1ff
	v_xor_b32_e32 v24, s20, v24
	v_cmp_gt_i32_e64 s20, 0, v28
	v_and_b32_e32 v22, v22, v23
	v_not_b32_e32 v23, v71
	v_ashrrev_i32_e32 v27, 31, v27
	s_wait_alu 0xfffd
	v_xor_b32_e32 v25, vcc_lo, v25
	v_cmp_gt_i32_e32 vcc_lo, 0, v71
	v_and_b32_e32 v22, v22, v24
	v_not_b32_e32 v24, v26
	v_ashrrev_i32_e32 v23, 31, v23
	s_wait_alu 0xf1ff
	v_xor_b32_e32 v27, s20, v27
	v_lshlrev_b32_e32 v21, 4, v21
	v_and_b32_e32 v22, v22, v25
	v_cmp_gt_i32_e64 s20, 0, v26
	v_ashrrev_i32_e32 v24, 31, v24
	s_wait_alu 0xfffd
	v_xor_b32_e32 v23, vcc_lo, v23
	v_add_nc_u32_e32 v117, v105, v21
	v_and_b32_e32 v22, v22, v27
	s_wait_alu 0xf1ff
	v_xor_b32_e32 v21, s20, v24
	ds_load_b32 v71, v117 offset:16
	v_and_b32_e32 v22, v22, v23
	; wave barrier
	s_delay_alu instid0(VALU_DEP_1) | instskip(NEXT) | instid1(VALU_DEP_1)
	v_and_b32_e32 v21, v22, v21
	v_mbcnt_lo_u32_b32 v72, v21, 0
	v_cmp_ne_u32_e64 s20, 0, v21
	s_delay_alu instid0(VALU_DEP_2)
	v_cmp_eq_u32_e32 vcc_lo, 0, v72
	s_and_b32 s23, s20, vcc_lo
	s_wait_alu 0xfffe
	s_and_saveexec_b32 s20, s23
	s_cbranch_execz .LBB122_44
; %bb.43:                               ;   in Loop: Header=BB122_32 Depth=1
	s_wait_dscnt 0x0
	v_bcnt_u32_b32 v21, v21, v71
	ds_store_b32 v117, v21 offset:16
.LBB122_44:                             ;   in Loop: Header=BB122_32 Depth=1
	s_wait_alu 0xfffe
	s_or_b32 exec_lo, exec_lo, s20
	v_lshrrev_b32_e32 v21, v106, v111
	; wave barrier
	s_delay_alu instid0(VALU_DEP_1) | instskip(NEXT) | instid1(VALU_DEP_1)
	v_and_b32_e32 v21, s22, v21
	v_and_b32_e32 v22, 1, v21
	v_lshlrev_b32_e32 v23, 30, v21
	v_lshlrev_b32_e32 v24, 29, v21
	;; [unrolled: 1-line block ×4, first 2 shown]
	v_add_co_u32 v22, s20, v22, -1
	s_wait_alu 0xf1ff
	v_cndmask_b32_e64 v26, 0, 1, s20
	v_not_b32_e32 v119, v23
	v_cmp_gt_i32_e64 s20, 0, v23
	v_not_b32_e32 v23, v24
	v_lshlrev_b32_e32 v28, 26, v21
	v_cmp_ne_u32_e32 vcc_lo, 0, v26
	v_ashrrev_i32_e32 v119, 31, v119
	v_lshlrev_b32_e32 v118, 25, v21
	v_ashrrev_i32_e32 v23, 31, v23
	v_lshlrev_b32_e32 v26, 24, v21
	s_wait_alu 0xfffd
	v_xor_b32_e32 v22, vcc_lo, v22
	v_cmp_gt_i32_e32 vcc_lo, 0, v24
	v_not_b32_e32 v24, v25
	s_wait_alu 0xf1ff
	v_xor_b32_e32 v119, s20, v119
	v_cmp_gt_i32_e64 s20, 0, v25
	v_and_b32_e32 v22, exec_lo, v22
	v_not_b32_e32 v25, v27
	v_ashrrev_i32_e32 v24, 31, v24
	s_wait_alu 0xfffd
	v_xor_b32_e32 v23, vcc_lo, v23
	v_cmp_gt_i32_e32 vcc_lo, 0, v27
	v_and_b32_e32 v22, v22, v119
	v_not_b32_e32 v27, v28
	v_ashrrev_i32_e32 v25, 31, v25
	s_wait_alu 0xf1ff
	v_xor_b32_e32 v24, s20, v24
	v_cmp_gt_i32_e64 s20, 0, v28
	v_and_b32_e32 v22, v22, v23
	v_not_b32_e32 v23, v118
	v_ashrrev_i32_e32 v27, 31, v27
	s_wait_alu 0xfffd
	v_xor_b32_e32 v25, vcc_lo, v25
	v_cmp_gt_i32_e32 vcc_lo, 0, v118
	v_and_b32_e32 v22, v22, v24
	v_not_b32_e32 v24, v26
	v_ashrrev_i32_e32 v23, 31, v23
	s_wait_alu 0xf1ff
	v_xor_b32_e32 v27, s20, v27
	v_lshlrev_b32_e32 v21, 4, v21
	v_and_b32_e32 v22, v22, v25
	v_cmp_gt_i32_e64 s20, 0, v26
	v_ashrrev_i32_e32 v24, 31, v24
	s_wait_alu 0xfffd
	v_xor_b32_e32 v23, vcc_lo, v23
	v_add_nc_u32_e32 v120, v105, v21
	v_and_b32_e32 v22, v22, v27
	s_wait_alu 0xf1ff
	v_xor_b32_e32 v21, s20, v24
	ds_load_b32 v118, v120 offset:16
	v_and_b32_e32 v22, v22, v23
	; wave barrier
	s_delay_alu instid0(VALU_DEP_1) | instskip(NEXT) | instid1(VALU_DEP_1)
	v_and_b32_e32 v21, v22, v21
	v_mbcnt_lo_u32_b32 v119, v21, 0
	v_cmp_ne_u32_e64 s20, 0, v21
	s_delay_alu instid0(VALU_DEP_2)
	v_cmp_eq_u32_e32 vcc_lo, 0, v119
	s_and_b32 s23, s20, vcc_lo
	s_wait_alu 0xfffe
	s_and_saveexec_b32 s20, s23
	s_cbranch_execz .LBB122_46
; %bb.45:                               ;   in Loop: Header=BB122_32 Depth=1
	s_wait_dscnt 0x0
	v_bcnt_u32_b32 v21, v21, v118
	ds_store_b32 v120, v21 offset:16
.LBB122_46:                             ;   in Loop: Header=BB122_32 Depth=1
	s_wait_alu 0xfffe
	s_or_b32 exec_lo, exec_lo, s20
	v_lshrrev_b32_e32 v21, v106, v110
	; wave barrier
	s_delay_alu instid0(VALU_DEP_1) | instskip(NEXT) | instid1(VALU_DEP_1)
	v_and_b32_e32 v21, s22, v21
	v_and_b32_e32 v22, 1, v21
	v_lshlrev_b32_e32 v23, 30, v21
	v_lshlrev_b32_e32 v24, 29, v21
	;; [unrolled: 1-line block ×4, first 2 shown]
	v_add_co_u32 v22, s20, v22, -1
	s_wait_alu 0xf1ff
	v_cndmask_b32_e64 v26, 0, 1, s20
	v_not_b32_e32 v122, v23
	v_cmp_gt_i32_e64 s20, 0, v23
	v_not_b32_e32 v23, v24
	v_lshlrev_b32_e32 v28, 26, v21
	v_cmp_ne_u32_e32 vcc_lo, 0, v26
	v_ashrrev_i32_e32 v122, 31, v122
	v_lshlrev_b32_e32 v121, 25, v21
	v_ashrrev_i32_e32 v23, 31, v23
	v_lshlrev_b32_e32 v26, 24, v21
	s_wait_alu 0xfffd
	v_xor_b32_e32 v22, vcc_lo, v22
	v_cmp_gt_i32_e32 vcc_lo, 0, v24
	v_not_b32_e32 v24, v25
	s_wait_alu 0xf1ff
	v_xor_b32_e32 v122, s20, v122
	v_cmp_gt_i32_e64 s20, 0, v25
	v_and_b32_e32 v22, exec_lo, v22
	v_not_b32_e32 v25, v27
	v_ashrrev_i32_e32 v24, 31, v24
	s_wait_alu 0xfffd
	v_xor_b32_e32 v23, vcc_lo, v23
	v_cmp_gt_i32_e32 vcc_lo, 0, v27
	v_and_b32_e32 v22, v22, v122
	v_not_b32_e32 v27, v28
	v_ashrrev_i32_e32 v25, 31, v25
	s_wait_alu 0xf1ff
	v_xor_b32_e32 v24, s20, v24
	v_cmp_gt_i32_e64 s20, 0, v28
	v_and_b32_e32 v22, v22, v23
	v_not_b32_e32 v23, v121
	v_ashrrev_i32_e32 v27, 31, v27
	s_wait_alu 0xfffd
	v_xor_b32_e32 v25, vcc_lo, v25
	v_cmp_gt_i32_e32 vcc_lo, 0, v121
	v_and_b32_e32 v22, v22, v24
	v_not_b32_e32 v24, v26
	v_ashrrev_i32_e32 v23, 31, v23
	s_wait_alu 0xf1ff
	v_xor_b32_e32 v27, s20, v27
	v_lshlrev_b32_e32 v21, 4, v21
	v_and_b32_e32 v22, v22, v25
	v_cmp_gt_i32_e64 s20, 0, v26
	v_ashrrev_i32_e32 v24, 31, v24
	s_wait_alu 0xfffd
	v_xor_b32_e32 v23, vcc_lo, v23
	v_add_nc_u32_e32 v121, v105, v21
	v_and_b32_e32 v22, v22, v27
	s_wait_alu 0xf1ff
	v_xor_b32_e32 v21, s20, v24
	ds_load_b32 v126, v121 offset:16
	v_and_b32_e32 v22, v22, v23
	; wave barrier
	s_delay_alu instid0(VALU_DEP_1) | instskip(NEXT) | instid1(VALU_DEP_1)
	v_and_b32_e32 v21, v22, v21
	v_mbcnt_lo_u32_b32 v127, v21, 0
	v_cmp_ne_u32_e64 s20, 0, v21
	s_delay_alu instid0(VALU_DEP_2)
	v_cmp_eq_u32_e32 vcc_lo, 0, v127
	s_and_b32 s22, s20, vcc_lo
	s_wait_alu 0xfffe
	s_and_saveexec_b32 s20, s22
	s_cbranch_execz .LBB122_48
; %bb.47:                               ;   in Loop: Header=BB122_32 Depth=1
	s_wait_dscnt 0x0
	v_bcnt_u32_b32 v21, v21, v126
	ds_store_b32 v121, v21 offset:16
.LBB122_48:                             ;   in Loop: Header=BB122_32 Depth=1
	s_wait_alu 0xfffe
	s_or_b32 exec_lo, exec_lo, s20
	; wave barrier
	s_wait_loadcnt_dscnt 0x0
	s_barrier_signal -1
	s_barrier_wait -1
	global_inv scope:SCOPE_SE
	ds_load_b128 v[25:28], v90 offset:16
	ds_load_b128 v[21:24], v90 offset:32
	s_wait_dscnt 0x1
	v_add_nc_u32_e32 v122, v26, v25
	s_delay_alu instid0(VALU_DEP_1) | instskip(SKIP_1) | instid1(VALU_DEP_1)
	v_add3_u32 v122, v122, v27, v28
	s_wait_dscnt 0x0
	v_add3_u32 v122, v122, v21, v22
	s_delay_alu instid0(VALU_DEP_1) | instskip(NEXT) | instid1(VALU_DEP_1)
	v_add3_u32 v24, v122, v23, v24
	v_mov_b32_dpp v122, v24 row_shr:1 row_mask:0xf bank_mask:0xf
	s_delay_alu instid0(VALU_DEP_1) | instskip(NEXT) | instid1(VALU_DEP_1)
	v_cndmask_b32_e64 v122, v122, 0, s12
	v_add_nc_u32_e32 v24, v122, v24
	s_delay_alu instid0(VALU_DEP_1) | instskip(NEXT) | instid1(VALU_DEP_1)
	v_mov_b32_dpp v122, v24 row_shr:2 row_mask:0xf bank_mask:0xf
	v_cndmask_b32_e64 v122, 0, v122, s13
	s_delay_alu instid0(VALU_DEP_1) | instskip(NEXT) | instid1(VALU_DEP_1)
	v_add_nc_u32_e32 v24, v24, v122
	v_mov_b32_dpp v122, v24 row_shr:4 row_mask:0xf bank_mask:0xf
	s_delay_alu instid0(VALU_DEP_1) | instskip(NEXT) | instid1(VALU_DEP_1)
	v_cndmask_b32_e64 v122, 0, v122, s14
	v_add_nc_u32_e32 v24, v24, v122
	s_delay_alu instid0(VALU_DEP_1) | instskip(NEXT) | instid1(VALU_DEP_1)
	v_mov_b32_dpp v122, v24 row_shr:8 row_mask:0xf bank_mask:0xf
	v_cndmask_b32_e64 v122, 0, v122, s15
	s_delay_alu instid0(VALU_DEP_1) | instskip(SKIP_3) | instid1(VALU_DEP_1)
	v_add_nc_u32_e32 v24, v24, v122
	ds_swizzle_b32 v122, v24 offset:swizzle(BROADCAST,32,15)
	s_wait_dscnt 0x0
	v_cndmask_b32_e64 v122, v122, 0, s16
	v_add_nc_u32_e32 v24, v24, v122
	s_and_saveexec_b32 s20, s17
; %bb.49:                               ;   in Loop: Header=BB122_32 Depth=1
	ds_store_b32 v92, v24
; %bb.50:                               ;   in Loop: Header=BB122_32 Depth=1
	s_wait_alu 0xfffe
	s_or_b32 exec_lo, exec_lo, s20
	s_wait_loadcnt_dscnt 0x0
	s_barrier_signal -1
	s_barrier_wait -1
	global_inv scope:SCOPE_SE
	s_and_saveexec_b32 s20, s8
	s_cbranch_execz .LBB122_52
; %bb.51:                               ;   in Loop: Header=BB122_32 Depth=1
	ds_load_b32 v122, v107
	s_wait_dscnt 0x0
	v_mov_b32_dpp v123, v122 row_shr:1 row_mask:0xf bank_mask:0xf
	s_delay_alu instid0(VALU_DEP_1) | instskip(NEXT) | instid1(VALU_DEP_1)
	v_cndmask_b32_e64 v123, v123, 0, s18
	v_add_nc_u32_e32 v122, v123, v122
	s_delay_alu instid0(VALU_DEP_1) | instskip(NEXT) | instid1(VALU_DEP_1)
	v_mov_b32_dpp v123, v122 row_shr:2 row_mask:0xf bank_mask:0xf
	v_cndmask_b32_e64 v123, 0, v123, s19
	s_delay_alu instid0(VALU_DEP_1)
	v_add_nc_u32_e32 v122, v122, v123
	ds_store_b32 v107, v122
.LBB122_52:                             ;   in Loop: Header=BB122_32 Depth=1
	s_wait_alu 0xfffe
	s_or_b32 exec_lo, exec_lo, s20
	v_mov_b32_e32 v122, 0
	s_wait_loadcnt_dscnt 0x0
	s_barrier_signal -1
	s_barrier_wait -1
	global_inv scope:SCOPE_SE
	s_and_saveexec_b32 s20, s9
; %bb.53:                               ;   in Loop: Header=BB122_32 Depth=1
	ds_load_b32 v122, v104
; %bb.54:                               ;   in Loop: Header=BB122_32 Depth=1
	s_wait_alu 0xfffe
	s_or_b32 exec_lo, exec_lo, s20
	s_wait_dscnt 0x0
	v_add_nc_u32_e32 v24, v122, v24
	v_cmp_lt_u32_e32 vcc_lo, 23, v106
	v_readfirstlane_b32 s20, v0
	s_mov_b32 s22, -1
	ds_bpermute_b32 v24, v103, v24
	s_and_b32 vcc_lo, exec_lo, vcc_lo
	s_wait_dscnt 0x0
	v_cndmask_b32_e64 v24, v24, v122, s11
	s_delay_alu instid0(VALU_DEP_1) | instskip(NEXT) | instid1(VALU_DEP_1)
	v_cndmask_b32_e64 v24, v24, 0, s10
	v_add_nc_u32_e32 v25, v24, v25
	s_delay_alu instid0(VALU_DEP_1) | instskip(NEXT) | instid1(VALU_DEP_1)
	v_add_nc_u32_e32 v26, v25, v26
	v_add_nc_u32_e32 v27, v26, v27
	s_delay_alu instid0(VALU_DEP_1) | instskip(NEXT) | instid1(VALU_DEP_1)
	v_add_nc_u32_e32 v122, v27, v28
	;; [unrolled: 3-line block ×3, first 2 shown]
	v_add_nc_u32_e32 v125, v124, v23
	ds_store_b128 v90, v[24:27] offset:16
	ds_store_b128 v90, v[122:125] offset:32
	s_wait_loadcnt_dscnt 0x0
	s_barrier_signal -1
	s_barrier_wait -1
	global_inv scope:SCOPE_SE
	ds_load_b32 v21, v30 offset:16
	ds_load_b32 v22, v33 offset:16
	;; [unrolled: 1-line block ×8, first 2 shown]
	s_wait_dscnt 0x7
	v_add_nc_u32_e32 v125, v21, v29
	s_wait_dscnt 0x6
	v_add3_u32 v124, v32, v31, v22
	s_wait_dscnt 0x5
	v_add3_u32 v123, v35, v34, v23
	;; [unrolled: 2-line block ×7, first 2 shown]
                                        ; implicit-def: $vgpr72
                                        ; implicit-def: $vgpr70
                                        ; implicit-def: $vgpr68
                                        ; implicit-def: $vgpr66
                                        ; implicit-def: $vgpr35_vgpr36
                                        ; implicit-def: $vgpr31_vgpr32
                                        ; implicit-def: $vgpr27_vgpr28
                                        ; implicit-def: $vgpr23_vgpr24
	s_wait_alu 0xfffe
	s_cbranch_vccnz .LBB122_31
; %bb.55:                               ;   in Loop: Header=BB122_32 Depth=1
	v_lshlrev_b32_e32 v21, 2, v125
	v_lshlrev_b32_e32 v22, 2, v124
	;; [unrolled: 1-line block ×3, first 2 shown]
	s_wait_loadcnt 0x0
	s_barrier_signal -1
	s_barrier_wait -1
	global_inv scope:SCOPE_SE
	ds_store_b32 v21, v109
	ds_store_b32 v22, v116
	;; [unrolled: 1-line block ×3, first 2 shown]
	v_lshlrev_b32_e32 v24, 2, v122
	v_add_nc_u32_e32 v21, v21, v21
	v_lshlrev_b32_e32 v25, 2, v121
	v_add_nc_u32_e32 v22, v22, v22
	;; [unrolled: 2-line block ×3, first 2 shown]
	v_lshlrev_b32_e32 v27, 2, v118
	v_lshlrev_b32_e32 v28, 2, v117
	ds_store_b32 v24, v114
	ds_store_b32 v25, v113
	ds_store_b32 v26, v112
	ds_store_b32 v27, v111
	ds_store_b32 v28, v110
	s_wait_loadcnt_dscnt 0x0
	s_barrier_signal -1
	s_barrier_wait -1
	global_inv scope:SCOPE_SE
	ds_load_2addr_b32 v[65:66], v91 offset1:32
	ds_load_2addr_b32 v[67:68], v91 offset0:64 offset1:96
	ds_load_2addr_b32 v[69:70], v91 offset0:128 offset1:160
	;; [unrolled: 1-line block ×3, first 2 shown]
	s_wait_loadcnt_dscnt 0x0
	s_barrier_signal -1
	s_barrier_wait -1
	global_inv scope:SCOPE_SE
	ds_store_b64 v21, v[63:64]
	ds_store_b64 v22, v[61:62]
	;; [unrolled: 1-line block ×3, first 2 shown]
	v_add_nc_u32_e32 v21, v24, v24
	v_add_nc_u32_e32 v22, v25, v25
	;; [unrolled: 1-line block ×5, first 2 shown]
	ds_store_b64 v21, v[57:58]
	ds_store_b64 v22, v[55:56]
	;; [unrolled: 1-line block ×5, first 2 shown]
	s_wait_loadcnt_dscnt 0x0
	s_barrier_signal -1
	s_barrier_wait -1
	global_inv scope:SCOPE_SE
	ds_load_2addr_b64 v[21:24], v108 offset1:32
	ds_load_2addr_b64 v[25:28], v108 offset0:64 offset1:96
	ds_load_2addr_b64 v[29:32], v108 offset0:128 offset1:160
	;; [unrolled: 1-line block ×3, first 2 shown]
	v_add_nc_u32_e32 v106, 8, v106
	s_add_co_i32 s20, s21, -8
	s_mov_b32 s22, 0
	s_wait_loadcnt_dscnt 0x0
	s_barrier_signal -1
	s_barrier_wait -1
	global_inv scope:SCOPE_SE
	s_branch .LBB122_31
.LBB122_56:
	v_lshlrev_b64_e32 v[1:2], 3, v[37:38]
	v_dual_mov_b32 v39, v38 :: v_dual_mov_b32 v10, v38
	v_mov_b32_e32 v9, v38
	v_dual_mov_b32 v3, v38 :: v_dual_mov_b32 v6, v38
	s_wait_alu 0xfffe
	s_delay_alu instid0(VALU_DEP_4)
	v_add_co_u32 v1, vcc_lo, s24, v1
	s_wait_alu 0xfffd
	v_add_co_ci_u32_e64 v2, null, s25, v2, vcc_lo
	v_dual_mov_b32 v5, v38 :: v_dual_mov_b32 v8, v38
	v_dual_mov_b32 v7, v38 :: v_dual_mov_b32 v12, v38
	global_load_b64 v[13:14], v[1:2], off
	v_dual_mov_b32 v1, v38 :: v_dual_mov_b32 v4, v38
	v_dual_mov_b32 v2, v38 :: v_dual_mov_b32 v11, v38
	s_or_b32 exec_lo, exec_lo, s8
	s_and_saveexec_b32 s8, s1
	s_cbranch_execz .LBB122_22
.LBB122_57:
	v_mul_lo_u32 v33, s28, v15
	v_mov_b32_e32 v34, 0
	s_delay_alu instid0(VALU_DEP_1) | instskip(NEXT) | instid1(VALU_DEP_1)
	v_lshlrev_b64_e32 v[33:34], 3, v[33:34]
	v_add_co_u32 v33, vcc_lo, s24, v33
	s_wait_alu 0xfffd
	s_delay_alu instid0(VALU_DEP_2)
	v_add_co_ci_u32_e64 v34, null, s25, v34, vcc_lo
	global_load_b64 v[38:39], v[33:34], off
	s_wait_alu 0xfffe
	s_or_b32 exec_lo, exec_lo, s8
	s_and_saveexec_b32 s8, s2
	s_cbranch_execz .LBB122_23
.LBB122_58:
	v_mul_lo_u32 v9, s28, v16
	v_mov_b32_e32 v10, 0
	s_delay_alu instid0(VALU_DEP_1) | instskip(NEXT) | instid1(VALU_DEP_1)
	v_lshlrev_b64_e32 v[9:10], 3, v[9:10]
	v_add_co_u32 v9, vcc_lo, s24, v9
	s_wait_alu 0xfffd
	s_delay_alu instid0(VALU_DEP_2)
	v_add_co_ci_u32_e64 v10, null, s25, v10, vcc_lo
	global_load_b64 v[9:10], v[9:10], off
	s_wait_alu 0xfffe
	s_or_b32 exec_lo, exec_lo, s8
	s_and_saveexec_b32 s8, s3
	s_cbranch_execz .LBB122_24
.LBB122_59:
	v_mul_lo_u32 v1, s28, v19
	v_mov_b32_e32 v2, 0
	s_delay_alu instid0(VALU_DEP_1) | instskip(NEXT) | instid1(VALU_DEP_1)
	v_lshlrev_b64_e32 v[1:2], 3, v[1:2]
	v_add_co_u32 v1, vcc_lo, s24, v1
	s_wait_alu 0xfffd
	s_delay_alu instid0(VALU_DEP_2)
	v_add_co_ci_u32_e64 v2, null, s25, v2, vcc_lo
	global_load_b64 v[1:2], v[1:2], off
	s_wait_alu 0xfffe
	s_or_b32 exec_lo, exec_lo, s8
	s_and_saveexec_b32 s8, s4
	s_cbranch_execz .LBB122_25
.LBB122_60:
	v_mul_lo_u32 v3, s28, v20
	v_mov_b32_e32 v4, 0
	s_delay_alu instid0(VALU_DEP_1) | instskip(NEXT) | instid1(VALU_DEP_1)
	v_lshlrev_b64_e32 v[3:4], 3, v[3:4]
	v_add_co_u32 v3, vcc_lo, s24, v3
	s_wait_alu 0xfffd
	s_delay_alu instid0(VALU_DEP_2)
	v_add_co_ci_u32_e64 v4, null, s25, v4, vcc_lo
	global_load_b64 v[3:4], v[3:4], off
	s_wait_alu 0xfffe
	s_or_b32 exec_lo, exec_lo, s8
	s_and_saveexec_b32 s8, s5
	s_cbranch_execz .LBB122_26
.LBB122_61:
	v_mul_lo_u32 v5, s28, v21
	v_mov_b32_e32 v6, 0
	s_delay_alu instid0(VALU_DEP_1) | instskip(NEXT) | instid1(VALU_DEP_1)
	v_lshlrev_b64_e32 v[5:6], 3, v[5:6]
	v_add_co_u32 v5, vcc_lo, s24, v5
	s_wait_alu 0xfffd
	s_delay_alu instid0(VALU_DEP_2)
	v_add_co_ci_u32_e64 v6, null, s25, v6, vcc_lo
	global_load_b64 v[5:6], v[5:6], off
	s_wait_alu 0xfffe
	s_or_b32 exec_lo, exec_lo, s8
	s_and_saveexec_b32 s8, s6
	s_cbranch_execz .LBB122_27
.LBB122_62:
	v_mul_lo_u32 v7, s28, v22
	v_mov_b32_e32 v8, 0
	s_delay_alu instid0(VALU_DEP_1) | instskip(NEXT) | instid1(VALU_DEP_1)
	v_lshlrev_b64_e32 v[7:8], 3, v[7:8]
	v_add_co_u32 v7, vcc_lo, s24, v7
	s_wait_alu 0xfffd
	s_delay_alu instid0(VALU_DEP_2)
	v_add_co_ci_u32_e64 v8, null, s25, v8, vcc_lo
	global_load_b64 v[7:8], v[7:8], off
	s_wait_alu 0xfffe
	s_or_b32 exec_lo, exec_lo, s8
	s_xor_b32 s8, s12, -1
	s_and_saveexec_b32 s9, s7
	s_cbranch_execnz .LBB122_28
	s_branch .LBB122_29
.LBB122_63:
                                        ; implicit-def: $vgpr52
                                        ; implicit-def: $vgpr39
                                        ; implicit-def: $vgpr51
                                        ; implicit-def: $vgpr36
                                        ; implicit-def: $vgpr38
                                        ; implicit-def: $vgpr34
                                        ; implicit-def: $vgpr35
                                        ; implicit-def: $vgpr33
                                        ; implicit-def: $vgpr19_vgpr20
                                        ; implicit-def: $vgpr23_vgpr24
                                        ; implicit-def: $vgpr27_vgpr28
                                        ; implicit-def: $vgpr31_vgpr32
	s_and_b32 vcc_lo, exec_lo, s11
	s_wait_alu 0xfffe
	s_cbranch_vccnz .LBB122_65
	s_branch .LBB122_92
.LBB122_64:
	v_lshlrev_b32_e32 v17, 2, v125
	v_lshlrev_b32_e32 v18, 2, v124
	;; [unrolled: 1-line block ×3, first 2 shown]
	s_wait_loadcnt 0x0
	s_barrier_signal -1
	s_barrier_wait -1
	global_inv scope:SCOPE_SE
	ds_store_b32 v17, v109
	ds_store_b32 v18, v116
	;; [unrolled: 1-line block ×3, first 2 shown]
	v_lshlrev_b32_e32 v20, 2, v122
	v_add_nc_u32_e32 v17, v17, v17
	v_lshlrev_b32_e32 v21, 2, v121
	v_add_nc_u32_e32 v18, v18, v18
	;; [unrolled: 2-line block ×3, first 2 shown]
	v_lshlrev_b32_e32 v23, 2, v118
	v_lshlrev_b32_e32 v24, 2, v117
	ds_store_b32 v20, v114
	ds_store_b32 v21, v113
	;; [unrolled: 1-line block ×5, first 2 shown]
	s_wait_loadcnt_dscnt 0x0
	s_barrier_signal -1
	s_barrier_wait -1
	global_inv scope:SCOPE_SE
	ds_load_b128 v[65:68], v90
	ds_load_b128 v[69:72], v90 offset:16
	s_wait_loadcnt_dscnt 0x0
	s_barrier_signal -1
	s_barrier_wait -1
	global_inv scope:SCOPE_SE
	ds_store_b64 v17, v[63:64]
	ds_store_b64 v18, v[61:62]
	;; [unrolled: 1-line block ×3, first 2 shown]
	v_add_nc_u32_e32 v17, v20, v20
	v_add_nc_u32_e32 v18, v21, v21
	;; [unrolled: 1-line block ×5, first 2 shown]
	ds_store_b64 v17, v[57:58]
	ds_store_b64 v18, v[55:56]
	;; [unrolled: 1-line block ×5, first 2 shown]
	v_lshl_add_u32 v17, v42, 5, v90
	s_wait_loadcnt_dscnt 0x0
	s_barrier_signal -1
	s_barrier_wait -1
	global_inv scope:SCOPE_SE
	ds_load_b128 v[29:32], v17
	ds_load_b128 v[25:28], v17 offset:16
	ds_load_b128 v[21:24], v17 offset:32
	;; [unrolled: 1-line block ×3, first 2 shown]
	v_xor_b32_e32 v33, 0x80000000, v65
	v_xor_b32_e32 v35, 0x80000000, v66
	;; [unrolled: 1-line block ×8, first 2 shown]
	s_branch .LBB122_92
.LBB122_65:
	s_wait_dscnt 0x0
	v_xor_b32_e32 v17, 0x7fffffff, v49
	v_xor_b32_e32 v18, 0x7fffffff, v50
	;; [unrolled: 1-line block ×8, first 2 shown]
	ds_store_b128 v102, v[17:20]
	ds_store_b128 v102, v[21:24] offset:16
	v_lshl_add_u32 v17, v101, 2, v102
	; wave barrier
	ds_load_2addr_b32 v[38:39], v91 offset1:32
	ds_load_2addr_b32 v[43:44], v91 offset0:64 offset1:96
	ds_load_2addr_b32 v[45:46], v91 offset0:128 offset1:160
	;; [unrolled: 1-line block ×3, first 2 shown]
	s_wait_loadcnt_dscnt 0x0
	s_barrier_signal -1
	s_barrier_wait -1
	global_inv scope:SCOPE_SE
	ds_store_b128 v17, v[5:8]
	ds_store_b128 v17, v[1:4] offset:16
	ds_store_b128 v17, v[13:16] offset:32
	;; [unrolled: 1-line block ×3, first 2 shown]
	; wave barrier
	ds_load_2addr_b64 v[4:7], v100 offset1:32
	ds_load_2addr_b64 v[8:11], v100 offset0:64 offset1:96
	ds_load_2addr_b64 v[12:15], v100 offset0:128 offset1:160
	;; [unrolled: 1-line block ×3, first 2 shown]
	s_wait_loadcnt_dscnt 0x0
	s_barrier_signal -1
	s_barrier_wait -1
	global_inv scope:SCOPE_SE
	s_load_b32 s10, s[34:35], 0xc
	s_getpc_b64 s[8:9]
	s_wait_alu 0xfffe
	s_sext_i32_i16 s9, s9
	s_add_co_u32 s8, s8, _ZN7rocprim17ROCPRIM_400000_NS16block_radix_sortIiLj128ELj8ElLj1ELj1ELj0ELNS0_26block_radix_rank_algorithmE1ELNS0_18block_padding_hintE2ELNS0_4arch9wavefront6targetE0EE19radix_bits_per_passE@rel32@lo+12
	s_wait_alu 0xfffe
	s_add_co_ci_u32 s9, s9, _ZN7rocprim17ROCPRIM_400000_NS16block_radix_sortIiLj128ELj8ElLj1ELj1ELj0ELNS0_26block_radix_rank_algorithmE1ELNS0_18block_padding_hintE2ELNS0_4arch9wavefront6targetE0EE19radix_bits_per_passE@rel32@hi+24
	v_or_b32_e32 v3, 31, v97
	s_load_b32 s21, s[8:9], 0x0
	s_mov_b32 s36, 0
	v_cmp_eq_u32_e64 s18, 0, v0
	s_mov_b32 s37, s36
	s_mov_b32 s38, s36
	;; [unrolled: 1-line block ×3, first 2 shown]
	v_cmp_eq_u32_e64 s14, v42, v3
	v_cmp_lt_u32_e64 s19, 1, v0
	v_cmp_lt_u32_e64 s12, 7, v96
	v_cmp_eq_u32_e64 s13, 0, v95
	v_cmp_gt_u32_e64 s15, 4, v42
	v_cmp_lt_u32_e64 s16, 31, v42
	v_cmp_eq_u32_e64 s17, 0, v42
	v_add_nc_u32_e32 v52, v90, v94
	s_mov_b32 s22, 32
	v_add_nc_u32_e32 v49, -4, v92
	v_mov_b32_e32 v51, 0
	s_wait_kmcnt 0x0
	s_lshr_b32 s11, s10, 16
	s_and_b32 s8, s10, 0xffff
	s_wait_alu 0xfffe
	v_mad_u32_u24 v1, v99, s11, v98
	v_cmp_lt_u32_e64 s10, 1, v96
	v_cmp_lt_u32_e64 s11, 3, v96
	v_add_nc_u32_e32 v53, v91, v91
	s_delay_alu instid0(VALU_DEP_4) | instskip(SKIP_2) | instid1(VALU_DEP_2)
	v_mad_co_u64_u32 v[1:2], null, v1, s8, v[42:43]
	v_sub_co_u32 v2, s9, v93, 1
	v_cmp_eq_u32_e64 s8, 0, v96
	v_cmp_gt_i32_e32 vcc_lo, 0, v2
	s_delay_alu instid0(VALU_DEP_4) | instskip(SKIP_2) | instid1(VALU_DEP_2)
	v_lshrrev_b32_e32 v1, 3, v1
	s_wait_alu 0xfffd
	v_cndmask_b32_e32 v2, v2, v93, vcc_lo
	v_and_b32_e32 v50, 0x1ffffffc, v1
	s_delay_alu instid0(VALU_DEP_2)
	v_lshlrev_b32_e32 v36, 2, v2
	v_dual_mov_b32 v0, s36 :: v_dual_mov_b32 v3, s39
	v_dual_mov_b32 v1, s37 :: v_dual_mov_b32 v2, s38
	s_branch .LBB122_67
.LBB122_66:                             ;   in Loop: Header=BB122_67 Depth=1
	s_wait_alu 0xfffe
	s_and_not1_b32 vcc_lo, exec_lo, s23
	s_mov_b32 s22, s20
	s_wait_alu 0xfffe
	s_cbranch_vccz .LBB122_91
.LBB122_67:                             ; =>This Inner Loop Header: Depth=1
	v_dual_mov_b32 v54, v38 :: v_dual_mov_b32 v55, v48
	s_min_u32 s20, s21, s22
	ds_store_b128 v90, v[0:3] offset:16
	ds_store_b128 v90, v[0:3] offset:32
	s_wait_alu 0xfffe
	s_lshl_b32 s20, -1, s20
	v_lshrrev_b32_e32 v20, v51, v54
	s_wait_alu 0xfffe
	s_not_b32 s23, s20
	s_wait_loadcnt_dscnt 0x0
	s_barrier_signal -1
	s_barrier_wait -1
	s_wait_alu 0xfffe
	v_dual_mov_b32 v57, v46 :: v_dual_and_b32 v38, s23, v20
	v_mov_b32_e32 v56, v47
	global_inv scope:SCOPE_SE
	v_dual_mov_b32 v59, v44 :: v_dual_and_b32 v20, 1, v38
	v_lshlrev_b32_e32 v21, 30, v38
	v_dual_mov_b32 v61, v39 :: v_dual_lshlrev_b32 v22, 29, v38
	s_delay_alu instid0(VALU_DEP_3)
	v_add_co_u32 v20, s20, v20, -1
	s_wait_alu 0xf1ff
	v_cndmask_b32_e64 v24, 0, 1, s20
	v_not_b32_e32 v28, v21
	v_dual_mov_b32 v58, v45 :: v_dual_lshlrev_b32 v23, 28, v38
	v_cmp_gt_i32_e64 s20, 0, v21
	s_delay_alu instid0(VALU_DEP_4)
	v_cmp_ne_u32_e32 vcc_lo, 0, v24
	v_not_b32_e32 v21, v22
	v_ashrrev_i32_e32 v28, 31, v28
	v_dual_mov_b32 v60, v43 :: v_dual_lshlrev_b32 v25, 27, v38
	s_wait_alu 0xfffd
	v_xor_b32_e32 v20, vcc_lo, v20
	v_cmp_gt_i32_e32 vcc_lo, 0, v22
	v_not_b32_e32 v22, v23
	v_ashrrev_i32_e32 v21, 31, v21
	s_wait_alu 0xf1ff
	v_xor_b32_e32 v28, s20, v28
	v_and_b32_e32 v20, exec_lo, v20
	v_lshlrev_b32_e32 v26, 26, v38
	v_cmp_gt_i32_e64 s20, 0, v23
	v_not_b32_e32 v23, v25
	v_ashrrev_i32_e32 v22, 31, v22
	s_wait_alu 0xfffd
	v_xor_b32_e32 v21, vcc_lo, v21
	v_and_b32_e32 v20, v20, v28
	v_lshlrev_b32_e32 v27, 25, v38
	v_cmp_gt_i32_e32 vcc_lo, 0, v25
	v_not_b32_e32 v25, v26
	v_ashrrev_i32_e32 v23, 31, v23
	s_wait_alu 0xf1ff
	v_xor_b32_e32 v22, s20, v22
	v_and_b32_e32 v20, v20, v21
	v_lshlrev_b32_e32 v24, 24, v38
	v_cmp_gt_i32_e64 s20, 0, v26
	v_not_b32_e32 v21, v27
	v_ashrrev_i32_e32 v25, 31, v25
	s_wait_alu 0xfffd
	v_xor_b32_e32 v23, vcc_lo, v23
	v_dual_mov_b32 v31, v9 :: v_dual_and_b32 v20, v20, v22
	v_cmp_gt_i32_e32 vcc_lo, 0, v27
	v_not_b32_e32 v22, v24
	v_ashrrev_i32_e32 v21, 31, v21
	s_wait_alu 0xf1ff
	v_xor_b32_e32 v25, s20, v25
	v_dual_mov_b32 v33, v7 :: v_dual_and_b32 v20, v20, v23
	v_cmp_gt_i32_e64 s20, 0, v24
	v_ashrrev_i32_e32 v22, 31, v22
	s_wait_alu 0xfffd
	v_xor_b32_e32 v21, vcc_lo, v21
	v_dual_mov_b32 v35, v5 :: v_dual_and_b32 v20, v20, v25
	v_mov_b32_e32 v25, v15
	s_wait_alu 0xf1ff
	v_xor_b32_e32 v28, s20, v22
	s_delay_alu instid0(VALU_DEP_3) | instskip(SKIP_3) | instid1(VALU_DEP_4)
	v_dual_mov_b32 v24, v14 :: v_dual_and_b32 v29, v20, v21
	v_dual_mov_b32 v27, v13 :: v_dual_mov_b32 v26, v12
	v_mov_b32_e32 v34, v4
	v_lshlrev_b32_e32 v4, 4, v38
	v_dual_mov_b32 v21, v19 :: v_dual_and_b32 v14, v29, v28
	v_mov_b32_e32 v23, v17
	v_dual_mov_b32 v29, v11 :: v_dual_mov_b32 v20, v18
	s_delay_alu instid0(VALU_DEP_3) | instskip(SKIP_3) | instid1(VALU_DEP_4)
	v_mbcnt_lo_u32_b32 v12, v14, 0
	v_cmp_ne_u32_e64 s20, 0, v14
	v_dual_mov_b32 v22, v16 :: v_dual_add_nc_u32 v13, v50, v4
	v_mov_b32_e32 v28, v10
	v_cmp_eq_u32_e32 vcc_lo, 0, v12
	v_mov_b32_e32 v30, v8
	v_mov_b32_e32 v32, v6
	; wave barrier
	s_and_b32 s27, s20, vcc_lo
	s_wait_alu 0xfffe
	s_and_saveexec_b32 s20, s27
; %bb.68:                               ;   in Loop: Header=BB122_67 Depth=1
	v_bcnt_u32_b32 v4, v14, 0
	ds_store_b32 v13, v4 offset:16
; %bb.69:                               ;   in Loop: Header=BB122_67 Depth=1
	s_wait_alu 0xfffe
	s_or_b32 exec_lo, exec_lo, s20
	v_lshrrev_b32_e32 v4, v51, v61
	; wave barrier
	s_delay_alu instid0(VALU_DEP_1) | instskip(NEXT) | instid1(VALU_DEP_1)
	v_and_b32_e32 v4, s23, v4
	v_and_b32_e32 v5, 1, v4
	v_lshlrev_b32_e32 v6, 30, v4
	v_lshlrev_b32_e32 v7, 29, v4
	;; [unrolled: 1-line block ×4, first 2 shown]
	v_add_co_u32 v5, s20, v5, -1
	s_wait_alu 0xf1ff
	v_cndmask_b32_e64 v9, 0, 1, s20
	v_not_b32_e32 v15, v6
	v_cmp_gt_i32_e64 s20, 0, v6
	v_not_b32_e32 v6, v7
	v_lshlrev_b32_e32 v11, 26, v4
	v_cmp_ne_u32_e32 vcc_lo, 0, v9
	v_ashrrev_i32_e32 v15, 31, v15
	v_lshlrev_b32_e32 v14, 25, v4
	v_ashrrev_i32_e32 v6, 31, v6
	v_lshlrev_b32_e32 v9, 24, v4
	s_wait_alu 0xfffd
	v_xor_b32_e32 v5, vcc_lo, v5
	v_cmp_gt_i32_e32 vcc_lo, 0, v7
	v_not_b32_e32 v7, v8
	s_wait_alu 0xf1ff
	v_xor_b32_e32 v15, s20, v15
	v_cmp_gt_i32_e64 s20, 0, v8
	v_and_b32_e32 v5, exec_lo, v5
	v_not_b32_e32 v8, v10
	v_ashrrev_i32_e32 v7, 31, v7
	s_wait_alu 0xfffd
	v_xor_b32_e32 v6, vcc_lo, v6
	v_cmp_gt_i32_e32 vcc_lo, 0, v10
	v_and_b32_e32 v5, v5, v15
	v_not_b32_e32 v10, v11
	v_ashrrev_i32_e32 v8, 31, v8
	s_wait_alu 0xf1ff
	v_xor_b32_e32 v7, s20, v7
	v_cmp_gt_i32_e64 s20, 0, v11
	v_and_b32_e32 v5, v5, v6
	v_not_b32_e32 v6, v14
	v_ashrrev_i32_e32 v10, 31, v10
	s_wait_alu 0xfffd
	v_xor_b32_e32 v8, vcc_lo, v8
	v_cmp_gt_i32_e32 vcc_lo, 0, v14
	v_and_b32_e32 v5, v5, v7
	v_not_b32_e32 v7, v9
	v_ashrrev_i32_e32 v6, 31, v6
	s_wait_alu 0xf1ff
	v_xor_b32_e32 v10, s20, v10
	v_lshlrev_b32_e32 v4, 4, v4
	v_and_b32_e32 v5, v5, v8
	v_cmp_gt_i32_e64 s20, 0, v9
	v_ashrrev_i32_e32 v7, 31, v7
	s_wait_alu 0xfffd
	v_xor_b32_e32 v6, vcc_lo, v6
	v_add_nc_u32_e32 v16, v50, v4
	v_and_b32_e32 v5, v5, v10
	s_wait_alu 0xf1ff
	v_xor_b32_e32 v4, s20, v7
	ds_load_b32 v14, v16 offset:16
	v_and_b32_e32 v5, v5, v6
	; wave barrier
	s_delay_alu instid0(VALU_DEP_1) | instskip(NEXT) | instid1(VALU_DEP_1)
	v_and_b32_e32 v4, v5, v4
	v_mbcnt_lo_u32_b32 v15, v4, 0
	v_cmp_ne_u32_e64 s20, 0, v4
	s_delay_alu instid0(VALU_DEP_2)
	v_cmp_eq_u32_e32 vcc_lo, 0, v15
	s_and_b32 s27, s20, vcc_lo
	s_wait_alu 0xfffe
	s_and_saveexec_b32 s20, s27
	s_cbranch_execz .LBB122_71
; %bb.70:                               ;   in Loop: Header=BB122_67 Depth=1
	s_wait_dscnt 0x0
	v_bcnt_u32_b32 v4, v4, v14
	ds_store_b32 v16, v4 offset:16
.LBB122_71:                             ;   in Loop: Header=BB122_67 Depth=1
	s_wait_alu 0xfffe
	s_or_b32 exec_lo, exec_lo, s20
	v_lshrrev_b32_e32 v4, v51, v60
	; wave barrier
	s_delay_alu instid0(VALU_DEP_1) | instskip(NEXT) | instid1(VALU_DEP_1)
	v_and_b32_e32 v4, s23, v4
	v_and_b32_e32 v5, 1, v4
	v_lshlrev_b32_e32 v6, 30, v4
	v_lshlrev_b32_e32 v7, 29, v4
	;; [unrolled: 1-line block ×4, first 2 shown]
	v_add_co_u32 v5, s20, v5, -1
	s_wait_alu 0xf1ff
	v_cndmask_b32_e64 v9, 0, 1, s20
	v_not_b32_e32 v18, v6
	v_cmp_gt_i32_e64 s20, 0, v6
	v_not_b32_e32 v6, v7
	v_lshlrev_b32_e32 v11, 26, v4
	v_cmp_ne_u32_e32 vcc_lo, 0, v9
	v_ashrrev_i32_e32 v18, 31, v18
	v_lshlrev_b32_e32 v17, 25, v4
	v_ashrrev_i32_e32 v6, 31, v6
	v_lshlrev_b32_e32 v9, 24, v4
	s_wait_alu 0xfffd
	v_xor_b32_e32 v5, vcc_lo, v5
	v_cmp_gt_i32_e32 vcc_lo, 0, v7
	v_not_b32_e32 v7, v8
	s_wait_alu 0xf1ff
	v_xor_b32_e32 v18, s20, v18
	v_cmp_gt_i32_e64 s20, 0, v8
	v_and_b32_e32 v5, exec_lo, v5
	v_not_b32_e32 v8, v10
	v_ashrrev_i32_e32 v7, 31, v7
	s_wait_alu 0xfffd
	v_xor_b32_e32 v6, vcc_lo, v6
	v_cmp_gt_i32_e32 vcc_lo, 0, v10
	v_and_b32_e32 v5, v5, v18
	v_not_b32_e32 v10, v11
	v_ashrrev_i32_e32 v8, 31, v8
	s_wait_alu 0xf1ff
	v_xor_b32_e32 v7, s20, v7
	v_cmp_gt_i32_e64 s20, 0, v11
	v_and_b32_e32 v5, v5, v6
	v_not_b32_e32 v6, v17
	v_ashrrev_i32_e32 v10, 31, v10
	s_wait_alu 0xfffd
	v_xor_b32_e32 v8, vcc_lo, v8
	v_cmp_gt_i32_e32 vcc_lo, 0, v17
	v_and_b32_e32 v5, v5, v7
	v_not_b32_e32 v7, v9
	v_ashrrev_i32_e32 v6, 31, v6
	s_wait_alu 0xf1ff
	v_xor_b32_e32 v10, s20, v10
	v_lshlrev_b32_e32 v4, 4, v4
	v_and_b32_e32 v5, v5, v8
	v_cmp_gt_i32_e64 s20, 0, v9
	v_ashrrev_i32_e32 v7, 31, v7
	s_wait_alu 0xfffd
	v_xor_b32_e32 v6, vcc_lo, v6
	v_add_nc_u32_e32 v19, v50, v4
	v_and_b32_e32 v5, v5, v10
	s_wait_alu 0xf1ff
	v_xor_b32_e32 v4, s20, v7
	ds_load_b32 v17, v19 offset:16
	v_and_b32_e32 v5, v5, v6
	; wave barrier
	s_delay_alu instid0(VALU_DEP_1) | instskip(NEXT) | instid1(VALU_DEP_1)
	v_and_b32_e32 v4, v5, v4
	v_mbcnt_lo_u32_b32 v18, v4, 0
	v_cmp_ne_u32_e64 s20, 0, v4
	s_delay_alu instid0(VALU_DEP_2)
	v_cmp_eq_u32_e32 vcc_lo, 0, v18
	s_and_b32 s27, s20, vcc_lo
	s_wait_alu 0xfffe
	s_and_saveexec_b32 s20, s27
	s_cbranch_execz .LBB122_73
; %bb.72:                               ;   in Loop: Header=BB122_67 Depth=1
	s_wait_dscnt 0x0
	v_bcnt_u32_b32 v4, v4, v17
	ds_store_b32 v19, v4 offset:16
.LBB122_73:                             ;   in Loop: Header=BB122_67 Depth=1
	s_wait_alu 0xfffe
	s_or_b32 exec_lo, exec_lo, s20
	v_lshrrev_b32_e32 v4, v51, v59
	; wave barrier
	s_delay_alu instid0(VALU_DEP_1) | instskip(NEXT) | instid1(VALU_DEP_1)
	v_and_b32_e32 v4, s23, v4
	v_and_b32_e32 v5, 1, v4
	v_lshlrev_b32_e32 v6, 30, v4
	v_lshlrev_b32_e32 v7, 29, v4
	;; [unrolled: 1-line block ×4, first 2 shown]
	v_add_co_u32 v5, s20, v5, -1
	s_wait_alu 0xf1ff
	v_cndmask_b32_e64 v9, 0, 1, s20
	v_not_b32_e32 v39, v6
	v_cmp_gt_i32_e64 s20, 0, v6
	v_not_b32_e32 v6, v7
	v_lshlrev_b32_e32 v11, 26, v4
	v_cmp_ne_u32_e32 vcc_lo, 0, v9
	v_ashrrev_i32_e32 v39, 31, v39
	v_lshlrev_b32_e32 v38, 25, v4
	v_ashrrev_i32_e32 v6, 31, v6
	v_lshlrev_b32_e32 v9, 24, v4
	s_wait_alu 0xfffd
	v_xor_b32_e32 v5, vcc_lo, v5
	v_cmp_gt_i32_e32 vcc_lo, 0, v7
	v_not_b32_e32 v7, v8
	s_wait_alu 0xf1ff
	v_xor_b32_e32 v39, s20, v39
	v_cmp_gt_i32_e64 s20, 0, v8
	v_and_b32_e32 v5, exec_lo, v5
	v_not_b32_e32 v8, v10
	v_ashrrev_i32_e32 v7, 31, v7
	s_wait_alu 0xfffd
	v_xor_b32_e32 v6, vcc_lo, v6
	v_cmp_gt_i32_e32 vcc_lo, 0, v10
	v_and_b32_e32 v5, v5, v39
	v_not_b32_e32 v10, v11
	v_ashrrev_i32_e32 v8, 31, v8
	s_wait_alu 0xf1ff
	v_xor_b32_e32 v7, s20, v7
	v_cmp_gt_i32_e64 s20, 0, v11
	v_and_b32_e32 v5, v5, v6
	v_not_b32_e32 v6, v38
	v_ashrrev_i32_e32 v10, 31, v10
	s_wait_alu 0xfffd
	v_xor_b32_e32 v8, vcc_lo, v8
	v_cmp_gt_i32_e32 vcc_lo, 0, v38
	v_and_b32_e32 v5, v5, v7
	v_not_b32_e32 v7, v9
	v_ashrrev_i32_e32 v6, 31, v6
	s_wait_alu 0xf1ff
	v_xor_b32_e32 v10, s20, v10
	v_lshlrev_b32_e32 v4, 4, v4
	v_and_b32_e32 v5, v5, v8
	v_cmp_gt_i32_e64 s20, 0, v9
	v_ashrrev_i32_e32 v7, 31, v7
	s_wait_alu 0xfffd
	v_xor_b32_e32 v6, vcc_lo, v6
	v_add_nc_u32_e32 v43, v50, v4
	v_and_b32_e32 v5, v5, v10
	s_wait_alu 0xf1ff
	v_xor_b32_e32 v4, s20, v7
	ds_load_b32 v38, v43 offset:16
	v_and_b32_e32 v5, v5, v6
	; wave barrier
	s_delay_alu instid0(VALU_DEP_1) | instskip(NEXT) | instid1(VALU_DEP_1)
	v_and_b32_e32 v4, v5, v4
	v_mbcnt_lo_u32_b32 v39, v4, 0
	v_cmp_ne_u32_e64 s20, 0, v4
	s_delay_alu instid0(VALU_DEP_2)
	v_cmp_eq_u32_e32 vcc_lo, 0, v39
	s_and_b32 s27, s20, vcc_lo
	s_wait_alu 0xfffe
	s_and_saveexec_b32 s20, s27
	s_cbranch_execz .LBB122_75
; %bb.74:                               ;   in Loop: Header=BB122_67 Depth=1
	s_wait_dscnt 0x0
	v_bcnt_u32_b32 v4, v4, v38
	ds_store_b32 v43, v4 offset:16
.LBB122_75:                             ;   in Loop: Header=BB122_67 Depth=1
	s_wait_alu 0xfffe
	s_or_b32 exec_lo, exec_lo, s20
	v_lshrrev_b32_e32 v4, v51, v58
	; wave barrier
	s_delay_alu instid0(VALU_DEP_1) | instskip(NEXT) | instid1(VALU_DEP_1)
	v_and_b32_e32 v4, s23, v4
	v_and_b32_e32 v5, 1, v4
	v_lshlrev_b32_e32 v6, 30, v4
	v_lshlrev_b32_e32 v7, 29, v4
	;; [unrolled: 1-line block ×4, first 2 shown]
	v_add_co_u32 v5, s20, v5, -1
	s_wait_alu 0xf1ff
	v_cndmask_b32_e64 v9, 0, 1, s20
	v_not_b32_e32 v45, v6
	v_cmp_gt_i32_e64 s20, 0, v6
	v_not_b32_e32 v6, v7
	v_lshlrev_b32_e32 v11, 26, v4
	v_cmp_ne_u32_e32 vcc_lo, 0, v9
	v_ashrrev_i32_e32 v45, 31, v45
	v_lshlrev_b32_e32 v44, 25, v4
	v_ashrrev_i32_e32 v6, 31, v6
	v_lshlrev_b32_e32 v9, 24, v4
	s_wait_alu 0xfffd
	v_xor_b32_e32 v5, vcc_lo, v5
	v_cmp_gt_i32_e32 vcc_lo, 0, v7
	v_not_b32_e32 v7, v8
	s_wait_alu 0xf1ff
	v_xor_b32_e32 v45, s20, v45
	v_cmp_gt_i32_e64 s20, 0, v8
	v_and_b32_e32 v5, exec_lo, v5
	v_not_b32_e32 v8, v10
	v_ashrrev_i32_e32 v7, 31, v7
	s_wait_alu 0xfffd
	v_xor_b32_e32 v6, vcc_lo, v6
	v_cmp_gt_i32_e32 vcc_lo, 0, v10
	v_and_b32_e32 v5, v5, v45
	v_not_b32_e32 v10, v11
	v_ashrrev_i32_e32 v8, 31, v8
	s_wait_alu 0xf1ff
	v_xor_b32_e32 v7, s20, v7
	v_cmp_gt_i32_e64 s20, 0, v11
	v_and_b32_e32 v5, v5, v6
	v_not_b32_e32 v6, v44
	v_ashrrev_i32_e32 v10, 31, v10
	s_wait_alu 0xfffd
	v_xor_b32_e32 v8, vcc_lo, v8
	v_cmp_gt_i32_e32 vcc_lo, 0, v44
	v_and_b32_e32 v5, v5, v7
	v_not_b32_e32 v7, v9
	v_ashrrev_i32_e32 v6, 31, v6
	s_wait_alu 0xf1ff
	v_xor_b32_e32 v10, s20, v10
	v_lshlrev_b32_e32 v4, 4, v4
	v_and_b32_e32 v5, v5, v8
	v_cmp_gt_i32_e64 s20, 0, v9
	v_ashrrev_i32_e32 v7, 31, v7
	s_wait_alu 0xfffd
	v_xor_b32_e32 v6, vcc_lo, v6
	v_add_nc_u32_e32 v46, v50, v4
	v_and_b32_e32 v5, v5, v10
	s_wait_alu 0xf1ff
	v_xor_b32_e32 v4, s20, v7
	ds_load_b32 v44, v46 offset:16
	v_and_b32_e32 v5, v5, v6
	; wave barrier
	s_delay_alu instid0(VALU_DEP_1) | instskip(NEXT) | instid1(VALU_DEP_1)
	v_and_b32_e32 v4, v5, v4
	v_mbcnt_lo_u32_b32 v45, v4, 0
	v_cmp_ne_u32_e64 s20, 0, v4
	s_delay_alu instid0(VALU_DEP_2)
	v_cmp_eq_u32_e32 vcc_lo, 0, v45
	s_and_b32 s27, s20, vcc_lo
	s_wait_alu 0xfffe
	s_and_saveexec_b32 s20, s27
	s_cbranch_execz .LBB122_77
; %bb.76:                               ;   in Loop: Header=BB122_67 Depth=1
	s_wait_dscnt 0x0
	v_bcnt_u32_b32 v4, v4, v44
	ds_store_b32 v46, v4 offset:16
.LBB122_77:                             ;   in Loop: Header=BB122_67 Depth=1
	s_wait_alu 0xfffe
	s_or_b32 exec_lo, exec_lo, s20
	v_lshrrev_b32_e32 v4, v51, v57
	; wave barrier
	s_delay_alu instid0(VALU_DEP_1) | instskip(NEXT) | instid1(VALU_DEP_1)
	v_and_b32_e32 v4, s23, v4
	v_and_b32_e32 v5, 1, v4
	v_lshlrev_b32_e32 v6, 30, v4
	v_lshlrev_b32_e32 v7, 29, v4
	;; [unrolled: 1-line block ×4, first 2 shown]
	v_add_co_u32 v5, s20, v5, -1
	s_wait_alu 0xf1ff
	v_cndmask_b32_e64 v9, 0, 1, s20
	v_not_b32_e32 v48, v6
	v_cmp_gt_i32_e64 s20, 0, v6
	v_not_b32_e32 v6, v7
	v_lshlrev_b32_e32 v11, 26, v4
	v_cmp_ne_u32_e32 vcc_lo, 0, v9
	v_ashrrev_i32_e32 v48, 31, v48
	v_lshlrev_b32_e32 v47, 25, v4
	v_ashrrev_i32_e32 v6, 31, v6
	v_lshlrev_b32_e32 v9, 24, v4
	s_wait_alu 0xfffd
	v_xor_b32_e32 v5, vcc_lo, v5
	v_cmp_gt_i32_e32 vcc_lo, 0, v7
	v_not_b32_e32 v7, v8
	s_wait_alu 0xf1ff
	v_xor_b32_e32 v48, s20, v48
	v_cmp_gt_i32_e64 s20, 0, v8
	v_and_b32_e32 v5, exec_lo, v5
	v_not_b32_e32 v8, v10
	v_ashrrev_i32_e32 v7, 31, v7
	s_wait_alu 0xfffd
	v_xor_b32_e32 v6, vcc_lo, v6
	v_cmp_gt_i32_e32 vcc_lo, 0, v10
	v_and_b32_e32 v5, v5, v48
	v_not_b32_e32 v10, v11
	v_ashrrev_i32_e32 v8, 31, v8
	s_wait_alu 0xf1ff
	v_xor_b32_e32 v7, s20, v7
	v_cmp_gt_i32_e64 s20, 0, v11
	v_and_b32_e32 v5, v5, v6
	v_not_b32_e32 v6, v47
	v_ashrrev_i32_e32 v10, 31, v10
	s_wait_alu 0xfffd
	v_xor_b32_e32 v8, vcc_lo, v8
	v_cmp_gt_i32_e32 vcc_lo, 0, v47
	v_and_b32_e32 v5, v5, v7
	v_not_b32_e32 v7, v9
	v_ashrrev_i32_e32 v6, 31, v6
	s_wait_alu 0xf1ff
	v_xor_b32_e32 v10, s20, v10
	v_lshlrev_b32_e32 v4, 4, v4
	v_and_b32_e32 v5, v5, v8
	v_cmp_gt_i32_e64 s20, 0, v9
	v_ashrrev_i32_e32 v7, 31, v7
	s_wait_alu 0xfffd
	v_xor_b32_e32 v6, vcc_lo, v6
	v_add_nc_u32_e32 v62, v50, v4
	v_and_b32_e32 v5, v5, v10
	s_wait_alu 0xf1ff
	v_xor_b32_e32 v4, s20, v7
	ds_load_b32 v47, v62 offset:16
	v_and_b32_e32 v5, v5, v6
	; wave barrier
	s_delay_alu instid0(VALU_DEP_1) | instskip(NEXT) | instid1(VALU_DEP_1)
	v_and_b32_e32 v4, v5, v4
	v_mbcnt_lo_u32_b32 v48, v4, 0
	v_cmp_ne_u32_e64 s20, 0, v4
	s_delay_alu instid0(VALU_DEP_2)
	v_cmp_eq_u32_e32 vcc_lo, 0, v48
	s_and_b32 s27, s20, vcc_lo
	s_wait_alu 0xfffe
	s_and_saveexec_b32 s20, s27
	s_cbranch_execz .LBB122_79
; %bb.78:                               ;   in Loop: Header=BB122_67 Depth=1
	s_wait_dscnt 0x0
	v_bcnt_u32_b32 v4, v4, v47
	ds_store_b32 v62, v4 offset:16
.LBB122_79:                             ;   in Loop: Header=BB122_67 Depth=1
	s_wait_alu 0xfffe
	s_or_b32 exec_lo, exec_lo, s20
	v_lshrrev_b32_e32 v4, v51, v56
	; wave barrier
	s_delay_alu instid0(VALU_DEP_1) | instskip(NEXT) | instid1(VALU_DEP_1)
	v_and_b32_e32 v4, s23, v4
	v_and_b32_e32 v5, 1, v4
	v_lshlrev_b32_e32 v6, 30, v4
	v_lshlrev_b32_e32 v7, 29, v4
	v_lshlrev_b32_e32 v8, 28, v4
	v_lshlrev_b32_e32 v10, 27, v4
	v_add_co_u32 v5, s20, v5, -1
	s_wait_alu 0xf1ff
	v_cndmask_b32_e64 v9, 0, 1, s20
	v_not_b32_e32 v64, v6
	v_cmp_gt_i32_e64 s20, 0, v6
	v_not_b32_e32 v6, v7
	v_lshlrev_b32_e32 v11, 26, v4
	v_cmp_ne_u32_e32 vcc_lo, 0, v9
	v_ashrrev_i32_e32 v64, 31, v64
	v_lshlrev_b32_e32 v63, 25, v4
	v_ashrrev_i32_e32 v6, 31, v6
	v_lshlrev_b32_e32 v9, 24, v4
	s_wait_alu 0xfffd
	v_xor_b32_e32 v5, vcc_lo, v5
	v_cmp_gt_i32_e32 vcc_lo, 0, v7
	v_not_b32_e32 v7, v8
	s_wait_alu 0xf1ff
	v_xor_b32_e32 v64, s20, v64
	v_cmp_gt_i32_e64 s20, 0, v8
	v_and_b32_e32 v5, exec_lo, v5
	v_not_b32_e32 v8, v10
	v_ashrrev_i32_e32 v7, 31, v7
	s_wait_alu 0xfffd
	v_xor_b32_e32 v6, vcc_lo, v6
	v_cmp_gt_i32_e32 vcc_lo, 0, v10
	v_and_b32_e32 v5, v5, v64
	v_not_b32_e32 v10, v11
	v_ashrrev_i32_e32 v8, 31, v8
	s_wait_alu 0xf1ff
	v_xor_b32_e32 v7, s20, v7
	v_cmp_gt_i32_e64 s20, 0, v11
	v_and_b32_e32 v5, v5, v6
	v_not_b32_e32 v6, v63
	v_ashrrev_i32_e32 v10, 31, v10
	s_wait_alu 0xfffd
	v_xor_b32_e32 v8, vcc_lo, v8
	v_cmp_gt_i32_e32 vcc_lo, 0, v63
	v_and_b32_e32 v5, v5, v7
	v_not_b32_e32 v7, v9
	v_ashrrev_i32_e32 v6, 31, v6
	s_wait_alu 0xf1ff
	v_xor_b32_e32 v10, s20, v10
	v_lshlrev_b32_e32 v4, 4, v4
	v_and_b32_e32 v5, v5, v8
	v_cmp_gt_i32_e64 s20, 0, v9
	v_ashrrev_i32_e32 v7, 31, v7
	s_wait_alu 0xfffd
	v_xor_b32_e32 v6, vcc_lo, v6
	v_add_nc_u32_e32 v65, v50, v4
	v_and_b32_e32 v5, v5, v10
	s_wait_alu 0xf1ff
	v_xor_b32_e32 v4, s20, v7
	ds_load_b32 v63, v65 offset:16
	v_and_b32_e32 v5, v5, v6
	; wave barrier
	s_delay_alu instid0(VALU_DEP_1) | instskip(NEXT) | instid1(VALU_DEP_1)
	v_and_b32_e32 v4, v5, v4
	v_mbcnt_lo_u32_b32 v64, v4, 0
	v_cmp_ne_u32_e64 s20, 0, v4
	s_delay_alu instid0(VALU_DEP_2)
	v_cmp_eq_u32_e32 vcc_lo, 0, v64
	s_and_b32 s27, s20, vcc_lo
	s_wait_alu 0xfffe
	s_and_saveexec_b32 s20, s27
	s_cbranch_execz .LBB122_81
; %bb.80:                               ;   in Loop: Header=BB122_67 Depth=1
	s_wait_dscnt 0x0
	v_bcnt_u32_b32 v4, v4, v63
	ds_store_b32 v65, v4 offset:16
.LBB122_81:                             ;   in Loop: Header=BB122_67 Depth=1
	s_wait_alu 0xfffe
	s_or_b32 exec_lo, exec_lo, s20
	v_lshrrev_b32_e32 v4, v51, v55
	; wave barrier
	s_delay_alu instid0(VALU_DEP_1) | instskip(NEXT) | instid1(VALU_DEP_1)
	v_and_b32_e32 v4, s23, v4
	v_and_b32_e32 v5, 1, v4
	v_lshlrev_b32_e32 v6, 30, v4
	v_lshlrev_b32_e32 v7, 29, v4
	;; [unrolled: 1-line block ×4, first 2 shown]
	v_add_co_u32 v5, s20, v5, -1
	s_wait_alu 0xf1ff
	v_cndmask_b32_e64 v9, 0, 1, s20
	v_not_b32_e32 v67, v6
	v_cmp_gt_i32_e64 s20, 0, v6
	v_not_b32_e32 v6, v7
	v_lshlrev_b32_e32 v11, 26, v4
	v_cmp_ne_u32_e32 vcc_lo, 0, v9
	v_ashrrev_i32_e32 v67, 31, v67
	v_lshlrev_b32_e32 v66, 25, v4
	v_ashrrev_i32_e32 v6, 31, v6
	v_lshlrev_b32_e32 v9, 24, v4
	s_wait_alu 0xfffd
	v_xor_b32_e32 v5, vcc_lo, v5
	v_cmp_gt_i32_e32 vcc_lo, 0, v7
	v_not_b32_e32 v7, v8
	s_wait_alu 0xf1ff
	v_xor_b32_e32 v67, s20, v67
	v_cmp_gt_i32_e64 s20, 0, v8
	v_and_b32_e32 v5, exec_lo, v5
	v_not_b32_e32 v8, v10
	v_ashrrev_i32_e32 v7, 31, v7
	s_wait_alu 0xfffd
	v_xor_b32_e32 v6, vcc_lo, v6
	v_cmp_gt_i32_e32 vcc_lo, 0, v10
	v_and_b32_e32 v5, v5, v67
	v_not_b32_e32 v10, v11
	v_ashrrev_i32_e32 v8, 31, v8
	s_wait_alu 0xf1ff
	v_xor_b32_e32 v7, s20, v7
	v_cmp_gt_i32_e64 s20, 0, v11
	v_and_b32_e32 v5, v5, v6
	v_not_b32_e32 v6, v66
	v_ashrrev_i32_e32 v10, 31, v10
	s_wait_alu 0xfffd
	v_xor_b32_e32 v8, vcc_lo, v8
	v_cmp_gt_i32_e32 vcc_lo, 0, v66
	v_and_b32_e32 v5, v5, v7
	v_not_b32_e32 v7, v9
	v_ashrrev_i32_e32 v6, 31, v6
	s_wait_alu 0xf1ff
	v_xor_b32_e32 v10, s20, v10
	v_lshlrev_b32_e32 v4, 4, v4
	v_and_b32_e32 v5, v5, v8
	v_cmp_gt_i32_e64 s20, 0, v9
	v_ashrrev_i32_e32 v7, 31, v7
	s_wait_alu 0xfffd
	v_xor_b32_e32 v6, vcc_lo, v6
	v_add_nc_u32_e32 v66, v50, v4
	v_and_b32_e32 v5, v5, v10
	s_wait_alu 0xf1ff
	v_xor_b32_e32 v4, s20, v7
	ds_load_b32 v71, v66 offset:16
	v_and_b32_e32 v5, v5, v6
	; wave barrier
	s_delay_alu instid0(VALU_DEP_1) | instskip(NEXT) | instid1(VALU_DEP_1)
	v_and_b32_e32 v4, v5, v4
	v_mbcnt_lo_u32_b32 v72, v4, 0
	v_cmp_ne_u32_e64 s20, 0, v4
	s_delay_alu instid0(VALU_DEP_2)
	v_cmp_eq_u32_e32 vcc_lo, 0, v72
	s_and_b32 s23, s20, vcc_lo
	s_wait_alu 0xfffe
	s_and_saveexec_b32 s20, s23
	s_cbranch_execz .LBB122_83
; %bb.82:                               ;   in Loop: Header=BB122_67 Depth=1
	s_wait_dscnt 0x0
	v_bcnt_u32_b32 v4, v4, v71
	ds_store_b32 v66, v4 offset:16
.LBB122_83:                             ;   in Loop: Header=BB122_67 Depth=1
	s_wait_alu 0xfffe
	s_or_b32 exec_lo, exec_lo, s20
	; wave barrier
	s_wait_loadcnt_dscnt 0x0
	s_barrier_signal -1
	s_barrier_wait -1
	global_inv scope:SCOPE_SE
	ds_load_b128 v[8:11], v90 offset:16
	ds_load_b128 v[4:7], v90 offset:32
	s_wait_dscnt 0x1
	v_add_nc_u32_e32 v67, v9, v8
	s_delay_alu instid0(VALU_DEP_1) | instskip(SKIP_1) | instid1(VALU_DEP_1)
	v_add3_u32 v67, v67, v10, v11
	s_wait_dscnt 0x0
	v_add3_u32 v67, v67, v4, v5
	s_delay_alu instid0(VALU_DEP_1) | instskip(NEXT) | instid1(VALU_DEP_1)
	v_add3_u32 v7, v67, v6, v7
	v_mov_b32_dpp v67, v7 row_shr:1 row_mask:0xf bank_mask:0xf
	s_delay_alu instid0(VALU_DEP_1) | instskip(NEXT) | instid1(VALU_DEP_1)
	v_cndmask_b32_e64 v67, v67, 0, s8
	v_add_nc_u32_e32 v7, v67, v7
	s_delay_alu instid0(VALU_DEP_1) | instskip(NEXT) | instid1(VALU_DEP_1)
	v_mov_b32_dpp v67, v7 row_shr:2 row_mask:0xf bank_mask:0xf
	v_cndmask_b32_e64 v67, 0, v67, s10
	s_delay_alu instid0(VALU_DEP_1) | instskip(NEXT) | instid1(VALU_DEP_1)
	v_add_nc_u32_e32 v7, v7, v67
	v_mov_b32_dpp v67, v7 row_shr:4 row_mask:0xf bank_mask:0xf
	s_delay_alu instid0(VALU_DEP_1) | instskip(NEXT) | instid1(VALU_DEP_1)
	v_cndmask_b32_e64 v67, 0, v67, s11
	v_add_nc_u32_e32 v7, v7, v67
	s_delay_alu instid0(VALU_DEP_1) | instskip(NEXT) | instid1(VALU_DEP_1)
	v_mov_b32_dpp v67, v7 row_shr:8 row_mask:0xf bank_mask:0xf
	v_cndmask_b32_e64 v67, 0, v67, s12
	s_delay_alu instid0(VALU_DEP_1) | instskip(SKIP_3) | instid1(VALU_DEP_1)
	v_add_nc_u32_e32 v7, v7, v67
	ds_swizzle_b32 v67, v7 offset:swizzle(BROADCAST,32,15)
	s_wait_dscnt 0x0
	v_cndmask_b32_e64 v67, v67, 0, s13
	v_add_nc_u32_e32 v7, v7, v67
	s_and_saveexec_b32 s20, s14
; %bb.84:                               ;   in Loop: Header=BB122_67 Depth=1
	ds_store_b32 v92, v7
; %bb.85:                               ;   in Loop: Header=BB122_67 Depth=1
	s_wait_alu 0xfffe
	s_or_b32 exec_lo, exec_lo, s20
	s_wait_loadcnt_dscnt 0x0
	s_barrier_signal -1
	s_barrier_wait -1
	global_inv scope:SCOPE_SE
	s_and_saveexec_b32 s20, s15
	s_cbranch_execz .LBB122_87
; %bb.86:                               ;   in Loop: Header=BB122_67 Depth=1
	ds_load_b32 v67, v52
	s_wait_dscnt 0x0
	v_mov_b32_dpp v68, v67 row_shr:1 row_mask:0xf bank_mask:0xf
	s_delay_alu instid0(VALU_DEP_1) | instskip(NEXT) | instid1(VALU_DEP_1)
	v_cndmask_b32_e64 v68, v68, 0, s18
	v_add_nc_u32_e32 v67, v68, v67
	s_delay_alu instid0(VALU_DEP_1) | instskip(NEXT) | instid1(VALU_DEP_1)
	v_mov_b32_dpp v68, v67 row_shr:2 row_mask:0xf bank_mask:0xf
	v_cndmask_b32_e64 v68, 0, v68, s19
	s_delay_alu instid0(VALU_DEP_1)
	v_add_nc_u32_e32 v67, v67, v68
	ds_store_b32 v52, v67
.LBB122_87:                             ;   in Loop: Header=BB122_67 Depth=1
	s_wait_alu 0xfffe
	s_or_b32 exec_lo, exec_lo, s20
	v_mov_b32_e32 v67, 0
	s_wait_loadcnt_dscnt 0x0
	s_barrier_signal -1
	s_barrier_wait -1
	global_inv scope:SCOPE_SE
	s_and_saveexec_b32 s20, s16
; %bb.88:                               ;   in Loop: Header=BB122_67 Depth=1
	ds_load_b32 v67, v49
; %bb.89:                               ;   in Loop: Header=BB122_67 Depth=1
	s_wait_alu 0xfffe
	s_or_b32 exec_lo, exec_lo, s20
	s_wait_dscnt 0x0
	v_add_nc_u32_e32 v7, v67, v7
	v_cmp_lt_u32_e32 vcc_lo, 23, v51
	v_readfirstlane_b32 s20, v0
	s_mov_b32 s23, -1
	ds_bpermute_b32 v7, v36, v7
	s_and_b32 vcc_lo, exec_lo, vcc_lo
	s_wait_dscnt 0x0
	v_cndmask_b32_e64 v7, v7, v67, s9
	s_delay_alu instid0(VALU_DEP_1) | instskip(NEXT) | instid1(VALU_DEP_1)
	v_cndmask_b32_e64 v7, v7, 0, s17
	v_add_nc_u32_e32 v8, v7, v8
	s_delay_alu instid0(VALU_DEP_1) | instskip(NEXT) | instid1(VALU_DEP_1)
	v_add_nc_u32_e32 v9, v8, v9
	v_add_nc_u32_e32 v10, v9, v10
	s_delay_alu instid0(VALU_DEP_1) | instskip(NEXT) | instid1(VALU_DEP_1)
	v_add_nc_u32_e32 v67, v10, v11
	;; [unrolled: 3-line block ×3, first 2 shown]
	v_add_nc_u32_e32 v70, v69, v6
	ds_store_b128 v90, v[7:10] offset:16
	ds_store_b128 v90, v[67:70] offset:32
	s_wait_loadcnt_dscnt 0x0
	s_barrier_signal -1
	s_barrier_wait -1
	global_inv scope:SCOPE_SE
	ds_load_b32 v4, v13 offset:16
	ds_load_b32 v5, v16 offset:16
	;; [unrolled: 1-line block ×8, first 2 shown]
	s_wait_dscnt 0x7
	v_add_nc_u32_e32 v70, v4, v12
	s_wait_dscnt 0x6
	v_add3_u32 v69, v15, v14, v5
	s_wait_dscnt 0x5
	v_add3_u32 v68, v18, v17, v6
	s_wait_dscnt 0x4
	v_add3_u32 v67, v39, v38, v7
	s_wait_dscnt 0x3
	v_add3_u32 v66, v45, v44, v8
	s_wait_dscnt 0x2
	v_add3_u32 v65, v48, v47, v9
	s_wait_dscnt 0x1
	v_add3_u32 v63, v64, v63, v10
	s_wait_dscnt 0x0
	v_add3_u32 v62, v72, v71, v11
                                        ; implicit-def: $vgpr48
                                        ; implicit-def: $vgpr46
                                        ; implicit-def: $vgpr44
                                        ; implicit-def: $vgpr39
                                        ; implicit-def: $vgpr18_vgpr19
                                        ; implicit-def: $vgpr14_vgpr15
                                        ; implicit-def: $vgpr10_vgpr11
                                        ; implicit-def: $vgpr6_vgpr7
	s_wait_alu 0xfffe
	s_cbranch_vccnz .LBB122_66
; %bb.90:                               ;   in Loop: Header=BB122_67 Depth=1
	v_lshlrev_b32_e32 v4, 2, v70
	v_lshlrev_b32_e32 v5, 2, v69
	;; [unrolled: 1-line block ×3, first 2 shown]
	s_wait_loadcnt 0x0
	s_barrier_signal -1
	s_barrier_wait -1
	global_inv scope:SCOPE_SE
	ds_store_b32 v4, v54
	ds_store_b32 v5, v61
	ds_store_b32 v6, v60
	v_lshlrev_b32_e32 v7, 2, v67
	v_add_nc_u32_e32 v4, v4, v4
	v_lshlrev_b32_e32 v8, 2, v66
	v_add_nc_u32_e32 v5, v5, v5
	;; [unrolled: 2-line block ×3, first 2 shown]
	v_lshlrev_b32_e32 v10, 2, v63
	v_lshlrev_b32_e32 v11, 2, v62
	ds_store_b32 v7, v59
	ds_store_b32 v8, v58
	;; [unrolled: 1-line block ×5, first 2 shown]
	s_wait_loadcnt_dscnt 0x0
	s_barrier_signal -1
	s_barrier_wait -1
	global_inv scope:SCOPE_SE
	ds_load_2addr_b32 v[38:39], v91 offset1:32
	ds_load_2addr_b32 v[43:44], v91 offset0:64 offset1:96
	ds_load_2addr_b32 v[45:46], v91 offset0:128 offset1:160
	;; [unrolled: 1-line block ×3, first 2 shown]
	s_wait_loadcnt_dscnt 0x0
	s_barrier_signal -1
	s_barrier_wait -1
	global_inv scope:SCOPE_SE
	ds_store_b64 v4, v[34:35]
	ds_store_b64 v5, v[32:33]
	ds_store_b64 v6, v[30:31]
	v_add_nc_u32_e32 v4, v7, v7
	v_add_nc_u32_e32 v5, v8, v8
	;; [unrolled: 1-line block ×5, first 2 shown]
	ds_store_b64 v4, v[28:29]
	ds_store_b64 v5, v[26:27]
	;; [unrolled: 1-line block ×5, first 2 shown]
	s_wait_loadcnt_dscnt 0x0
	s_barrier_signal -1
	s_barrier_wait -1
	global_inv scope:SCOPE_SE
	ds_load_2addr_b64 v[4:7], v53 offset1:32
	ds_load_2addr_b64 v[8:11], v53 offset0:64 offset1:96
	ds_load_2addr_b64 v[12:15], v53 offset0:128 offset1:160
	;; [unrolled: 1-line block ×3, first 2 shown]
	v_add_nc_u32_e32 v51, 8, v51
	s_add_co_i32 s20, s22, -8
	s_mov_b32 s23, 0
	s_wait_loadcnt_dscnt 0x0
	s_barrier_signal -1
	s_barrier_wait -1
	global_inv scope:SCOPE_SE
	s_branch .LBB122_66
.LBB122_91:
	v_lshlrev_b32_e32 v8, 2, v70
	v_lshlrev_b32_e32 v9, 2, v69
	;; [unrolled: 1-line block ×3, first 2 shown]
	s_wait_loadcnt 0x0
	s_barrier_signal -1
	s_barrier_wait -1
	global_inv scope:SCOPE_SE
	ds_store_b32 v8, v54
	ds_store_b32 v9, v61
	;; [unrolled: 1-line block ×3, first 2 shown]
	v_lshlrev_b32_e32 v11, 2, v67
	v_add_nc_u32_e32 v8, v8, v8
	v_lshlrev_b32_e32 v12, 2, v66
	v_add_nc_u32_e32 v9, v9, v9
	;; [unrolled: 2-line block ×3, first 2 shown]
	v_lshlrev_b32_e32 v14, 2, v63
	v_lshlrev_b32_e32 v15, 2, v62
	ds_store_b32 v11, v59
	ds_store_b32 v12, v58
	;; [unrolled: 1-line block ×5, first 2 shown]
	s_wait_loadcnt_dscnt 0x0
	s_barrier_signal -1
	s_barrier_wait -1
	global_inv scope:SCOPE_SE
	ds_load_b128 v[0:3], v90
	ds_load_b128 v[4:7], v90 offset:16
	s_wait_loadcnt_dscnt 0x0
	s_barrier_signal -1
	s_barrier_wait -1
	global_inv scope:SCOPE_SE
	ds_store_b64 v8, v[34:35]
	ds_store_b64 v9, v[32:33]
	;; [unrolled: 1-line block ×3, first 2 shown]
	v_add_nc_u32_e32 v8, v11, v11
	v_add_nc_u32_e32 v9, v12, v12
	;; [unrolled: 1-line block ×5, first 2 shown]
	ds_store_b64 v8, v[28:29]
	ds_store_b64 v9, v[26:27]
	;; [unrolled: 1-line block ×5, first 2 shown]
	v_lshl_add_u32 v8, v42, 5, v90
	s_wait_loadcnt_dscnt 0x0
	s_barrier_signal -1
	s_barrier_wait -1
	global_inv scope:SCOPE_SE
	ds_load_b128 v[29:32], v8
	ds_load_b128 v[25:28], v8 offset:16
	ds_load_b128 v[21:24], v8 offset:32
	;; [unrolled: 1-line block ×3, first 2 shown]
	v_xor_b32_e32 v33, 0x7fffffff, v0
	v_xor_b32_e32 v35, 0x7fffffff, v1
	;; [unrolled: 1-line block ×8, first 2 shown]
.LBB122_92:
	s_wait_loadcnt_dscnt 0x0
	s_barrier_signal -1
	s_barrier_wait -1
	global_inv scope:SCOPE_SE
	ds_store_2addr_b32 v80, v33, v35 offset1:1
	ds_store_2addr_b32 v80, v34, v38 offset0:2 offset1:3
	ds_store_2addr_b32 v80, v36, v51 offset0:4 offset1:5
	;; [unrolled: 1-line block ×3, first 2 shown]
	s_wait_loadcnt_dscnt 0x0
	s_barrier_signal -1
	s_barrier_wait -1
	global_inv scope:SCOPE_SE
	ds_load_b32 v8, v41 offset:512
	ds_load_b32 v7, v74 offset:1024
	;; [unrolled: 1-line block ×7, first 2 shown]
	v_mov_b32_e32 v41, 0
	s_delay_alu instid0(VALU_DEP_1) | instskip(NEXT) | instid1(VALU_DEP_1)
	v_lshlrev_b64_e32 v[0:1], 2, v[40:41]
	v_add_co_u32 v0, vcc_lo, s30, v0
	s_wait_alu 0xfffd
	s_delay_alu instid0(VALU_DEP_2)
	v_add_co_ci_u32_e64 v1, null, s31, v1, vcc_lo
	s_and_saveexec_b32 s8, s0
	s_cbranch_execnz .LBB122_111
; %bb.93:
	s_wait_alu 0xfffe
	s_or_b32 exec_lo, exec_lo, s8
	s_and_saveexec_b32 s8, s1
	s_cbranch_execnz .LBB122_112
.LBB122_94:
	s_wait_alu 0xfffe
	s_or_b32 exec_lo, exec_lo, s8
	s_and_saveexec_b32 s8, s2
	s_cbranch_execnz .LBB122_113
.LBB122_95:
	s_wait_alu 0xfffe
	s_or_b32 exec_lo, exec_lo, s8
	s_and_saveexec_b32 s8, s3
	s_cbranch_execnz .LBB122_114
.LBB122_96:
	s_wait_alu 0xfffe
	s_or_b32 exec_lo, exec_lo, s8
	s_and_saveexec_b32 s8, s4
	s_cbranch_execnz .LBB122_115
.LBB122_97:
	s_wait_alu 0xfffe
	s_or_b32 exec_lo, exec_lo, s8
	s_and_saveexec_b32 s8, s5
	s_cbranch_execnz .LBB122_116
.LBB122_98:
	s_wait_alu 0xfffe
	s_or_b32 exec_lo, exec_lo, s8
	s_and_saveexec_b32 s8, s6
	s_cbranch_execnz .LBB122_117
.LBB122_99:
	s_wait_alu 0xfffe
	s_or_b32 exec_lo, exec_lo, s8
	s_and_saveexec_b32 s8, s7
	s_cbranch_execz .LBB122_101
.LBB122_100:
	s_mul_i32 s10, s26, 0x380
	s_mov_b32 s11, 0
	s_wait_alu 0xfffe
	s_lshl_b64 s[10:11], s[10:11], 2
	s_wait_alu 0xfffe
	v_add_co_u32 v0, vcc_lo, v0, s10
	s_wait_alu 0xfffd
	v_add_co_ci_u32_e64 v1, null, s11, v1, vcc_lo
	s_wait_dscnt 0x0
	global_store_b32 v[0:1], v2, off
.LBB122_101:
	s_wait_alu 0xfffe
	s_or_b32 exec_lo, exec_lo, s8
	s_wait_storecnt 0x0
	s_wait_loadcnt_dscnt 0x0
	s_barrier_signal -1
	s_barrier_wait -1
	global_inv scope:SCOPE_SE
	ds_store_2addr_b64 v89, v[29:30], v[31:32] offset1:1
	ds_store_2addr_b64 v89, v[25:26], v[27:28] offset0:2 offset1:3
	ds_store_2addr_b64 v89, v[21:22], v[23:24] offset0:4 offset1:5
	;; [unrolled: 1-line block ×3, first 2 shown]
	s_wait_loadcnt_dscnt 0x0
	s_barrier_signal -1
	s_barrier_wait -1
	global_inv scope:SCOPE_SE
	ds_load_b64 v[14:15], v82 offset:1024
	ds_load_b64 v[12:13], v83 offset:2048
	;; [unrolled: 1-line block ×7, first 2 shown]
	v_mov_b32_e32 v38, 0
	s_delay_alu instid0(VALU_DEP_1) | instskip(NEXT) | instid1(VALU_DEP_1)
	v_lshlrev_b64_e32 v[2:3], 3, v[37:38]
	v_add_co_u32 v2, vcc_lo, s24, v2
	s_wait_alu 0xfffd
	s_delay_alu instid0(VALU_DEP_2)
	v_add_co_ci_u32_e64 v3, null, s25, v3, vcc_lo
	s_and_saveexec_b32 s8, s0
	s_cbranch_execnz .LBB122_118
; %bb.102:
	s_wait_alu 0xfffe
	s_or_b32 exec_lo, exec_lo, s8
	s_and_saveexec_b32 s0, s1
	s_cbranch_execnz .LBB122_119
.LBB122_103:
	s_or_b32 exec_lo, exec_lo, s0
	s_and_saveexec_b32 s0, s2
	s_cbranch_execnz .LBB122_120
.LBB122_104:
	s_or_b32 exec_lo, exec_lo, s0
	s_and_saveexec_b32 s0, s3
	s_cbranch_execnz .LBB122_121
.LBB122_105:
	s_or_b32 exec_lo, exec_lo, s0
	s_and_saveexec_b32 s0, s4
	s_cbranch_execnz .LBB122_122
.LBB122_106:
	s_or_b32 exec_lo, exec_lo, s0
	s_and_saveexec_b32 s0, s5
	s_cbranch_execnz .LBB122_123
.LBB122_107:
	s_or_b32 exec_lo, exec_lo, s0
	s_and_saveexec_b32 s0, s6
	s_cbranch_execnz .LBB122_124
.LBB122_108:
	s_or_b32 exec_lo, exec_lo, s0
	s_and_saveexec_b32 s0, s7
	s_cbranch_execz .LBB122_110
.LBB122_109:
	s_mul_i32 s0, s28, 0x380
	s_mov_b32 s1, 0
	s_delay_alu instid0(SALU_CYCLE_1) | instskip(NEXT) | instid1(SALU_CYCLE_1)
	s_lshl_b64 s[0:1], s[0:1], 3
	v_add_co_u32 v2, vcc_lo, v2, s0
	s_wait_alu 0xfffd
	v_add_co_ci_u32_e64 v3, null, s1, v3, vcc_lo
	s_wait_dscnt 0x0
	global_store_b64 v[2:3], v[0:1], off
.LBB122_110:
	s_nop 0
	s_sendmsg sendmsg(MSG_DEALLOC_VGPRS)
	s_endpgm
.LBB122_111:
	ds_load_b32 v9, v73
	s_wait_dscnt 0x0
	global_store_b32 v[0:1], v9, off
	s_wait_alu 0xfffe
	s_or_b32 exec_lo, exec_lo, s8
	s_and_saveexec_b32 s8, s1
	s_cbranch_execz .LBB122_94
.LBB122_112:
	s_lshl_b32 s10, s26, 7
	s_mov_b32 s11, 0
	s_wait_alu 0xfffe
	s_lshl_b64 s[10:11], s[10:11], 2
	s_wait_alu 0xfffe
	v_add_co_u32 v9, vcc_lo, v0, s10
	s_wait_alu 0xfffd
	v_add_co_ci_u32_e64 v10, null, s11, v1, vcc_lo
	s_wait_dscnt 0x6
	global_store_b32 v[9:10], v8, off
	s_or_b32 exec_lo, exec_lo, s8
	s_and_saveexec_b32 s8, s2
	s_cbranch_execz .LBB122_95
.LBB122_113:
	s_lshl_b32 s10, s26, 8
	s_mov_b32 s11, 0
	s_wait_alu 0xfffe
	s_lshl_b64 s[10:11], s[10:11], 2
	s_wait_dscnt 0x6
	s_wait_alu 0xfffe
	v_add_co_u32 v8, vcc_lo, v0, s10
	s_wait_alu 0xfffd
	v_add_co_ci_u32_e64 v9, null, s11, v1, vcc_lo
	s_wait_dscnt 0x5
	global_store_b32 v[8:9], v7, off
	s_or_b32 exec_lo, exec_lo, s8
	s_and_saveexec_b32 s8, s3
	s_cbranch_execz .LBB122_96
.LBB122_114:
	s_mul_i32 s10, s26, 0x180
	s_mov_b32 s11, 0
	s_wait_alu 0xfffe
	s_lshl_b64 s[10:11], s[10:11], 2
	s_wait_dscnt 0x5
	s_wait_alu 0xfffe
	v_add_co_u32 v7, vcc_lo, v0, s10
	s_wait_alu 0xfffd
	v_add_co_ci_u32_e64 v8, null, s11, v1, vcc_lo
	s_wait_dscnt 0x4
	global_store_b32 v[7:8], v6, off
	s_or_b32 exec_lo, exec_lo, s8
	s_and_saveexec_b32 s8, s4
	s_cbranch_execz .LBB122_97
.LBB122_115:
	s_lshl_b32 s10, s26, 9
	s_mov_b32 s11, 0
	s_wait_alu 0xfffe
	s_lshl_b64 s[10:11], s[10:11], 2
	s_wait_dscnt 0x4
	s_wait_alu 0xfffe
	v_add_co_u32 v6, vcc_lo, v0, s10
	s_wait_alu 0xfffd
	v_add_co_ci_u32_e64 v7, null, s11, v1, vcc_lo
	s_wait_dscnt 0x3
	global_store_b32 v[6:7], v5, off
	s_or_b32 exec_lo, exec_lo, s8
	s_and_saveexec_b32 s8, s5
	s_cbranch_execz .LBB122_98
.LBB122_116:
	s_mul_i32 s10, s26, 0x280
	s_mov_b32 s11, 0
	s_wait_alu 0xfffe
	s_lshl_b64 s[10:11], s[10:11], 2
	s_wait_dscnt 0x3
	s_wait_alu 0xfffe
	v_add_co_u32 v5, vcc_lo, v0, s10
	s_wait_alu 0xfffd
	v_add_co_ci_u32_e64 v6, null, s11, v1, vcc_lo
	s_wait_dscnt 0x2
	global_store_b32 v[5:6], v4, off
	s_or_b32 exec_lo, exec_lo, s8
	s_and_saveexec_b32 s8, s6
	s_cbranch_execz .LBB122_99
.LBB122_117:
	s_mul_i32 s10, s26, 0x300
	s_mov_b32 s11, 0
	s_wait_alu 0xfffe
	s_lshl_b64 s[10:11], s[10:11], 2
	s_wait_dscnt 0x2
	s_wait_alu 0xfffe
	v_add_co_u32 v4, vcc_lo, v0, s10
	s_wait_alu 0xfffd
	v_add_co_ci_u32_e64 v5, null, s11, v1, vcc_lo
	s_wait_dscnt 0x1
	global_store_b32 v[4:5], v3, off
	s_or_b32 exec_lo, exec_lo, s8
	s_and_saveexec_b32 s8, s7
	s_cbranch_execnz .LBB122_100
	s_branch .LBB122_101
.LBB122_118:
	ds_load_b64 v[16:17], v81
	s_wait_dscnt 0x0
	global_store_b64 v[2:3], v[16:17], off
	s_wait_alu 0xfffe
	s_or_b32 exec_lo, exec_lo, s8
	s_and_saveexec_b32 s0, s1
	s_cbranch_execz .LBB122_103
.LBB122_119:
	s_lshl_b32 s8, s28, 7
	s_mov_b32 s9, 0
	s_wait_alu 0xfffe
	s_lshl_b64 s[8:9], s[8:9], 3
	s_wait_alu 0xfffe
	v_add_co_u32 v16, vcc_lo, v2, s8
	s_wait_alu 0xfffd
	v_add_co_ci_u32_e64 v17, null, s9, v3, vcc_lo
	s_wait_dscnt 0x6
	global_store_b64 v[16:17], v[14:15], off
	s_or_b32 exec_lo, exec_lo, s0
	s_and_saveexec_b32 s0, s2
	s_cbranch_execz .LBB122_104
.LBB122_120:
	s_lshl_b32 s8, s28, 8
	s_mov_b32 s9, 0
	s_wait_alu 0xfffe
	s_lshl_b64 s[8:9], s[8:9], 3
	s_wait_dscnt 0x6
	s_wait_alu 0xfffe
	v_add_co_u32 v14, vcc_lo, v2, s8
	s_wait_alu 0xfffd
	v_add_co_ci_u32_e64 v15, null, s9, v3, vcc_lo
	s_wait_dscnt 0x5
	global_store_b64 v[14:15], v[12:13], off
	s_or_b32 exec_lo, exec_lo, s0
	s_and_saveexec_b32 s0, s3
	s_cbranch_execz .LBB122_105
.LBB122_121:
	s_mul_i32 s2, s28, 0x180
	s_mov_b32 s3, 0
	s_delay_alu instid0(SALU_CYCLE_1)
	s_lshl_b64 s[2:3], s[2:3], 3
	s_wait_dscnt 0x5
	v_add_co_u32 v12, vcc_lo, v2, s2
	s_wait_alu 0xfffd
	v_add_co_ci_u32_e64 v13, null, s3, v3, vcc_lo
	s_wait_dscnt 0x4
	global_store_b64 v[12:13], v[10:11], off
	s_or_b32 exec_lo, exec_lo, s0
	s_and_saveexec_b32 s0, s4
	s_cbranch_execz .LBB122_106
.LBB122_122:
	s_lshl_b32 s2, s28, 9
	s_mov_b32 s3, 0
	s_wait_alu 0xfffe
	s_lshl_b64 s[2:3], s[2:3], 3
	s_wait_dscnt 0x4
	s_wait_alu 0xfffe
	v_add_co_u32 v10, vcc_lo, v2, s2
	s_wait_alu 0xfffd
	v_add_co_ci_u32_e64 v11, null, s3, v3, vcc_lo
	s_wait_dscnt 0x3
	global_store_b64 v[10:11], v[8:9], off
	s_or_b32 exec_lo, exec_lo, s0
	s_and_saveexec_b32 s0, s5
	s_cbranch_execz .LBB122_107
.LBB122_123:
	s_mul_i32 s2, s28, 0x280
	s_mov_b32 s3, 0
	s_wait_alu 0xfffe
	s_lshl_b64 s[2:3], s[2:3], 3
	s_wait_dscnt 0x3
	s_wait_alu 0xfffe
	v_add_co_u32 v8, vcc_lo, v2, s2
	s_wait_alu 0xfffd
	v_add_co_ci_u32_e64 v9, null, s3, v3, vcc_lo
	s_wait_dscnt 0x2
	global_store_b64 v[8:9], v[6:7], off
	s_or_b32 exec_lo, exec_lo, s0
	s_and_saveexec_b32 s0, s6
	s_cbranch_execz .LBB122_108
.LBB122_124:
	s_mul_i32 s2, s28, 0x300
	s_mov_b32 s3, 0
	s_wait_alu 0xfffe
	s_lshl_b64 s[2:3], s[2:3], 3
	s_wait_dscnt 0x2
	s_wait_alu 0xfffe
	v_add_co_u32 v6, vcc_lo, v2, s2
	s_wait_alu 0xfffd
	v_add_co_ci_u32_e64 v7, null, s3, v3, vcc_lo
	s_wait_dscnt 0x1
	global_store_b64 v[6:7], v[4:5], off
	s_or_b32 exec_lo, exec_lo, s0
	s_and_saveexec_b32 s0, s7
	s_cbranch_execnz .LBB122_109
	s_branch .LBB122_110
	.section	.rodata,"a",@progbits
	.p2align	6, 0x0
	.amdhsa_kernel _ZN2at6native18radixSortKVInPlaceILin2ELin1ELi128ELi8EiljEEvNS_4cuda6detail10TensorInfoIT3_T5_EES6_S6_S6_NS4_IT4_S6_EES6_b
		.amdhsa_group_segment_fixed_size 8448
		.amdhsa_private_segment_fixed_size 0
		.amdhsa_kernarg_size 712
		.amdhsa_user_sgpr_count 2
		.amdhsa_user_sgpr_dispatch_ptr 0
		.amdhsa_user_sgpr_queue_ptr 0
		.amdhsa_user_sgpr_kernarg_segment_ptr 1
		.amdhsa_user_sgpr_dispatch_id 0
		.amdhsa_user_sgpr_private_segment_size 0
		.amdhsa_wavefront_size32 1
		.amdhsa_uses_dynamic_stack 0
		.amdhsa_enable_private_segment 0
		.amdhsa_system_sgpr_workgroup_id_x 1
		.amdhsa_system_sgpr_workgroup_id_y 1
		.amdhsa_system_sgpr_workgroup_id_z 1
		.amdhsa_system_sgpr_workgroup_info 0
		.amdhsa_system_vgpr_workitem_id 2
		.amdhsa_next_free_vgpr 128
		.amdhsa_next_free_sgpr 40
		.amdhsa_reserve_vcc 1
		.amdhsa_float_round_mode_32 0
		.amdhsa_float_round_mode_16_64 0
		.amdhsa_float_denorm_mode_32 3
		.amdhsa_float_denorm_mode_16_64 3
		.amdhsa_fp16_overflow 0
		.amdhsa_workgroup_processor_mode 1
		.amdhsa_memory_ordered 1
		.amdhsa_forward_progress 1
		.amdhsa_inst_pref_size 112
		.amdhsa_round_robin_scheduling 0
		.amdhsa_exception_fp_ieee_invalid_op 0
		.amdhsa_exception_fp_denorm_src 0
		.amdhsa_exception_fp_ieee_div_zero 0
		.amdhsa_exception_fp_ieee_overflow 0
		.amdhsa_exception_fp_ieee_underflow 0
		.amdhsa_exception_fp_ieee_inexact 0
		.amdhsa_exception_int_div_zero 0
	.end_amdhsa_kernel
	.section	.text._ZN2at6native18radixSortKVInPlaceILin2ELin1ELi128ELi8EiljEEvNS_4cuda6detail10TensorInfoIT3_T5_EES6_S6_S6_NS4_IT4_S6_EES6_b,"axG",@progbits,_ZN2at6native18radixSortKVInPlaceILin2ELin1ELi128ELi8EiljEEvNS_4cuda6detail10TensorInfoIT3_T5_EES6_S6_S6_NS4_IT4_S6_EES6_b,comdat
.Lfunc_end122:
	.size	_ZN2at6native18radixSortKVInPlaceILin2ELin1ELi128ELi8EiljEEvNS_4cuda6detail10TensorInfoIT3_T5_EES6_S6_S6_NS4_IT4_S6_EES6_b, .Lfunc_end122-_ZN2at6native18radixSortKVInPlaceILin2ELin1ELi128ELi8EiljEEvNS_4cuda6detail10TensorInfoIT3_T5_EES6_S6_S6_NS4_IT4_S6_EES6_b
                                        ; -- End function
	.set _ZN2at6native18radixSortKVInPlaceILin2ELin1ELi128ELi8EiljEEvNS_4cuda6detail10TensorInfoIT3_T5_EES6_S6_S6_NS4_IT4_S6_EES6_b.num_vgpr, 128
	.set _ZN2at6native18radixSortKVInPlaceILin2ELin1ELi128ELi8EiljEEvNS_4cuda6detail10TensorInfoIT3_T5_EES6_S6_S6_NS4_IT4_S6_EES6_b.num_agpr, 0
	.set _ZN2at6native18radixSortKVInPlaceILin2ELin1ELi128ELi8EiljEEvNS_4cuda6detail10TensorInfoIT3_T5_EES6_S6_S6_NS4_IT4_S6_EES6_b.numbered_sgpr, 40
	.set _ZN2at6native18radixSortKVInPlaceILin2ELin1ELi128ELi8EiljEEvNS_4cuda6detail10TensorInfoIT3_T5_EES6_S6_S6_NS4_IT4_S6_EES6_b.num_named_barrier, 0
	.set _ZN2at6native18radixSortKVInPlaceILin2ELin1ELi128ELi8EiljEEvNS_4cuda6detail10TensorInfoIT3_T5_EES6_S6_S6_NS4_IT4_S6_EES6_b.private_seg_size, 0
	.set _ZN2at6native18radixSortKVInPlaceILin2ELin1ELi128ELi8EiljEEvNS_4cuda6detail10TensorInfoIT3_T5_EES6_S6_S6_NS4_IT4_S6_EES6_b.uses_vcc, 1
	.set _ZN2at6native18radixSortKVInPlaceILin2ELin1ELi128ELi8EiljEEvNS_4cuda6detail10TensorInfoIT3_T5_EES6_S6_S6_NS4_IT4_S6_EES6_b.uses_flat_scratch, 0
	.set _ZN2at6native18radixSortKVInPlaceILin2ELin1ELi128ELi8EiljEEvNS_4cuda6detail10TensorInfoIT3_T5_EES6_S6_S6_NS4_IT4_S6_EES6_b.has_dyn_sized_stack, 0
	.set _ZN2at6native18radixSortKVInPlaceILin2ELin1ELi128ELi8EiljEEvNS_4cuda6detail10TensorInfoIT3_T5_EES6_S6_S6_NS4_IT4_S6_EES6_b.has_recursion, 0
	.set _ZN2at6native18radixSortKVInPlaceILin2ELin1ELi128ELi8EiljEEvNS_4cuda6detail10TensorInfoIT3_T5_EES6_S6_S6_NS4_IT4_S6_EES6_b.has_indirect_call, 0
	.section	.AMDGPU.csdata,"",@progbits
; Kernel info:
; codeLenInByte = 14332
; TotalNumSgprs: 42
; NumVgprs: 128
; ScratchSize: 0
; MemoryBound: 0
; FloatMode: 240
; IeeeMode: 1
; LDSByteSize: 8448 bytes/workgroup (compile time only)
; SGPRBlocks: 0
; VGPRBlocks: 15
; NumSGPRsForWavesPerEU: 42
; NumVGPRsForWavesPerEU: 128
; Occupancy: 10
; WaveLimiterHint : 1
; COMPUTE_PGM_RSRC2:SCRATCH_EN: 0
; COMPUTE_PGM_RSRC2:USER_SGPR: 2
; COMPUTE_PGM_RSRC2:TRAP_HANDLER: 0
; COMPUTE_PGM_RSRC2:TGID_X_EN: 1
; COMPUTE_PGM_RSRC2:TGID_Y_EN: 1
; COMPUTE_PGM_RSRC2:TGID_Z_EN: 1
; COMPUTE_PGM_RSRC2:TIDIG_COMP_CNT: 2
	.section	.text._ZN2at6native18radixSortKVInPlaceILin2ELin1ELi32ELi4EiljEEvNS_4cuda6detail10TensorInfoIT3_T5_EES6_S6_S6_NS4_IT4_S6_EES6_b,"axG",@progbits,_ZN2at6native18radixSortKVInPlaceILin2ELin1ELi32ELi4EiljEEvNS_4cuda6detail10TensorInfoIT3_T5_EES6_S6_S6_NS4_IT4_S6_EES6_b,comdat
	.protected	_ZN2at6native18radixSortKVInPlaceILin2ELin1ELi32ELi4EiljEEvNS_4cuda6detail10TensorInfoIT3_T5_EES6_S6_S6_NS4_IT4_S6_EES6_b ; -- Begin function _ZN2at6native18radixSortKVInPlaceILin2ELin1ELi32ELi4EiljEEvNS_4cuda6detail10TensorInfoIT3_T5_EES6_S6_S6_NS4_IT4_S6_EES6_b
	.globl	_ZN2at6native18radixSortKVInPlaceILin2ELin1ELi32ELi4EiljEEvNS_4cuda6detail10TensorInfoIT3_T5_EES6_S6_S6_NS4_IT4_S6_EES6_b
	.p2align	8
	.type	_ZN2at6native18radixSortKVInPlaceILin2ELin1ELi32ELi4EiljEEvNS_4cuda6detail10TensorInfoIT3_T5_EES6_S6_S6_NS4_IT4_S6_EES6_b,@function
_ZN2at6native18radixSortKVInPlaceILin2ELin1ELi32ELi4EiljEEvNS_4cuda6detail10TensorInfoIT3_T5_EES6_S6_S6_NS4_IT4_S6_EES6_b: ; @_ZN2at6native18radixSortKVInPlaceILin2ELin1ELi32ELi4EiljEEvNS_4cuda6detail10TensorInfoIT3_T5_EES6_S6_S6_NS4_IT4_S6_EES6_b
; %bb.0:
	s_clause 0x1
	s_load_b64 s[2:3], s[0:1], 0x1c8
	s_load_b96 s[16:18], s[0:1], 0xd8
	s_lshr_b32 s4, ttmp7, 16
	s_wait_kmcnt 0x0
	s_mul_i32 s3, s3, s4
	s_and_b32 s4, ttmp7, 0xffff
	s_delay_alu instid0(SALU_CYCLE_1) | instskip(NEXT) | instid1(SALU_CYCLE_1)
	s_add_co_i32 s3, s3, s4
	s_mul_i32 s4, s3, s2
	s_delay_alu instid0(SALU_CYCLE_1) | instskip(NEXT) | instid1(SALU_CYCLE_1)
	s_add_co_i32 s4, s4, ttmp9
	s_cmp_ge_u32 s4, s16
	s_cbranch_scc1 .LBB123_62
; %bb.1:
	s_load_b32 s2, s[0:1], 0x1b8
	s_add_nc_u64 s[10:11], s[0:1], 0xe8
	s_mov_b32 s9, 0
	s_mov_b32 s8, s4
	s_wait_kmcnt 0x0
	s_cmp_lt_i32 s2, 2
	s_cbranch_scc1 .LBB123_4
; %bb.2:
	s_add_co_i32 s8, s2, -1
	s_add_co_i32 s5, s2, 1
	s_lshl_b64 s[6:7], s[8:9], 2
	s_mov_b32 s8, s4
	s_add_nc_u64 s[6:7], s[10:11], s[6:7]
	s_delay_alu instid0(SALU_CYCLE_1)
	s_add_nc_u64 s[2:3], s[6:7], 8
.LBB123_3:                              ; =>This Inner Loop Header: Depth=1
	s_clause 0x1
	s_load_b32 s6, s[2:3], 0x0
	s_load_b32 s7, s[2:3], 0x64
	s_mov_b32 s14, s8
	s_add_nc_u64 s[2:3], s[2:3], -4
	s_wait_kmcnt 0x0
	s_cvt_f32_u32 s12, s6
	s_sub_co_i32 s13, 0, s6
	s_wait_alu 0xfffe
	s_delay_alu instid0(SALU_CYCLE_1) | instskip(NEXT) | instid1(TRANS32_DEP_1)
	v_rcp_iflag_f32_e32 v1, s12
	v_readfirstlane_b32 s12, v1
	s_mul_f32 s12, s12, 0x4f7ffffe
	s_wait_alu 0xfffe
	s_delay_alu instid0(SALU_CYCLE_2) | instskip(SKIP_1) | instid1(SALU_CYCLE_2)
	s_cvt_u32_f32 s12, s12
	s_wait_alu 0xfffe
	s_mul_i32 s13, s13, s12
	s_wait_alu 0xfffe
	s_mul_hi_u32 s13, s12, s13
	s_wait_alu 0xfffe
	s_add_co_i32 s12, s12, s13
	s_wait_alu 0xfffe
	s_mul_hi_u32 s8, s8, s12
	s_delay_alu instid0(SALU_CYCLE_1)
	s_mul_i32 s12, s8, s6
	s_add_co_i32 s13, s8, 1
	s_wait_alu 0xfffe
	s_sub_co_i32 s12, s14, s12
	s_wait_alu 0xfffe
	s_sub_co_i32 s15, s12, s6
	s_cmp_ge_u32 s12, s6
	s_cselect_b32 s8, s13, s8
	s_cselect_b32 s12, s15, s12
	s_add_co_i32 s13, s8, 1
	s_wait_alu 0xfffe
	s_cmp_ge_u32 s12, s6
	s_cselect_b32 s8, s13, s8
	s_add_co_i32 s5, s5, -1
	s_mul_i32 s6, s8, s6
	s_delay_alu instid0(SALU_CYCLE_1) | instskip(NEXT) | instid1(SALU_CYCLE_1)
	s_sub_co_i32 s6, s14, s6
	s_mul_i32 s6, s7, s6
	s_delay_alu instid0(SALU_CYCLE_1)
	s_add_co_i32 s9, s6, s9
	s_cmp_gt_u32 s5, 2
	s_cbranch_scc1 .LBB123_3
.LBB123_4:
	s_clause 0x2
	s_load_b64 s[20:21], s[0:1], 0x1c0
	s_load_b64 s[2:3], s[0:1], 0x0
	s_load_b32 s5, s[0:1], 0x6c
	s_add_nc_u64 s[24:25], s[0:1], 0x1c8
	s_brev_b32 s0, 1
	s_mov_b32 s15, 0
	s_wait_kmcnt 0x0
	s_bitcmp1_b32 s21, 0
	s_mul_i32 s14, s5, s4
	s_cselect_b32 s12, -1, 0
	s_wait_alu 0xfffe
	s_and_b32 s1, s12, exec_lo
	s_cselect_b32 s4, s0, 0x7fffffff
	s_lshl_b64 s[14:15], s[14:15], 2
	s_mov_b32 s5, s4
	s_mov_b32 s6, s4
	;; [unrolled: 1-line block ×3, first 2 shown]
	v_and_b32_e32 v21, 0x3ff, v0
	v_dual_mov_b32 v1, s4 :: v_dual_mov_b32 v4, s7
	v_dual_mov_b32 v2, s5 :: v_dual_mov_b32 v3, s6
	v_mov_b32_e32 v6, s4
	s_delay_alu instid0(VALU_DEP_4)
	v_mul_lo_u32 v17, s18, v21
	v_cmp_gt_u32_e64 s0, s17, v21
	s_add_nc_u64 s[22:23], s[2:3], s[14:15]
	s_and_saveexec_b32 s1, s0
	s_cbranch_execz .LBB123_6
; %bb.5:
	v_mov_b32_e32 v18, 0
	s_delay_alu instid0(VALU_DEP_1) | instskip(NEXT) | instid1(VALU_DEP_1)
	v_lshlrev_b64_e32 v[1:2], 2, v[17:18]
	v_add_co_u32 v1, vcc_lo, s22, v1
	s_delay_alu instid0(VALU_DEP_1)
	v_add_co_ci_u32_e64 v2, null, s23, v2, vcc_lo
	global_load_b32 v6, v[1:2], off
	v_dual_mov_b32 v1, s4 :: v_dual_mov_b32 v2, s5
	v_dual_mov_b32 v3, s6 :: v_dual_mov_b32 v4, s7
.LBB123_6:
	s_or_b32 exec_lo, exec_lo, s1
	v_add_nc_u32_e32 v5, 32, v21
	s_delay_alu instid0(VALU_DEP_1)
	v_cmp_gt_u32_e64 s1, s17, v5
	s_and_saveexec_b32 s2, s1
	s_cbranch_execz .LBB123_8
; %bb.7:
	v_mul_lo_u32 v1, s18, v5
	v_mov_b32_e32 v2, 0
	s_delay_alu instid0(VALU_DEP_1) | instskip(NEXT) | instid1(VALU_DEP_1)
	v_lshlrev_b64_e32 v[1:2], 2, v[1:2]
	v_add_co_u32 v1, vcc_lo, s22, v1
	s_wait_alu 0xfffd
	s_delay_alu instid0(VALU_DEP_2)
	v_add_co_ci_u32_e64 v2, null, s23, v2, vcc_lo
	global_load_b32 v2, v[1:2], off
.LBB123_8:
	s_or_b32 exec_lo, exec_lo, s2
	v_add_nc_u32_e32 v9, 64, v21
	s_delay_alu instid0(VALU_DEP_1)
	v_cmp_gt_u32_e64 s2, s17, v9
	s_and_saveexec_b32 s3, s2
	s_cbranch_execz .LBB123_10
; %bb.9:
	v_mul_lo_u32 v7, s18, v9
	v_mov_b32_e32 v8, 0
	s_delay_alu instid0(VALU_DEP_1) | instskip(NEXT) | instid1(VALU_DEP_1)
	v_lshlrev_b64_e32 v[7:8], 2, v[7:8]
	v_add_co_u32 v7, vcc_lo, s22, v7
	s_wait_alu 0xfffd
	s_delay_alu instid0(VALU_DEP_2)
	v_add_co_ci_u32_e64 v8, null, s23, v8, vcc_lo
	global_load_b32 v3, v[7:8], off
.LBB123_10:
	s_or_b32 exec_lo, exec_lo, s3
	s_clause 0x1
	s_load_b32 s6, s[10:11], 0x6c
	s_load_b64 s[4:5], s[10:11], 0x0
	v_add_nc_u32_e32 v10, 0x60, v21
	s_delay_alu instid0(VALU_DEP_1)
	v_cmp_gt_u32_e64 s3, s17, v10
	s_and_saveexec_b32 s7, s3
	s_cbranch_execz .LBB123_12
; %bb.11:
	v_mul_lo_u32 v7, s18, v10
	v_mov_b32_e32 v8, 0
	s_delay_alu instid0(VALU_DEP_1) | instskip(NEXT) | instid1(VALU_DEP_1)
	v_lshlrev_b64_e32 v[7:8], 2, v[7:8]
	v_add_co_u32 v7, vcc_lo, s22, v7
	s_wait_alu 0xfffd
	s_delay_alu instid0(VALU_DEP_2)
	v_add_co_ci_u32_e64 v8, null, s23, v8, vcc_lo
	global_load_b32 v4, v[7:8], off
.LBB123_12:
	s_wait_alu 0xfffe
	s_or_b32 exec_lo, exec_lo, s7
	v_lshrrev_b32_e32 v1, 5, v21
	v_lshrrev_b32_e32 v7, 5, v5
	;; [unrolled: 1-line block ×3, first 2 shown]
	v_lshlrev_b32_e32 v41, 2, v21
	v_lshrrev_b32_e32 v11, 5, v10
	v_add_nc_u32_e32 v1, v1, v21
	v_add_nc_u32_e32 v12, v7, v21
	v_lshrrev_b32_e32 v7, 3, v21
	v_add_nc_u32_e32 v13, v8, v21
	v_add_nc_u32_e32 v11, v11, v21
	v_lshlrev_b32_e32 v38, 2, v1
	v_lshlrev_b32_e32 v18, 2, v12
	v_add_nc_u32_e32 v1, v7, v41
	v_lshlrev_b32_e32 v39, 2, v13
	v_lshlrev_b32_e32 v40, 2, v11
	s_wait_loadcnt 0x0
	ds_store_b32 v38, v6
	ds_store_b32 v18, v2 offset:128
	ds_store_b32 v39, v3 offset:256
	;; [unrolled: 1-line block ×3, first 2 shown]
	v_lshlrev_b32_e32 v42, 2, v1
	s_wait_dscnt 0x0
	; wave barrier
	global_inv scope:SCOPE_SE
	ds_load_2addr_b32 v[24:25], v42 offset1:1
	ds_load_2addr_b32 v[22:23], v42 offset0:2 offset1:3
	s_wait_kmcnt 0x0
	s_mul_i32 s6, s6, s8
	v_mul_lo_u32 v19, s20, v21
	s_wait_alu 0xfffe
	s_add_co_i32 s6, s6, s9
	s_mov_b32 s7, 0
	v_mov_b32_e32 v1, 0
	v_dual_mov_b32 v3, 0 :: v_dual_mov_b32 v2, 0
	v_mov_b32_e32 v4, 0
	s_wait_alu 0xfffe
	s_lshl_b64 s[6:7], s[6:7], 3
	s_wait_loadcnt_dscnt 0x0
	s_wait_alu 0xfffe
	s_add_nc_u64 s[16:17], s[4:5], s[6:7]
	; wave barrier
	global_inv scope:SCOPE_SE
	s_and_saveexec_b32 s4, s0
	s_cbranch_execz .LBB123_14
; %bb.13:
	v_mov_b32_e32 v20, 0
	s_delay_alu instid0(VALU_DEP_1) | instskip(SKIP_1) | instid1(VALU_DEP_1)
	v_lshlrev_b64_e32 v[3:4], 3, v[19:20]
	s_wait_alu 0xfffe
	v_add_co_u32 v3, vcc_lo, s16, v3
	s_wait_alu 0xfffd
	s_delay_alu instid0(VALU_DEP_2)
	v_add_co_ci_u32_e64 v4, null, s17, v4, vcc_lo
	global_load_b64 v[3:4], v[3:4], off
.LBB123_14:
	s_wait_alu 0xfffe
	s_or_b32 exec_lo, exec_lo, s4
	s_and_saveexec_b32 s4, s1
	s_cbranch_execz .LBB123_16
; %bb.15:
	v_mul_lo_u32 v1, s20, v5
	v_mov_b32_e32 v2, 0
	s_delay_alu instid0(VALU_DEP_1) | instskip(NEXT) | instid1(VALU_DEP_1)
	v_lshlrev_b64_e32 v[1:2], 3, v[1:2]
	v_add_co_u32 v1, vcc_lo, s16, v1
	s_wait_alu 0xfffd
	s_delay_alu instid0(VALU_DEP_2)
	v_add_co_ci_u32_e64 v2, null, s17, v2, vcc_lo
	global_load_b64 v[1:2], v[1:2], off
.LBB123_16:
	s_wait_alu 0xfffe
	s_or_b32 exec_lo, exec_lo, s4
	v_mov_b32_e32 v5, 0
	v_dual_mov_b32 v6, 0 :: v_dual_mov_b32 v7, 0
	v_mov_b32_e32 v8, 0
	s_and_saveexec_b32 s4, s2
	s_cbranch_execz .LBB123_18
; %bb.17:
	v_mul_lo_u32 v7, s20, v9
	v_mov_b32_e32 v8, 0
	s_delay_alu instid0(VALU_DEP_1) | instskip(NEXT) | instid1(VALU_DEP_1)
	v_lshlrev_b64_e32 v[7:8], 3, v[7:8]
	v_add_co_u32 v7, vcc_lo, s16, v7
	s_wait_alu 0xfffd
	s_delay_alu instid0(VALU_DEP_2)
	v_add_co_ci_u32_e64 v8, null, s17, v8, vcc_lo
	global_load_b64 v[7:8], v[7:8], off
.LBB123_18:
	s_wait_alu 0xfffe
	s_or_b32 exec_lo, exec_lo, s4
	s_xor_b32 s8, s12, -1
	s_and_saveexec_b32 s4, s3
	s_cbranch_execz .LBB123_20
; %bb.19:
	v_mul_lo_u32 v5, s20, v10
	v_mov_b32_e32 v6, 0
	s_delay_alu instid0(VALU_DEP_1) | instskip(NEXT) | instid1(VALU_DEP_1)
	v_lshlrev_b64_e32 v[5:6], 3, v[5:6]
	v_add_co_u32 v5, vcc_lo, s16, v5
	s_wait_alu 0xfffd
	s_delay_alu instid0(VALU_DEP_2)
	v_add_co_ci_u32_e64 v6, null, s17, v6, vcc_lo
	global_load_b64 v[5:6], v[5:6], off
.LBB123_20:
	s_wait_alu 0xfffe
	s_or_b32 exec_lo, exec_lo, s4
	v_add_nc_u32_e32 v43, v38, v38
	v_lshlrev_b32_e32 v45, 3, v11
	v_add_nc_u32_e32 v46, v42, v42
	v_lshlrev_b32_e32 v20, 3, v12
	v_lshlrev_b32_e32 v44, 3, v13
	s_wait_loadcnt 0x0
	ds_store_b64 v43, v[3:4]
	ds_store_b64 v20, v[1:2] offset:256
	ds_store_b64 v44, v[7:8] offset:512
	;; [unrolled: 1-line block ×3, first 2 shown]
	s_wait_dscnt 0x0
	; wave barrier
	global_inv scope:SCOPE_SE
	ds_load_2addr_b64 v[5:8], v46 offset1:1
	ds_load_2addr_b64 v[1:4], v46 offset0:2 offset1:3
	v_mbcnt_lo_u32_b32 v48, -1, 0
	s_and_b32 vcc_lo, exec_lo, s8
	v_bfe_u32 v52, v0, 10, 10
	v_bfe_u32 v53, v0, 20, 10
	v_lshlrev_b32_e32 v47, 5, v21
	v_and_b32_e32 v9, 3, v48
	v_and_b32_e32 v54, 28, v48
	;; [unrolled: 1-line block ×4, first 2 shown]
	v_cmp_eq_u32_e64 s8, 31, v21
	v_cmp_eq_u32_e64 s7, 0, v9
	v_cmp_eq_u32_e64 s6, 1, v9
	v_cmp_eq_u32_e64 s5, 2, v9
	v_cmp_eq_u32_e64 s4, 3, v9
	v_or_b32_e32 v55, 32, v54
	v_cmp_eq_u32_e64 s14, 0, v21
	v_and_or_b32 v49, 0xf80, v41, v48
	s_mov_b32 s9, -1
	s_mov_b32 s15, 32
	; wave barrier
	s_wait_loadcnt_dscnt 0x0
	global_inv scope:SCOPE_SE
                                        ; implicit-def: $vgpr12
                                        ; implicit-def: $vgpr10
                                        ; implicit-def: $vgpr11
                                        ; implicit-def: $vgpr9
	s_wait_alu 0xfffe
	s_cbranch_vccz .LBB123_36
; %bb.21:
	v_xor_b32_e32 v0, 0x80000000, v24
	v_xor_b32_e32 v9, 0x80000000, v25
	;; [unrolled: 1-line block ×4, first 2 shown]
	ds_bpermute_b32 v12, v54, v5
	ds_bpermute_b32 v13, v54, v0
	;; [unrolled: 1-line block ×3, first 2 shown]
	ds_bpermute_b32 v30, v54, v0 offset:64
	ds_bpermute_b32 v32, v54, v10
	ds_bpermute_b32 v26, v55, v0
	ds_bpermute_b32 v34, v54, v9 offset:64
	ds_bpermute_b32 v36, v54, v11
	ds_bpermute_b32 v0, v54, v0 offset:96
	ds_bpermute_b32 v14, v54, v6
	ds_bpermute_b32 v31, v55, v9
	ds_bpermute_b32 v9, v54, v9 offset:96
	ds_bpermute_b32 v15, v54, v7
	ds_bpermute_b32 v16, v54, v8
	;; [unrolled: 1-line block ×4, first 2 shown]
	ds_bpermute_b32 v58, v54, v10 offset:64
	ds_bpermute_b32 v10, v54, v10 offset:96
	ds_bpermute_b32 v28, v54, v1
	ds_bpermute_b32 v29, v54, v2
	;; [unrolled: 1-line block ×3, first 2 shown]
	s_wait_dscnt 0x13
	s_wait_alu 0xf1ff
	v_cndmask_b32_e64 v13, 0, v13, s7
	ds_bpermute_b32 v60, v54, v11 offset:64
	s_wait_dscnt 0x12
	v_cndmask_b32_e64 v30, 0, v30, s7
	ds_bpermute_b32 v11, v54, v11 offset:96
	ds_bpermute_b32 v33, v54, v3
	v_cndmask_b32_e64 v13, v13, v27, s6
	ds_bpermute_b32 v27, v55, v7
	ds_bpermute_b32 v56, v54, v4
	;; [unrolled: 1-line block ×3, first 2 shown]
	s_wait_dscnt 0x15
	v_cndmask_b32_e64 v26, 0, v26, s7
	v_cndmask_b32_e64 v13, v13, v32, s5
	s_wait_dscnt 0x14
	v_cndmask_b32_e64 v30, v30, v34, s6
	s_wait_dscnt 0x12
	;; [unrolled: 2-line block ×4, first 2 shown]
	v_cndmask_b32_e64 v26, v26, v31, s6
	v_cndmask_b32_e64 v34, v13, v36, s4
	ds_bpermute_b32 v13, v55, v1
	ds_bpermute_b32 v31, v55, v8
	v_cndmask_b32_e64 v12, 0, v12, s7
	s_wait_dscnt 0x11
	v_cndmask_b32_e64 v0, v0, v9, s6
	s_wait_dscnt 0xf
	;; [unrolled: 2-line block ×3, first 2 shown]
	v_cndmask_b32_e64 v26, v26, v35, s5
	ds_bpermute_b32 v16, v55, v4
	v_cndmask_b32_e64 v12, v12, v15, s6
	s_wait_dscnt 0xc
	v_cndmask_b32_e64 v0, v0, v10, s5
	v_cndmask_b32_e64 v10, 0, v37, s7
	s_wait_dscnt 0xa
	v_cndmask_b32_e64 v9, v9, v29, s5
	s_wait_dscnt 0x9
	v_cndmask_b32_e64 v35, v26, v59, s4
	v_cndmask_b32_e64 v12, v12, v28, s5
	s_wait_dscnt 0x7
	v_cndmask_b32_e64 v37, v0, v11, s4
	s_wait_dscnt 0x5
	v_cndmask_b32_e64 v0, v10, v27, s6
	s_wait_dscnt 0x3
	v_cndmask_b32_e64 v14, 0, v57, s7
	v_cndmask_b32_e64 v10, v9, v56, s4
	v_cndmask_b32_e64 v9, v12, v33, s4
	ds_bpermute_b32 v12, v55, v2
	ds_bpermute_b32 v26, v54, v6 offset:96
	s_wait_dscnt 0x4
	v_cndmask_b32_e64 v0, v0, v13, s5
	ds_bpermute_b32 v13, v54, v6 offset:64
	s_wait_dscnt 0x4
	v_cndmask_b32_e64 v11, v14, v31, s6
	ds_bpermute_b32 v15, v54, v5 offset:64
	ds_bpermute_b32 v27, v54, v8 offset:64
	;; [unrolled: 1-line block ×4, first 2 shown]
	v_cndmask_b32_e64 v30, v30, v58, s5
	ds_bpermute_b32 v14, v55, v3
	ds_bpermute_b32 v29, v54, v7 offset:64
	ds_bpermute_b32 v33, v54, v7 offset:96
	;; [unrolled: 1-line block ×3, first 2 shown]
	; wave barrier
	s_wait_loadcnt_dscnt 0x0
	global_inv scope:SCOPE_SE
	s_load_b32 s9, s[24:25], 0xc
	v_cndmask_b32_e64 v36, v30, v60, s4
	ds_bpermute_b32 v30, v54, v1 offset:64
	ds_bpermute_b32 v32, v54, v2 offset:64
	;; [unrolled: 1-line block ×6, first 2 shown]
	v_cndmask_b32_e64 v13, 0, v13, s7
	ds_bpermute_b32 v61, v54, v3 offset:96
	v_cndmask_b32_e64 v11, v11, v12, s5
	v_cndmask_b32_e64 v26, 0, v26, s7
	;; [unrolled: 1-line block ×10, first 2 shown]
	s_wait_kmcnt 0x0
	s_lshr_b32 s10, s9, 16
	v_cndmask_b32_e64 v0, v16, v58, s5
	s_wait_dscnt 0x6
	v_cndmask_b32_e64 v15, v15, v30, s5
	s_wait_dscnt 0x5
	;; [unrolled: 2-line block ×3, first 2 shown]
	v_cndmask_b32_e64 v26, v26, v59, s5
	v_cmp_lt_u32_e64 s12, 7, v50
	s_wait_dscnt 0x3
	v_cndmask_b32_e64 v16, v0, v60, s4
	v_mad_u32_u24 v0, v53, s10, v52
	s_getpc_b64 s[10:11]
	s_wait_alu 0xfffe
	s_sext_i32_i16 s11, s11
	s_add_co_u32 s10, s10, _ZN7rocprim17ROCPRIM_400000_NS16block_radix_sortIiLj32ELj4ElLj1ELj1ELj0ELNS0_26block_radix_rank_algorithmE1ELNS0_18block_padding_hintE2ELNS0_4arch9wavefront6targetE0EE19radix_bits_per_passE@rel32@lo+12
	s_wait_alu 0xfffe
	s_add_co_ci_u32 s11, s11, _ZN7rocprim17ROCPRIM_400000_NS16block_radix_sortIiLj32ELj4ElLj1ELj1ELj0ELNS0_26block_radix_rank_algorithmE1ELNS0_18block_padding_hintE2ELNS0_4arch9wavefront6targetE0EE19radix_bits_per_passE@rel32@hi+24
	s_and_b32 s9, s9, 0xffff
	s_wait_dscnt 0x1
	v_cndmask_b32_e64 v14, v13, v57, s4
	v_cndmask_b32_e64 v13, v15, v56, s4
	s_wait_dscnt 0x0
	v_cndmask_b32_e64 v15, v26, v61, s4
	v_mad_co_u64_u32 v[26:27], null, v0, s9, v[21:22]
	v_sub_co_u32 v0, s21, v48, 1
	s_load_b32 s19, s[10:11], 0x0
	v_cmp_eq_u32_e64 s9, 0, v50
	v_cmp_lt_u32_e64 s10, 1, v50
	v_cmp_gt_i32_e32 vcc_lo, 0, v0
	v_lshrrev_b32_e32 v26, 3, v26
	v_cmp_lt_u32_e64 s11, 3, v50
	v_cmp_eq_u32_e64 s13, 0, v51
	s_wait_alu 0xfffd
	v_dual_mov_b32 v58, 0 :: v_dual_cndmask_b32 v27, v0, v48
	v_lshlrev_b32_e32 v0, 2, v49
	v_and_b32_e32 v57, 0x1ffffffc, v26
	v_dual_mov_b32 v59, 0 :: v_dual_mov_b32 v62, 0
	s_delay_alu instid0(VALU_DEP_4) | instskip(NEXT) | instid1(VALU_DEP_4)
	v_lshlrev_b32_e32 v56, 2, v27
	v_add_nc_u32_e32 v60, v0, v0
	s_or_b32 s21, s14, s21
	s_branch .LBB123_23
.LBB123_22:                             ;   in Loop: Header=BB123_23 Depth=1
	s_wait_alu 0xfffe
	s_and_not1_b32 vcc_lo, exec_lo, s26
	s_mov_b32 s15, s14
	s_wait_alu 0xfffe
	s_cbranch_vccz .LBB123_35
.LBB123_23:                             ; =>This Inner Loop Header: Depth=1
	s_wait_kmcnt 0x0
	s_min_u32 s14, s19, s15
	ds_store_2addr_b32 v47, v59, v59 offset0:1 offset1:2
	ds_store_2addr_b32 v47, v59, v59 offset0:3 offset1:4
	;; [unrolled: 1-line block ×4, first 2 shown]
	s_wait_alu 0xfffe
	s_lshl_b32 s14, -1, s14
	s_wait_loadcnt_dscnt 0x0
	s_wait_alu 0xfffe
	s_not_b32 s26, s14
	v_mov_b32_e32 v61, v34
	; wave barrier
	global_inv scope:SCOPE_SE
	; wave barrier
	v_mov_b32_e32 v63, v37
	v_lshrrev_b32_e32 v26, v62, v61
	v_dual_mov_b32 v64, v36 :: v_dual_mov_b32 v65, v35
	s_wait_alu 0xfffe
	s_delay_alu instid0(VALU_DEP_2) | instskip(NEXT) | instid1(VALU_DEP_1)
	v_and_b32_e32 v66, s26, v26
	v_and_b32_e32 v26, 1, v66
	v_lshlrev_b32_e32 v27, 30, v66
	v_lshlrev_b32_e32 v28, 29, v66
	;; [unrolled: 1-line block ×4, first 2 shown]
	v_add_co_u32 v26, s14, v26, -1
	s_wait_alu 0xf1ff
	v_cndmask_b32_e64 v30, 0, 1, s14
	v_not_b32_e32 v34, v27
	v_cmp_gt_i32_e64 s14, 0, v27
	v_not_b32_e32 v27, v28
	v_lshlrev_b32_e32 v32, 26, v66
	v_cmp_ne_u32_e32 vcc_lo, 0, v30
	v_ashrrev_i32_e32 v34, 31, v34
	v_lshlrev_b32_e32 v33, 25, v66
	v_ashrrev_i32_e32 v27, 31, v27
	v_lshlrev_b32_e32 v30, 24, v66
	s_wait_alu 0xfffd
	v_xor_b32_e32 v26, vcc_lo, v26
	v_cmp_gt_i32_e32 vcc_lo, 0, v28
	v_not_b32_e32 v28, v29
	s_wait_alu 0xf1ff
	v_xor_b32_e32 v34, s14, v34
	v_cmp_gt_i32_e64 s14, 0, v29
	v_and_b32_e32 v26, exec_lo, v26
	v_not_b32_e32 v29, v31
	v_ashrrev_i32_e32 v28, 31, v28
	s_wait_alu 0xfffd
	v_xor_b32_e32 v27, vcc_lo, v27
	v_cmp_gt_i32_e32 vcc_lo, 0, v31
	v_and_b32_e32 v26, v26, v34
	v_not_b32_e32 v31, v32
	v_ashrrev_i32_e32 v29, 31, v29
	s_wait_alu 0xf1ff
	v_xor_b32_e32 v28, s14, v28
	v_cmp_gt_i32_e64 s14, 0, v32
	v_and_b32_e32 v26, v26, v27
	v_not_b32_e32 v27, v33
	v_ashrrev_i32_e32 v31, 31, v31
	s_wait_alu 0xfffd
	v_xor_b32_e32 v29, vcc_lo, v29
	v_cmp_gt_i32_e32 vcc_lo, 0, v33
	v_and_b32_e32 v26, v26, v28
	v_ashrrev_i32_e32 v27, 31, v27
	s_wait_alu 0xf1ff
	v_xor_b32_e32 v31, s14, v31
	v_mov_b32_e32 v33, v10
	v_not_b32_e32 v28, v30
	v_and_b32_e32 v26, v26, v29
	v_cmp_gt_i32_e64 s14, 0, v30
	s_wait_alu 0xfffd
	v_xor_b32_e32 v27, vcc_lo, v27
	v_mov_b32_e32 v32, v9
	v_ashrrev_i32_e32 v28, 31, v28
	v_dual_mov_b32 v31, v12 :: v_dual_and_b32 v26, v26, v31
	v_mov_b32_e32 v30, v11
	v_lshl_add_u32 v35, v66, 2, v57
	s_wait_alu 0xf1ff
	v_xor_b32_e32 v28, s14, v28
	v_and_b32_e32 v26, v26, v27
	s_delay_alu instid0(VALU_DEP_1) | instskip(SKIP_2) | instid1(VALU_DEP_3)
	v_dual_mov_b32 v27, v16 :: v_dual_and_b32 v36, v26, v28
	v_dual_mov_b32 v29, v14 :: v_dual_mov_b32 v28, v13
	v_mov_b32_e32 v26, v15
	v_mbcnt_lo_u32_b32 v34, v36, 0
	v_cmp_ne_u32_e64 s14, 0, v36
	s_delay_alu instid0(VALU_DEP_2)
	v_cmp_eq_u32_e32 vcc_lo, 0, v34
	s_and_b32 s27, s14, vcc_lo
	s_wait_alu 0xfffe
	s_and_saveexec_b32 s14, s27
; %bb.24:                               ;   in Loop: Header=BB123_23 Depth=1
	v_bcnt_u32_b32 v9, v36, 0
	ds_store_b32 v35, v9 offset:4
; %bb.25:                               ;   in Loop: Header=BB123_23 Depth=1
	s_wait_alu 0xfffe
	s_or_b32 exec_lo, exec_lo, s14
	v_lshrrev_b32_e32 v9, v62, v65
	; wave barrier
	s_delay_alu instid0(VALU_DEP_1) | instskip(NEXT) | instid1(VALU_DEP_1)
	v_and_b32_e32 v9, s26, v9
	v_and_b32_e32 v10, 1, v9
	v_lshlrev_b32_e32 v11, 30, v9
	v_lshlrev_b32_e32 v12, 29, v9
	;; [unrolled: 1-line block ×4, first 2 shown]
	v_add_co_u32 v10, s14, v10, -1
	s_wait_alu 0xf1ff
	v_cndmask_b32_e64 v14, 0, 1, s14
	v_not_b32_e32 v37, v11
	v_cmp_gt_i32_e64 s14, 0, v11
	v_not_b32_e32 v11, v12
	v_lshlrev_b32_e32 v16, 26, v9
	v_cmp_ne_u32_e32 vcc_lo, 0, v14
	v_ashrrev_i32_e32 v37, 31, v37
	v_lshlrev_b32_e32 v36, 25, v9
	v_ashrrev_i32_e32 v11, 31, v11
	v_lshlrev_b32_e32 v14, 24, v9
	s_wait_alu 0xfffd
	v_xor_b32_e32 v10, vcc_lo, v10
	v_cmp_gt_i32_e32 vcc_lo, 0, v12
	v_not_b32_e32 v12, v13
	s_wait_alu 0xf1ff
	v_xor_b32_e32 v37, s14, v37
	v_cmp_gt_i32_e64 s14, 0, v13
	v_and_b32_e32 v10, exec_lo, v10
	v_not_b32_e32 v13, v15
	v_ashrrev_i32_e32 v12, 31, v12
	s_wait_alu 0xfffd
	v_xor_b32_e32 v11, vcc_lo, v11
	v_cmp_gt_i32_e32 vcc_lo, 0, v15
	v_and_b32_e32 v10, v10, v37
	v_not_b32_e32 v15, v16
	v_ashrrev_i32_e32 v13, 31, v13
	s_wait_alu 0xf1ff
	v_xor_b32_e32 v12, s14, v12
	v_cmp_gt_i32_e64 s14, 0, v16
	v_and_b32_e32 v10, v10, v11
	v_not_b32_e32 v11, v36
	v_ashrrev_i32_e32 v15, 31, v15
	s_wait_alu 0xfffd
	v_xor_b32_e32 v13, vcc_lo, v13
	v_cmp_gt_i32_e32 vcc_lo, 0, v36
	v_and_b32_e32 v10, v10, v12
	v_not_b32_e32 v12, v14
	v_ashrrev_i32_e32 v11, 31, v11
	s_wait_alu 0xf1ff
	v_xor_b32_e32 v15, s14, v15
	v_cmp_gt_i32_e64 s14, 0, v14
	v_and_b32_e32 v10, v10, v13
	v_ashrrev_i32_e32 v12, 31, v12
	s_wait_alu 0xfffd
	v_xor_b32_e32 v11, vcc_lo, v11
	v_lshl_add_u32 v37, v9, 2, v57
	v_and_b32_e32 v10, v10, v15
	s_wait_alu 0xf1ff
	v_xor_b32_e32 v9, s14, v12
	ds_load_b32 v36, v37 offset:4
	v_and_b32_e32 v10, v10, v11
	; wave barrier
	s_delay_alu instid0(VALU_DEP_1) | instskip(NEXT) | instid1(VALU_DEP_1)
	v_and_b32_e32 v9, v10, v9
	v_mbcnt_lo_u32_b32 v66, v9, 0
	v_cmp_ne_u32_e64 s14, 0, v9
	s_delay_alu instid0(VALU_DEP_2)
	v_cmp_eq_u32_e32 vcc_lo, 0, v66
	s_and_b32 s27, s14, vcc_lo
	s_wait_alu 0xfffe
	s_and_saveexec_b32 s14, s27
	s_cbranch_execz .LBB123_27
; %bb.26:                               ;   in Loop: Header=BB123_23 Depth=1
	s_wait_dscnt 0x0
	v_bcnt_u32_b32 v9, v9, v36
	ds_store_b32 v37, v9 offset:4
.LBB123_27:                             ;   in Loop: Header=BB123_23 Depth=1
	s_wait_alu 0xfffe
	s_or_b32 exec_lo, exec_lo, s14
	v_lshrrev_b32_e32 v9, v62, v64
	; wave barrier
	s_delay_alu instid0(VALU_DEP_1) | instskip(NEXT) | instid1(VALU_DEP_1)
	v_and_b32_e32 v9, s26, v9
	v_and_b32_e32 v10, 1, v9
	v_lshlrev_b32_e32 v11, 30, v9
	v_lshlrev_b32_e32 v12, 29, v9
	;; [unrolled: 1-line block ×4, first 2 shown]
	v_add_co_u32 v10, s14, v10, -1
	s_wait_alu 0xf1ff
	v_cndmask_b32_e64 v14, 0, 1, s14
	v_not_b32_e32 v68, v11
	v_cmp_gt_i32_e64 s14, 0, v11
	v_not_b32_e32 v11, v12
	v_lshlrev_b32_e32 v16, 26, v9
	v_cmp_ne_u32_e32 vcc_lo, 0, v14
	v_ashrrev_i32_e32 v68, 31, v68
	v_lshlrev_b32_e32 v67, 25, v9
	v_ashrrev_i32_e32 v11, 31, v11
	v_lshlrev_b32_e32 v14, 24, v9
	s_wait_alu 0xfffd
	v_xor_b32_e32 v10, vcc_lo, v10
	v_cmp_gt_i32_e32 vcc_lo, 0, v12
	v_not_b32_e32 v12, v13
	s_wait_alu 0xf1ff
	v_xor_b32_e32 v68, s14, v68
	v_cmp_gt_i32_e64 s14, 0, v13
	v_and_b32_e32 v10, exec_lo, v10
	v_not_b32_e32 v13, v15
	v_ashrrev_i32_e32 v12, 31, v12
	s_wait_alu 0xfffd
	v_xor_b32_e32 v11, vcc_lo, v11
	v_cmp_gt_i32_e32 vcc_lo, 0, v15
	v_and_b32_e32 v10, v10, v68
	v_not_b32_e32 v15, v16
	v_ashrrev_i32_e32 v13, 31, v13
	s_wait_alu 0xf1ff
	v_xor_b32_e32 v12, s14, v12
	v_cmp_gt_i32_e64 s14, 0, v16
	v_and_b32_e32 v10, v10, v11
	v_not_b32_e32 v11, v67
	v_ashrrev_i32_e32 v15, 31, v15
	s_wait_alu 0xfffd
	v_xor_b32_e32 v13, vcc_lo, v13
	v_cmp_gt_i32_e32 vcc_lo, 0, v67
	v_and_b32_e32 v10, v10, v12
	v_not_b32_e32 v12, v14
	v_ashrrev_i32_e32 v11, 31, v11
	s_wait_alu 0xf1ff
	v_xor_b32_e32 v15, s14, v15
	v_cmp_gt_i32_e64 s14, 0, v14
	v_and_b32_e32 v10, v10, v13
	v_ashrrev_i32_e32 v12, 31, v12
	s_wait_alu 0xfffd
	v_xor_b32_e32 v11, vcc_lo, v11
	v_lshl_add_u32 v68, v9, 2, v57
	v_and_b32_e32 v10, v10, v15
	s_wait_alu 0xf1ff
	v_xor_b32_e32 v9, s14, v12
	ds_load_b32 v67, v68 offset:4
	v_and_b32_e32 v10, v10, v11
	; wave barrier
	s_delay_alu instid0(VALU_DEP_1) | instskip(NEXT) | instid1(VALU_DEP_1)
	v_and_b32_e32 v9, v10, v9
	v_mbcnt_lo_u32_b32 v69, v9, 0
	v_cmp_ne_u32_e64 s14, 0, v9
	s_delay_alu instid0(VALU_DEP_2)
	v_cmp_eq_u32_e32 vcc_lo, 0, v69
	s_and_b32 s27, s14, vcc_lo
	s_wait_alu 0xfffe
	s_and_saveexec_b32 s14, s27
	s_cbranch_execz .LBB123_29
; %bb.28:                               ;   in Loop: Header=BB123_23 Depth=1
	s_wait_dscnt 0x0
	v_bcnt_u32_b32 v9, v9, v67
	ds_store_b32 v68, v9 offset:4
.LBB123_29:                             ;   in Loop: Header=BB123_23 Depth=1
	s_wait_alu 0xfffe
	s_or_b32 exec_lo, exec_lo, s14
	v_lshrrev_b32_e32 v9, v62, v63
	; wave barrier
	s_delay_alu instid0(VALU_DEP_1) | instskip(NEXT) | instid1(VALU_DEP_1)
	v_and_b32_e32 v9, s26, v9
	v_and_b32_e32 v10, 1, v9
	v_lshlrev_b32_e32 v11, 30, v9
	v_lshlrev_b32_e32 v12, 29, v9
	v_lshlrev_b32_e32 v13, 28, v9
	v_lshlrev_b32_e32 v15, 27, v9
	v_add_co_u32 v10, s14, v10, -1
	s_wait_alu 0xf1ff
	v_cndmask_b32_e64 v14, 0, 1, s14
	v_not_b32_e32 v71, v11
	v_cmp_gt_i32_e64 s14, 0, v11
	v_not_b32_e32 v11, v12
	v_lshlrev_b32_e32 v16, 26, v9
	v_cmp_ne_u32_e32 vcc_lo, 0, v14
	v_ashrrev_i32_e32 v71, 31, v71
	v_lshlrev_b32_e32 v70, 25, v9
	v_ashrrev_i32_e32 v11, 31, v11
	v_lshlrev_b32_e32 v14, 24, v9
	s_wait_alu 0xfffd
	v_xor_b32_e32 v10, vcc_lo, v10
	v_cmp_gt_i32_e32 vcc_lo, 0, v12
	v_not_b32_e32 v12, v13
	s_wait_alu 0xf1ff
	v_xor_b32_e32 v71, s14, v71
	v_cmp_gt_i32_e64 s14, 0, v13
	v_and_b32_e32 v10, exec_lo, v10
	v_not_b32_e32 v13, v15
	v_ashrrev_i32_e32 v12, 31, v12
	s_wait_alu 0xfffd
	v_xor_b32_e32 v11, vcc_lo, v11
	v_cmp_gt_i32_e32 vcc_lo, 0, v15
	v_and_b32_e32 v10, v10, v71
	v_not_b32_e32 v15, v16
	v_ashrrev_i32_e32 v13, 31, v13
	s_wait_alu 0xf1ff
	v_xor_b32_e32 v12, s14, v12
	v_cmp_gt_i32_e64 s14, 0, v16
	v_and_b32_e32 v10, v10, v11
	v_not_b32_e32 v11, v70
	v_ashrrev_i32_e32 v15, 31, v15
	s_wait_alu 0xfffd
	v_xor_b32_e32 v13, vcc_lo, v13
	v_cmp_gt_i32_e32 vcc_lo, 0, v70
	v_and_b32_e32 v10, v10, v12
	v_not_b32_e32 v12, v14
	v_ashrrev_i32_e32 v11, 31, v11
	s_wait_alu 0xf1ff
	v_xor_b32_e32 v15, s14, v15
	v_cmp_gt_i32_e64 s14, 0, v14
	v_and_b32_e32 v10, v10, v13
	v_ashrrev_i32_e32 v12, 31, v12
	s_wait_alu 0xfffd
	v_xor_b32_e32 v11, vcc_lo, v11
	v_lshl_add_u32 v70, v9, 2, v57
	v_and_b32_e32 v10, v10, v15
	s_wait_alu 0xf1ff
	v_xor_b32_e32 v9, s14, v12
	ds_load_b32 v71, v70 offset:4
	v_and_b32_e32 v10, v10, v11
	; wave barrier
	s_delay_alu instid0(VALU_DEP_1) | instskip(NEXT) | instid1(VALU_DEP_1)
	v_and_b32_e32 v9, v10, v9
	v_mbcnt_lo_u32_b32 v72, v9, 0
	v_cmp_ne_u32_e64 s14, 0, v9
	s_delay_alu instid0(VALU_DEP_2)
	v_cmp_eq_u32_e32 vcc_lo, 0, v72
	s_and_b32 s26, s14, vcc_lo
	s_wait_alu 0xfffe
	s_and_saveexec_b32 s14, s26
	s_cbranch_execz .LBB123_31
; %bb.30:                               ;   in Loop: Header=BB123_23 Depth=1
	s_wait_dscnt 0x0
	v_bcnt_u32_b32 v9, v9, v71
	ds_store_b32 v70, v9 offset:4
.LBB123_31:                             ;   in Loop: Header=BB123_23 Depth=1
	s_wait_alu 0xfffe
	s_or_b32 exec_lo, exec_lo, s14
	; wave barrier
	; wave barrier
	s_wait_loadcnt_dscnt 0x0
	global_inv scope:SCOPE_SE
	ds_load_2addr_b32 v[15:16], v47 offset0:1 offset1:2
	ds_load_2addr_b32 v[13:14], v47 offset0:3 offset1:4
	;; [unrolled: 1-line block ×4, first 2 shown]
	s_wait_dscnt 0x3
	v_add_nc_u32_e32 v73, v16, v15
	s_wait_dscnt 0x2
	s_delay_alu instid0(VALU_DEP_1) | instskip(SKIP_1) | instid1(VALU_DEP_1)
	v_add3_u32 v73, v73, v13, v14
	s_wait_dscnt 0x1
	v_add3_u32 v73, v73, v11, v12
	s_wait_dscnt 0x0
	s_delay_alu instid0(VALU_DEP_1) | instskip(NEXT) | instid1(VALU_DEP_1)
	v_add3_u32 v10, v73, v9, v10
	v_mov_b32_dpp v73, v10 row_shr:1 row_mask:0xf bank_mask:0xf
	s_delay_alu instid0(VALU_DEP_1) | instskip(NEXT) | instid1(VALU_DEP_1)
	v_cndmask_b32_e64 v73, v73, 0, s9
	v_add_nc_u32_e32 v10, v73, v10
	s_delay_alu instid0(VALU_DEP_1) | instskip(NEXT) | instid1(VALU_DEP_1)
	v_mov_b32_dpp v73, v10 row_shr:2 row_mask:0xf bank_mask:0xf
	v_cndmask_b32_e64 v73, 0, v73, s10
	s_delay_alu instid0(VALU_DEP_1) | instskip(NEXT) | instid1(VALU_DEP_1)
	v_add_nc_u32_e32 v10, v10, v73
	v_mov_b32_dpp v73, v10 row_shr:4 row_mask:0xf bank_mask:0xf
	s_delay_alu instid0(VALU_DEP_1) | instskip(NEXT) | instid1(VALU_DEP_1)
	v_cndmask_b32_e64 v73, 0, v73, s11
	v_add_nc_u32_e32 v10, v10, v73
	s_delay_alu instid0(VALU_DEP_1) | instskip(NEXT) | instid1(VALU_DEP_1)
	v_mov_b32_dpp v73, v10 row_shr:8 row_mask:0xf bank_mask:0xf
	v_cndmask_b32_e64 v73, 0, v73, s12
	s_delay_alu instid0(VALU_DEP_1) | instskip(SKIP_3) | instid1(VALU_DEP_1)
	v_add_nc_u32_e32 v10, v10, v73
	ds_swizzle_b32 v73, v10 offset:swizzle(BROADCAST,32,15)
	s_wait_dscnt 0x0
	v_cndmask_b32_e64 v73, v73, 0, s13
	v_add_nc_u32_e32 v10, v10, v73
	s_and_saveexec_b32 s14, s8
; %bb.32:                               ;   in Loop: Header=BB123_23 Depth=1
	ds_store_b32 v58, v10
; %bb.33:                               ;   in Loop: Header=BB123_23 Depth=1
	s_wait_alu 0xfffe
	s_or_b32 exec_lo, exec_lo, s14
	ds_bpermute_b32 v10, v56, v10
	; wave barrier
	s_wait_loadcnt_dscnt 0x0
	global_inv scope:SCOPE_SE
	v_cmp_lt_u32_e32 vcc_lo, 23, v62
	v_readfirstlane_b32 s14, v0
	s_mov_b32 s26, -1
	s_and_b32 vcc_lo, exec_lo, vcc_lo
	v_cndmask_b32_e64 v10, v10, 0, s21
	s_delay_alu instid0(VALU_DEP_1) | instskip(NEXT) | instid1(VALU_DEP_1)
	v_add_nc_u32_e32 v15, v10, v15
	v_add_nc_u32_e32 v16, v15, v16
	s_delay_alu instid0(VALU_DEP_1) | instskip(NEXT) | instid1(VALU_DEP_1)
	v_add_nc_u32_e32 v13, v16, v13
	v_add_nc_u32_e32 v14, v13, v14
	;; [unrolled: 3-line block ×3, first 2 shown]
	s_delay_alu instid0(VALU_DEP_1)
	v_add_nc_u32_e32 v9, v12, v9
	ds_store_2addr_b32 v47, v10, v15 offset0:1 offset1:2
	ds_store_2addr_b32 v47, v16, v13 offset0:3 offset1:4
	;; [unrolled: 1-line block ×4, first 2 shown]
	; wave barrier
	s_wait_loadcnt_dscnt 0x0
	global_inv scope:SCOPE_SE
	ds_load_b32 v9, v35 offset:4
	ds_load_b32 v10, v37 offset:4
	;; [unrolled: 1-line block ×4, first 2 shown]
                                        ; implicit-def: $vgpr13_vgpr14
	s_wait_dscnt 0x3
	v_add_nc_u32_e32 v70, v9, v34
	s_wait_dscnt 0x2
	v_add3_u32 v68, v66, v36, v10
	s_wait_dscnt 0x1
	v_add3_u32 v67, v69, v67, v11
	;; [unrolled: 2-line block ×3, first 2 shown]
                                        ; implicit-def: $vgpr37
                                        ; implicit-def: $vgpr35
                                        ; implicit-def: $vgpr9_vgpr10
	s_wait_alu 0xfffe
	s_cbranch_vccnz .LBB123_22
; %bb.34:                               ;   in Loop: Header=BB123_23 Depth=1
	v_lshlrev_b32_e32 v9, 2, v70
	v_lshlrev_b32_e32 v10, 2, v68
	;; [unrolled: 1-line block ×4, first 2 shown]
	s_wait_loadcnt 0x0
	; wave barrier
	global_inv scope:SCOPE_SE
	ds_store_b32 v9, v61
	ds_store_b32 v10, v65
	;; [unrolled: 1-line block ×4, first 2 shown]
	v_add_nc_u32_e32 v9, v9, v9
	v_add_nc_u32_e32 v10, v10, v10
	;; [unrolled: 1-line block ×4, first 2 shown]
	; wave barrier
	s_wait_loadcnt_dscnt 0x0
	global_inv scope:SCOPE_SE
	ds_load_2addr_b32 v[34:35], v0 offset1:32
	ds_load_2addr_b32 v[36:37], v0 offset0:64 offset1:96
	; wave barrier
	s_wait_loadcnt_dscnt 0x0
	global_inv scope:SCOPE_SE
	ds_store_b64 v9, v[32:33]
	ds_store_b64 v10, v[30:31]
	;; [unrolled: 1-line block ×4, first 2 shown]
	; wave barrier
	s_wait_loadcnt_dscnt 0x0
	global_inv scope:SCOPE_SE
	ds_load_2addr_b64 v[9:12], v60 offset1:32
	ds_load_2addr_b64 v[13:16], v60 offset0:64 offset1:96
	v_add_nc_u32_e32 v62, 8, v62
	s_add_co_i32 s14, s15, -8
	s_mov_b32 s26, 0
	; wave barrier
	s_wait_loadcnt_dscnt 0x0
	global_inv scope:SCOPE_SE
	s_branch .LBB123_22
.LBB123_35:
	v_lshlrev_b32_e32 v0, 2, v70
	v_lshlrev_b32_e32 v14, 2, v67
	;; [unrolled: 1-line block ×5, first 2 shown]
	s_wait_loadcnt 0x0
	; wave barrier
	global_inv scope:SCOPE_SE
	ds_store_b32 v0, v61
	ds_store_b32 v9, v65
	;; [unrolled: 1-line block ×4, first 2 shown]
	; wave barrier
	s_wait_loadcnt_dscnt 0x0
	global_inv scope:SCOPE_SE
	ds_load_b128 v[10:13], v10
	v_add_nc_u32_e32 v0, v0, v0
	v_add_nc_u32_e32 v9, v9, v9
	;; [unrolled: 1-line block ×3, first 2 shown]
	; wave barrier
	s_wait_loadcnt_dscnt 0x0
	global_inv scope:SCOPE_SE
	v_add_nc_u32_e32 v15, v15, v15
	ds_store_b64 v0, v[32:33]
	ds_store_b64 v9, v[30:31]
	;; [unrolled: 1-line block ×3, first 2 shown]
	s_mov_b32 s9, 0
	ds_store_b64 v15, v[26:27]
	; wave barrier
	s_wait_loadcnt_dscnt 0x0
	global_inv scope:SCOPE_SE
	v_xor_b32_e32 v9, 0x80000000, v10
	v_xor_b32_e32 v11, 0x80000000, v11
	;; [unrolled: 1-line block ×4, first 2 shown]
.LBB123_36:
	s_wait_alu 0xfffe
	s_and_b32 vcc_lo, exec_lo, s9
	s_wait_alu 0xfffe
	s_cbranch_vccz .LBB123_52
; %bb.37:
	v_xor_b32_e32 v0, 0x7fffffff, v24
	v_xor_b32_e32 v9, 0x7fffffff, v25
	;; [unrolled: 1-line block ×4, first 2 shown]
	ds_bpermute_b32 v12, v54, v5
	ds_bpermute_b32 v13, v54, v0
	;; [unrolled: 1-line block ×4, first 2 shown]
	ds_bpermute_b32 v24, v54, v0 offset:64
	ds_bpermute_b32 v27, v55, v9
	ds_bpermute_b32 v28, v54, v10
	;; [unrolled: 1-line block ×3, first 2 shown]
	ds_bpermute_b32 v0, v54, v0 offset:96
	ds_bpermute_b32 v30, v54, v9 offset:64
	ds_bpermute_b32 v31, v55, v10
	ds_bpermute_b32 v32, v54, v11
	;; [unrolled: 1-line block ×4, first 2 shown]
	ds_bpermute_b32 v9, v54, v9 offset:96
	ds_bpermute_b32 v25, v54, v1
	ds_bpermute_b32 v26, v54, v2
	;; [unrolled: 1-line block ×3, first 2 shown]
	ds_bpermute_b32 v37, v54, v10 offset:64
	ds_bpermute_b32 v10, v54, v10 offset:96
	ds_bpermute_b32 v29, v54, v3
	s_wait_dscnt 0x13
	v_cndmask_b32_e64 v13, 0, v13, s7
	s_wait_dscnt 0x12
	v_cndmask_b32_e64 v22, 0, v22, s7
	ds_bpermute_b32 v33, v54, v4
	ds_bpermute_b32 v35, v55, v6
	;; [unrolled: 1-line block ×3, first 2 shown]
	s_wait_dscnt 0x14
	v_cndmask_b32_e64 v13, v13, v23, s6
	ds_bpermute_b32 v56, v55, v7
	ds_bpermute_b32 v57, v54, v11 offset:64
	s_wait_dscnt 0x15
	v_cndmask_b32_e64 v23, 0, v24, s7
	s_wait_dscnt 0x14
	v_cndmask_b32_e64 v22, v22, v27, s6
	;; [unrolled: 2-line block ×3, first 2 shown]
	ds_bpermute_b32 v11, v54, v11 offset:96
	s_wait_dscnt 0x12
	v_cndmask_b32_e64 v0, 0, v0, s7
	s_wait_dscnt 0x11
	v_cndmask_b32_e64 v24, v23, v30, s6
	;; [unrolled: 2-line block ×4, first 2 shown]
	ds_bpermute_b32 v13, v55, v8
	v_cndmask_b32_e64 v14, 0, v14, s7
	ds_bpermute_b32 v27, v55, v1
	v_cndmask_b32_e64 v12, 0, v12, s7
	s_wait_dscnt 0xe
	v_cndmask_b32_e64 v0, v0, v9, s6
	ds_bpermute_b32 v28, v54, v2 offset:64
	v_cndmask_b32_e64 v9, v14, v16, s6
	ds_bpermute_b32 v14, v54, v6 offset:64
	v_cndmask_b32_e64 v12, v12, v15, s6
	s_wait_dscnt 0xb
	v_cndmask_b32_e64 v0, v0, v10, s5
	v_cndmask_b32_e64 v10, 0, v34, s7
	;; [unrolled: 1-line block ×3, first 2 shown]
	s_wait_dscnt 0x8
	v_cndmask_b32_e64 v15, 0, v35, s7
	v_cndmask_b32_e64 v12, v12, v25, s5
	ds_bpermute_b32 v16, v54, v5 offset:64
	s_wait_dscnt 0x5
	v_cndmask_b32_e64 v25, v0, v11, s4
	v_cndmask_b32_e64 v0, v10, v56, s6
	v_cndmask_b32_e64 v10, v9, v33, s4
	v_cndmask_b32_e64 v9, v12, v29, s4
	ds_bpermute_b32 v12, v55, v2
	ds_bpermute_b32 v6, v54, v6 offset:96
	ds_bpermute_b32 v5, v54, v5 offset:96
	s_wait_dscnt 0x7
	v_cndmask_b32_e64 v11, v15, v13, s6
	s_wait_dscnt 0x6
	v_cndmask_b32_e64 v0, v0, v27, s5
	ds_bpermute_b32 v15, v55, v4
	ds_bpermute_b32 v26, v54, v8 offset:64
	ds_bpermute_b32 v27, v54, v7 offset:64
	;; [unrolled: 1-line block ×4, first 2 shown]
	ds_bpermute_b32 v13, v55, v3
	ds_bpermute_b32 v29, v54, v1 offset:64
	ds_bpermute_b32 v2, v54, v2 offset:96
	;; [unrolled: 1-line block ×7, first 2 shown]
	; wave barrier
	s_wait_loadcnt_dscnt 0x0
	global_inv scope:SCOPE_SE
	s_load_b32 s8, s[24:25], 0xc
	v_cndmask_b32_e64 v14, 0, v14, s7
	v_cndmask_b32_e64 v4, v11, v12, s5
	;; [unrolled: 1-line block ×16, first 2 shown]
	s_getpc_b64 s[6:7]
	s_wait_alu 0xfffe
	s_sext_i32_i16 s7, s7
	s_add_co_u32 s6, s6, _ZN7rocprim17ROCPRIM_400000_NS16block_radix_sortIiLj32ELj4ElLj1ELj1ELj0ELNS0_26block_radix_rank_algorithmE1ELNS0_18block_padding_hintE2ELNS0_4arch9wavefront6targetE0EE19radix_bits_per_passE@rel32@lo+12
	s_wait_alu 0xfffe
	s_add_co_ci_u32 s7, s7, _ZN7rocprim17ROCPRIM_400000_NS16block_radix_sortIiLj32ELj4ElLj1ELj1ELj0ELNS0_26block_radix_rank_algorithmE1ELNS0_18block_padding_hintE2ELNS0_4arch9wavefront6targetE0EE19radix_bits_per_passE@rel32@hi+24
	v_cndmask_b32_e64 v23, v23, v36, s4
	v_cndmask_b32_e64 v24, v24, v57, s4
	;; [unrolled: 1-line block ×6, first 2 shown]
	s_wait_kmcnt 0x0
	s_lshr_b32 s4, s8, 16
	s_load_b32 s11, s[6:7], 0x0
	v_mad_u32_u24 v4, v53, s4, v52
	s_and_b32 s4, s8, 0xffff
	v_sub_co_u32 v6, s10, v48, 1
	v_dual_mov_b32 v32, 0 :: v_dual_lshlrev_b32 v27, 2, v49
	s_wait_alu 0xfffe
	v_mad_co_u64_u32 v[4:5], null, v4, s4, v[21:22]
	s_delay_alu instid0(VALU_DEP_3)
	v_cmp_gt_i32_e32 vcc_lo, 0, v6
	v_cmp_eq_u32_e64 s4, 0, v50
	v_cmp_lt_u32_e64 s5, 1, v50
	v_cmp_lt_u32_e64 s6, 3, v50
	;; [unrolled: 1-line block ×3, first 2 shown]
	s_wait_alu 0xfffd
	v_dual_cndmask_b32 v5, v6, v48 :: v_dual_mov_b32 v28, 0
	v_lshrrev_b32_e32 v4, 3, v4
	v_cmp_eq_u32_e32 vcc_lo, 0, v21
	v_cmp_eq_u32_e64 s8, 0, v51
	v_cmp_eq_u32_e64 s9, 31, v21
	v_dual_mov_b32 v29, 0 :: v_dual_lshlrev_b32 v26, 2, v5
	v_and_b32_e32 v21, 0x1ffffffc, v4
	v_add_nc_u32_e32 v30, v27, v27
	s_or_b32 s12, vcc_lo, s10
	s_mov_b32 s13, 32
	s_branch .LBB123_39
.LBB123_38:                             ;   in Loop: Header=BB123_39 Depth=1
	s_wait_alu 0xfffe
	s_and_not1_b32 vcc_lo, exec_lo, s14
	s_mov_b32 s13, s10
	s_wait_alu 0xfffe
	s_cbranch_vccz .LBB123_51
.LBB123_39:                             ; =>This Inner Loop Header: Depth=1
	s_wait_kmcnt 0x0
	s_wait_alu 0xfffe
	s_min_u32 s10, s11, s13
	ds_store_2addr_b32 v47, v29, v29 offset0:1 offset1:2
	ds_store_2addr_b32 v47, v29, v29 offset0:3 offset1:4
	;; [unrolled: 1-line block ×4, first 2 shown]
	s_wait_alu 0xfffe
	s_lshl_b32 s10, -1, s10
	s_wait_loadcnt_dscnt 0x0
	s_wait_alu 0xfffe
	s_not_b32 s14, s10
	v_mov_b32_e32 v31, v22
	; wave barrier
	global_inv scope:SCOPE_SE
	; wave barrier
	v_mov_b32_e32 v33, v25
	v_lshrrev_b32_e32 v4, v32, v31
	v_dual_mov_b32 v34, v24 :: v_dual_mov_b32 v35, v23
	s_wait_alu 0xfffe
	s_delay_alu instid0(VALU_DEP_2) | instskip(NEXT) | instid1(VALU_DEP_1)
	v_and_b32_e32 v22, s14, v4
	v_and_b32_e32 v4, 1, v22
	v_lshlrev_b32_e32 v5, 30, v22
	v_lshlrev_b32_e32 v6, 29, v22
	;; [unrolled: 1-line block ×4, first 2 shown]
	v_add_co_u32 v4, s10, v4, -1
	s_wait_alu 0xf1ff
	v_cndmask_b32_e64 v8, 0, 1, s10
	v_not_b32_e32 v16, v5
	v_cmp_gt_i32_e64 s10, 0, v5
	v_not_b32_e32 v5, v6
	v_lshlrev_b32_e32 v15, 25, v22
	v_cmp_ne_u32_e32 vcc_lo, 0, v8
	v_ashrrev_i32_e32 v16, 31, v16
	v_lshlrev_b32_e32 v14, 26, v22
	v_ashrrev_i32_e32 v5, 31, v5
	v_lshlrev_b32_e32 v8, 24, v22
	s_wait_alu 0xfffd
	v_xor_b32_e32 v4, vcc_lo, v4
	v_cmp_gt_i32_e32 vcc_lo, 0, v6
	v_not_b32_e32 v6, v7
	s_wait_alu 0xf1ff
	v_xor_b32_e32 v16, s10, v16
	v_cmp_gt_i32_e64 s10, 0, v7
	v_and_b32_e32 v4, exec_lo, v4
	v_not_b32_e32 v7, v13
	s_wait_alu 0xfffd
	v_xor_b32_e32 v5, vcc_lo, v5
	v_cmp_gt_i32_e32 vcc_lo, 0, v13
	v_ashrrev_i32_e32 v6, 31, v6
	v_and_b32_e32 v4, v4, v16
	v_ashrrev_i32_e32 v7, 31, v7
	v_lshl_add_u32 v22, v22, 2, v21
	s_wait_alu 0xf1ff
	v_xor_b32_e32 v6, s10, v6
	v_and_b32_e32 v4, v4, v5
	v_not_b32_e32 v5, v15
	s_wait_alu 0xfffd
	v_xor_b32_e32 v7, vcc_lo, v7
	v_cmp_gt_i32_e32 vcc_lo, 0, v15
	v_dual_mov_b32 v16, v10 :: v_dual_mov_b32 v15, v9
	v_not_b32_e32 v13, v14
	v_cmp_gt_i32_e64 s10, 0, v14
	v_and_b32_e32 v4, v4, v6
	v_ashrrev_i32_e32 v5, 31, v5
	s_delay_alu instid0(VALU_DEP_4) | instskip(NEXT) | instid1(VALU_DEP_3)
	v_ashrrev_i32_e32 v13, 31, v13
	v_and_b32_e32 v4, v4, v7
	s_wait_alu 0xfffd
	s_delay_alu instid0(VALU_DEP_3) | instskip(SKIP_2) | instid1(VALU_DEP_1)
	v_xor_b32_e32 v5, vcc_lo, v5
	s_wait_alu 0xf1ff
	v_xor_b32_e32 v13, s10, v13
	v_and_b32_e32 v4, v4, v13
	v_dual_mov_b32 v14, v12 :: v_dual_mov_b32 v13, v11
	v_not_b32_e32 v6, v8
	v_cmp_gt_i32_e64 s10, 0, v8
	s_delay_alu instid0(VALU_DEP_4) | instskip(NEXT) | instid1(VALU_DEP_3)
	v_and_b32_e32 v4, v4, v5
	v_ashrrev_i32_e32 v6, 31, v6
	s_wait_alu 0xf1ff
	s_delay_alu instid0(VALU_DEP_1) | instskip(NEXT) | instid1(VALU_DEP_1)
	v_xor_b32_e32 v6, s10, v6
	v_dual_mov_b32 v5, v3 :: v_dual_and_b32 v8, v4, v6
	v_dual_mov_b32 v7, v1 :: v_dual_mov_b32 v6, v0
	v_mov_b32_e32 v4, v2
	s_delay_alu instid0(VALU_DEP_3) | instskip(SKIP_1) | instid1(VALU_DEP_2)
	v_mbcnt_lo_u32_b32 v12, v8, 0
	v_cmp_ne_u32_e64 s10, 0, v8
	v_cmp_eq_u32_e32 vcc_lo, 0, v12
	s_and_b32 s15, s10, vcc_lo
	s_wait_alu 0xfffe
	s_and_saveexec_b32 s10, s15
; %bb.40:                               ;   in Loop: Header=BB123_39 Depth=1
	v_bcnt_u32_b32 v0, v8, 0
	ds_store_b32 v22, v0 offset:4
; %bb.41:                               ;   in Loop: Header=BB123_39 Depth=1
	s_wait_alu 0xfffe
	s_or_b32 exec_lo, exec_lo, s10
	v_lshrrev_b32_e32 v0, v32, v35
	; wave barrier
	s_delay_alu instid0(VALU_DEP_1) | instskip(NEXT) | instid1(VALU_DEP_1)
	v_and_b32_e32 v0, s14, v0
	v_and_b32_e32 v1, 1, v0
	v_lshlrev_b32_e32 v2, 30, v0
	v_lshlrev_b32_e32 v3, 29, v0
	;; [unrolled: 1-line block ×4, first 2 shown]
	v_add_co_u32 v1, s10, v1, -1
	s_wait_alu 0xf1ff
	v_cndmask_b32_e64 v9, 0, 1, s10
	v_not_b32_e32 v24, v2
	v_cmp_gt_i32_e64 s10, 0, v2
	v_not_b32_e32 v2, v3
	v_lshlrev_b32_e32 v11, 26, v0
	v_cmp_ne_u32_e32 vcc_lo, 0, v9
	v_ashrrev_i32_e32 v24, 31, v24
	v_lshlrev_b32_e32 v23, 25, v0
	v_ashrrev_i32_e32 v2, 31, v2
	v_lshlrev_b32_e32 v9, 24, v0
	s_wait_alu 0xfffd
	v_xor_b32_e32 v1, vcc_lo, v1
	v_cmp_gt_i32_e32 vcc_lo, 0, v3
	v_not_b32_e32 v3, v8
	s_wait_alu 0xf1ff
	v_xor_b32_e32 v24, s10, v24
	v_cmp_gt_i32_e64 s10, 0, v8
	v_and_b32_e32 v1, exec_lo, v1
	v_not_b32_e32 v8, v10
	v_ashrrev_i32_e32 v3, 31, v3
	s_wait_alu 0xfffd
	v_xor_b32_e32 v2, vcc_lo, v2
	v_cmp_gt_i32_e32 vcc_lo, 0, v10
	v_and_b32_e32 v1, v1, v24
	v_not_b32_e32 v10, v11
	v_ashrrev_i32_e32 v8, 31, v8
	s_wait_alu 0xf1ff
	v_xor_b32_e32 v3, s10, v3
	v_cmp_gt_i32_e64 s10, 0, v11
	v_and_b32_e32 v1, v1, v2
	v_not_b32_e32 v2, v23
	v_ashrrev_i32_e32 v10, 31, v10
	s_wait_alu 0xfffd
	v_xor_b32_e32 v8, vcc_lo, v8
	v_cmp_gt_i32_e32 vcc_lo, 0, v23
	v_and_b32_e32 v1, v1, v3
	v_not_b32_e32 v3, v9
	v_ashrrev_i32_e32 v2, 31, v2
	s_wait_alu 0xf1ff
	v_xor_b32_e32 v10, s10, v10
	v_cmp_gt_i32_e64 s10, 0, v9
	v_and_b32_e32 v1, v1, v8
	v_ashrrev_i32_e32 v3, 31, v3
	s_wait_alu 0xfffd
	v_xor_b32_e32 v2, vcc_lo, v2
	v_lshl_add_u32 v24, v0, 2, v21
	v_and_b32_e32 v1, v1, v10
	s_wait_alu 0xf1ff
	v_xor_b32_e32 v0, s10, v3
	ds_load_b32 v23, v24 offset:4
	v_and_b32_e32 v1, v1, v2
	; wave barrier
	s_delay_alu instid0(VALU_DEP_1) | instskip(NEXT) | instid1(VALU_DEP_1)
	v_and_b32_e32 v0, v1, v0
	v_mbcnt_lo_u32_b32 v25, v0, 0
	v_cmp_ne_u32_e64 s10, 0, v0
	s_delay_alu instid0(VALU_DEP_2)
	v_cmp_eq_u32_e32 vcc_lo, 0, v25
	s_and_b32 s15, s10, vcc_lo
	s_wait_alu 0xfffe
	s_and_saveexec_b32 s10, s15
	s_cbranch_execz .LBB123_43
; %bb.42:                               ;   in Loop: Header=BB123_39 Depth=1
	s_wait_dscnt 0x0
	v_bcnt_u32_b32 v0, v0, v23
	ds_store_b32 v24, v0 offset:4
.LBB123_43:                             ;   in Loop: Header=BB123_39 Depth=1
	s_wait_alu 0xfffe
	s_or_b32 exec_lo, exec_lo, s10
	v_lshrrev_b32_e32 v0, v32, v34
	; wave barrier
	s_delay_alu instid0(VALU_DEP_1) | instskip(NEXT) | instid1(VALU_DEP_1)
	v_and_b32_e32 v0, s14, v0
	v_and_b32_e32 v1, 1, v0
	v_lshlrev_b32_e32 v2, 30, v0
	v_lshlrev_b32_e32 v3, 29, v0
	;; [unrolled: 1-line block ×4, first 2 shown]
	v_add_co_u32 v1, s10, v1, -1
	s_wait_alu 0xf1ff
	v_cndmask_b32_e64 v9, 0, 1, s10
	v_not_b32_e32 v37, v2
	v_cmp_gt_i32_e64 s10, 0, v2
	v_not_b32_e32 v2, v3
	v_lshlrev_b32_e32 v11, 26, v0
	v_cmp_ne_u32_e32 vcc_lo, 0, v9
	v_ashrrev_i32_e32 v37, 31, v37
	v_lshlrev_b32_e32 v36, 25, v0
	v_ashrrev_i32_e32 v2, 31, v2
	v_lshlrev_b32_e32 v9, 24, v0
	s_wait_alu 0xfffd
	v_xor_b32_e32 v1, vcc_lo, v1
	v_cmp_gt_i32_e32 vcc_lo, 0, v3
	v_not_b32_e32 v3, v8
	s_wait_alu 0xf1ff
	v_xor_b32_e32 v37, s10, v37
	v_cmp_gt_i32_e64 s10, 0, v8
	v_and_b32_e32 v1, exec_lo, v1
	v_not_b32_e32 v8, v10
	v_ashrrev_i32_e32 v3, 31, v3
	s_wait_alu 0xfffd
	v_xor_b32_e32 v2, vcc_lo, v2
	v_cmp_gt_i32_e32 vcc_lo, 0, v10
	v_and_b32_e32 v1, v1, v37
	v_not_b32_e32 v10, v11
	v_ashrrev_i32_e32 v8, 31, v8
	s_wait_alu 0xf1ff
	v_xor_b32_e32 v3, s10, v3
	v_cmp_gt_i32_e64 s10, 0, v11
	v_and_b32_e32 v1, v1, v2
	v_not_b32_e32 v2, v36
	v_ashrrev_i32_e32 v10, 31, v10
	s_wait_alu 0xfffd
	v_xor_b32_e32 v8, vcc_lo, v8
	v_cmp_gt_i32_e32 vcc_lo, 0, v36
	v_and_b32_e32 v1, v1, v3
	v_not_b32_e32 v3, v9
	v_ashrrev_i32_e32 v2, 31, v2
	s_wait_alu 0xf1ff
	v_xor_b32_e32 v10, s10, v10
	v_cmp_gt_i32_e64 s10, 0, v9
	v_and_b32_e32 v1, v1, v8
	v_ashrrev_i32_e32 v3, 31, v3
	s_wait_alu 0xfffd
	v_xor_b32_e32 v2, vcc_lo, v2
	v_lshl_add_u32 v37, v0, 2, v21
	v_and_b32_e32 v1, v1, v10
	s_wait_alu 0xf1ff
	v_xor_b32_e32 v0, s10, v3
	ds_load_b32 v36, v37 offset:4
	v_and_b32_e32 v1, v1, v2
	; wave barrier
	s_delay_alu instid0(VALU_DEP_1) | instskip(NEXT) | instid1(VALU_DEP_1)
	v_and_b32_e32 v0, v1, v0
	v_mbcnt_lo_u32_b32 v48, v0, 0
	v_cmp_ne_u32_e64 s10, 0, v0
	s_delay_alu instid0(VALU_DEP_2)
	v_cmp_eq_u32_e32 vcc_lo, 0, v48
	s_and_b32 s15, s10, vcc_lo
	s_wait_alu 0xfffe
	s_and_saveexec_b32 s10, s15
	s_cbranch_execz .LBB123_45
; %bb.44:                               ;   in Loop: Header=BB123_39 Depth=1
	s_wait_dscnt 0x0
	v_bcnt_u32_b32 v0, v0, v36
	ds_store_b32 v37, v0 offset:4
.LBB123_45:                             ;   in Loop: Header=BB123_39 Depth=1
	s_wait_alu 0xfffe
	s_or_b32 exec_lo, exec_lo, s10
	v_lshrrev_b32_e32 v0, v32, v33
	; wave barrier
	s_delay_alu instid0(VALU_DEP_1) | instskip(NEXT) | instid1(VALU_DEP_1)
	v_and_b32_e32 v0, s14, v0
	v_and_b32_e32 v1, 1, v0
	v_lshlrev_b32_e32 v2, 30, v0
	v_lshlrev_b32_e32 v3, 29, v0
	;; [unrolled: 1-line block ×4, first 2 shown]
	v_add_co_u32 v1, s10, v1, -1
	s_wait_alu 0xf1ff
	v_cndmask_b32_e64 v9, 0, 1, s10
	v_not_b32_e32 v50, v2
	v_cmp_gt_i32_e64 s10, 0, v2
	v_not_b32_e32 v2, v3
	v_lshlrev_b32_e32 v11, 26, v0
	v_cmp_ne_u32_e32 vcc_lo, 0, v9
	v_ashrrev_i32_e32 v50, 31, v50
	v_lshlrev_b32_e32 v49, 25, v0
	v_ashrrev_i32_e32 v2, 31, v2
	v_lshlrev_b32_e32 v9, 24, v0
	s_wait_alu 0xfffd
	v_xor_b32_e32 v1, vcc_lo, v1
	v_cmp_gt_i32_e32 vcc_lo, 0, v3
	v_not_b32_e32 v3, v8
	s_wait_alu 0xf1ff
	v_xor_b32_e32 v50, s10, v50
	v_cmp_gt_i32_e64 s10, 0, v8
	v_and_b32_e32 v1, exec_lo, v1
	v_not_b32_e32 v8, v10
	v_ashrrev_i32_e32 v3, 31, v3
	s_wait_alu 0xfffd
	v_xor_b32_e32 v2, vcc_lo, v2
	v_cmp_gt_i32_e32 vcc_lo, 0, v10
	v_and_b32_e32 v1, v1, v50
	v_not_b32_e32 v10, v11
	v_ashrrev_i32_e32 v8, 31, v8
	s_wait_alu 0xf1ff
	v_xor_b32_e32 v3, s10, v3
	v_cmp_gt_i32_e64 s10, 0, v11
	v_and_b32_e32 v1, v1, v2
	v_not_b32_e32 v2, v49
	v_ashrrev_i32_e32 v10, 31, v10
	s_wait_alu 0xfffd
	v_xor_b32_e32 v8, vcc_lo, v8
	v_cmp_gt_i32_e32 vcc_lo, 0, v49
	v_and_b32_e32 v1, v1, v3
	v_not_b32_e32 v3, v9
	v_ashrrev_i32_e32 v2, 31, v2
	s_wait_alu 0xf1ff
	v_xor_b32_e32 v10, s10, v10
	v_cmp_gt_i32_e64 s10, 0, v9
	v_and_b32_e32 v1, v1, v8
	v_ashrrev_i32_e32 v3, 31, v3
	s_wait_alu 0xfffd
	v_xor_b32_e32 v2, vcc_lo, v2
	v_lshl_add_u32 v49, v0, 2, v21
	v_and_b32_e32 v1, v1, v10
	s_wait_alu 0xf1ff
	v_xor_b32_e32 v0, s10, v3
	ds_load_b32 v50, v49 offset:4
	v_and_b32_e32 v1, v1, v2
	; wave barrier
	s_delay_alu instid0(VALU_DEP_1) | instskip(NEXT) | instid1(VALU_DEP_1)
	v_and_b32_e32 v0, v1, v0
	v_mbcnt_lo_u32_b32 v51, v0, 0
	v_cmp_ne_u32_e64 s10, 0, v0
	s_delay_alu instid0(VALU_DEP_2)
	v_cmp_eq_u32_e32 vcc_lo, 0, v51
	s_and_b32 s14, s10, vcc_lo
	s_wait_alu 0xfffe
	s_and_saveexec_b32 s10, s14
	s_cbranch_execz .LBB123_47
; %bb.46:                               ;   in Loop: Header=BB123_39 Depth=1
	s_wait_dscnt 0x0
	v_bcnt_u32_b32 v0, v0, v50
	ds_store_b32 v49, v0 offset:4
.LBB123_47:                             ;   in Loop: Header=BB123_39 Depth=1
	s_wait_alu 0xfffe
	s_or_b32 exec_lo, exec_lo, s10
	; wave barrier
	; wave barrier
	s_wait_loadcnt_dscnt 0x0
	global_inv scope:SCOPE_SE
	ds_load_2addr_b32 v[10:11], v47 offset0:1 offset1:2
	ds_load_2addr_b32 v[8:9], v47 offset0:3 offset1:4
	;; [unrolled: 1-line block ×4, first 2 shown]
	s_wait_dscnt 0x3
	v_add_nc_u32_e32 v52, v11, v10
	s_wait_dscnt 0x2
	s_delay_alu instid0(VALU_DEP_1) | instskip(SKIP_1) | instid1(VALU_DEP_1)
	v_add3_u32 v52, v52, v8, v9
	s_wait_dscnt 0x1
	v_add3_u32 v52, v52, v2, v3
	s_wait_dscnt 0x0
	s_delay_alu instid0(VALU_DEP_1) | instskip(NEXT) | instid1(VALU_DEP_1)
	v_add3_u32 v1, v52, v0, v1
	v_mov_b32_dpp v52, v1 row_shr:1 row_mask:0xf bank_mask:0xf
	s_delay_alu instid0(VALU_DEP_1) | instskip(NEXT) | instid1(VALU_DEP_1)
	v_cndmask_b32_e64 v52, v52, 0, s4
	v_add_nc_u32_e32 v1, v52, v1
	s_delay_alu instid0(VALU_DEP_1) | instskip(NEXT) | instid1(VALU_DEP_1)
	v_mov_b32_dpp v52, v1 row_shr:2 row_mask:0xf bank_mask:0xf
	v_cndmask_b32_e64 v52, 0, v52, s5
	s_delay_alu instid0(VALU_DEP_1) | instskip(NEXT) | instid1(VALU_DEP_1)
	v_add_nc_u32_e32 v1, v1, v52
	v_mov_b32_dpp v52, v1 row_shr:4 row_mask:0xf bank_mask:0xf
	s_delay_alu instid0(VALU_DEP_1) | instskip(NEXT) | instid1(VALU_DEP_1)
	v_cndmask_b32_e64 v52, 0, v52, s6
	v_add_nc_u32_e32 v1, v1, v52
	s_delay_alu instid0(VALU_DEP_1) | instskip(NEXT) | instid1(VALU_DEP_1)
	v_mov_b32_dpp v52, v1 row_shr:8 row_mask:0xf bank_mask:0xf
	v_cndmask_b32_e64 v52, 0, v52, s7
	s_delay_alu instid0(VALU_DEP_1) | instskip(SKIP_3) | instid1(VALU_DEP_1)
	v_add_nc_u32_e32 v1, v1, v52
	ds_swizzle_b32 v52, v1 offset:swizzle(BROADCAST,32,15)
	s_wait_dscnt 0x0
	v_cndmask_b32_e64 v52, v52, 0, s8
	v_add_nc_u32_e32 v1, v1, v52
	s_and_saveexec_b32 s10, s9
; %bb.48:                               ;   in Loop: Header=BB123_39 Depth=1
	ds_store_b32 v28, v1
; %bb.49:                               ;   in Loop: Header=BB123_39 Depth=1
	s_wait_alu 0xfffe
	s_or_b32 exec_lo, exec_lo, s10
	ds_bpermute_b32 v1, v26, v1
	; wave barrier
	s_wait_loadcnt_dscnt 0x0
	global_inv scope:SCOPE_SE
	v_cmp_lt_u32_e32 vcc_lo, 23, v32
	s_mov_b32 s14, -1
	s_and_b32 vcc_lo, exec_lo, vcc_lo
	v_cndmask_b32_e64 v1, v1, 0, s12
	s_delay_alu instid0(VALU_DEP_1) | instskip(NEXT) | instid1(VALU_DEP_1)
	v_add_nc_u32_e32 v10, v1, v10
	v_add_nc_u32_e32 v11, v10, v11
	s_delay_alu instid0(VALU_DEP_1) | instskip(NEXT) | instid1(VALU_DEP_1)
	v_add_nc_u32_e32 v8, v11, v8
	v_add_nc_u32_e32 v9, v8, v9
	;; [unrolled: 3-line block ×3, first 2 shown]
	s_delay_alu instid0(VALU_DEP_1)
	v_add_nc_u32_e32 v0, v3, v0
	ds_store_2addr_b32 v47, v1, v10 offset0:1 offset1:2
	ds_store_2addr_b32 v47, v11, v8 offset0:3 offset1:4
	;; [unrolled: 1-line block ×4, first 2 shown]
	; wave barrier
	s_wait_loadcnt_dscnt 0x0
	global_inv scope:SCOPE_SE
	ds_load_b32 v0, v22 offset:4
	ds_load_b32 v1, v24 offset:4
	;; [unrolled: 1-line block ×4, first 2 shown]
	s_wait_dscnt 0x3
	v_add_nc_u32_e32 v49, v0, v12
	s_wait_dscnt 0x2
	v_add3_u32 v37, v25, v23, v1
	s_wait_dscnt 0x1
	v_add3_u32 v36, v48, v36, v2
	;; [unrolled: 2-line block ×3, first 2 shown]
	v_readfirstlane_b32 s10, v0
                                        ; implicit-def: $vgpr25
                                        ; implicit-def: $vgpr23
                                        ; implicit-def: $vgpr9_vgpr10
                                        ; implicit-def: $vgpr0_vgpr1
	s_wait_alu 0xfffe
	s_cbranch_vccnz .LBB123_38
; %bb.50:                               ;   in Loop: Header=BB123_39 Depth=1
	v_lshlrev_b32_e32 v0, 2, v49
	v_lshlrev_b32_e32 v1, 2, v37
	v_lshlrev_b32_e32 v2, 2, v36
	v_lshlrev_b32_e32 v3, 2, v8
	s_wait_loadcnt 0x0
	; wave barrier
	global_inv scope:SCOPE_SE
	ds_store_b32 v0, v31
	ds_store_b32 v1, v35
	;; [unrolled: 1-line block ×4, first 2 shown]
	v_add_nc_u32_e32 v0, v0, v0
	v_add_nc_u32_e32 v1, v1, v1
	;; [unrolled: 1-line block ×4, first 2 shown]
	; wave barrier
	s_wait_loadcnt_dscnt 0x0
	global_inv scope:SCOPE_SE
	ds_load_2addr_b32 v[22:23], v27 offset1:32
	ds_load_2addr_b32 v[24:25], v27 offset0:64 offset1:96
	; wave barrier
	s_wait_loadcnt_dscnt 0x0
	global_inv scope:SCOPE_SE
	ds_store_b64 v0, v[15:16]
	ds_store_b64 v1, v[13:14]
	;; [unrolled: 1-line block ×4, first 2 shown]
	; wave barrier
	s_wait_loadcnt_dscnt 0x0
	global_inv scope:SCOPE_SE
	ds_load_2addr_b64 v[9:12], v30 offset1:32
	ds_load_2addr_b64 v[0:3], v30 offset0:64 offset1:96
	v_add_nc_u32_e32 v32, 8, v32
	s_add_co_i32 s10, s13, -8
	s_mov_b32 s14, 0
	; wave barrier
	s_wait_loadcnt_dscnt 0x0
	global_inv scope:SCOPE_SE
	s_branch .LBB123_38
.LBB123_51:
	v_lshlrev_b32_e32 v9, 2, v49
	v_lshlrev_b32_e32 v11, 2, v36
	;; [unrolled: 1-line block ×5, first 2 shown]
	s_wait_loadcnt 0x0
	; wave barrier
	global_inv scope:SCOPE_SE
	ds_store_b32 v9, v31
	ds_store_b32 v10, v35
	ds_store_b32 v11, v34
	ds_store_b32 v8, v33
	; wave barrier
	s_wait_loadcnt_dscnt 0x0
	global_inv scope:SCOPE_SE
	ds_load_b128 v[0:3], v0
	v_add_nc_u32_e32 v9, v9, v9
	v_add_nc_u32_e32 v10, v10, v10
	; wave barrier
	s_wait_loadcnt_dscnt 0x0
	global_inv scope:SCOPE_SE
	v_add_nc_u32_e32 v21, v11, v11
	ds_store_b64 v9, v[15:16]
	ds_store_b64 v10, v[13:14]
	v_add_nc_u32_e32 v8, v8, v8
	ds_store_b64 v21, v[6:7]
	ds_store_b64 v8, v[4:5]
	; wave barrier
	s_wait_loadcnt_dscnt 0x0
	global_inv scope:SCOPE_SE
	v_xor_b32_e32 v9, 0x7fffffff, v0
	v_xor_b32_e32 v11, 0x7fffffff, v1
	;; [unrolled: 1-line block ×4, first 2 shown]
.LBB123_52:
	v_lshlrev_b32_e32 v4, 3, v41
	ds_load_b128 v[0:3], v4
	ds_load_b128 v[4:7], v4 offset:16
	; wave barrier
	s_wait_loadcnt_dscnt 0x0
	global_inv scope:SCOPE_SE
	ds_store_2addr_b32 v42, v9, v11 offset1:1
	ds_store_2addr_b32 v42, v10, v12 offset0:2 offset1:3
	; wave barrier
	s_wait_loadcnt_dscnt 0x0
	global_inv scope:SCOPE_SE
	ds_load_b32 v12, v18 offset:128
	ds_load_b32 v11, v39 offset:256
	;; [unrolled: 1-line block ×3, first 2 shown]
	v_mov_b32_e32 v18, 0
	s_delay_alu instid0(VALU_DEP_1) | instskip(NEXT) | instid1(VALU_DEP_1)
	v_lshlrev_b64_e32 v[8:9], 2, v[17:18]
	v_add_co_u32 v8, vcc_lo, s22, v8
	s_wait_alu 0xfffd
	s_delay_alu instid0(VALU_DEP_2)
	v_add_co_ci_u32_e64 v9, null, s23, v9, vcc_lo
	s_and_saveexec_b32 s4, s0
	s_cbranch_execnz .LBB123_63
; %bb.53:
	s_wait_alu 0xfffe
	s_or_b32 exec_lo, exec_lo, s4
	s_and_saveexec_b32 s4, s1
	s_cbranch_execnz .LBB123_64
.LBB123_54:
	s_wait_alu 0xfffe
	s_or_b32 exec_lo, exec_lo, s4
	s_and_saveexec_b32 s4, s2
	s_cbranch_execnz .LBB123_65
.LBB123_55:
	s_wait_alu 0xfffe
	s_or_b32 exec_lo, exec_lo, s4
	s_and_saveexec_b32 s4, s3
	s_cbranch_execz .LBB123_57
.LBB123_56:
	s_mul_i32 s6, s18, 0x60
	s_mov_b32 s7, 0
	s_wait_alu 0xfffe
	s_lshl_b64 s[6:7], s[6:7], 2
	s_wait_alu 0xfffe
	v_add_co_u32 v8, vcc_lo, v8, s6
	s_wait_alu 0xfffd
	v_add_co_ci_u32_e64 v9, null, s7, v9, vcc_lo
	s_wait_dscnt 0x0
	global_store_b32 v[8:9], v10, off
.LBB123_57:
	s_wait_alu 0xfffe
	s_or_b32 exec_lo, exec_lo, s4
	s_wait_storecnt 0x0
	; wave barrier
	s_wait_loadcnt_dscnt 0x0
	global_inv scope:SCOPE_SE
	ds_store_2addr_b64 v46, v[0:1], v[2:3] offset1:1
	ds_store_2addr_b64 v46, v[4:5], v[6:7] offset0:2 offset1:3
	; wave barrier
	s_wait_loadcnt_dscnt 0x0
	global_inv scope:SCOPE_SE
	ds_load_b64 v[6:7], v20 offset:256
	ds_load_b64 v[4:5], v44 offset:512
	;; [unrolled: 1-line block ×3, first 2 shown]
	v_mov_b32_e32 v20, 0
	s_delay_alu instid0(VALU_DEP_1) | instskip(NEXT) | instid1(VALU_DEP_1)
	v_lshlrev_b64_e32 v[2:3], 3, v[19:20]
	v_add_co_u32 v2, vcc_lo, s16, v2
	s_wait_alu 0xfffd
	s_delay_alu instid0(VALU_DEP_2)
	v_add_co_ci_u32_e64 v3, null, s17, v3, vcc_lo
	s_and_saveexec_b32 s4, s0
	s_cbranch_execnz .LBB123_66
; %bb.58:
	s_wait_alu 0xfffe
	s_or_b32 exec_lo, exec_lo, s4
	s_and_saveexec_b32 s0, s1
	s_cbranch_execnz .LBB123_67
.LBB123_59:
	s_or_b32 exec_lo, exec_lo, s0
	s_and_saveexec_b32 s0, s2
	s_cbranch_execnz .LBB123_68
.LBB123_60:
	s_or_b32 exec_lo, exec_lo, s0
	s_and_saveexec_b32 s0, s3
	s_cbranch_execz .LBB123_62
.LBB123_61:
	s_mul_i32 s0, s20, 0x60
	s_mov_b32 s1, 0
	s_delay_alu instid0(SALU_CYCLE_1) | instskip(NEXT) | instid1(SALU_CYCLE_1)
	s_lshl_b64 s[0:1], s[0:1], 3
	v_add_co_u32 v2, vcc_lo, v2, s0
	s_wait_alu 0xfffd
	v_add_co_ci_u32_e64 v3, null, s1, v3, vcc_lo
	s_wait_dscnt 0x0
	global_store_b64 v[2:3], v[0:1], off
.LBB123_62:
	s_endpgm
.LBB123_63:
	ds_load_b32 v13, v38
	s_wait_dscnt 0x0
	global_store_b32 v[8:9], v13, off
	s_wait_alu 0xfffe
	s_or_b32 exec_lo, exec_lo, s4
	s_and_saveexec_b32 s4, s1
	s_cbranch_execz .LBB123_54
.LBB123_64:
	s_lshl_b32 s6, s18, 5
	s_mov_b32 s7, 0
	s_wait_alu 0xfffe
	s_lshl_b64 s[6:7], s[6:7], 2
	s_wait_alu 0xfffe
	v_add_co_u32 v13, vcc_lo, v8, s6
	s_wait_alu 0xfffd
	v_add_co_ci_u32_e64 v14, null, s7, v9, vcc_lo
	s_wait_dscnt 0x2
	global_store_b32 v[13:14], v12, off
	s_or_b32 exec_lo, exec_lo, s4
	s_and_saveexec_b32 s4, s2
	s_cbranch_execz .LBB123_55
.LBB123_65:
	s_lshl_b32 s6, s18, 6
	s_mov_b32 s7, 0
	s_wait_alu 0xfffe
	s_lshl_b64 s[6:7], s[6:7], 2
	s_wait_dscnt 0x2
	s_wait_alu 0xfffe
	v_add_co_u32 v12, vcc_lo, v8, s6
	s_wait_alu 0xfffd
	v_add_co_ci_u32_e64 v13, null, s7, v9, vcc_lo
	s_wait_dscnt 0x1
	global_store_b32 v[12:13], v11, off
	s_or_b32 exec_lo, exec_lo, s4
	s_and_saveexec_b32 s4, s3
	s_cbranch_execnz .LBB123_56
	s_branch .LBB123_57
.LBB123_66:
	ds_load_b64 v[8:9], v43
	s_wait_dscnt 0x0
	global_store_b64 v[2:3], v[8:9], off
	s_wait_alu 0xfffe
	s_or_b32 exec_lo, exec_lo, s4
	s_and_saveexec_b32 s0, s1
	s_cbranch_execz .LBB123_59
.LBB123_67:
	s_lshl_b32 s4, s20, 5
	s_mov_b32 s5, 0
	s_wait_alu 0xfffe
	s_lshl_b64 s[4:5], s[4:5], 3
	s_wait_alu 0xfffe
	v_add_co_u32 v8, vcc_lo, v2, s4
	s_wait_alu 0xfffd
	v_add_co_ci_u32_e64 v9, null, s5, v3, vcc_lo
	s_wait_dscnt 0x2
	global_store_b64 v[8:9], v[6:7], off
	s_or_b32 exec_lo, exec_lo, s0
	s_and_saveexec_b32 s0, s2
	s_cbranch_execz .LBB123_60
.LBB123_68:
	s_lshl_b32 s4, s20, 6
	s_mov_b32 s5, 0
	s_wait_alu 0xfffe
	s_lshl_b64 s[4:5], s[4:5], 3
	s_wait_dscnt 0x2
	s_wait_alu 0xfffe
	v_add_co_u32 v6, vcc_lo, v2, s4
	s_wait_alu 0xfffd
	v_add_co_ci_u32_e64 v7, null, s5, v3, vcc_lo
	s_wait_dscnt 0x1
	global_store_b64 v[6:7], v[4:5], off
	s_or_b32 exec_lo, exec_lo, s0
	s_and_saveexec_b32 s0, s3
	s_cbranch_execnz .LBB123_61
	s_branch .LBB123_62
	.section	.rodata,"a",@progbits
	.p2align	6, 0x0
	.amdhsa_kernel _ZN2at6native18radixSortKVInPlaceILin2ELin1ELi32ELi4EiljEEvNS_4cuda6detail10TensorInfoIT3_T5_EES6_S6_S6_NS4_IT4_S6_EES6_b
		.amdhsa_group_segment_fixed_size 1056
		.amdhsa_private_segment_fixed_size 0
		.amdhsa_kernarg_size 712
		.amdhsa_user_sgpr_count 2
		.amdhsa_user_sgpr_dispatch_ptr 0
		.amdhsa_user_sgpr_queue_ptr 0
		.amdhsa_user_sgpr_kernarg_segment_ptr 1
		.amdhsa_user_sgpr_dispatch_id 0
		.amdhsa_user_sgpr_private_segment_size 0
		.amdhsa_wavefront_size32 1
		.amdhsa_uses_dynamic_stack 0
		.amdhsa_enable_private_segment 0
		.amdhsa_system_sgpr_workgroup_id_x 1
		.amdhsa_system_sgpr_workgroup_id_y 1
		.amdhsa_system_sgpr_workgroup_id_z 1
		.amdhsa_system_sgpr_workgroup_info 0
		.amdhsa_system_vgpr_workitem_id 2
		.amdhsa_next_free_vgpr 74
		.amdhsa_next_free_sgpr 28
		.amdhsa_reserve_vcc 1
		.amdhsa_float_round_mode_32 0
		.amdhsa_float_round_mode_16_64 0
		.amdhsa_float_denorm_mode_32 3
		.amdhsa_float_denorm_mode_16_64 3
		.amdhsa_fp16_overflow 0
		.amdhsa_workgroup_processor_mode 1
		.amdhsa_memory_ordered 1
		.amdhsa_forward_progress 1
		.amdhsa_inst_pref_size 75
		.amdhsa_round_robin_scheduling 0
		.amdhsa_exception_fp_ieee_invalid_op 0
		.amdhsa_exception_fp_denorm_src 0
		.amdhsa_exception_fp_ieee_div_zero 0
		.amdhsa_exception_fp_ieee_overflow 0
		.amdhsa_exception_fp_ieee_underflow 0
		.amdhsa_exception_fp_ieee_inexact 0
		.amdhsa_exception_int_div_zero 0
	.end_amdhsa_kernel
	.section	.text._ZN2at6native18radixSortKVInPlaceILin2ELin1ELi32ELi4EiljEEvNS_4cuda6detail10TensorInfoIT3_T5_EES6_S6_S6_NS4_IT4_S6_EES6_b,"axG",@progbits,_ZN2at6native18radixSortKVInPlaceILin2ELin1ELi32ELi4EiljEEvNS_4cuda6detail10TensorInfoIT3_T5_EES6_S6_S6_NS4_IT4_S6_EES6_b,comdat
.Lfunc_end123:
	.size	_ZN2at6native18radixSortKVInPlaceILin2ELin1ELi32ELi4EiljEEvNS_4cuda6detail10TensorInfoIT3_T5_EES6_S6_S6_NS4_IT4_S6_EES6_b, .Lfunc_end123-_ZN2at6native18radixSortKVInPlaceILin2ELin1ELi32ELi4EiljEEvNS_4cuda6detail10TensorInfoIT3_T5_EES6_S6_S6_NS4_IT4_S6_EES6_b
                                        ; -- End function
	.set _ZN2at6native18radixSortKVInPlaceILin2ELin1ELi32ELi4EiljEEvNS_4cuda6detail10TensorInfoIT3_T5_EES6_S6_S6_NS4_IT4_S6_EES6_b.num_vgpr, 74
	.set _ZN2at6native18radixSortKVInPlaceILin2ELin1ELi32ELi4EiljEEvNS_4cuda6detail10TensorInfoIT3_T5_EES6_S6_S6_NS4_IT4_S6_EES6_b.num_agpr, 0
	.set _ZN2at6native18radixSortKVInPlaceILin2ELin1ELi32ELi4EiljEEvNS_4cuda6detail10TensorInfoIT3_T5_EES6_S6_S6_NS4_IT4_S6_EES6_b.numbered_sgpr, 28
	.set _ZN2at6native18radixSortKVInPlaceILin2ELin1ELi32ELi4EiljEEvNS_4cuda6detail10TensorInfoIT3_T5_EES6_S6_S6_NS4_IT4_S6_EES6_b.num_named_barrier, 0
	.set _ZN2at6native18radixSortKVInPlaceILin2ELin1ELi32ELi4EiljEEvNS_4cuda6detail10TensorInfoIT3_T5_EES6_S6_S6_NS4_IT4_S6_EES6_b.private_seg_size, 0
	.set _ZN2at6native18radixSortKVInPlaceILin2ELin1ELi32ELi4EiljEEvNS_4cuda6detail10TensorInfoIT3_T5_EES6_S6_S6_NS4_IT4_S6_EES6_b.uses_vcc, 1
	.set _ZN2at6native18radixSortKVInPlaceILin2ELin1ELi32ELi4EiljEEvNS_4cuda6detail10TensorInfoIT3_T5_EES6_S6_S6_NS4_IT4_S6_EES6_b.uses_flat_scratch, 0
	.set _ZN2at6native18radixSortKVInPlaceILin2ELin1ELi32ELi4EiljEEvNS_4cuda6detail10TensorInfoIT3_T5_EES6_S6_S6_NS4_IT4_S6_EES6_b.has_dyn_sized_stack, 0
	.set _ZN2at6native18radixSortKVInPlaceILin2ELin1ELi32ELi4EiljEEvNS_4cuda6detail10TensorInfoIT3_T5_EES6_S6_S6_NS4_IT4_S6_EES6_b.has_recursion, 0
	.set _ZN2at6native18radixSortKVInPlaceILin2ELin1ELi32ELi4EiljEEvNS_4cuda6detail10TensorInfoIT3_T5_EES6_S6_S6_NS4_IT4_S6_EES6_b.has_indirect_call, 0
	.section	.AMDGPU.csdata,"",@progbits
; Kernel info:
; codeLenInByte = 9512
; TotalNumSgprs: 30
; NumVgprs: 74
; ScratchSize: 0
; MemoryBound: 0
; FloatMode: 240
; IeeeMode: 1
; LDSByteSize: 1056 bytes/workgroup (compile time only)
; SGPRBlocks: 0
; VGPRBlocks: 9
; NumSGPRsForWavesPerEU: 30
; NumVGPRsForWavesPerEU: 74
; Occupancy: 16
; WaveLimiterHint : 1
; COMPUTE_PGM_RSRC2:SCRATCH_EN: 0
; COMPUTE_PGM_RSRC2:USER_SGPR: 2
; COMPUTE_PGM_RSRC2:TRAP_HANDLER: 0
; COMPUTE_PGM_RSRC2:TGID_X_EN: 1
; COMPUTE_PGM_RSRC2:TGID_Y_EN: 1
; COMPUTE_PGM_RSRC2:TGID_Z_EN: 1
; COMPUTE_PGM_RSRC2:TIDIG_COMP_CNT: 2
	.section	.text._ZN2at6native18radixSortKVInPlaceILin2ELin1ELi16ELi2EiljEEvNS_4cuda6detail10TensorInfoIT3_T5_EES6_S6_S6_NS4_IT4_S6_EES6_b,"axG",@progbits,_ZN2at6native18radixSortKVInPlaceILin2ELin1ELi16ELi2EiljEEvNS_4cuda6detail10TensorInfoIT3_T5_EES6_S6_S6_NS4_IT4_S6_EES6_b,comdat
	.protected	_ZN2at6native18radixSortKVInPlaceILin2ELin1ELi16ELi2EiljEEvNS_4cuda6detail10TensorInfoIT3_T5_EES6_S6_S6_NS4_IT4_S6_EES6_b ; -- Begin function _ZN2at6native18radixSortKVInPlaceILin2ELin1ELi16ELi2EiljEEvNS_4cuda6detail10TensorInfoIT3_T5_EES6_S6_S6_NS4_IT4_S6_EES6_b
	.globl	_ZN2at6native18radixSortKVInPlaceILin2ELin1ELi16ELi2EiljEEvNS_4cuda6detail10TensorInfoIT3_T5_EES6_S6_S6_NS4_IT4_S6_EES6_b
	.p2align	8
	.type	_ZN2at6native18radixSortKVInPlaceILin2ELin1ELi16ELi2EiljEEvNS_4cuda6detail10TensorInfoIT3_T5_EES6_S6_S6_NS4_IT4_S6_EES6_b,@function
_ZN2at6native18radixSortKVInPlaceILin2ELin1ELi16ELi2EiljEEvNS_4cuda6detail10TensorInfoIT3_T5_EES6_S6_S6_NS4_IT4_S6_EES6_b: ; @_ZN2at6native18radixSortKVInPlaceILin2ELin1ELi16ELi2EiljEEvNS_4cuda6detail10TensorInfoIT3_T5_EES6_S6_S6_NS4_IT4_S6_EES6_b
; %bb.0:
	s_clause 0x1
	s_load_b64 s[2:3], s[0:1], 0x1c8
	s_load_b96 s[16:18], s[0:1], 0xd8
	s_lshr_b32 s4, ttmp7, 16
	s_wait_kmcnt 0x0
	s_mul_i32 s3, s3, s4
	s_and_b32 s4, ttmp7, 0xffff
	s_delay_alu instid0(SALU_CYCLE_1) | instskip(NEXT) | instid1(SALU_CYCLE_1)
	s_add_co_i32 s3, s3, s4
	s_mul_i32 s10, s3, s2
	s_delay_alu instid0(SALU_CYCLE_1) | instskip(NEXT) | instid1(SALU_CYCLE_1)
	s_add_co_i32 s10, s10, ttmp9
	s_cmp_ge_u32 s10, s16
	s_cbranch_scc1 .LBB124_54
; %bb.1:
	s_load_b32 s6, s[0:1], 0x1b8
	s_add_nc_u64 s[4:5], s[0:1], 0xe8
	s_mov_b32 s3, 0
	s_mov_b32 s2, s10
	s_wait_kmcnt 0x0
	s_cmp_lt_i32 s6, 2
	s_cbranch_scc1 .LBB124_4
; %bb.2:
	s_add_co_i32 s2, s6, -1
	s_delay_alu instid0(SALU_CYCLE_1)
	s_lshl_b64 s[8:9], s[2:3], 2
	s_mov_b32 s2, s10
	s_add_nc_u64 s[12:13], s[4:5], s[8:9]
	s_add_co_i32 s8, s6, 1
	s_add_nc_u64 s[6:7], s[12:13], 8
.LBB124_3:                              ; =>This Inner Loop Header: Depth=1
	s_clause 0x1
	s_load_b32 s9, s[6:7], 0x0
	s_load_b32 s11, s[6:7], 0x64
	s_mov_b32 s14, s2
	s_add_nc_u64 s[6:7], s[6:7], -4
	s_wait_kmcnt 0x0
	s_cvt_f32_u32 s12, s9
	s_sub_co_i32 s13, 0, s9
	s_wait_alu 0xfffe
	s_delay_alu instid0(SALU_CYCLE_1) | instskip(NEXT) | instid1(TRANS32_DEP_1)
	v_rcp_iflag_f32_e32 v1, s12
	v_readfirstlane_b32 s12, v1
	s_mul_f32 s12, s12, 0x4f7ffffe
	s_wait_alu 0xfffe
	s_delay_alu instid0(SALU_CYCLE_2) | instskip(SKIP_1) | instid1(SALU_CYCLE_2)
	s_cvt_u32_f32 s12, s12
	s_wait_alu 0xfffe
	s_mul_i32 s13, s13, s12
	s_wait_alu 0xfffe
	s_mul_hi_u32 s13, s12, s13
	s_wait_alu 0xfffe
	s_add_co_i32 s12, s12, s13
	s_wait_alu 0xfffe
	s_mul_hi_u32 s2, s2, s12
	s_delay_alu instid0(SALU_CYCLE_1)
	s_mul_i32 s12, s2, s9
	s_add_co_i32 s13, s2, 1
	s_wait_alu 0xfffe
	s_sub_co_i32 s12, s14, s12
	s_wait_alu 0xfffe
	s_sub_co_i32 s15, s12, s9
	s_cmp_ge_u32 s12, s9
	s_cselect_b32 s2, s13, s2
	s_cselect_b32 s12, s15, s12
	s_add_co_i32 s13, s2, 1
	s_wait_alu 0xfffe
	s_cmp_ge_u32 s12, s9
	s_cselect_b32 s2, s13, s2
	s_add_co_i32 s8, s8, -1
	s_mul_i32 s9, s2, s9
	s_delay_alu instid0(SALU_CYCLE_1) | instskip(NEXT) | instid1(SALU_CYCLE_1)
	s_sub_co_i32 s9, s14, s9
	s_mul_i32 s9, s11, s9
	s_delay_alu instid0(SALU_CYCLE_1)
	s_add_co_i32 s3, s9, s3
	s_cmp_gt_u32 s8, 2
	s_cbranch_scc1 .LBB124_3
.LBB124_4:
	s_clause 0x2
	s_load_b64 s[8:9], s[0:1], 0x0
	s_load_b32 s6, s[0:1], 0x6c
	s_load_b64 s[20:21], s[0:1], 0x1c0
	s_brev_b32 s0, 1
	v_mul_lo_u32 v16, s18, v0
	s_mov_b32 s13, 0
	s_wait_kmcnt 0x0
	s_mul_i32 s12, s6, s10
	s_bitcmp1_b32 s21, 0
	s_cselect_b32 s10, -1, 0
	s_delay_alu instid0(SALU_CYCLE_1) | instskip(SKIP_3) | instid1(SALU_CYCLE_1)
	s_and_b32 s1, s10, exec_lo
	s_cselect_b32 s6, s0, 0x7fffffff
	v_cmp_gt_u32_e64 s0, s17, v0
	s_mov_b32 s7, s6
	v_dual_mov_b32 v1, s6 :: v_dual_mov_b32 v2, s7
	s_wait_alu 0xfffe
	s_lshl_b64 s[12:13], s[12:13], 2
	s_wait_alu 0xfffe
	s_add_nc_u64 s[22:23], s[8:9], s[12:13]
	s_and_saveexec_b32 s1, s0
	s_cbranch_execz .LBB124_6
; %bb.5:
	v_mov_b32_e32 v17, 0
	s_delay_alu instid0(VALU_DEP_1) | instskip(NEXT) | instid1(VALU_DEP_1)
	v_lshlrev_b64_e32 v[1:2], 2, v[16:17]
	v_add_co_u32 v1, vcc_lo, s22, v1
	s_delay_alu instid0(VALU_DEP_1)
	v_add_co_ci_u32_e64 v2, null, s23, v2, vcc_lo
	global_load_b32 v1, v[1:2], off
	v_mov_b32_e32 v2, s6
.LBB124_6:
	s_or_b32 exec_lo, exec_lo, s1
	s_clause 0x1
	s_load_b32 s6, s[4:5], 0x6c
	s_load_b64 s[4:5], s[4:5], 0x0
	v_or_b32_e32 v3, 16, v0
	s_delay_alu instid0(VALU_DEP_1)
	v_cmp_gt_u32_e64 s1, s17, v3
	s_and_saveexec_b32 s7, s1
	s_cbranch_execz .LBB124_8
; %bb.7:
	v_mul_lo_u32 v4, s18, v3
	v_mov_b32_e32 v5, 0
	s_delay_alu instid0(VALU_DEP_1) | instskip(NEXT) | instid1(VALU_DEP_1)
	v_lshlrev_b64_e32 v[4:5], 2, v[4:5]
	v_add_co_u32 v4, vcc_lo, s22, v4
	s_wait_alu 0xfffd
	s_delay_alu instid0(VALU_DEP_2)
	v_add_co_ci_u32_e64 v5, null, s23, v5, vcc_lo
	global_load_b32 v2, v[4:5], off
.LBB124_8:
	s_wait_alu 0xfffe
	s_or_b32 exec_lo, exec_lo, s7
	v_lshlrev_b32_e32 v22, 2, v0
	v_dual_mov_b32 v14, 0 :: v_dual_lshlrev_b32 v21, 3, v0
	s_wait_kmcnt 0x0
	s_mul_i32 s2, s6, s2
	v_mul_lo_u32 v13, s20, v0
	s_wait_loadcnt 0x0
	ds_store_2addr_b32 v22, v1, v2 offset1:16
	s_wait_dscnt 0x0
	; wave barrier
	global_inv scope:SCOPE_SE
	ds_load_2addr_b32 v[17:18], v21 offset1:1
	s_add_co_i32 s2, s2, s3
	s_mov_b32 s3, 0
	v_mov_b32_e32 v1, 0
	v_dual_mov_b32 v2, 0 :: v_dual_mov_b32 v15, v14
	s_lshl_b64 s[2:3], s[2:3], 3
	s_wait_loadcnt_dscnt 0x0
	s_add_nc_u64 s[16:17], s[4:5], s[2:3]
	; wave barrier
	global_inv scope:SCOPE_SE
	s_and_saveexec_b32 s2, s0
	s_cbranch_execz .LBB124_10
; %bb.9:
	v_lshlrev_b64_e32 v[1:2], 3, v[13:14]
	v_mov_b32_e32 v15, v14
	s_wait_alu 0xfffe
	s_delay_alu instid0(VALU_DEP_2) | instskip(SKIP_1) | instid1(VALU_DEP_3)
	v_add_co_u32 v1, vcc_lo, s16, v1
	s_wait_alu 0xfffd
	v_add_co_ci_u32_e64 v2, null, s17, v2, vcc_lo
	global_load_b64 v[1:2], v[1:2], off
.LBB124_10:
	s_or_b32 exec_lo, exec_lo, s2
	v_lshlrev_b32_e32 v4, 1, v0
	s_xor_b32 s8, s10, -1
	s_and_saveexec_b32 s2, s1
	s_cbranch_execz .LBB124_12
; %bb.11:
	v_mul_lo_u32 v5, s20, v3
	v_mov_b32_e32 v6, 0
	s_delay_alu instid0(VALU_DEP_1) | instskip(SKIP_1) | instid1(VALU_DEP_1)
	v_lshlrev_b64_e32 v[5:6], 3, v[5:6]
	s_wait_alu 0xfffe
	v_add_co_u32 v5, vcc_lo, s16, v5
	s_wait_alu 0xfffd
	s_delay_alu instid0(VALU_DEP_2)
	v_add_co_ci_u32_e64 v6, null, s17, v6, vcc_lo
	global_load_b64 v[14:15], v[5:6], off
.LBB124_12:
	s_or_b32 exec_lo, exec_lo, s2
	v_mbcnt_lo_u32_b32 v5, -1, 0
	v_lshlrev_b32_e32 v3, 2, v4
	v_add_nc_u32_e32 v23, v22, v22
	s_getpc_b64 s[2:3]
	s_sext_i32_i16 s3, s3
	s_add_co_u32 s2, s2, _ZN7rocprim17ROCPRIM_400000_NS16block_radix_sortIiLj16ELj2ElLj1ELj1ELj0ELNS0_26block_radix_rank_algorithmE1ELNS0_18block_padding_hintE2ELNS0_4arch9wavefront6targetE0EE19radix_bits_per_passE@rel32@lo+8
	s_add_co_ci_u32 s3, s3, _ZN7rocprim17ROCPRIM_400000_NS16block_radix_sortIiLj16ELj2ElLj1ELj1ELj0ELNS0_26block_radix_rank_algorithmE1ELNS0_18block_padding_hintE2ELNS0_4arch9wavefront6targetE0EE19radix_bits_per_passE@rel32@hi+16
	v_lshlrev_b32_e32 v27, 5, v0
	v_sub_co_u32 v7, s19, v5, 1
	v_and_b32_e32 v8, 16, v5
	s_wait_loadcnt 0x0
	ds_store_b64 v23, v[1:2]
	ds_store_b64 v21, v[14:15] offset:128
	s_wait_dscnt 0x0
	; wave barrier
	global_inv scope:SCOPE_SE
	s_load_b32 s15, s[2:3], 0x0
	v_cmp_lt_i32_e32 vcc_lo, v7, v8
	v_add_nc_u32_e32 v24, v21, v3
	v_and_b32_e32 v6, 15, v5
	v_mad_i32_i24 v26, 0xffffffe8, v0, v27
	v_cmp_gt_u32_e64 s2, 0x80, v0
	s_wait_alu 0xfffd
	v_cndmask_b32_e32 v5, v7, v5, vcc_lo
	ds_load_2addr_b64 v[1:4], v24 offset1:1
	v_cmp_eq_u32_e64 s3, 0, v6
	v_cmp_lt_u32_e64 s4, 1, v6
	v_cmp_lt_u32_e64 s5, 3, v6
	;; [unrolled: 1-line block ×3, first 2 shown]
	v_cmp_eq_u32_e64 s7, 15, v0
	v_lshlrev_b32_e32 v28, 2, v5
	v_lshl_add_u32 v25, v0, 3, v26
	s_and_b32 vcc_lo, exec_lo, s8
	v_cmp_gt_u32_e64 s8, 0x70, v0
	v_cmp_gt_u32_e64 s9, 0x60, v0
	;; [unrolled: 1-line block ×7, first 2 shown]
	s_mov_b32 s21, -1
	; wave barrier
	s_wait_loadcnt_dscnt 0x0
	global_inv scope:SCOPE_SE
	s_wait_alu 0xfffe
	s_cbranch_vccz .LBB124_28
; %bb.13:
	v_mov_b32_e32 v6, v2
	v_mov_b32_e32 v8, v4
	v_xor_b32_e32 v9, 0x80000000, v17
	v_xor_b32_e32 v10, 0x80000000, v18
	v_dual_mov_b32 v30, 0 :: v_dual_mov_b32 v5, v1
	v_dual_mov_b32 v32, 0 :: v_dual_mov_b32 v7, v3
	s_mov_b32 s21, 32
	s_branch .LBB124_15
.LBB124_14:                             ;   in Loop: Header=BB124_15 Depth=1
	s_wait_alu 0xfffe
	s_and_not1_b32 vcc_lo, exec_lo, s25
	s_mov_b32 s21, s24
	s_wait_alu 0xfffe
	s_cbranch_vccz .LBB124_29
.LBB124_15:                             ; =>This Inner Loop Header: Depth=1
	v_dual_mov_b32 v31, v9 :: v_dual_mov_b32 v20, v6
	v_mov_b32_e32 v15, v8
	v_dual_mov_b32 v29, v10 :: v_dual_mov_b32 v14, v7
	v_mov_b32_e32 v19, v5
	s_and_saveexec_b32 s24, s2
	s_cbranch_execz .LBB124_24
; %bb.16:                               ;   in Loop: Header=BB124_15 Depth=1
	ds_store_b32 v22, v30
	s_and_b32 exec_lo, exec_lo, s8
	s_cbranch_execz .LBB124_24
; %bb.17:                               ;   in Loop: Header=BB124_15 Depth=1
	ds_store_b32 v22, v30 offset:64
	s_and_b32 exec_lo, exec_lo, s9
	s_cbranch_execz .LBB124_24
; %bb.18:                               ;   in Loop: Header=BB124_15 Depth=1
	ds_store_b32 v22, v30 offset:128
	;; [unrolled: 4-line block ×6, first 2 shown]
	s_and_b32 exec_lo, exec_lo, s14
; %bb.23:                               ;   in Loop: Header=BB124_15 Depth=1
	ds_store_b32 v22, v30 offset:448
.LBB124_24:                             ;   in Loop: Header=BB124_15 Depth=1
	s_wait_alu 0xfffe
	s_or_b32 exec_lo, exec_lo, s24
	s_wait_kmcnt 0x0
	s_min_u32 s24, s15, s21
	v_lshrrev_b32_e32 v5, v32, v31
	s_wait_alu 0xfffe
	s_lshl_b32 s24, -1, s24
	s_wait_alu 0xfffe
	s_not_b32 s24, s24
	s_wait_alu 0xfffe
	v_and_b32_e32 v5, s24, v5
	s_delay_alu instid0(VALU_DEP_1) | instskip(SKIP_1) | instid1(VALU_DEP_2)
	v_lshlrev_b32_e32 v6, 4, v5
	v_lshrrev_b32_e32 v5, 2, v5
	v_and_or_b32 v6, 0x70, v6, v0
	s_delay_alu instid0(VALU_DEP_2) | instskip(NEXT) | instid1(VALU_DEP_1)
	v_and_b32_e32 v5, 0x1ffffffe, v5
	v_lshl_add_u32 v34, v6, 2, v5
	v_lshrrev_b32_e32 v5, v32, v29
	ds_load_u16 v33, v34
	v_and_b32_e32 v5, s24, v5
	s_delay_alu instid0(VALU_DEP_1) | instskip(SKIP_1) | instid1(VALU_DEP_2)
	v_lshlrev_b32_e32 v6, 4, v5
	v_lshrrev_b32_e32 v5, 2, v5
	v_and_or_b32 v6, 0x70, v6, v0
	s_delay_alu instid0(VALU_DEP_2) | instskip(NEXT) | instid1(VALU_DEP_1)
	v_and_b32_e32 v5, 0x1ffffffe, v5
	v_lshl_add_u32 v35, v6, 2, v5
	s_wait_dscnt 0x0
	v_add_nc_u16 v7, v33, 1
	ds_store_b16 v34, v7
	ds_load_u16 v36, v35
	s_wait_dscnt 0x0
	v_add_nc_u16 v5, v36, 1
	ds_store_b16 v35, v5
	; wave barrier
	s_wait_loadcnt_dscnt 0x0
	global_inv scope:SCOPE_SE
	ds_load_b128 v[9:12], v27
	ds_load_b128 v[5:8], v27 offset:16
	s_wait_dscnt 0x1
	v_add_nc_u32_e32 v37, v10, v9
	s_delay_alu instid0(VALU_DEP_1) | instskip(SKIP_1) | instid1(VALU_DEP_1)
	v_add3_u32 v37, v37, v11, v12
	s_wait_dscnt 0x0
	v_add3_u32 v37, v37, v5, v6
	s_delay_alu instid0(VALU_DEP_1) | instskip(NEXT) | instid1(VALU_DEP_1)
	v_add3_u32 v8, v37, v7, v8
	v_mov_b32_dpp v37, v8 row_shr:1 row_mask:0xf bank_mask:0xf
	s_delay_alu instid0(VALU_DEP_1) | instskip(NEXT) | instid1(VALU_DEP_1)
	v_cndmask_b32_e64 v37, v37, 0, s3
	v_add_nc_u32_e32 v8, v37, v8
	s_delay_alu instid0(VALU_DEP_1) | instskip(NEXT) | instid1(VALU_DEP_1)
	v_mov_b32_dpp v37, v8 row_shr:2 row_mask:0xf bank_mask:0xf
	v_cndmask_b32_e64 v37, 0, v37, s4
	s_delay_alu instid0(VALU_DEP_1) | instskip(NEXT) | instid1(VALU_DEP_1)
	v_add_nc_u32_e32 v8, v8, v37
	v_mov_b32_dpp v37, v8 row_shr:4 row_mask:0xf bank_mask:0xf
	s_delay_alu instid0(VALU_DEP_1) | instskip(NEXT) | instid1(VALU_DEP_1)
	v_cndmask_b32_e64 v37, 0, v37, s5
	v_add_nc_u32_e32 v8, v8, v37
	s_delay_alu instid0(VALU_DEP_1) | instskip(NEXT) | instid1(VALU_DEP_1)
	v_mov_b32_dpp v37, v8 row_shr:8 row_mask:0xf bank_mask:0xf
	v_cndmask_b32_e64 v37, 0, v37, s6
	s_delay_alu instid0(VALU_DEP_1)
	v_add_nc_u32_e32 v8, v8, v37
	s_and_saveexec_b32 s24, s7
; %bb.25:                               ;   in Loop: Header=BB124_15 Depth=1
	ds_store_b32 v30, v8 offset:512
; %bb.26:                               ;   in Loop: Header=BB124_15 Depth=1
	s_wait_alu 0xfffe
	s_or_b32 exec_lo, exec_lo, s24
	ds_bpermute_b32 v8, v28, v8
	; wave barrier
	s_wait_loadcnt_dscnt 0x0
	global_inv scope:SCOPE_SE
	ds_load_b32 v37, v30 offset:512
	v_cmp_lt_u32_e32 vcc_lo, 27, v32
	v_readfirstlane_b32 s24, v0
	s_mov_b32 s25, -1
	s_and_b32 vcc_lo, exec_lo, vcc_lo
	v_cndmask_b32_e64 v8, v8, 0, s19
	s_wait_dscnt 0x0
	s_delay_alu instid0(VALU_DEP_1) | instskip(NEXT) | instid1(VALU_DEP_1)
	v_lshl_add_u32 v8, v37, 16, v8
	v_add_nc_u32_e32 v9, v8, v9
	s_delay_alu instid0(VALU_DEP_1) | instskip(NEXT) | instid1(VALU_DEP_1)
	v_add_nc_u32_e32 v10, v9, v10
	v_add_nc_u32_e32 v11, v10, v11
	s_delay_alu instid0(VALU_DEP_1) | instskip(NEXT) | instid1(VALU_DEP_1)
	v_add_nc_u32_e32 v37, v11, v12
	;; [unrolled: 3-line block ×3, first 2 shown]
	v_add_nc_u32_e32 v40, v39, v7
	v_and_b32_e32 v7, 0xffff, v33
	ds_store_b128 v27, v[8:11]
	ds_store_b128 v27, v[37:40] offset:16
	; wave barrier
	s_wait_loadcnt_dscnt 0x0
	global_inv scope:SCOPE_SE
	ds_load_u16 v5, v34
	ds_load_u16 v6, v35
	v_and_b32_e32 v8, 0xffff, v36
                                        ; implicit-def: $vgpr10
	s_wait_dscnt 0x1
	v_add_nc_u32_e32 v12, v5, v7
	s_wait_dscnt 0x0
	s_delay_alu instid0(VALU_DEP_2)
	v_add_nc_u32_e32 v11, v6, v8
                                        ; implicit-def: $vgpr7_vgpr8
	s_wait_alu 0xfffe
	s_cbranch_vccnz .LBB124_14
; %bb.27:                               ;   in Loop: Header=BB124_15 Depth=1
	v_lshlrev_b32_e32 v5, 2, v12
	s_delay_alu instid0(VALU_DEP_2)
	v_lshlrev_b32_e32 v6, 2, v11
	s_wait_loadcnt 0x0
	; wave barrier
	global_inv scope:SCOPE_SE
	v_add_nc_u32_e32 v32, 4, v32
	ds_store_b32 v5, v31
	ds_store_b32 v6, v29
	v_add_nc_u32_e32 v5, v5, v5
	v_add_nc_u32_e32 v6, v6, v6
	; wave barrier
	s_wait_loadcnt_dscnt 0x0
	global_inv scope:SCOPE_SE
	ds_load_b64 v[9:10], v26
	; wave barrier
	s_wait_loadcnt_dscnt 0x0
	global_inv scope:SCOPE_SE
	ds_store_b64 v5, v[19:20]
	ds_store_b64 v6, v[14:15]
	; wave barrier
	s_wait_loadcnt_dscnt 0x0
	global_inv scope:SCOPE_SE
	ds_load_b128 v[5:8], v25
	s_add_co_i32 s24, s21, -4
	s_mov_b32 s25, 0
	; wave barrier
	s_wait_loadcnt_dscnt 0x0
	global_inv scope:SCOPE_SE
	s_branch .LBB124_14
.LBB124_28:
                                        ; implicit-def: $vgpr10
                                        ; implicit-def: $vgpr9
                                        ; implicit-def: $vgpr7_vgpr8
	s_and_b32 vcc_lo, exec_lo, s21
	s_wait_alu 0xfffe
	s_cbranch_vccnz .LBB124_30
	s_branch .LBB124_46
.LBB124_29:
	v_lshlrev_b32_e32 v5, 2, v12
	v_lshlrev_b32_e32 v6, 2, v11
	s_wait_loadcnt 0x0
	; wave barrier
	global_inv scope:SCOPE_SE
	ds_store_b32 v5, v31
	ds_store_b32 v6, v29
	v_add_nc_u32_e32 v5, v5, v5
	v_add_nc_u32_e32 v6, v6, v6
	; wave barrier
	s_wait_loadcnt_dscnt 0x0
	global_inv scope:SCOPE_SE
	ds_load_b64 v[9:10], v26
	; wave barrier
	s_wait_loadcnt_dscnt 0x0
	global_inv scope:SCOPE_SE
	ds_store_b64 v5, v[19:20]
	ds_store_b64 v6, v[14:15]
	; wave barrier
	s_wait_loadcnt_dscnt 0x0
	global_inv scope:SCOPE_SE
	ds_load_b128 v[5:8], v25
	v_xor_b32_e32 v9, 0x80000000, v9
	v_xor_b32_e32 v10, 0x80000000, v10
	s_branch .LBB124_46
.LBB124_30:
	s_wait_dscnt 0x0
	v_mul_i32_i24_e32 v7, -12, v0
	v_xor_b32_e32 v5, 0x7fffffff, v17
	v_xor_b32_e32 v6, 0x7fffffff, v18
	v_cmp_gt_u32_e64 s8, 0x70, v0
	v_cmp_gt_u32_e64 s9, 0x60, v0
	;; [unrolled: 1-line block ×7, first 2 shown]
	v_mov_b32_e32 v15, 0
	v_add_nc_u32_e32 v17, v25, v7
	v_mov_b32_e32 v19, 0
	s_mov_b32 s21, 32
	s_branch .LBB124_32
.LBB124_31:                             ;   in Loop: Header=BB124_32 Depth=1
	s_wait_alu 0xfffe
	s_and_not1_b32 vcc_lo, exec_lo, s25
	s_mov_b32 s21, s24
	s_wait_alu 0xfffe
	s_cbranch_vccz .LBB124_45
.LBB124_32:                             ; =>This Inner Loop Header: Depth=1
	v_mov_b32_e32 v10, v4
	v_mov_b32_e32 v12, v2
	v_dual_mov_b32 v14, v6 :: v_dual_mov_b32 v9, v3
	v_dual_mov_b32 v18, v5 :: v_dual_mov_b32 v11, v1
	s_and_saveexec_b32 s24, s2
	s_cbranch_execz .LBB124_41
; %bb.33:                               ;   in Loop: Header=BB124_32 Depth=1
	ds_store_b32 v17, v15
	s_and_b32 exec_lo, exec_lo, s8
	s_cbranch_execz .LBB124_41
; %bb.34:                               ;   in Loop: Header=BB124_32 Depth=1
	ds_store_b32 v17, v15 offset:64
	s_and_b32 exec_lo, exec_lo, s9
	s_cbranch_execz .LBB124_41
; %bb.35:                               ;   in Loop: Header=BB124_32 Depth=1
	ds_store_b32 v17, v15 offset:128
	;; [unrolled: 4-line block ×6, first 2 shown]
	s_and_b32 exec_lo, exec_lo, s14
; %bb.40:                               ;   in Loop: Header=BB124_32 Depth=1
	ds_store_b32 v17, v15 offset:448
.LBB124_41:                             ;   in Loop: Header=BB124_32 Depth=1
	s_wait_alu 0xfffe
	s_or_b32 exec_lo, exec_lo, s24
	s_wait_kmcnt 0x0
	s_min_u32 s24, s15, s21
	v_lshrrev_b32_e32 v1, v19, v18
	s_wait_alu 0xfffe
	s_lshl_b32 s24, -1, s24
	s_wait_alu 0xfffe
	s_not_b32 s24, s24
	s_wait_alu 0xfffe
	v_and_b32_e32 v1, s24, v1
	s_delay_alu instid0(VALU_DEP_1) | instskip(SKIP_1) | instid1(VALU_DEP_2)
	v_lshlrev_b32_e32 v2, 4, v1
	v_lshrrev_b32_e32 v1, 2, v1
	v_and_or_b32 v2, 0x70, v2, v0
	s_delay_alu instid0(VALU_DEP_2) | instskip(NEXT) | instid1(VALU_DEP_1)
	v_and_b32_e32 v1, 0x1ffffffe, v1
	v_lshl_add_u32 v29, v2, 2, v1
	v_lshrrev_b32_e32 v1, v19, v14
	ds_load_u16 v20, v29
	v_and_b32_e32 v1, s24, v1
	s_delay_alu instid0(VALU_DEP_1) | instskip(SKIP_1) | instid1(VALU_DEP_2)
	v_lshlrev_b32_e32 v2, 4, v1
	v_lshrrev_b32_e32 v1, 2, v1
	v_and_or_b32 v2, 0x70, v2, v0
	s_delay_alu instid0(VALU_DEP_2) | instskip(NEXT) | instid1(VALU_DEP_1)
	v_and_b32_e32 v1, 0x1ffffffe, v1
	v_lshl_add_u32 v30, v2, 2, v1
	s_wait_dscnt 0x0
	v_add_nc_u16 v3, v20, 1
	ds_store_b16 v29, v3
	ds_load_u16 v31, v30
	s_wait_dscnt 0x0
	v_add_nc_u16 v1, v31, 1
	ds_store_b16 v30, v1
	; wave barrier
	s_wait_loadcnt_dscnt 0x0
	global_inv scope:SCOPE_SE
	ds_load_b128 v[5:8], v27
	ds_load_b128 v[1:4], v27 offset:16
	s_wait_dscnt 0x1
	v_add_nc_u32_e32 v32, v6, v5
	s_delay_alu instid0(VALU_DEP_1) | instskip(SKIP_1) | instid1(VALU_DEP_1)
	v_add3_u32 v32, v32, v7, v8
	s_wait_dscnt 0x0
	v_add3_u32 v32, v32, v1, v2
	s_delay_alu instid0(VALU_DEP_1) | instskip(NEXT) | instid1(VALU_DEP_1)
	v_add3_u32 v4, v32, v3, v4
	v_mov_b32_dpp v32, v4 row_shr:1 row_mask:0xf bank_mask:0xf
	s_delay_alu instid0(VALU_DEP_1) | instskip(NEXT) | instid1(VALU_DEP_1)
	v_cndmask_b32_e64 v32, v32, 0, s3
	v_add_nc_u32_e32 v4, v32, v4
	s_delay_alu instid0(VALU_DEP_1) | instskip(NEXT) | instid1(VALU_DEP_1)
	v_mov_b32_dpp v32, v4 row_shr:2 row_mask:0xf bank_mask:0xf
	v_cndmask_b32_e64 v32, 0, v32, s4
	s_delay_alu instid0(VALU_DEP_1) | instskip(NEXT) | instid1(VALU_DEP_1)
	v_add_nc_u32_e32 v4, v4, v32
	v_mov_b32_dpp v32, v4 row_shr:4 row_mask:0xf bank_mask:0xf
	s_delay_alu instid0(VALU_DEP_1) | instskip(NEXT) | instid1(VALU_DEP_1)
	v_cndmask_b32_e64 v32, 0, v32, s5
	v_add_nc_u32_e32 v4, v4, v32
	s_delay_alu instid0(VALU_DEP_1) | instskip(NEXT) | instid1(VALU_DEP_1)
	v_mov_b32_dpp v32, v4 row_shr:8 row_mask:0xf bank_mask:0xf
	v_cndmask_b32_e64 v32, 0, v32, s6
	s_delay_alu instid0(VALU_DEP_1)
	v_add_nc_u32_e32 v4, v4, v32
	s_and_saveexec_b32 s24, s7
; %bb.42:                               ;   in Loop: Header=BB124_32 Depth=1
	ds_store_b32 v15, v4 offset:512
; %bb.43:                               ;   in Loop: Header=BB124_32 Depth=1
	s_wait_alu 0xfffe
	s_or_b32 exec_lo, exec_lo, s24
	ds_bpermute_b32 v4, v28, v4
	; wave barrier
	s_wait_loadcnt_dscnt 0x0
	global_inv scope:SCOPE_SE
	ds_load_b32 v32, v15 offset:512
	v_cmp_lt_u32_e32 vcc_lo, 27, v19
	v_readfirstlane_b32 s24, v0
	s_mov_b32 s25, -1
	s_and_b32 vcc_lo, exec_lo, vcc_lo
	v_cndmask_b32_e64 v4, v4, 0, s19
	s_wait_dscnt 0x0
	s_delay_alu instid0(VALU_DEP_1) | instskip(NEXT) | instid1(VALU_DEP_1)
	v_lshl_add_u32 v4, v32, 16, v4
	v_add_nc_u32_e32 v5, v4, v5
	s_delay_alu instid0(VALU_DEP_1) | instskip(NEXT) | instid1(VALU_DEP_1)
	v_add_nc_u32_e32 v6, v5, v6
	v_add_nc_u32_e32 v7, v6, v7
	s_delay_alu instid0(VALU_DEP_1) | instskip(NEXT) | instid1(VALU_DEP_1)
	v_add_nc_u32_e32 v32, v7, v8
	;; [unrolled: 3-line block ×3, first 2 shown]
	v_add_nc_u32_e32 v35, v34, v3
	v_and_b32_e32 v3, 0xffff, v20
	ds_store_b128 v27, v[4:7]
	ds_store_b128 v27, v[32:35] offset:16
	; wave barrier
	s_wait_loadcnt_dscnt 0x0
	global_inv scope:SCOPE_SE
	ds_load_u16 v1, v29
	ds_load_u16 v2, v30
	v_and_b32_e32 v4, 0xffff, v31
                                        ; implicit-def: $vgpr6
	s_wait_dscnt 0x1
	v_add_nc_u32_e32 v8, v1, v3
	s_wait_dscnt 0x0
	s_delay_alu instid0(VALU_DEP_2)
	v_add_nc_u32_e32 v7, v2, v4
                                        ; implicit-def: $vgpr3_vgpr4
	s_wait_alu 0xfffe
	s_cbranch_vccnz .LBB124_31
; %bb.44:                               ;   in Loop: Header=BB124_32 Depth=1
	v_lshlrev_b32_e32 v1, 2, v8
	s_delay_alu instid0(VALU_DEP_2)
	v_lshlrev_b32_e32 v2, 2, v7
	s_wait_loadcnt 0x0
	; wave barrier
	global_inv scope:SCOPE_SE
	v_add_nc_u32_e32 v19, 4, v19
	ds_store_b32 v1, v18
	ds_store_b32 v2, v14
	v_add_nc_u32_e32 v1, v1, v1
	v_add_nc_u32_e32 v2, v2, v2
	; wave barrier
	s_wait_loadcnt_dscnt 0x0
	global_inv scope:SCOPE_SE
	ds_load_b64 v[5:6], v26
	; wave barrier
	s_wait_loadcnt_dscnt 0x0
	global_inv scope:SCOPE_SE
	ds_store_b64 v1, v[11:12]
	ds_store_b64 v2, v[9:10]
	; wave barrier
	s_wait_loadcnt_dscnt 0x0
	global_inv scope:SCOPE_SE
	ds_load_b128 v[1:4], v25
	s_add_co_i32 s24, s21, -4
	s_mov_b32 s25, 0
	; wave barrier
	s_wait_loadcnt_dscnt 0x0
	global_inv scope:SCOPE_SE
	s_branch .LBB124_31
.LBB124_45:
	v_lshlrev_b32_e32 v0, 2, v8
	v_lshlrev_b32_e32 v1, 2, v7
	s_wait_loadcnt 0x0
	; wave barrier
	global_inv scope:SCOPE_SE
	ds_store_b32 v0, v18
	ds_store_b32 v1, v14
	; wave barrier
	s_wait_loadcnt_dscnt 0x0
	global_inv scope:SCOPE_SE
	v_add_nc_u32_e32 v2, v0, v0
	v_add_nc_u32_e32 v3, v1, v1
	ds_load_b64 v[0:1], v26
	; wave barrier
	s_wait_loadcnt_dscnt 0x0
	global_inv scope:SCOPE_SE
	ds_store_b64 v2, v[11:12]
	ds_store_b64 v3, v[9:10]
	; wave barrier
	s_wait_loadcnt_dscnt 0x0
	global_inv scope:SCOPE_SE
	ds_load_b128 v[5:8], v25
	v_xor_b32_e32 v9, 0x7fffffff, v0
	v_xor_b32_e32 v10, 0x7fffffff, v1
.LBB124_46:
	; wave barrier
	s_wait_loadcnt_dscnt 0x0
	global_inv scope:SCOPE_SE
	ds_store_2addr_b32 v21, v9, v10 offset1:1
	; wave barrier
	s_wait_loadcnt_dscnt 0x0
	global_inv scope:SCOPE_SE
	ds_load_b32 v2, v22 offset:64
	v_mov_b32_e32 v17, 0
	s_delay_alu instid0(VALU_DEP_1) | instskip(NEXT) | instid1(VALU_DEP_1)
	v_lshlrev_b64_e32 v[0:1], 2, v[16:17]
	v_add_co_u32 v0, vcc_lo, s22, v0
	s_wait_alu 0xfffd
	s_delay_alu instid0(VALU_DEP_2)
	v_add_co_ci_u32_e64 v1, null, s23, v1, vcc_lo
	s_and_saveexec_b32 s2, s0
	s_cbranch_execz .LBB124_48
; %bb.47:
	ds_load_b32 v3, v22
	s_wait_dscnt 0x0
	global_store_b32 v[0:1], v3, off
.LBB124_48:
	s_wait_alu 0xfffe
	s_or_b32 exec_lo, exec_lo, s2
	s_and_saveexec_b32 s2, s1
	s_cbranch_execz .LBB124_50
; %bb.49:
	s_lshl_b32 s4, s18, 4
	s_mov_b32 s5, 0
	s_wait_alu 0xfffe
	s_lshl_b64 s[4:5], s[4:5], 2
	s_wait_alu 0xfffe
	v_add_co_u32 v0, vcc_lo, v0, s4
	s_wait_alu 0xfffd
	v_add_co_ci_u32_e64 v1, null, s5, v1, vcc_lo
	s_wait_dscnt 0x0
	global_store_b32 v[0:1], v2, off
.LBB124_50:
	s_wait_alu 0xfffe
	s_or_b32 exec_lo, exec_lo, s2
	s_wait_storecnt 0x0
	; wave barrier
	s_wait_loadcnt_dscnt 0x0
	global_inv scope:SCOPE_SE
	ds_store_2addr_b64 v24, v[5:6], v[7:8] offset1:1
	; wave barrier
	s_wait_loadcnt_dscnt 0x0
	global_inv scope:SCOPE_SE
	ds_load_b64 v[0:1], v21 offset:128
	v_mov_b32_e32 v14, 0
	s_delay_alu instid0(VALU_DEP_1) | instskip(NEXT) | instid1(VALU_DEP_1)
	v_lshlrev_b64_e32 v[2:3], 3, v[13:14]
	v_add_co_u32 v2, vcc_lo, s16, v2
	s_wait_alu 0xfffd
	s_delay_alu instid0(VALU_DEP_2)
	v_add_co_ci_u32_e64 v3, null, s17, v3, vcc_lo
	s_and_saveexec_b32 s2, s0
	s_cbranch_execz .LBB124_52
; %bb.51:
	ds_load_b64 v[4:5], v23
	s_wait_dscnt 0x0
	global_store_b64 v[2:3], v[4:5], off
.LBB124_52:
	s_wait_alu 0xfffe
	s_or_b32 exec_lo, exec_lo, s2
	s_and_saveexec_b32 s0, s1
	s_cbranch_execz .LBB124_54
; %bb.53:
	s_lshl_b32 s0, s20, 4
	s_mov_b32 s1, 0
	s_delay_alu instid0(SALU_CYCLE_1) | instskip(NEXT) | instid1(SALU_CYCLE_1)
	s_lshl_b64 s[0:1], s[0:1], 3
	v_add_co_u32 v2, vcc_lo, v2, s0
	s_wait_alu 0xfffd
	v_add_co_ci_u32_e64 v3, null, s1, v3, vcc_lo
	s_wait_dscnt 0x0
	global_store_b64 v[2:3], v[0:1], off
.LBB124_54:
	s_endpgm
	.section	.rodata,"a",@progbits
	.p2align	6, 0x0
	.amdhsa_kernel _ZN2at6native18radixSortKVInPlaceILin2ELin1ELi16ELi2EiljEEvNS_4cuda6detail10TensorInfoIT3_T5_EES6_S6_S6_NS4_IT4_S6_EES6_b
		.amdhsa_group_segment_fixed_size 528
		.amdhsa_private_segment_fixed_size 0
		.amdhsa_kernarg_size 712
		.amdhsa_user_sgpr_count 2
		.amdhsa_user_sgpr_dispatch_ptr 0
		.amdhsa_user_sgpr_queue_ptr 0
		.amdhsa_user_sgpr_kernarg_segment_ptr 1
		.amdhsa_user_sgpr_dispatch_id 0
		.amdhsa_user_sgpr_private_segment_size 0
		.amdhsa_wavefront_size32 1
		.amdhsa_uses_dynamic_stack 0
		.amdhsa_enable_private_segment 0
		.amdhsa_system_sgpr_workgroup_id_x 1
		.amdhsa_system_sgpr_workgroup_id_y 1
		.amdhsa_system_sgpr_workgroup_id_z 1
		.amdhsa_system_sgpr_workgroup_info 0
		.amdhsa_system_vgpr_workitem_id 0
		.amdhsa_next_free_vgpr 41
		.amdhsa_next_free_sgpr 26
		.amdhsa_reserve_vcc 1
		.amdhsa_float_round_mode_32 0
		.amdhsa_float_round_mode_16_64 0
		.amdhsa_float_denorm_mode_32 3
		.amdhsa_float_denorm_mode_16_64 3
		.amdhsa_fp16_overflow 0
		.amdhsa_workgroup_processor_mode 1
		.amdhsa_memory_ordered 1
		.amdhsa_forward_progress 1
		.amdhsa_inst_pref_size 31
		.amdhsa_round_robin_scheduling 0
		.amdhsa_exception_fp_ieee_invalid_op 0
		.amdhsa_exception_fp_denorm_src 0
		.amdhsa_exception_fp_ieee_div_zero 0
		.amdhsa_exception_fp_ieee_overflow 0
		.amdhsa_exception_fp_ieee_underflow 0
		.amdhsa_exception_fp_ieee_inexact 0
		.amdhsa_exception_int_div_zero 0
	.end_amdhsa_kernel
	.section	.text._ZN2at6native18radixSortKVInPlaceILin2ELin1ELi16ELi2EiljEEvNS_4cuda6detail10TensorInfoIT3_T5_EES6_S6_S6_NS4_IT4_S6_EES6_b,"axG",@progbits,_ZN2at6native18radixSortKVInPlaceILin2ELin1ELi16ELi2EiljEEvNS_4cuda6detail10TensorInfoIT3_T5_EES6_S6_S6_NS4_IT4_S6_EES6_b,comdat
.Lfunc_end124:
	.size	_ZN2at6native18radixSortKVInPlaceILin2ELin1ELi16ELi2EiljEEvNS_4cuda6detail10TensorInfoIT3_T5_EES6_S6_S6_NS4_IT4_S6_EES6_b, .Lfunc_end124-_ZN2at6native18radixSortKVInPlaceILin2ELin1ELi16ELi2EiljEEvNS_4cuda6detail10TensorInfoIT3_T5_EES6_S6_S6_NS4_IT4_S6_EES6_b
                                        ; -- End function
	.set _ZN2at6native18radixSortKVInPlaceILin2ELin1ELi16ELi2EiljEEvNS_4cuda6detail10TensorInfoIT3_T5_EES6_S6_S6_NS4_IT4_S6_EES6_b.num_vgpr, 41
	.set _ZN2at6native18radixSortKVInPlaceILin2ELin1ELi16ELi2EiljEEvNS_4cuda6detail10TensorInfoIT3_T5_EES6_S6_S6_NS4_IT4_S6_EES6_b.num_agpr, 0
	.set _ZN2at6native18radixSortKVInPlaceILin2ELin1ELi16ELi2EiljEEvNS_4cuda6detail10TensorInfoIT3_T5_EES6_S6_S6_NS4_IT4_S6_EES6_b.numbered_sgpr, 26
	.set _ZN2at6native18radixSortKVInPlaceILin2ELin1ELi16ELi2EiljEEvNS_4cuda6detail10TensorInfoIT3_T5_EES6_S6_S6_NS4_IT4_S6_EES6_b.num_named_barrier, 0
	.set _ZN2at6native18radixSortKVInPlaceILin2ELin1ELi16ELi2EiljEEvNS_4cuda6detail10TensorInfoIT3_T5_EES6_S6_S6_NS4_IT4_S6_EES6_b.private_seg_size, 0
	.set _ZN2at6native18radixSortKVInPlaceILin2ELin1ELi16ELi2EiljEEvNS_4cuda6detail10TensorInfoIT3_T5_EES6_S6_S6_NS4_IT4_S6_EES6_b.uses_vcc, 1
	.set _ZN2at6native18radixSortKVInPlaceILin2ELin1ELi16ELi2EiljEEvNS_4cuda6detail10TensorInfoIT3_T5_EES6_S6_S6_NS4_IT4_S6_EES6_b.uses_flat_scratch, 0
	.set _ZN2at6native18radixSortKVInPlaceILin2ELin1ELi16ELi2EiljEEvNS_4cuda6detail10TensorInfoIT3_T5_EES6_S6_S6_NS4_IT4_S6_EES6_b.has_dyn_sized_stack, 0
	.set _ZN2at6native18radixSortKVInPlaceILin2ELin1ELi16ELi2EiljEEvNS_4cuda6detail10TensorInfoIT3_T5_EES6_S6_S6_NS4_IT4_S6_EES6_b.has_recursion, 0
	.set _ZN2at6native18radixSortKVInPlaceILin2ELin1ELi16ELi2EiljEEvNS_4cuda6detail10TensorInfoIT3_T5_EES6_S6_S6_NS4_IT4_S6_EES6_b.has_indirect_call, 0
	.section	.AMDGPU.csdata,"",@progbits
; Kernel info:
; codeLenInByte = 3884
; TotalNumSgprs: 28
; NumVgprs: 41
; ScratchSize: 0
; MemoryBound: 0
; FloatMode: 240
; IeeeMode: 1
; LDSByteSize: 528 bytes/workgroup (compile time only)
; SGPRBlocks: 0
; VGPRBlocks: 5
; NumSGPRsForWavesPerEU: 28
; NumVGPRsForWavesPerEU: 41
; Occupancy: 16
; WaveLimiterHint : 1
; COMPUTE_PGM_RSRC2:SCRATCH_EN: 0
; COMPUTE_PGM_RSRC2:USER_SGPR: 2
; COMPUTE_PGM_RSRC2:TRAP_HANDLER: 0
; COMPUTE_PGM_RSRC2:TGID_X_EN: 1
; COMPUTE_PGM_RSRC2:TGID_Y_EN: 1
; COMPUTE_PGM_RSRC2:TGID_Z_EN: 1
; COMPUTE_PGM_RSRC2:TIDIG_COMP_CNT: 0
	.section	.text._ZN2at6native18radixSortKVInPlaceILi2ELin1ELi512ELi8EiljEEvNS_4cuda6detail10TensorInfoIT3_T5_EES6_S6_S6_NS4_IT4_S6_EES6_b,"axG",@progbits,_ZN2at6native18radixSortKVInPlaceILi2ELin1ELi512ELi8EiljEEvNS_4cuda6detail10TensorInfoIT3_T5_EES6_S6_S6_NS4_IT4_S6_EES6_b,comdat
	.protected	_ZN2at6native18radixSortKVInPlaceILi2ELin1ELi512ELi8EiljEEvNS_4cuda6detail10TensorInfoIT3_T5_EES6_S6_S6_NS4_IT4_S6_EES6_b ; -- Begin function _ZN2at6native18radixSortKVInPlaceILi2ELin1ELi512ELi8EiljEEvNS_4cuda6detail10TensorInfoIT3_T5_EES6_S6_S6_NS4_IT4_S6_EES6_b
	.globl	_ZN2at6native18radixSortKVInPlaceILi2ELin1ELi512ELi8EiljEEvNS_4cuda6detail10TensorInfoIT3_T5_EES6_S6_S6_NS4_IT4_S6_EES6_b
	.p2align	8
	.type	_ZN2at6native18radixSortKVInPlaceILi2ELin1ELi512ELi8EiljEEvNS_4cuda6detail10TensorInfoIT3_T5_EES6_S6_S6_NS4_IT4_S6_EES6_b,@function
_ZN2at6native18radixSortKVInPlaceILi2ELin1ELi512ELi8EiljEEvNS_4cuda6detail10TensorInfoIT3_T5_EES6_S6_S6_NS4_IT4_S6_EES6_b: ; @_ZN2at6native18radixSortKVInPlaceILi2ELin1ELi512ELi8EiljEEvNS_4cuda6detail10TensorInfoIT3_T5_EES6_S6_S6_NS4_IT4_S6_EES6_b
; %bb.0:
	s_clause 0x1
	s_load_b64 s[2:3], s[0:1], 0x1c8
	s_load_b96 s[24:26], s[0:1], 0xd8
	s_lshr_b32 s4, ttmp7, 16
	s_wait_kmcnt 0x0
	s_mul_i32 s3, s3, s4
	s_and_b32 s4, ttmp7, 0xffff
	s_delay_alu instid0(SALU_CYCLE_1) | instskip(NEXT) | instid1(SALU_CYCLE_1)
	s_add_co_i32 s3, s3, s4
	s_mul_i32 s2, s3, s2
	s_delay_alu instid0(SALU_CYCLE_1) | instskip(NEXT) | instid1(SALU_CYCLE_1)
	s_add_co_i32 s2, s2, ttmp9
	s_cmp_ge_u32 s2, s24
	s_cbranch_scc1 .LBB125_110
; %bb.1:
	s_clause 0x2
	s_load_b32 s10, s[0:1], 0xc
	s_load_b64 s[4:5], s[0:1], 0x6c
	s_load_b32 s8, s[0:1], 0x1b8
	s_add_nc_u64 s[14:15], s[0:1], 0xe8
	s_mov_b32 s18, s2
	s_wait_kmcnt 0x0
	s_cvt_f32_u32 s3, s10
	s_delay_alu instid0(SALU_CYCLE_3) | instskip(NEXT) | instid1(TRANS32_DEP_1)
	v_rcp_iflag_f32_e32 v1, s3
	v_readfirstlane_b32 s3, v1
	s_mul_f32 s3, s3, 0x4f7ffffe
	s_wait_alu 0xfffe
	s_delay_alu instid0(SALU_CYCLE_2) | instskip(SKIP_2) | instid1(SALU_CYCLE_1)
	s_cvt_u32_f32 s6, s3
	s_sub_co_i32 s3, 0, s10
	s_wait_alu 0xfffe
	s_mul_i32 s7, s3, s6
	s_mov_b32 s3, 0
	s_mul_hi_u32 s9, s6, s7
	s_wait_alu 0xfffe
	s_mov_b32 s7, s3
	s_add_co_i32 s6, s6, s9
	s_cmp_lt_i32 s8, 2
	s_mov_b32 s13, s3
	s_cbranch_scc1 .LBB125_4
; %bb.2:
	s_add_co_i32 s12, s8, -1
	s_mov_b32 s13, 0
	s_add_co_i32 s11, s8, 1
	s_lshl_b64 s[16:17], s[12:13], 2
	s_mov_b32 s18, s2
	s_add_nc_u64 s[16:17], s[14:15], s[16:17]
	s_delay_alu instid0(SALU_CYCLE_1)
	s_add_nc_u64 s[8:9], s[16:17], 8
.LBB125_3:                              ; =>This Inner Loop Header: Depth=1
	s_clause 0x1
	s_load_b32 s12, s[8:9], 0x0
	s_load_b32 s16, s[8:9], 0x64
	s_mov_b32 s20, s18
	s_add_nc_u64 s[8:9], s[8:9], -4
	s_wait_kmcnt 0x0
	s_cvt_f32_u32 s17, s12
	s_sub_co_i32 s19, 0, s12
	s_wait_alu 0xfffe
	s_delay_alu instid0(SALU_CYCLE_1) | instskip(NEXT) | instid1(TRANS32_DEP_1)
	v_rcp_iflag_f32_e32 v1, s17
	v_readfirstlane_b32 s17, v1
	s_mul_f32 s17, s17, 0x4f7ffffe
	s_wait_alu 0xfffe
	s_delay_alu instid0(SALU_CYCLE_2) | instskip(SKIP_1) | instid1(SALU_CYCLE_2)
	s_cvt_u32_f32 s17, s17
	s_wait_alu 0xfffe
	s_mul_i32 s19, s19, s17
	s_delay_alu instid0(SALU_CYCLE_1) | instskip(NEXT) | instid1(SALU_CYCLE_1)
	s_mul_hi_u32 s19, s17, s19
	s_add_co_i32 s17, s17, s19
	s_wait_alu 0xfffe
	s_mul_hi_u32 s17, s18, s17
	s_wait_alu 0xfffe
	s_mul_i32 s18, s17, s12
	s_add_co_i32 s19, s17, 1
	s_sub_co_i32 s18, s20, s18
	s_delay_alu instid0(SALU_CYCLE_1)
	s_sub_co_i32 s21, s18, s12
	s_cmp_ge_u32 s18, s12
	s_cselect_b32 s17, s19, s17
	s_cselect_b32 s18, s21, s18
	s_wait_alu 0xfffe
	s_add_co_i32 s19, s17, 1
	s_cmp_ge_u32 s18, s12
	s_cselect_b32 s18, s19, s17
	s_add_co_i32 s11, s11, -1
	s_mul_i32 s12, s18, s12
	s_delay_alu instid0(SALU_CYCLE_1) | instskip(NEXT) | instid1(SALU_CYCLE_1)
	s_sub_co_i32 s12, s20, s12
	s_mul_i32 s12, s16, s12
	s_delay_alu instid0(SALU_CYCLE_1)
	s_add_co_i32 s13, s12, s13
	s_cmp_gt_u32 s11, 2
	s_cbranch_scc1 .LBB125_3
.LBB125_4:
	s_mul_u64 s[6:7], s[2:3], s[6:7]
	s_clause 0x1
	s_load_b64 s[16:17], s[0:1], 0x0
	s_load_b64 s[28:29], s[0:1], 0x1c0
	s_mul_i32 s3, s7, s10
	s_add_nc_u64 s[34:35], s[0:1], 0x1c8
	s_wait_alu 0xfffe
	s_sub_co_i32 s0, s2, s3
	s_add_co_i32 s1, s7, 1
	s_sub_co_i32 s3, s0, s10
	s_cmp_ge_u32 s0, s10
	s_cselect_b32 s1, s1, s7
	s_wait_alu 0xfffe
	s_cselect_b32 s0, s3, s0
	s_add_co_i32 s3, s1, 1
	s_cmp_ge_u32 s0, s10
	s_wait_alu 0xfffe
	s_cselect_b32 s0, s3, s1
	s_mov_b32 s3, 0
	s_mul_i32 s1, s0, s10
	s_mul_i32 s0, s0, s4
	s_sub_co_i32 s1, s2, s1
	s_delay_alu instid0(SALU_CYCLE_1) | instskip(NEXT) | instid1(SALU_CYCLE_1)
	s_mul_i32 s1, s1, s5
	s_add_co_i32 s2, s0, s1
	s_wait_kmcnt 0x0
	s_bitcmp1_b32 s29, 0
	s_brev_b32 s0, 1
	s_cselect_b32 s12, -1, 0
	s_delay_alu instid0(SALU_CYCLE_1)
	s_and_b32 s1, s12, exec_lo
	s_cselect_b32 s4, s0, 0x7fffffff
	s_wait_alu 0xfffe
	s_lshl_b64 s[2:3], s[2:3], 2
	s_mov_b32 s5, s4
	s_mov_b32 s6, s4
	;; [unrolled: 1-line block ×7, first 2 shown]
	v_dual_mov_b32 v1, s4 :: v_dual_and_b32 v42, 0x3ff, v0
	v_dual_mov_b32 v2, s5 :: v_dual_mov_b32 v3, s6
	v_dual_mov_b32 v4, s7 :: v_dual_mov_b32 v5, s8
	s_delay_alu instid0(VALU_DEP_3)
	v_mul_lo_u32 v40, s26, v42
	v_cmp_gt_u32_e64 s0, s25, v42
	v_dual_mov_b32 v6, s9 :: v_dual_mov_b32 v7, s10
	v_dual_mov_b32 v8, s11 :: v_dual_mov_b32 v9, s4
	s_wait_alu 0xfffe
	s_add_nc_u64 s[30:31], s[16:17], s[2:3]
	s_and_saveexec_b32 s1, s0
	s_cbranch_execz .LBB125_6
; %bb.5:
	v_mov_b32_e32 v41, 0
	s_delay_alu instid0(VALU_DEP_1) | instskip(NEXT) | instid1(VALU_DEP_1)
	v_lshlrev_b64_e32 v[1:2], 2, v[40:41]
	v_add_co_u32 v1, vcc_lo, s30, v1
	s_delay_alu instid0(VALU_DEP_1)
	v_add_co_ci_u32_e64 v2, null, s31, v2, vcc_lo
	global_load_b32 v9, v[1:2], off
	v_dual_mov_b32 v1, s4 :: v_dual_mov_b32 v4, s7
	v_dual_mov_b32 v2, s5 :: v_dual_mov_b32 v3, s6
	;; [unrolled: 1-line block ×4, first 2 shown]
.LBB125_6:
	s_or_b32 exec_lo, exec_lo, s1
	v_add_nc_u32_e32 v15, 0x200, v42
	s_delay_alu instid0(VALU_DEP_1)
	v_cmp_gt_u32_e64 s1, s25, v15
	s_and_saveexec_b32 s2, s1
	s_cbranch_execz .LBB125_8
; %bb.7:
	v_mul_lo_u32 v1, s26, v15
	v_mov_b32_e32 v2, 0
	s_delay_alu instid0(VALU_DEP_1) | instskip(NEXT) | instid1(VALU_DEP_1)
	v_lshlrev_b64_e32 v[1:2], 2, v[1:2]
	v_add_co_u32 v1, vcc_lo, s30, v1
	s_wait_alu 0xfffd
	s_delay_alu instid0(VALU_DEP_2)
	v_add_co_ci_u32_e64 v2, null, s31, v2, vcc_lo
	global_load_b32 v2, v[1:2], off
.LBB125_8:
	s_wait_alu 0xfffe
	s_or_b32 exec_lo, exec_lo, s2
	v_or_b32_e32 v16, 0x400, v42
	s_delay_alu instid0(VALU_DEP_1)
	v_cmp_gt_u32_e64 s2, s25, v16
	s_and_saveexec_b32 s3, s2
	s_cbranch_execz .LBB125_10
; %bb.9:
	v_mul_lo_u32 v10, s26, v16
	v_mov_b32_e32 v11, 0
	s_delay_alu instid0(VALU_DEP_1) | instskip(NEXT) | instid1(VALU_DEP_1)
	v_lshlrev_b64_e32 v[10:11], 2, v[10:11]
	v_add_co_u32 v10, vcc_lo, s30, v10
	s_wait_alu 0xfffd
	s_delay_alu instid0(VALU_DEP_2)
	v_add_co_ci_u32_e64 v11, null, s31, v11, vcc_lo
	global_load_b32 v3, v[10:11], off
.LBB125_10:
	s_wait_alu 0xfffe
	s_or_b32 exec_lo, exec_lo, s3
	v_add_nc_u32_e32 v19, 0x600, v42
	s_delay_alu instid0(VALU_DEP_1)
	v_cmp_gt_u32_e64 s3, s25, v19
	s_and_saveexec_b32 s4, s3
	s_cbranch_execz .LBB125_12
; %bb.11:
	v_mul_lo_u32 v10, s26, v19
	v_mov_b32_e32 v11, 0
	s_delay_alu instid0(VALU_DEP_1) | instskip(NEXT) | instid1(VALU_DEP_1)
	v_lshlrev_b64_e32 v[10:11], 2, v[10:11]
	v_add_co_u32 v10, vcc_lo, s30, v10
	s_wait_alu 0xfffd
	s_delay_alu instid0(VALU_DEP_2)
	v_add_co_ci_u32_e64 v11, null, s31, v11, vcc_lo
	global_load_b32 v4, v[10:11], off
.LBB125_12:
	s_wait_alu 0xfffe
	s_or_b32 exec_lo, exec_lo, s4
	v_or_b32_e32 v20, 0x800, v42
	s_delay_alu instid0(VALU_DEP_1)
	v_cmp_gt_u32_e64 s4, s25, v20
	s_and_saveexec_b32 s5, s4
	s_cbranch_execz .LBB125_14
; %bb.13:
	v_mul_lo_u32 v10, s26, v20
	v_mov_b32_e32 v11, 0
	s_delay_alu instid0(VALU_DEP_1) | instskip(NEXT) | instid1(VALU_DEP_1)
	v_lshlrev_b64_e32 v[10:11], 2, v[10:11]
	v_add_co_u32 v10, vcc_lo, s30, v10
	s_wait_alu 0xfffd
	s_delay_alu instid0(VALU_DEP_2)
	v_add_co_ci_u32_e64 v11, null, s31, v11, vcc_lo
	global_load_b32 v5, v[10:11], off
.LBB125_14:
	s_wait_alu 0xfffe
	;; [unrolled: 36-line block ×3, first 2 shown]
	s_or_b32 exec_lo, exec_lo, s7
	s_clause 0x1
	s_load_b32 s10, s[14:15], 0x6c
	s_load_b64 s[8:9], s[14:15], 0x0
	v_add_nc_u32_e32 v23, 0xe00, v42
	s_delay_alu instid0(VALU_DEP_1)
	v_cmp_gt_u32_e64 s7, s25, v23
	s_and_saveexec_b32 s11, s7
	s_cbranch_execz .LBB125_20
; %bb.19:
	v_mul_lo_u32 v10, s26, v23
	v_mov_b32_e32 v11, 0
	s_delay_alu instid0(VALU_DEP_1) | instskip(NEXT) | instid1(VALU_DEP_1)
	v_lshlrev_b64_e32 v[10:11], 2, v[10:11]
	v_add_co_u32 v10, vcc_lo, s30, v10
	s_wait_alu 0xfffd
	s_delay_alu instid0(VALU_DEP_2)
	v_add_co_ci_u32_e64 v11, null, s31, v11, vcc_lo
	global_load_b32 v8, v[10:11], off
.LBB125_20:
	s_wait_alu 0xfffe
	s_or_b32 exec_lo, exec_lo, s11
	v_lshrrev_b32_e32 v17, 5, v42
	v_lshrrev_b32_e32 v1, 5, v15
	;; [unrolled: 1-line block ×3, first 2 shown]
	s_wait_kmcnt 0x0
	s_mul_i32 s10, s10, s18
	v_mul_lo_u32 v37, s28, v42
	v_dual_mov_b32 v38, 0 :: v_dual_add_nc_u32 v27, v17, v42
	v_add_nc_u32_e32 v26, v1, v42
	v_lshrrev_b32_e32 v1, 5, v19
	v_dual_mov_b32 v13, 0 :: v_dual_add_nc_u32 v24, v10, v42
	s_delay_alu instid0(VALU_DEP_4) | instskip(NEXT) | instid1(VALU_DEP_3)
	v_dual_mov_b32 v10, v38 :: v_dual_lshlrev_b32 v73, 2, v27
	v_add_nc_u32_e32 v25, v1, v42
	v_lshrrev_b32_e32 v1, 5, v20
	v_mov_b32_e32 v39, v38
	v_lshlrev_b32_e32 v41, 2, v26
	v_lshlrev_b32_e32 v74, 2, v24
	;; [unrolled: 1-line block ×3, first 2 shown]
	v_add_nc_u32_e32 v28, v1, v42
	v_lshrrev_b32_e32 v1, 5, v21
	s_wait_loadcnt 0x0
	ds_store_b32 v73, v9
	ds_store_b32 v41, v2 offset:2048
	ds_store_b32 v74, v3 offset:4096
	v_lshrrev_b32_e32 v2, 5, v22
	v_lshrrev_b32_e32 v3, 5, v23
	v_lshlrev_b32_e32 v75, 2, v25
	v_add_nc_u32_e32 v32, v1, v42
	v_lshrrev_b32_e32 v1, 2, v42
	v_add_nc_u32_e32 v30, v2, v42
	v_add_nc_u32_e32 v29, v3, v42
	ds_store_b32 v75, v4 offset:6144
	v_mov_b32_e32 v3, v38
	v_add_nc_u32_e32 v31, v1, v18
	v_dual_mov_b32 v1, v38 :: v_dual_lshlrev_b32 v76, 2, v28
	v_dual_mov_b32 v11, v38 :: v_dual_lshlrev_b32 v78, 2, v30
	s_delay_alu instid0(VALU_DEP_3)
	v_lshlrev_b32_e32 v80, 2, v31
	v_dual_mov_b32 v12, v38 :: v_dual_lshlrev_b32 v79, 2, v29
	ds_store_b32 v76, v5 offset:8192
	v_mov_b32_e32 v5, v38
	v_dual_mov_b32 v14, 0 :: v_dual_lshlrev_b32 v77, 2, v32
	ds_store_b32 v77, v6 offset:10240
	ds_store_b32 v78, v7 offset:12288
	ds_store_b32 v79, v8 offset:14336
	s_wait_dscnt 0x0
	s_barrier_signal -1
	s_barrier_wait -1
	global_inv scope:SCOPE_SE
	ds_load_2addr_b32 v[49:50], v80 offset1:1
	ds_load_2addr_b32 v[47:48], v80 offset0:2 offset1:3
	ds_load_2addr_b32 v[45:46], v80 offset0:4 offset1:5
	ds_load_2addr_b32 v[43:44], v80 offset0:6 offset1:7
	s_mov_b32 s11, 0
	s_wait_alu 0xfffe
	s_add_co_i32 s10, s10, s13
	v_dual_mov_b32 v9, v38 :: v_dual_mov_b32 v2, v38
	v_mov_b32_e32 v4, v38
	v_dual_mov_b32 v6, v38 :: v_dual_mov_b32 v7, v38
	v_mov_b32_e32 v8, v38
	s_wait_alu 0xfffe
	s_lshl_b64 s[10:11], s[10:11], 3
	s_wait_loadcnt_dscnt 0x0
	s_wait_alu 0xfffe
	s_add_nc_u64 s[24:25], s[8:9], s[10:11]
	s_barrier_signal -1
	s_barrier_wait -1
	global_inv scope:SCOPE_SE
	s_and_saveexec_b32 s8, s0
	s_cbranch_execnz .LBB125_56
; %bb.21:
	s_wait_alu 0xfffe
	s_or_b32 exec_lo, exec_lo, s8
	s_and_saveexec_b32 s8, s1
	s_cbranch_execnz .LBB125_57
.LBB125_22:
	s_wait_alu 0xfffe
	s_or_b32 exec_lo, exec_lo, s8
	s_and_saveexec_b32 s8, s2
	s_cbranch_execnz .LBB125_58
.LBB125_23:
	s_wait_alu 0xfffe
	s_or_b32 exec_lo, exec_lo, s8
	s_and_saveexec_b32 s8, s3
	s_cbranch_execnz .LBB125_59
.LBB125_24:
	s_wait_alu 0xfffe
	s_or_b32 exec_lo, exec_lo, s8
	s_and_saveexec_b32 s8, s4
	s_cbranch_execnz .LBB125_60
.LBB125_25:
	s_wait_alu 0xfffe
	s_or_b32 exec_lo, exec_lo, s8
	s_and_saveexec_b32 s8, s5
	s_cbranch_execnz .LBB125_61
.LBB125_26:
	s_wait_alu 0xfffe
	s_or_b32 exec_lo, exec_lo, s8
	s_and_saveexec_b32 s8, s6
	s_cbranch_execnz .LBB125_62
.LBB125_27:
	s_wait_alu 0xfffe
	s_or_b32 exec_lo, exec_lo, s8
	s_xor_b32 s8, s12, -1
	s_and_saveexec_b32 s9, s7
	s_cbranch_execz .LBB125_29
.LBB125_28:
	v_mul_lo_u32 v11, s28, v23
	v_mov_b32_e32 v12, 0
	s_delay_alu instid0(VALU_DEP_1) | instskip(NEXT) | instid1(VALU_DEP_1)
	v_lshlrev_b64_e32 v[11:12], 3, v[11:12]
	v_add_co_u32 v11, vcc_lo, s24, v11
	s_wait_alu 0xfffd
	s_delay_alu instid0(VALU_DEP_2)
	v_add_co_ci_u32_e64 v12, null, s25, v12, vcc_lo
	global_load_b64 v[11:12], v[11:12], off
.LBB125_29:
	s_wait_alu 0xfffe
	s_or_b32 exec_lo, exec_lo, s9
	v_lshlrev_b32_e32 v81, 3, v27
	v_lshlrev_b32_e32 v84, 3, v25
	;; [unrolled: 1-line block ×9, first 2 shown]
	s_wait_loadcnt 0x0
	ds_store_b64 v81, v[13:14]
	ds_store_b64 v82, v[38:39] offset:4096
	ds_store_b64 v83, v[9:10] offset:8192
	;; [unrolled: 1-line block ×7, first 2 shown]
	s_wait_dscnt 0x0
	s_barrier_signal -1
	s_barrier_wait -1
	global_inv scope:SCOPE_SE
	ds_load_2addr_b64 v[5:8], v89 offset1:1
	ds_load_2addr_b64 v[1:4], v89 offset0:2 offset1:3
	v_mbcnt_lo_u32_b32 v93, -1, 0
	v_and_b32_e32 v20, 0x1f00, v18
	ds_load_2addr_b64 v[13:16], v89 offset0:4 offset1:5
	ds_load_2addr_b64 v[9:12], v89 offset0:6 offset1:7
	v_and_b32_e32 v19, 0x3e0, v42
	s_and_b32 vcc_lo, exec_lo, s8
	v_bfe_u32 v97, v0, 10, 10
	v_or_b32_e32 v20, v93, v20
	v_bfe_u32 v98, v0, 20, 10
	v_or_b32_e32 v21, v93, v19
	v_lshlrev_b32_e32 v90, 2, v18
	v_and_b32_e32 v0, 15, v93
	v_lshlrev_b32_e32 v91, 2, v20
	v_and_b32_e32 v95, 16, v93
	v_lshlrev_b32_e32 v100, 3, v21
	v_lshlrev_b32_e32 v101, 5, v21
	v_min_u32_e32 v96, 0x1e0, v19
	v_lshl_add_u32 v99, v20, 2, v91
	v_cmp_gt_u32_e64 s8, 16, v42
	v_cmp_lt_u32_e64 s9, 31, v42
	v_cmp_eq_u32_e64 s10, 0, v42
	v_lshlrev_b32_e32 v92, 2, v17
	v_mul_i32_i24_e32 v94, 0xffffffe4, v42
	s_mov_b32 s20, 0
	s_mov_b32 s11, -1
	s_wait_loadcnt_dscnt 0x0
	s_barrier_signal -1
	s_barrier_wait -1
	global_inv scope:SCOPE_SE
	s_wait_alu 0xfffe
	s_cbranch_vccz .LBB125_63
; %bb.30:
	v_xor_b32_e32 v17, 0x80000000, v49
	v_xor_b32_e32 v18, 0x80000000, v50
	;; [unrolled: 1-line block ×8, first 2 shown]
	ds_store_b128 v101, v[17:20]
	ds_store_b128 v101, v[21:24] offset:16
	v_lshlrev_b32_e32 v17, 3, v100
	; wave barrier
	ds_load_2addr_b32 v[65:66], v91 offset1:32
	ds_load_2addr_b32 v[67:68], v91 offset0:64 offset1:96
	ds_load_2addr_b32 v[69:70], v91 offset0:128 offset1:160
	;; [unrolled: 1-line block ×3, first 2 shown]
	s_wait_loadcnt_dscnt 0x0
	s_barrier_signal -1
	s_barrier_wait -1
	global_inv scope:SCOPE_SE
	ds_store_b128 v17, v[5:8]
	ds_store_b128 v17, v[1:4] offset:16
	ds_store_b128 v17, v[13:16] offset:32
	;; [unrolled: 1-line block ×3, first 2 shown]
	; wave barrier
	ds_load_2addr_b64 v[21:24], v99 offset1:32
	ds_load_2addr_b64 v[25:28], v99 offset0:64 offset1:96
	ds_load_2addr_b64 v[29:32], v99 offset0:128 offset1:160
	ds_load_2addr_b64 v[33:36], v99 offset0:192 offset1:224
	s_wait_loadcnt_dscnt 0x0
	s_barrier_signal -1
	s_barrier_wait -1
	global_inv scope:SCOPE_SE
	s_load_b32 s11, s[34:35], 0xc
	s_getpc_b64 s[12:13]
	s_sext_i32_i16 s13, s13
	s_add_co_u32 s12, s12, _ZN7rocprim17ROCPRIM_400000_NS16block_radix_sortIiLj512ELj8ElLj1ELj1ELj0ELNS0_26block_radix_rank_algorithmE1ELNS0_18block_padding_hintE2ELNS0_4arch9wavefront6targetE0EE19radix_bits_per_passE@rel32@lo+8
	s_add_co_ci_u32 s13, s13, _ZN7rocprim17ROCPRIM_400000_NS16block_radix_sortIiLj512ELj8ElLj1ELj1ELj0ELNS0_26block_radix_rank_algorithmE1ELNS0_18block_padding_hintE2ELNS0_4arch9wavefront6targetE0EE19radix_bits_per_passE@rel32@hi+16
	v_or_b32_e32 v19, 31, v96
	s_load_b32 s19, s[12:13], 0x0
	s_mov_b32 s21, s20
	s_mov_b32 s22, s20
	;; [unrolled: 1-line block ×3, first 2 shown]
	v_cmp_eq_u32_e64 s17, v42, v19
	v_cmp_eq_u32_e64 s12, 0, v0
	v_cmp_lt_u32_e64 s13, 1, v0
	v_cmp_lt_u32_e64 s15, 7, v0
	v_cmp_eq_u32_e64 s16, 0, v95
	v_add_nc_u32_e32 v103, -4, v92
	v_add_nc_u32_e32 v106, v90, v94
	v_add_nc_u32_e32 v107, v91, v91
	v_mov_b32_e32 v105, 0
	s_wait_kmcnt 0x0
	s_lshr_b32 s14, s11, 16
	s_and_b32 s11, s11, 0xffff
	v_mad_u32_u24 v17, v98, s14, v97
	v_cmp_lt_u32_e64 s14, 3, v0
	s_wait_alu 0xfffe
	s_delay_alu instid0(VALU_DEP_2) | instskip(SKIP_1) | instid1(VALU_DEP_1)
	v_mad_co_u64_u32 v[17:18], null, v17, s11, v[42:43]
	v_sub_co_u32 v18, s11, v93, 1
	v_cmp_gt_i32_e32 vcc_lo, 0, v18
	s_delay_alu instid0(VALU_DEP_3) | instskip(SKIP_2) | instid1(VALU_DEP_2)
	v_lshrrev_b32_e32 v17, 3, v17
	s_wait_alu 0xfffd
	v_cndmask_b32_e32 v18, v18, v93, vcc_lo
	v_and_b32_e32 v104, 0x1ffffffc, v17
	s_delay_alu instid0(VALU_DEP_2)
	v_dual_mov_b32 v17, s20 :: v_dual_lshlrev_b32 v102, 2, v18
	v_dual_mov_b32 v18, s21 :: v_dual_mov_b32 v19, s22
	v_mov_b32_e32 v20, s23
	s_mov_b32 s20, 32
	s_branch .LBB125_32
.LBB125_31:                             ;   in Loop: Header=BB125_32 Depth=1
	s_wait_alu 0xfffe
	s_and_not1_b32 vcc_lo, exec_lo, s21
	s_mov_b32 s20, s18
	s_wait_alu 0xfffe
	s_cbranch_vccz .LBB125_64
.LBB125_32:                             ; =>This Inner Loop Header: Depth=1
	s_wait_alu 0xfffe
	s_min_u32 s18, s19, s20
	v_mov_b32_e32 v60, v26
	s_wait_alu 0xfffe
	s_lshl_b32 s18, -1, s18
	v_mov_b32_e32 v62, v24
	s_wait_alu 0xfffe
	s_not_b32 s21, s18
	v_mov_b32_e32 v108, v65
	v_dual_mov_b32 v64, v22 :: v_dual_mov_b32 v109, v72
	v_mov_b32_e32 v110, v71
	ds_store_b128 v90, v[17:20] offset:64
	ds_store_b128 v90, v[17:20] offset:80
	v_lshrrev_b32_e32 v38, v105, v108
	s_wait_loadcnt_dscnt 0x0
	s_barrier_signal -1
	s_barrier_wait -1
	global_inv scope:SCOPE_SE
	s_wait_alu 0xfffe
	v_and_b32_e32 v65, s21, v38
	v_mov_b32_e32 v111, v70
	; wave barrier
	s_delay_alu instid0(VALU_DEP_2) | instskip(SKIP_3) | instid1(VALU_DEP_3)
	v_dual_mov_b32 v112, v69 :: v_dual_lshlrev_b32 v39, 30, v65
	v_and_b32_e32 v38, 1, v65
	v_dual_mov_b32 v114, v67 :: v_dual_lshlrev_b32 v51, 29, v65
	v_dual_mov_b32 v113, v68 :: v_dual_lshlrev_b32 v52, 28, v65
	v_add_co_u32 v38, s18, v38, -1
	s_wait_alu 0xf1ff
	v_cndmask_b32_e64 v53, 0, 1, s18
	v_not_b32_e32 v57, v39
	v_cmp_gt_i32_e64 s18, 0, v39
	v_not_b32_e32 v39, v51
	v_dual_mov_b32 v115, v66 :: v_dual_lshlrev_b32 v54, 27, v65
	v_cmp_ne_u32_e32 vcc_lo, 0, v53
	v_ashrrev_i32_e32 v57, 31, v57
	s_delay_alu instid0(VALU_DEP_4)
	v_ashrrev_i32_e32 v39, 31, v39
	v_lshlrev_b32_e32 v55, 26, v65
	v_lshlrev_b32_e32 v56, 25, v65
	s_wait_alu 0xfffd
	v_xor_b32_e32 v38, vcc_lo, v38
	v_cmp_gt_i32_e32 vcc_lo, 0, v51
	v_not_b32_e32 v51, v52
	s_wait_alu 0xf1ff
	v_xor_b32_e32 v57, s18, v57
	v_cmp_gt_i32_e64 s18, 0, v52
	v_and_b32_e32 v38, exec_lo, v38
	v_not_b32_e32 v52, v54
	v_ashrrev_i32_e32 v51, 31, v51
	s_wait_alu 0xfffd
	v_xor_b32_e32 v39, vcc_lo, v39
	v_cmp_gt_i32_e32 vcc_lo, 0, v54
	v_and_b32_e32 v38, v38, v57
	v_ashrrev_i32_e32 v52, 31, v52
	v_not_b32_e32 v54, v55
	s_wait_alu 0xf1ff
	v_xor_b32_e32 v51, s18, v51
	v_cmp_gt_i32_e64 s18, 0, v55
	v_and_b32_e32 v38, v38, v39
	v_not_b32_e32 v39, v56
	s_wait_alu 0xfffd
	v_xor_b32_e32 v52, vcc_lo, v52
	v_cmp_gt_i32_e32 vcc_lo, 0, v56
	v_dual_mov_b32 v56, v30 :: v_dual_lshlrev_b32 v53, 24, v65
	v_ashrrev_i32_e32 v54, 31, v54
	v_dual_mov_b32 v55, v29 :: v_dual_and_b32 v38, v38, v51
	v_ashrrev_i32_e32 v39, 31, v39
	s_delay_alu instid0(VALU_DEP_4)
	v_not_b32_e32 v51, v53
	s_wait_alu 0xf1ff
	v_xor_b32_e32 v54, s18, v54
	v_cmp_gt_i32_e64 s18, 0, v53
	v_dual_mov_b32 v59, v25 :: v_dual_and_b32 v38, v38, v52
	v_ashrrev_i32_e32 v51, 31, v51
	s_wait_alu 0xfffd
	v_xor_b32_e32 v39, vcc_lo, v39
	s_delay_alu instid0(VALU_DEP_3)
	v_dual_mov_b32 v61, v23 :: v_dual_and_b32 v38, v38, v54
	v_mov_b32_e32 v63, v21
	s_wait_alu 0xf1ff
	v_xor_b32_e32 v57, s18, v51
	v_dual_mov_b32 v52, v34 :: v_dual_lshlrev_b32 v21, 6, v65
	v_and_b32_e32 v58, v38, v39
	v_dual_mov_b32 v54, v32 :: v_dual_mov_b32 v53, v31
	v_dual_mov_b32 v39, v36 :: v_dual_mov_b32 v38, v35
	s_delay_alu instid0(VALU_DEP_3) | instskip(SKIP_2) | instid1(VALU_DEP_3)
	v_dual_mov_b32 v58, v28 :: v_dual_and_b32 v31, v58, v57
	v_mov_b32_e32 v51, v33
	v_dual_mov_b32 v57, v27 :: v_dual_add_nc_u32 v30, v104, v21
	v_mbcnt_lo_u32_b32 v29, v31, 0
	v_cmp_ne_u32_e64 s18, 0, v31
	s_delay_alu instid0(VALU_DEP_2)
	v_cmp_eq_u32_e32 vcc_lo, 0, v29
	s_and_b32 s22, s18, vcc_lo
	s_wait_alu 0xfffe
	s_and_saveexec_b32 s18, s22
; %bb.33:                               ;   in Loop: Header=BB125_32 Depth=1
	v_bcnt_u32_b32 v21, v31, 0
	ds_store_b32 v30, v21 offset:64
; %bb.34:                               ;   in Loop: Header=BB125_32 Depth=1
	s_wait_alu 0xfffe
	s_or_b32 exec_lo, exec_lo, s18
	v_lshrrev_b32_e32 v21, v105, v115
	; wave barrier
	s_delay_alu instid0(VALU_DEP_1) | instskip(NEXT) | instid1(VALU_DEP_1)
	v_and_b32_e32 v21, s21, v21
	v_and_b32_e32 v22, 1, v21
	v_lshlrev_b32_e32 v23, 30, v21
	v_lshlrev_b32_e32 v24, 29, v21
	;; [unrolled: 1-line block ×4, first 2 shown]
	v_add_co_u32 v22, s18, v22, -1
	s_wait_alu 0xf1ff
	v_cndmask_b32_e64 v26, 0, 1, s18
	v_not_b32_e32 v32, v23
	v_cmp_gt_i32_e64 s18, 0, v23
	v_not_b32_e32 v23, v24
	v_lshlrev_b32_e32 v28, 26, v21
	v_cmp_ne_u32_e32 vcc_lo, 0, v26
	v_ashrrev_i32_e32 v32, 31, v32
	v_lshlrev_b32_e32 v31, 25, v21
	v_ashrrev_i32_e32 v23, 31, v23
	v_lshlrev_b32_e32 v26, 24, v21
	s_wait_alu 0xfffd
	v_xor_b32_e32 v22, vcc_lo, v22
	v_cmp_gt_i32_e32 vcc_lo, 0, v24
	v_not_b32_e32 v24, v25
	s_wait_alu 0xf1ff
	v_xor_b32_e32 v32, s18, v32
	v_cmp_gt_i32_e64 s18, 0, v25
	v_and_b32_e32 v22, exec_lo, v22
	v_not_b32_e32 v25, v27
	v_ashrrev_i32_e32 v24, 31, v24
	s_wait_alu 0xfffd
	v_xor_b32_e32 v23, vcc_lo, v23
	v_cmp_gt_i32_e32 vcc_lo, 0, v27
	v_and_b32_e32 v22, v22, v32
	v_not_b32_e32 v27, v28
	v_ashrrev_i32_e32 v25, 31, v25
	s_wait_alu 0xf1ff
	v_xor_b32_e32 v24, s18, v24
	v_cmp_gt_i32_e64 s18, 0, v28
	v_and_b32_e32 v22, v22, v23
	v_not_b32_e32 v23, v31
	v_ashrrev_i32_e32 v27, 31, v27
	s_wait_alu 0xfffd
	v_xor_b32_e32 v25, vcc_lo, v25
	v_cmp_gt_i32_e32 vcc_lo, 0, v31
	v_and_b32_e32 v22, v22, v24
	v_not_b32_e32 v24, v26
	v_ashrrev_i32_e32 v23, 31, v23
	s_wait_alu 0xf1ff
	v_xor_b32_e32 v27, s18, v27
	v_lshlrev_b32_e32 v21, 6, v21
	v_and_b32_e32 v22, v22, v25
	v_cmp_gt_i32_e64 s18, 0, v26
	v_ashrrev_i32_e32 v24, 31, v24
	s_wait_alu 0xfffd
	v_xor_b32_e32 v23, vcc_lo, v23
	v_add_nc_u32_e32 v33, v104, v21
	v_and_b32_e32 v22, v22, v27
	s_wait_alu 0xf1ff
	v_xor_b32_e32 v21, s18, v24
	ds_load_b32 v31, v33 offset:64
	v_and_b32_e32 v22, v22, v23
	; wave barrier
	s_delay_alu instid0(VALU_DEP_1) | instskip(NEXT) | instid1(VALU_DEP_1)
	v_and_b32_e32 v21, v22, v21
	v_mbcnt_lo_u32_b32 v32, v21, 0
	v_cmp_ne_u32_e64 s18, 0, v21
	s_delay_alu instid0(VALU_DEP_2)
	v_cmp_eq_u32_e32 vcc_lo, 0, v32
	s_and_b32 s22, s18, vcc_lo
	s_wait_alu 0xfffe
	s_and_saveexec_b32 s18, s22
	s_cbranch_execz .LBB125_36
; %bb.35:                               ;   in Loop: Header=BB125_32 Depth=1
	s_wait_dscnt 0x0
	v_bcnt_u32_b32 v21, v21, v31
	ds_store_b32 v33, v21 offset:64
.LBB125_36:                             ;   in Loop: Header=BB125_32 Depth=1
	s_wait_alu 0xfffe
	s_or_b32 exec_lo, exec_lo, s18
	v_lshrrev_b32_e32 v21, v105, v114
	; wave barrier
	s_delay_alu instid0(VALU_DEP_1) | instskip(NEXT) | instid1(VALU_DEP_1)
	v_and_b32_e32 v21, s21, v21
	v_and_b32_e32 v22, 1, v21
	v_lshlrev_b32_e32 v23, 30, v21
	v_lshlrev_b32_e32 v24, 29, v21
	;; [unrolled: 1-line block ×4, first 2 shown]
	v_add_co_u32 v22, s18, v22, -1
	s_wait_alu 0xf1ff
	v_cndmask_b32_e64 v26, 0, 1, s18
	v_not_b32_e32 v35, v23
	v_cmp_gt_i32_e64 s18, 0, v23
	v_not_b32_e32 v23, v24
	v_lshlrev_b32_e32 v28, 26, v21
	v_cmp_ne_u32_e32 vcc_lo, 0, v26
	v_ashrrev_i32_e32 v35, 31, v35
	v_lshlrev_b32_e32 v34, 25, v21
	v_ashrrev_i32_e32 v23, 31, v23
	v_lshlrev_b32_e32 v26, 24, v21
	s_wait_alu 0xfffd
	v_xor_b32_e32 v22, vcc_lo, v22
	v_cmp_gt_i32_e32 vcc_lo, 0, v24
	v_not_b32_e32 v24, v25
	s_wait_alu 0xf1ff
	v_xor_b32_e32 v35, s18, v35
	v_cmp_gt_i32_e64 s18, 0, v25
	v_and_b32_e32 v22, exec_lo, v22
	v_not_b32_e32 v25, v27
	v_ashrrev_i32_e32 v24, 31, v24
	s_wait_alu 0xfffd
	v_xor_b32_e32 v23, vcc_lo, v23
	v_cmp_gt_i32_e32 vcc_lo, 0, v27
	v_and_b32_e32 v22, v22, v35
	v_not_b32_e32 v27, v28
	v_ashrrev_i32_e32 v25, 31, v25
	s_wait_alu 0xf1ff
	v_xor_b32_e32 v24, s18, v24
	v_cmp_gt_i32_e64 s18, 0, v28
	v_and_b32_e32 v22, v22, v23
	v_not_b32_e32 v23, v34
	v_ashrrev_i32_e32 v27, 31, v27
	s_wait_alu 0xfffd
	v_xor_b32_e32 v25, vcc_lo, v25
	v_cmp_gt_i32_e32 vcc_lo, 0, v34
	v_and_b32_e32 v22, v22, v24
	v_not_b32_e32 v24, v26
	v_ashrrev_i32_e32 v23, 31, v23
	s_wait_alu 0xf1ff
	v_xor_b32_e32 v27, s18, v27
	v_lshlrev_b32_e32 v21, 6, v21
	v_and_b32_e32 v22, v22, v25
	v_cmp_gt_i32_e64 s18, 0, v26
	v_ashrrev_i32_e32 v24, 31, v24
	s_wait_alu 0xfffd
	v_xor_b32_e32 v23, vcc_lo, v23
	v_add_nc_u32_e32 v36, v104, v21
	v_and_b32_e32 v22, v22, v27
	s_wait_alu 0xf1ff
	v_xor_b32_e32 v21, s18, v24
	ds_load_b32 v34, v36 offset:64
	v_and_b32_e32 v22, v22, v23
	; wave barrier
	s_delay_alu instid0(VALU_DEP_1) | instskip(NEXT) | instid1(VALU_DEP_1)
	v_and_b32_e32 v21, v22, v21
	v_mbcnt_lo_u32_b32 v35, v21, 0
	v_cmp_ne_u32_e64 s18, 0, v21
	s_delay_alu instid0(VALU_DEP_2)
	v_cmp_eq_u32_e32 vcc_lo, 0, v35
	s_and_b32 s22, s18, vcc_lo
	s_wait_alu 0xfffe
	s_and_saveexec_b32 s18, s22
	s_cbranch_execz .LBB125_38
; %bb.37:                               ;   in Loop: Header=BB125_32 Depth=1
	s_wait_dscnt 0x0
	v_bcnt_u32_b32 v21, v21, v34
	ds_store_b32 v36, v21 offset:64
.LBB125_38:                             ;   in Loop: Header=BB125_32 Depth=1
	s_wait_alu 0xfffe
	s_or_b32 exec_lo, exec_lo, s18
	v_lshrrev_b32_e32 v21, v105, v113
	; wave barrier
	s_delay_alu instid0(VALU_DEP_1) | instskip(NEXT) | instid1(VALU_DEP_1)
	v_and_b32_e32 v21, s21, v21
	v_and_b32_e32 v22, 1, v21
	v_lshlrev_b32_e32 v23, 30, v21
	v_lshlrev_b32_e32 v24, 29, v21
	;; [unrolled: 1-line block ×4, first 2 shown]
	v_add_co_u32 v22, s18, v22, -1
	s_wait_alu 0xf1ff
	v_cndmask_b32_e64 v26, 0, 1, s18
	v_not_b32_e32 v66, v23
	v_cmp_gt_i32_e64 s18, 0, v23
	v_not_b32_e32 v23, v24
	v_lshlrev_b32_e32 v28, 26, v21
	v_cmp_ne_u32_e32 vcc_lo, 0, v26
	v_ashrrev_i32_e32 v66, 31, v66
	v_lshlrev_b32_e32 v65, 25, v21
	v_ashrrev_i32_e32 v23, 31, v23
	v_lshlrev_b32_e32 v26, 24, v21
	s_wait_alu 0xfffd
	v_xor_b32_e32 v22, vcc_lo, v22
	v_cmp_gt_i32_e32 vcc_lo, 0, v24
	v_not_b32_e32 v24, v25
	s_wait_alu 0xf1ff
	v_xor_b32_e32 v66, s18, v66
	v_cmp_gt_i32_e64 s18, 0, v25
	v_and_b32_e32 v22, exec_lo, v22
	v_not_b32_e32 v25, v27
	v_ashrrev_i32_e32 v24, 31, v24
	s_wait_alu 0xfffd
	v_xor_b32_e32 v23, vcc_lo, v23
	v_cmp_gt_i32_e32 vcc_lo, 0, v27
	v_and_b32_e32 v22, v22, v66
	v_not_b32_e32 v27, v28
	v_ashrrev_i32_e32 v25, 31, v25
	s_wait_alu 0xf1ff
	v_xor_b32_e32 v24, s18, v24
	v_cmp_gt_i32_e64 s18, 0, v28
	v_and_b32_e32 v22, v22, v23
	v_not_b32_e32 v23, v65
	v_ashrrev_i32_e32 v27, 31, v27
	s_wait_alu 0xfffd
	v_xor_b32_e32 v25, vcc_lo, v25
	v_cmp_gt_i32_e32 vcc_lo, 0, v65
	v_and_b32_e32 v22, v22, v24
	v_not_b32_e32 v24, v26
	v_ashrrev_i32_e32 v23, 31, v23
	s_wait_alu 0xf1ff
	v_xor_b32_e32 v27, s18, v27
	v_lshlrev_b32_e32 v21, 6, v21
	v_and_b32_e32 v22, v22, v25
	v_cmp_gt_i32_e64 s18, 0, v26
	v_ashrrev_i32_e32 v24, 31, v24
	s_wait_alu 0xfffd
	v_xor_b32_e32 v23, vcc_lo, v23
	v_add_nc_u32_e32 v67, v104, v21
	v_and_b32_e32 v22, v22, v27
	s_wait_alu 0xf1ff
	v_xor_b32_e32 v21, s18, v24
	ds_load_b32 v65, v67 offset:64
	v_and_b32_e32 v22, v22, v23
	; wave barrier
	s_delay_alu instid0(VALU_DEP_1) | instskip(NEXT) | instid1(VALU_DEP_1)
	v_and_b32_e32 v21, v22, v21
	v_mbcnt_lo_u32_b32 v66, v21, 0
	v_cmp_ne_u32_e64 s18, 0, v21
	s_delay_alu instid0(VALU_DEP_2)
	v_cmp_eq_u32_e32 vcc_lo, 0, v66
	s_and_b32 s22, s18, vcc_lo
	s_wait_alu 0xfffe
	s_and_saveexec_b32 s18, s22
	s_cbranch_execz .LBB125_40
; %bb.39:                               ;   in Loop: Header=BB125_32 Depth=1
	s_wait_dscnt 0x0
	v_bcnt_u32_b32 v21, v21, v65
	ds_store_b32 v67, v21 offset:64
.LBB125_40:                             ;   in Loop: Header=BB125_32 Depth=1
	s_wait_alu 0xfffe
	s_or_b32 exec_lo, exec_lo, s18
	v_lshrrev_b32_e32 v21, v105, v112
	; wave barrier
	s_delay_alu instid0(VALU_DEP_1) | instskip(NEXT) | instid1(VALU_DEP_1)
	v_and_b32_e32 v21, s21, v21
	v_and_b32_e32 v22, 1, v21
	v_lshlrev_b32_e32 v23, 30, v21
	v_lshlrev_b32_e32 v24, 29, v21
	;; [unrolled: 1-line block ×4, first 2 shown]
	v_add_co_u32 v22, s18, v22, -1
	s_wait_alu 0xf1ff
	v_cndmask_b32_e64 v26, 0, 1, s18
	v_not_b32_e32 v69, v23
	v_cmp_gt_i32_e64 s18, 0, v23
	v_not_b32_e32 v23, v24
	v_lshlrev_b32_e32 v28, 26, v21
	v_cmp_ne_u32_e32 vcc_lo, 0, v26
	v_ashrrev_i32_e32 v69, 31, v69
	v_lshlrev_b32_e32 v68, 25, v21
	v_ashrrev_i32_e32 v23, 31, v23
	v_lshlrev_b32_e32 v26, 24, v21
	s_wait_alu 0xfffd
	v_xor_b32_e32 v22, vcc_lo, v22
	v_cmp_gt_i32_e32 vcc_lo, 0, v24
	v_not_b32_e32 v24, v25
	s_wait_alu 0xf1ff
	v_xor_b32_e32 v69, s18, v69
	v_cmp_gt_i32_e64 s18, 0, v25
	v_and_b32_e32 v22, exec_lo, v22
	v_not_b32_e32 v25, v27
	v_ashrrev_i32_e32 v24, 31, v24
	s_wait_alu 0xfffd
	v_xor_b32_e32 v23, vcc_lo, v23
	v_cmp_gt_i32_e32 vcc_lo, 0, v27
	v_and_b32_e32 v22, v22, v69
	v_not_b32_e32 v27, v28
	v_ashrrev_i32_e32 v25, 31, v25
	s_wait_alu 0xf1ff
	v_xor_b32_e32 v24, s18, v24
	v_cmp_gt_i32_e64 s18, 0, v28
	v_and_b32_e32 v22, v22, v23
	v_not_b32_e32 v23, v68
	v_ashrrev_i32_e32 v27, 31, v27
	s_wait_alu 0xfffd
	v_xor_b32_e32 v25, vcc_lo, v25
	v_cmp_gt_i32_e32 vcc_lo, 0, v68
	v_and_b32_e32 v22, v22, v24
	v_not_b32_e32 v24, v26
	v_ashrrev_i32_e32 v23, 31, v23
	s_wait_alu 0xf1ff
	v_xor_b32_e32 v27, s18, v27
	v_lshlrev_b32_e32 v21, 6, v21
	v_and_b32_e32 v22, v22, v25
	v_cmp_gt_i32_e64 s18, 0, v26
	v_ashrrev_i32_e32 v24, 31, v24
	s_wait_alu 0xfffd
	v_xor_b32_e32 v23, vcc_lo, v23
	v_add_nc_u32_e32 v70, v104, v21
	v_and_b32_e32 v22, v22, v27
	s_wait_alu 0xf1ff
	v_xor_b32_e32 v21, s18, v24
	ds_load_b32 v68, v70 offset:64
	v_and_b32_e32 v22, v22, v23
	; wave barrier
	s_delay_alu instid0(VALU_DEP_1) | instskip(NEXT) | instid1(VALU_DEP_1)
	v_and_b32_e32 v21, v22, v21
	v_mbcnt_lo_u32_b32 v69, v21, 0
	v_cmp_ne_u32_e64 s18, 0, v21
	s_delay_alu instid0(VALU_DEP_2)
	v_cmp_eq_u32_e32 vcc_lo, 0, v69
	s_and_b32 s22, s18, vcc_lo
	s_wait_alu 0xfffe
	s_and_saveexec_b32 s18, s22
	s_cbranch_execz .LBB125_42
; %bb.41:                               ;   in Loop: Header=BB125_32 Depth=1
	s_wait_dscnt 0x0
	v_bcnt_u32_b32 v21, v21, v68
	ds_store_b32 v70, v21 offset:64
.LBB125_42:                             ;   in Loop: Header=BB125_32 Depth=1
	s_wait_alu 0xfffe
	s_or_b32 exec_lo, exec_lo, s18
	v_lshrrev_b32_e32 v21, v105, v111
	; wave barrier
	s_delay_alu instid0(VALU_DEP_1) | instskip(NEXT) | instid1(VALU_DEP_1)
	v_and_b32_e32 v21, s21, v21
	v_and_b32_e32 v22, 1, v21
	v_lshlrev_b32_e32 v23, 30, v21
	v_lshlrev_b32_e32 v24, 29, v21
	;; [unrolled: 1-line block ×4, first 2 shown]
	v_add_co_u32 v22, s18, v22, -1
	s_wait_alu 0xf1ff
	v_cndmask_b32_e64 v26, 0, 1, s18
	v_not_b32_e32 v72, v23
	v_cmp_gt_i32_e64 s18, 0, v23
	v_not_b32_e32 v23, v24
	v_lshlrev_b32_e32 v28, 26, v21
	v_cmp_ne_u32_e32 vcc_lo, 0, v26
	v_ashrrev_i32_e32 v72, 31, v72
	v_lshlrev_b32_e32 v71, 25, v21
	v_ashrrev_i32_e32 v23, 31, v23
	v_lshlrev_b32_e32 v26, 24, v21
	s_wait_alu 0xfffd
	v_xor_b32_e32 v22, vcc_lo, v22
	v_cmp_gt_i32_e32 vcc_lo, 0, v24
	v_not_b32_e32 v24, v25
	s_wait_alu 0xf1ff
	v_xor_b32_e32 v72, s18, v72
	v_cmp_gt_i32_e64 s18, 0, v25
	v_and_b32_e32 v22, exec_lo, v22
	v_not_b32_e32 v25, v27
	v_ashrrev_i32_e32 v24, 31, v24
	s_wait_alu 0xfffd
	v_xor_b32_e32 v23, vcc_lo, v23
	v_cmp_gt_i32_e32 vcc_lo, 0, v27
	v_and_b32_e32 v22, v22, v72
	v_not_b32_e32 v27, v28
	v_ashrrev_i32_e32 v25, 31, v25
	s_wait_alu 0xf1ff
	v_xor_b32_e32 v24, s18, v24
	v_cmp_gt_i32_e64 s18, 0, v28
	v_and_b32_e32 v22, v22, v23
	v_not_b32_e32 v23, v71
	v_ashrrev_i32_e32 v27, 31, v27
	s_wait_alu 0xfffd
	v_xor_b32_e32 v25, vcc_lo, v25
	v_cmp_gt_i32_e32 vcc_lo, 0, v71
	v_and_b32_e32 v22, v22, v24
	v_not_b32_e32 v24, v26
	v_ashrrev_i32_e32 v23, 31, v23
	s_wait_alu 0xf1ff
	v_xor_b32_e32 v27, s18, v27
	v_lshlrev_b32_e32 v21, 6, v21
	v_and_b32_e32 v22, v22, v25
	v_cmp_gt_i32_e64 s18, 0, v26
	v_ashrrev_i32_e32 v24, 31, v24
	s_wait_alu 0xfffd
	v_xor_b32_e32 v23, vcc_lo, v23
	v_add_nc_u32_e32 v116, v104, v21
	v_and_b32_e32 v22, v22, v27
	s_wait_alu 0xf1ff
	v_xor_b32_e32 v21, s18, v24
	ds_load_b32 v71, v116 offset:64
	v_and_b32_e32 v22, v22, v23
	; wave barrier
	s_delay_alu instid0(VALU_DEP_1) | instskip(NEXT) | instid1(VALU_DEP_1)
	v_and_b32_e32 v21, v22, v21
	v_mbcnt_lo_u32_b32 v72, v21, 0
	v_cmp_ne_u32_e64 s18, 0, v21
	s_delay_alu instid0(VALU_DEP_2)
	v_cmp_eq_u32_e32 vcc_lo, 0, v72
	s_and_b32 s22, s18, vcc_lo
	s_wait_alu 0xfffe
	s_and_saveexec_b32 s18, s22
	s_cbranch_execz .LBB125_44
; %bb.43:                               ;   in Loop: Header=BB125_32 Depth=1
	s_wait_dscnt 0x0
	v_bcnt_u32_b32 v21, v21, v71
	ds_store_b32 v116, v21 offset:64
.LBB125_44:                             ;   in Loop: Header=BB125_32 Depth=1
	s_wait_alu 0xfffe
	s_or_b32 exec_lo, exec_lo, s18
	v_lshrrev_b32_e32 v21, v105, v110
	; wave barrier
	s_delay_alu instid0(VALU_DEP_1) | instskip(NEXT) | instid1(VALU_DEP_1)
	v_and_b32_e32 v21, s21, v21
	v_and_b32_e32 v22, 1, v21
	v_lshlrev_b32_e32 v23, 30, v21
	v_lshlrev_b32_e32 v24, 29, v21
	;; [unrolled: 1-line block ×4, first 2 shown]
	v_add_co_u32 v22, s18, v22, -1
	s_wait_alu 0xf1ff
	v_cndmask_b32_e64 v26, 0, 1, s18
	v_not_b32_e32 v118, v23
	v_cmp_gt_i32_e64 s18, 0, v23
	v_not_b32_e32 v23, v24
	v_lshlrev_b32_e32 v28, 26, v21
	v_cmp_ne_u32_e32 vcc_lo, 0, v26
	v_ashrrev_i32_e32 v118, 31, v118
	v_lshlrev_b32_e32 v117, 25, v21
	v_ashrrev_i32_e32 v23, 31, v23
	v_lshlrev_b32_e32 v26, 24, v21
	s_wait_alu 0xfffd
	v_xor_b32_e32 v22, vcc_lo, v22
	v_cmp_gt_i32_e32 vcc_lo, 0, v24
	v_not_b32_e32 v24, v25
	s_wait_alu 0xf1ff
	v_xor_b32_e32 v118, s18, v118
	v_cmp_gt_i32_e64 s18, 0, v25
	v_and_b32_e32 v22, exec_lo, v22
	v_not_b32_e32 v25, v27
	v_ashrrev_i32_e32 v24, 31, v24
	s_wait_alu 0xfffd
	v_xor_b32_e32 v23, vcc_lo, v23
	v_cmp_gt_i32_e32 vcc_lo, 0, v27
	v_and_b32_e32 v22, v22, v118
	v_not_b32_e32 v27, v28
	v_ashrrev_i32_e32 v25, 31, v25
	s_wait_alu 0xf1ff
	v_xor_b32_e32 v24, s18, v24
	v_cmp_gt_i32_e64 s18, 0, v28
	v_and_b32_e32 v22, v22, v23
	v_not_b32_e32 v23, v117
	v_ashrrev_i32_e32 v27, 31, v27
	s_wait_alu 0xfffd
	v_xor_b32_e32 v25, vcc_lo, v25
	v_cmp_gt_i32_e32 vcc_lo, 0, v117
	v_and_b32_e32 v22, v22, v24
	v_not_b32_e32 v24, v26
	v_ashrrev_i32_e32 v23, 31, v23
	s_wait_alu 0xf1ff
	v_xor_b32_e32 v27, s18, v27
	v_lshlrev_b32_e32 v21, 6, v21
	v_and_b32_e32 v22, v22, v25
	v_cmp_gt_i32_e64 s18, 0, v26
	v_ashrrev_i32_e32 v24, 31, v24
	s_wait_alu 0xfffd
	v_xor_b32_e32 v23, vcc_lo, v23
	v_add_nc_u32_e32 v119, v104, v21
	v_and_b32_e32 v22, v22, v27
	s_wait_alu 0xf1ff
	v_xor_b32_e32 v21, s18, v24
	ds_load_b32 v117, v119 offset:64
	v_and_b32_e32 v22, v22, v23
	; wave barrier
	s_delay_alu instid0(VALU_DEP_1) | instskip(NEXT) | instid1(VALU_DEP_1)
	v_and_b32_e32 v21, v22, v21
	v_mbcnt_lo_u32_b32 v118, v21, 0
	v_cmp_ne_u32_e64 s18, 0, v21
	s_delay_alu instid0(VALU_DEP_2)
	v_cmp_eq_u32_e32 vcc_lo, 0, v118
	s_and_b32 s22, s18, vcc_lo
	s_wait_alu 0xfffe
	s_and_saveexec_b32 s18, s22
	s_cbranch_execz .LBB125_46
; %bb.45:                               ;   in Loop: Header=BB125_32 Depth=1
	s_wait_dscnt 0x0
	v_bcnt_u32_b32 v21, v21, v117
	ds_store_b32 v119, v21 offset:64
.LBB125_46:                             ;   in Loop: Header=BB125_32 Depth=1
	s_wait_alu 0xfffe
	s_or_b32 exec_lo, exec_lo, s18
	v_lshrrev_b32_e32 v21, v105, v109
	; wave barrier
	s_delay_alu instid0(VALU_DEP_1) | instskip(NEXT) | instid1(VALU_DEP_1)
	v_and_b32_e32 v21, s21, v21
	v_and_b32_e32 v22, 1, v21
	v_lshlrev_b32_e32 v23, 30, v21
	v_lshlrev_b32_e32 v24, 29, v21
	;; [unrolled: 1-line block ×4, first 2 shown]
	v_add_co_u32 v22, s18, v22, -1
	s_wait_alu 0xf1ff
	v_cndmask_b32_e64 v26, 0, 1, s18
	v_not_b32_e32 v121, v23
	v_cmp_gt_i32_e64 s18, 0, v23
	v_not_b32_e32 v23, v24
	v_lshlrev_b32_e32 v28, 26, v21
	v_cmp_ne_u32_e32 vcc_lo, 0, v26
	v_ashrrev_i32_e32 v121, 31, v121
	v_lshlrev_b32_e32 v120, 25, v21
	v_ashrrev_i32_e32 v23, 31, v23
	v_lshlrev_b32_e32 v26, 24, v21
	s_wait_alu 0xfffd
	v_xor_b32_e32 v22, vcc_lo, v22
	v_cmp_gt_i32_e32 vcc_lo, 0, v24
	v_not_b32_e32 v24, v25
	s_wait_alu 0xf1ff
	v_xor_b32_e32 v121, s18, v121
	v_cmp_gt_i32_e64 s18, 0, v25
	v_and_b32_e32 v22, exec_lo, v22
	v_not_b32_e32 v25, v27
	v_ashrrev_i32_e32 v24, 31, v24
	s_wait_alu 0xfffd
	v_xor_b32_e32 v23, vcc_lo, v23
	v_cmp_gt_i32_e32 vcc_lo, 0, v27
	v_and_b32_e32 v22, v22, v121
	v_not_b32_e32 v27, v28
	v_ashrrev_i32_e32 v25, 31, v25
	s_wait_alu 0xf1ff
	v_xor_b32_e32 v24, s18, v24
	v_cmp_gt_i32_e64 s18, 0, v28
	v_and_b32_e32 v22, v22, v23
	v_not_b32_e32 v23, v120
	v_ashrrev_i32_e32 v27, 31, v27
	s_wait_alu 0xfffd
	v_xor_b32_e32 v25, vcc_lo, v25
	v_cmp_gt_i32_e32 vcc_lo, 0, v120
	v_and_b32_e32 v22, v22, v24
	v_not_b32_e32 v24, v26
	v_ashrrev_i32_e32 v23, 31, v23
	s_wait_alu 0xf1ff
	v_xor_b32_e32 v27, s18, v27
	v_lshlrev_b32_e32 v21, 6, v21
	v_and_b32_e32 v22, v22, v25
	v_cmp_gt_i32_e64 s18, 0, v26
	v_ashrrev_i32_e32 v24, 31, v24
	s_wait_alu 0xfffd
	v_xor_b32_e32 v23, vcc_lo, v23
	v_add_nc_u32_e32 v120, v104, v21
	v_and_b32_e32 v22, v22, v27
	s_wait_alu 0xf1ff
	v_xor_b32_e32 v21, s18, v24
	ds_load_b32 v125, v120 offset:64
	v_and_b32_e32 v22, v22, v23
	; wave barrier
	s_delay_alu instid0(VALU_DEP_1) | instskip(NEXT) | instid1(VALU_DEP_1)
	v_and_b32_e32 v21, v22, v21
	v_mbcnt_lo_u32_b32 v126, v21, 0
	v_cmp_ne_u32_e64 s18, 0, v21
	s_delay_alu instid0(VALU_DEP_2)
	v_cmp_eq_u32_e32 vcc_lo, 0, v126
	s_and_b32 s21, s18, vcc_lo
	s_wait_alu 0xfffe
	s_and_saveexec_b32 s18, s21
	s_cbranch_execz .LBB125_48
; %bb.47:                               ;   in Loop: Header=BB125_32 Depth=1
	s_wait_dscnt 0x0
	v_bcnt_u32_b32 v21, v21, v125
	ds_store_b32 v120, v21 offset:64
.LBB125_48:                             ;   in Loop: Header=BB125_32 Depth=1
	s_wait_alu 0xfffe
	s_or_b32 exec_lo, exec_lo, s18
	; wave barrier
	s_wait_loadcnt_dscnt 0x0
	s_barrier_signal -1
	s_barrier_wait -1
	global_inv scope:SCOPE_SE
	ds_load_b128 v[25:28], v90 offset:64
	ds_load_b128 v[21:24], v90 offset:80
	s_wait_dscnt 0x1
	v_add_nc_u32_e32 v121, v26, v25
	s_delay_alu instid0(VALU_DEP_1) | instskip(SKIP_1) | instid1(VALU_DEP_1)
	v_add3_u32 v121, v121, v27, v28
	s_wait_dscnt 0x0
	v_add3_u32 v121, v121, v21, v22
	s_delay_alu instid0(VALU_DEP_1) | instskip(NEXT) | instid1(VALU_DEP_1)
	v_add3_u32 v24, v121, v23, v24
	v_mov_b32_dpp v121, v24 row_shr:1 row_mask:0xf bank_mask:0xf
	s_delay_alu instid0(VALU_DEP_1) | instskip(NEXT) | instid1(VALU_DEP_1)
	v_cndmask_b32_e64 v121, v121, 0, s12
	v_add_nc_u32_e32 v24, v121, v24
	s_delay_alu instid0(VALU_DEP_1) | instskip(NEXT) | instid1(VALU_DEP_1)
	v_mov_b32_dpp v121, v24 row_shr:2 row_mask:0xf bank_mask:0xf
	v_cndmask_b32_e64 v121, 0, v121, s13
	s_delay_alu instid0(VALU_DEP_1) | instskip(NEXT) | instid1(VALU_DEP_1)
	v_add_nc_u32_e32 v24, v24, v121
	v_mov_b32_dpp v121, v24 row_shr:4 row_mask:0xf bank_mask:0xf
	s_delay_alu instid0(VALU_DEP_1) | instskip(NEXT) | instid1(VALU_DEP_1)
	v_cndmask_b32_e64 v121, 0, v121, s14
	v_add_nc_u32_e32 v24, v24, v121
	s_delay_alu instid0(VALU_DEP_1) | instskip(NEXT) | instid1(VALU_DEP_1)
	v_mov_b32_dpp v121, v24 row_shr:8 row_mask:0xf bank_mask:0xf
	v_cndmask_b32_e64 v121, 0, v121, s15
	s_delay_alu instid0(VALU_DEP_1) | instskip(SKIP_3) | instid1(VALU_DEP_1)
	v_add_nc_u32_e32 v24, v24, v121
	ds_swizzle_b32 v121, v24 offset:swizzle(BROADCAST,32,15)
	s_wait_dscnt 0x0
	v_cndmask_b32_e64 v121, v121, 0, s16
	v_add_nc_u32_e32 v24, v24, v121
	s_and_saveexec_b32 s18, s17
; %bb.49:                               ;   in Loop: Header=BB125_32 Depth=1
	ds_store_b32 v92, v24
; %bb.50:                               ;   in Loop: Header=BB125_32 Depth=1
	s_wait_alu 0xfffe
	s_or_b32 exec_lo, exec_lo, s18
	s_wait_loadcnt_dscnt 0x0
	s_barrier_signal -1
	s_barrier_wait -1
	global_inv scope:SCOPE_SE
	s_and_saveexec_b32 s18, s8
	s_cbranch_execz .LBB125_52
; %bb.51:                               ;   in Loop: Header=BB125_32 Depth=1
	ds_load_b32 v121, v106
	s_wait_dscnt 0x0
	v_mov_b32_dpp v122, v121 row_shr:1 row_mask:0xf bank_mask:0xf
	s_delay_alu instid0(VALU_DEP_1) | instskip(NEXT) | instid1(VALU_DEP_1)
	v_cndmask_b32_e64 v122, v122, 0, s12
	v_add_nc_u32_e32 v121, v122, v121
	s_delay_alu instid0(VALU_DEP_1) | instskip(NEXT) | instid1(VALU_DEP_1)
	v_mov_b32_dpp v122, v121 row_shr:2 row_mask:0xf bank_mask:0xf
	v_cndmask_b32_e64 v122, 0, v122, s13
	s_delay_alu instid0(VALU_DEP_1) | instskip(NEXT) | instid1(VALU_DEP_1)
	v_add_nc_u32_e32 v121, v121, v122
	v_mov_b32_dpp v122, v121 row_shr:4 row_mask:0xf bank_mask:0xf
	s_delay_alu instid0(VALU_DEP_1) | instskip(NEXT) | instid1(VALU_DEP_1)
	v_cndmask_b32_e64 v122, 0, v122, s14
	v_add_nc_u32_e32 v121, v121, v122
	s_delay_alu instid0(VALU_DEP_1) | instskip(NEXT) | instid1(VALU_DEP_1)
	v_mov_b32_dpp v122, v121 row_shr:8 row_mask:0xf bank_mask:0xf
	v_cndmask_b32_e64 v122, 0, v122, s15
	s_delay_alu instid0(VALU_DEP_1)
	v_add_nc_u32_e32 v121, v121, v122
	ds_store_b32 v106, v121
.LBB125_52:                             ;   in Loop: Header=BB125_32 Depth=1
	s_wait_alu 0xfffe
	s_or_b32 exec_lo, exec_lo, s18
	v_mov_b32_e32 v121, 0
	s_wait_loadcnt_dscnt 0x0
	s_barrier_signal -1
	s_barrier_wait -1
	global_inv scope:SCOPE_SE
	s_and_saveexec_b32 s18, s9
; %bb.53:                               ;   in Loop: Header=BB125_32 Depth=1
	ds_load_b32 v121, v103
; %bb.54:                               ;   in Loop: Header=BB125_32 Depth=1
	s_wait_alu 0xfffe
	s_or_b32 exec_lo, exec_lo, s18
	s_wait_dscnt 0x0
	v_add_nc_u32_e32 v24, v121, v24
	v_cmp_lt_u32_e32 vcc_lo, 23, v105
	v_readfirstlane_b32 s18, v0
	s_mov_b32 s21, -1
	ds_bpermute_b32 v24, v102, v24
	s_and_b32 vcc_lo, exec_lo, vcc_lo
	s_wait_dscnt 0x0
	v_cndmask_b32_e64 v24, v24, v121, s11
	s_delay_alu instid0(VALU_DEP_1) | instskip(NEXT) | instid1(VALU_DEP_1)
	v_cndmask_b32_e64 v24, v24, 0, s10
	v_add_nc_u32_e32 v25, v24, v25
	s_delay_alu instid0(VALU_DEP_1) | instskip(NEXT) | instid1(VALU_DEP_1)
	v_add_nc_u32_e32 v26, v25, v26
	v_add_nc_u32_e32 v27, v26, v27
	s_delay_alu instid0(VALU_DEP_1) | instskip(NEXT) | instid1(VALU_DEP_1)
	v_add_nc_u32_e32 v121, v27, v28
	;; [unrolled: 3-line block ×3, first 2 shown]
	v_add_nc_u32_e32 v124, v123, v23
	ds_store_b128 v90, v[24:27] offset:64
	ds_store_b128 v90, v[121:124] offset:80
	s_wait_loadcnt_dscnt 0x0
	s_barrier_signal -1
	s_barrier_wait -1
	global_inv scope:SCOPE_SE
	ds_load_b32 v21, v30 offset:64
	ds_load_b32 v22, v33 offset:64
	;; [unrolled: 1-line block ×8, first 2 shown]
	s_wait_dscnt 0x7
	v_add_nc_u32_e32 v124, v21, v29
	s_wait_dscnt 0x6
	v_add3_u32 v123, v32, v31, v22
	s_wait_dscnt 0x5
	v_add3_u32 v122, v35, v34, v23
	;; [unrolled: 2-line block ×7, first 2 shown]
                                        ; implicit-def: $vgpr72
                                        ; implicit-def: $vgpr70
                                        ; implicit-def: $vgpr68
                                        ; implicit-def: $vgpr66
                                        ; implicit-def: $vgpr35_vgpr36
                                        ; implicit-def: $vgpr31_vgpr32
                                        ; implicit-def: $vgpr27_vgpr28
                                        ; implicit-def: $vgpr23_vgpr24
	s_wait_alu 0xfffe
	s_cbranch_vccnz .LBB125_31
; %bb.55:                               ;   in Loop: Header=BB125_32 Depth=1
	v_lshlrev_b32_e32 v21, 2, v124
	v_lshlrev_b32_e32 v22, 2, v123
	;; [unrolled: 1-line block ×3, first 2 shown]
	s_wait_loadcnt 0x0
	s_barrier_signal -1
	s_barrier_wait -1
	global_inv scope:SCOPE_SE
	ds_store_b32 v21, v108
	ds_store_b32 v22, v115
	;; [unrolled: 1-line block ×3, first 2 shown]
	v_lshlrev_b32_e32 v24, 2, v121
	v_add_nc_u32_e32 v21, v21, v21
	v_lshlrev_b32_e32 v25, 2, v120
	v_add_nc_u32_e32 v22, v22, v22
	;; [unrolled: 2-line block ×3, first 2 shown]
	v_lshlrev_b32_e32 v27, 2, v117
	v_lshlrev_b32_e32 v28, 2, v116
	ds_store_b32 v24, v113
	ds_store_b32 v25, v112
	;; [unrolled: 1-line block ×5, first 2 shown]
	s_wait_loadcnt_dscnt 0x0
	s_barrier_signal -1
	s_barrier_wait -1
	global_inv scope:SCOPE_SE
	ds_load_2addr_b32 v[65:66], v91 offset1:32
	ds_load_2addr_b32 v[67:68], v91 offset0:64 offset1:96
	ds_load_2addr_b32 v[69:70], v91 offset0:128 offset1:160
	;; [unrolled: 1-line block ×3, first 2 shown]
	s_wait_loadcnt_dscnt 0x0
	s_barrier_signal -1
	s_barrier_wait -1
	global_inv scope:SCOPE_SE
	ds_store_b64 v21, v[63:64]
	ds_store_b64 v22, v[61:62]
	;; [unrolled: 1-line block ×3, first 2 shown]
	v_add_nc_u32_e32 v21, v24, v24
	v_add_nc_u32_e32 v22, v25, v25
	;; [unrolled: 1-line block ×5, first 2 shown]
	ds_store_b64 v21, v[57:58]
	ds_store_b64 v22, v[55:56]
	;; [unrolled: 1-line block ×5, first 2 shown]
	s_wait_loadcnt_dscnt 0x0
	s_barrier_signal -1
	s_barrier_wait -1
	global_inv scope:SCOPE_SE
	ds_load_2addr_b64 v[21:24], v107 offset1:32
	ds_load_2addr_b64 v[25:28], v107 offset0:64 offset1:96
	ds_load_2addr_b64 v[29:32], v107 offset0:128 offset1:160
	;; [unrolled: 1-line block ×3, first 2 shown]
	v_add_nc_u32_e32 v105, 8, v105
	s_add_co_i32 s18, s20, -8
	s_mov_b32 s21, 0
	s_wait_loadcnt_dscnt 0x0
	s_barrier_signal -1
	s_barrier_wait -1
	global_inv scope:SCOPE_SE
	s_branch .LBB125_31
.LBB125_56:
	v_lshlrev_b64_e32 v[1:2], 3, v[37:38]
	v_dual_mov_b32 v39, v38 :: v_dual_mov_b32 v10, v38
	v_mov_b32_e32 v9, v38
	v_dual_mov_b32 v3, v38 :: v_dual_mov_b32 v6, v38
	s_wait_alu 0xfffe
	s_delay_alu instid0(VALU_DEP_4)
	v_add_co_u32 v1, vcc_lo, s24, v1
	s_wait_alu 0xfffd
	v_add_co_ci_u32_e64 v2, null, s25, v2, vcc_lo
	v_dual_mov_b32 v5, v38 :: v_dual_mov_b32 v8, v38
	v_dual_mov_b32 v7, v38 :: v_dual_mov_b32 v12, v38
	global_load_b64 v[13:14], v[1:2], off
	v_dual_mov_b32 v1, v38 :: v_dual_mov_b32 v4, v38
	v_dual_mov_b32 v2, v38 :: v_dual_mov_b32 v11, v38
	s_or_b32 exec_lo, exec_lo, s8
	s_and_saveexec_b32 s8, s1
	s_cbranch_execz .LBB125_22
.LBB125_57:
	v_mul_lo_u32 v33, s28, v15
	v_mov_b32_e32 v34, 0
	s_delay_alu instid0(VALU_DEP_1) | instskip(NEXT) | instid1(VALU_DEP_1)
	v_lshlrev_b64_e32 v[33:34], 3, v[33:34]
	v_add_co_u32 v33, vcc_lo, s24, v33
	s_wait_alu 0xfffd
	s_delay_alu instid0(VALU_DEP_2)
	v_add_co_ci_u32_e64 v34, null, s25, v34, vcc_lo
	global_load_b64 v[38:39], v[33:34], off
	s_wait_alu 0xfffe
	s_or_b32 exec_lo, exec_lo, s8
	s_and_saveexec_b32 s8, s2
	s_cbranch_execz .LBB125_23
.LBB125_58:
	v_mul_lo_u32 v9, s28, v16
	v_mov_b32_e32 v10, 0
	s_delay_alu instid0(VALU_DEP_1) | instskip(NEXT) | instid1(VALU_DEP_1)
	v_lshlrev_b64_e32 v[9:10], 3, v[9:10]
	v_add_co_u32 v9, vcc_lo, s24, v9
	s_wait_alu 0xfffd
	s_delay_alu instid0(VALU_DEP_2)
	v_add_co_ci_u32_e64 v10, null, s25, v10, vcc_lo
	global_load_b64 v[9:10], v[9:10], off
	s_wait_alu 0xfffe
	s_or_b32 exec_lo, exec_lo, s8
	s_and_saveexec_b32 s8, s3
	s_cbranch_execz .LBB125_24
.LBB125_59:
	v_mul_lo_u32 v1, s28, v19
	v_mov_b32_e32 v2, 0
	s_delay_alu instid0(VALU_DEP_1) | instskip(NEXT) | instid1(VALU_DEP_1)
	v_lshlrev_b64_e32 v[1:2], 3, v[1:2]
	v_add_co_u32 v1, vcc_lo, s24, v1
	s_wait_alu 0xfffd
	s_delay_alu instid0(VALU_DEP_2)
	v_add_co_ci_u32_e64 v2, null, s25, v2, vcc_lo
	global_load_b64 v[1:2], v[1:2], off
	s_wait_alu 0xfffe
	s_or_b32 exec_lo, exec_lo, s8
	s_and_saveexec_b32 s8, s4
	s_cbranch_execz .LBB125_25
.LBB125_60:
	v_mul_lo_u32 v3, s28, v20
	v_mov_b32_e32 v4, 0
	s_delay_alu instid0(VALU_DEP_1) | instskip(NEXT) | instid1(VALU_DEP_1)
	v_lshlrev_b64_e32 v[3:4], 3, v[3:4]
	v_add_co_u32 v3, vcc_lo, s24, v3
	s_wait_alu 0xfffd
	s_delay_alu instid0(VALU_DEP_2)
	v_add_co_ci_u32_e64 v4, null, s25, v4, vcc_lo
	global_load_b64 v[3:4], v[3:4], off
	s_wait_alu 0xfffe
	s_or_b32 exec_lo, exec_lo, s8
	s_and_saveexec_b32 s8, s5
	s_cbranch_execz .LBB125_26
.LBB125_61:
	v_mul_lo_u32 v5, s28, v21
	v_mov_b32_e32 v6, 0
	s_delay_alu instid0(VALU_DEP_1) | instskip(NEXT) | instid1(VALU_DEP_1)
	v_lshlrev_b64_e32 v[5:6], 3, v[5:6]
	v_add_co_u32 v5, vcc_lo, s24, v5
	s_wait_alu 0xfffd
	s_delay_alu instid0(VALU_DEP_2)
	v_add_co_ci_u32_e64 v6, null, s25, v6, vcc_lo
	global_load_b64 v[5:6], v[5:6], off
	s_wait_alu 0xfffe
	s_or_b32 exec_lo, exec_lo, s8
	s_and_saveexec_b32 s8, s6
	s_cbranch_execz .LBB125_27
.LBB125_62:
	v_mul_lo_u32 v7, s28, v22
	v_mov_b32_e32 v8, 0
	s_delay_alu instid0(VALU_DEP_1) | instskip(NEXT) | instid1(VALU_DEP_1)
	v_lshlrev_b64_e32 v[7:8], 3, v[7:8]
	v_add_co_u32 v7, vcc_lo, s24, v7
	s_wait_alu 0xfffd
	s_delay_alu instid0(VALU_DEP_2)
	v_add_co_ci_u32_e64 v8, null, s25, v8, vcc_lo
	global_load_b64 v[7:8], v[7:8], off
	s_wait_alu 0xfffe
	s_or_b32 exec_lo, exec_lo, s8
	s_xor_b32 s8, s12, -1
	s_and_saveexec_b32 s9, s7
	s_cbranch_execnz .LBB125_28
	s_branch .LBB125_29
.LBB125_63:
                                        ; implicit-def: $vgpr52
                                        ; implicit-def: $vgpr39
                                        ; implicit-def: $vgpr51
                                        ; implicit-def: $vgpr36
                                        ; implicit-def: $vgpr38
                                        ; implicit-def: $vgpr34
                                        ; implicit-def: $vgpr35
                                        ; implicit-def: $vgpr33
                                        ; implicit-def: $vgpr19_vgpr20
                                        ; implicit-def: $vgpr23_vgpr24
                                        ; implicit-def: $vgpr27_vgpr28
                                        ; implicit-def: $vgpr31_vgpr32
	s_and_b32 vcc_lo, exec_lo, s11
	s_wait_alu 0xfffe
	s_cbranch_vccnz .LBB125_65
	s_branch .LBB125_92
.LBB125_64:
	v_lshlrev_b32_e32 v17, 2, v124
	v_lshlrev_b32_e32 v18, 2, v123
	;; [unrolled: 1-line block ×3, first 2 shown]
	s_wait_loadcnt 0x0
	s_barrier_signal -1
	s_barrier_wait -1
	global_inv scope:SCOPE_SE
	ds_store_b32 v17, v108
	ds_store_b32 v18, v115
	;; [unrolled: 1-line block ×3, first 2 shown]
	v_lshlrev_b32_e32 v20, 2, v121
	v_add_nc_u32_e32 v17, v17, v17
	v_lshlrev_b32_e32 v21, 2, v120
	v_add_nc_u32_e32 v18, v18, v18
	;; [unrolled: 2-line block ×3, first 2 shown]
	v_lshlrev_b32_e32 v23, 2, v117
	v_lshlrev_b32_e32 v24, 2, v116
	ds_store_b32 v20, v113
	ds_store_b32 v21, v112
	;; [unrolled: 1-line block ×5, first 2 shown]
	s_wait_loadcnt_dscnt 0x0
	s_barrier_signal -1
	s_barrier_wait -1
	global_inv scope:SCOPE_SE
	ds_load_b128 v[65:68], v90
	ds_load_b128 v[69:72], v90 offset:16
	s_wait_loadcnt_dscnt 0x0
	s_barrier_signal -1
	s_barrier_wait -1
	global_inv scope:SCOPE_SE
	ds_store_b64 v17, v[63:64]
	ds_store_b64 v18, v[61:62]
	;; [unrolled: 1-line block ×3, first 2 shown]
	v_add_nc_u32_e32 v17, v20, v20
	v_add_nc_u32_e32 v18, v21, v21
	;; [unrolled: 1-line block ×5, first 2 shown]
	ds_store_b64 v17, v[57:58]
	ds_store_b64 v18, v[55:56]
	;; [unrolled: 1-line block ×5, first 2 shown]
	v_lshl_add_u32 v17, v42, 5, v90
	s_wait_loadcnt_dscnt 0x0
	s_barrier_signal -1
	s_barrier_wait -1
	global_inv scope:SCOPE_SE
	ds_load_b128 v[29:32], v17
	ds_load_b128 v[25:28], v17 offset:16
	ds_load_b128 v[21:24], v17 offset:32
	;; [unrolled: 1-line block ×3, first 2 shown]
	v_xor_b32_e32 v33, 0x80000000, v65
	v_xor_b32_e32 v35, 0x80000000, v66
	;; [unrolled: 1-line block ×8, first 2 shown]
	s_branch .LBB125_92
.LBB125_65:
	s_wait_dscnt 0x0
	v_xor_b32_e32 v17, 0x7fffffff, v49
	v_xor_b32_e32 v18, 0x7fffffff, v50
	;; [unrolled: 1-line block ×8, first 2 shown]
	ds_store_b128 v101, v[17:20]
	ds_store_b128 v101, v[21:24] offset:16
	v_lshl_add_u32 v17, v100, 2, v101
	; wave barrier
	ds_load_2addr_b32 v[38:39], v91 offset1:32
	ds_load_2addr_b32 v[43:44], v91 offset0:64 offset1:96
	ds_load_2addr_b32 v[45:46], v91 offset0:128 offset1:160
	;; [unrolled: 1-line block ×3, first 2 shown]
	s_wait_loadcnt_dscnt 0x0
	s_barrier_signal -1
	s_barrier_wait -1
	global_inv scope:SCOPE_SE
	ds_store_b128 v17, v[5:8]
	ds_store_b128 v17, v[1:4] offset:16
	ds_store_b128 v17, v[13:16] offset:32
	;; [unrolled: 1-line block ×3, first 2 shown]
	; wave barrier
	ds_load_2addr_b64 v[4:7], v99 offset1:32
	ds_load_2addr_b64 v[8:11], v99 offset0:64 offset1:96
	ds_load_2addr_b64 v[12:15], v99 offset0:128 offset1:160
	;; [unrolled: 1-line block ×3, first 2 shown]
	s_wait_loadcnt_dscnt 0x0
	s_barrier_signal -1
	s_barrier_wait -1
	global_inv scope:SCOPE_SE
	s_load_b32 s10, s[34:35], 0xc
	s_getpc_b64 s[8:9]
	s_wait_alu 0xfffe
	s_sext_i32_i16 s9, s9
	s_add_co_u32 s8, s8, _ZN7rocprim17ROCPRIM_400000_NS16block_radix_sortIiLj512ELj8ElLj1ELj1ELj0ELNS0_26block_radix_rank_algorithmE1ELNS0_18block_padding_hintE2ELNS0_4arch9wavefront6targetE0EE19radix_bits_per_passE@rel32@lo+12
	s_wait_alu 0xfffe
	s_add_co_ci_u32 s9, s9, _ZN7rocprim17ROCPRIM_400000_NS16block_radix_sortIiLj512ELj8ElLj1ELj1ELj0ELNS0_26block_radix_rank_algorithmE1ELNS0_18block_padding_hintE2ELNS0_4arch9wavefront6targetE0EE19radix_bits_per_passE@rel32@hi+24
	v_or_b32_e32 v3, 31, v96
	s_load_b32 s19, s[8:9], 0x0
	v_cmp_lt_u32_e64 s9, 1, v0
	v_cmp_lt_u32_e64 s12, 7, v0
	s_mov_b32 s20, 0
	v_cmp_eq_u32_e64 s14, v42, v3
	s_mov_b32 s21, s20
	s_mov_b32 s22, s20
	;; [unrolled: 1-line block ×3, first 2 shown]
	v_cmp_eq_u32_e64 s13, 0, v95
	v_cmp_gt_u32_e64 s15, 16, v42
	v_cmp_lt_u32_e64 s16, 31, v42
	v_cmp_eq_u32_e64 s17, 0, v42
	v_add_nc_u32_e32 v52, v90, v94
	v_add_nc_u32_e32 v49, -4, v92
	v_mov_b32_e32 v51, 0
	v_add_nc_u32_e32 v53, v91, v91
	s_wait_kmcnt 0x0
	s_lshr_b32 s11, s10, 16
	s_and_b32 s8, s10, 0xffff
	s_wait_alu 0xfffe
	v_mad_u32_u24 v1, v98, s11, v97
	v_cmp_lt_u32_e64 s11, 3, v0
	s_delay_alu instid0(VALU_DEP_2) | instskip(SKIP_2) | instid1(VALU_DEP_2)
	v_mad_co_u64_u32 v[1:2], null, v1, s8, v[42:43]
	v_sub_co_u32 v2, s10, v93, 1
	v_cmp_eq_u32_e64 s8, 0, v0
	v_cmp_gt_i32_e32 vcc_lo, 0, v2
	s_delay_alu instid0(VALU_DEP_4) | instskip(SKIP_2) | instid1(VALU_DEP_2)
	v_lshrrev_b32_e32 v1, 3, v1
	s_wait_alu 0xfffd
	v_cndmask_b32_e32 v0, v2, v93, vcc_lo
	v_and_b32_e32 v50, 0x1ffffffc, v1
	s_delay_alu instid0(VALU_DEP_2)
	v_lshlrev_b32_e32 v36, 2, v0
	v_dual_mov_b32 v0, s20 :: v_dual_mov_b32 v3, s23
	v_dual_mov_b32 v1, s21 :: v_dual_mov_b32 v2, s22
	s_mov_b32 s20, 32
	s_branch .LBB125_67
.LBB125_66:                             ;   in Loop: Header=BB125_67 Depth=1
	s_wait_alu 0xfffe
	s_and_not1_b32 vcc_lo, exec_lo, s21
	s_mov_b32 s20, s18
	s_wait_alu 0xfffe
	s_cbranch_vccz .LBB125_91
.LBB125_67:                             ; =>This Inner Loop Header: Depth=1
	v_dual_mov_b32 v54, v38 :: v_dual_mov_b32 v55, v48
	s_wait_alu 0xfffe
	s_min_u32 s18, s19, s20
	ds_store_b128 v90, v[0:3] offset:64
	ds_store_b128 v90, v[0:3] offset:80
	s_wait_alu 0xfffe
	s_lshl_b32 s18, -1, s18
	v_lshrrev_b32_e32 v20, v51, v54
	s_wait_alu 0xfffe
	s_not_b32 s21, s18
	s_wait_loadcnt_dscnt 0x0
	s_barrier_signal -1
	s_barrier_wait -1
	s_wait_alu 0xfffe
	v_dual_mov_b32 v57, v46 :: v_dual_and_b32 v38, s21, v20
	v_mov_b32_e32 v56, v47
	global_inv scope:SCOPE_SE
	v_dual_mov_b32 v59, v44 :: v_dual_and_b32 v20, 1, v38
	v_lshlrev_b32_e32 v21, 30, v38
	v_dual_mov_b32 v61, v39 :: v_dual_lshlrev_b32 v22, 29, v38
	s_delay_alu instid0(VALU_DEP_3)
	v_add_co_u32 v20, s18, v20, -1
	s_wait_alu 0xf1ff
	v_cndmask_b32_e64 v24, 0, 1, s18
	v_not_b32_e32 v28, v21
	v_dual_mov_b32 v58, v45 :: v_dual_lshlrev_b32 v23, 28, v38
	v_cmp_gt_i32_e64 s18, 0, v21
	s_delay_alu instid0(VALU_DEP_4)
	v_cmp_ne_u32_e32 vcc_lo, 0, v24
	v_not_b32_e32 v21, v22
	v_ashrrev_i32_e32 v28, 31, v28
	v_dual_mov_b32 v60, v43 :: v_dual_lshlrev_b32 v25, 27, v38
	s_wait_alu 0xfffd
	v_xor_b32_e32 v20, vcc_lo, v20
	v_cmp_gt_i32_e32 vcc_lo, 0, v22
	v_not_b32_e32 v22, v23
	v_ashrrev_i32_e32 v21, 31, v21
	s_wait_alu 0xf1ff
	v_xor_b32_e32 v28, s18, v28
	v_and_b32_e32 v20, exec_lo, v20
	v_lshlrev_b32_e32 v26, 26, v38
	v_cmp_gt_i32_e64 s18, 0, v23
	v_not_b32_e32 v23, v25
	v_ashrrev_i32_e32 v22, 31, v22
	s_wait_alu 0xfffd
	v_xor_b32_e32 v21, vcc_lo, v21
	v_and_b32_e32 v20, v20, v28
	v_lshlrev_b32_e32 v27, 25, v38
	v_cmp_gt_i32_e32 vcc_lo, 0, v25
	v_not_b32_e32 v25, v26
	v_ashrrev_i32_e32 v23, 31, v23
	s_wait_alu 0xf1ff
	v_xor_b32_e32 v22, s18, v22
	v_and_b32_e32 v20, v20, v21
	v_lshlrev_b32_e32 v24, 24, v38
	v_cmp_gt_i32_e64 s18, 0, v26
	v_not_b32_e32 v21, v27
	v_ashrrev_i32_e32 v25, 31, v25
	s_wait_alu 0xfffd
	v_xor_b32_e32 v23, vcc_lo, v23
	v_dual_mov_b32 v31, v9 :: v_dual_and_b32 v20, v20, v22
	v_cmp_gt_i32_e32 vcc_lo, 0, v27
	v_not_b32_e32 v22, v24
	v_ashrrev_i32_e32 v21, 31, v21
	s_wait_alu 0xf1ff
	v_xor_b32_e32 v25, s18, v25
	v_dual_mov_b32 v33, v7 :: v_dual_and_b32 v20, v20, v23
	v_cmp_gt_i32_e64 s18, 0, v24
	v_ashrrev_i32_e32 v22, 31, v22
	s_wait_alu 0xfffd
	v_xor_b32_e32 v21, vcc_lo, v21
	v_dual_mov_b32 v35, v5 :: v_dual_and_b32 v20, v20, v25
	v_mov_b32_e32 v25, v15
	s_wait_alu 0xf1ff
	v_xor_b32_e32 v28, s18, v22
	s_delay_alu instid0(VALU_DEP_3) | instskip(SKIP_3) | instid1(VALU_DEP_4)
	v_dual_mov_b32 v24, v14 :: v_dual_and_b32 v29, v20, v21
	v_dual_mov_b32 v27, v13 :: v_dual_mov_b32 v26, v12
	v_mov_b32_e32 v34, v4
	v_lshlrev_b32_e32 v4, 6, v38
	v_dual_mov_b32 v21, v19 :: v_dual_and_b32 v14, v29, v28
	v_mov_b32_e32 v23, v17
	v_dual_mov_b32 v29, v11 :: v_dual_mov_b32 v20, v18
	s_delay_alu instid0(VALU_DEP_3) | instskip(SKIP_3) | instid1(VALU_DEP_4)
	v_mbcnt_lo_u32_b32 v12, v14, 0
	v_cmp_ne_u32_e64 s18, 0, v14
	v_dual_mov_b32 v22, v16 :: v_dual_add_nc_u32 v13, v50, v4
	v_mov_b32_e32 v28, v10
	v_cmp_eq_u32_e32 vcc_lo, 0, v12
	v_mov_b32_e32 v30, v8
	v_mov_b32_e32 v32, v6
	; wave barrier
	s_and_b32 s22, s18, vcc_lo
	s_wait_alu 0xfffe
	s_and_saveexec_b32 s18, s22
; %bb.68:                               ;   in Loop: Header=BB125_67 Depth=1
	v_bcnt_u32_b32 v4, v14, 0
	ds_store_b32 v13, v4 offset:64
; %bb.69:                               ;   in Loop: Header=BB125_67 Depth=1
	s_wait_alu 0xfffe
	s_or_b32 exec_lo, exec_lo, s18
	v_lshrrev_b32_e32 v4, v51, v61
	; wave barrier
	s_delay_alu instid0(VALU_DEP_1) | instskip(NEXT) | instid1(VALU_DEP_1)
	v_and_b32_e32 v4, s21, v4
	v_and_b32_e32 v5, 1, v4
	v_lshlrev_b32_e32 v6, 30, v4
	v_lshlrev_b32_e32 v7, 29, v4
	v_lshlrev_b32_e32 v8, 28, v4
	v_lshlrev_b32_e32 v10, 27, v4
	v_add_co_u32 v5, s18, v5, -1
	s_wait_alu 0xf1ff
	v_cndmask_b32_e64 v9, 0, 1, s18
	v_not_b32_e32 v15, v6
	v_cmp_gt_i32_e64 s18, 0, v6
	v_not_b32_e32 v6, v7
	v_lshlrev_b32_e32 v11, 26, v4
	v_cmp_ne_u32_e32 vcc_lo, 0, v9
	v_ashrrev_i32_e32 v15, 31, v15
	v_lshlrev_b32_e32 v14, 25, v4
	v_ashrrev_i32_e32 v6, 31, v6
	v_lshlrev_b32_e32 v9, 24, v4
	s_wait_alu 0xfffd
	v_xor_b32_e32 v5, vcc_lo, v5
	v_cmp_gt_i32_e32 vcc_lo, 0, v7
	v_not_b32_e32 v7, v8
	s_wait_alu 0xf1ff
	v_xor_b32_e32 v15, s18, v15
	v_cmp_gt_i32_e64 s18, 0, v8
	v_and_b32_e32 v5, exec_lo, v5
	v_not_b32_e32 v8, v10
	v_ashrrev_i32_e32 v7, 31, v7
	s_wait_alu 0xfffd
	v_xor_b32_e32 v6, vcc_lo, v6
	v_cmp_gt_i32_e32 vcc_lo, 0, v10
	v_and_b32_e32 v5, v5, v15
	v_not_b32_e32 v10, v11
	v_ashrrev_i32_e32 v8, 31, v8
	s_wait_alu 0xf1ff
	v_xor_b32_e32 v7, s18, v7
	v_cmp_gt_i32_e64 s18, 0, v11
	v_and_b32_e32 v5, v5, v6
	v_not_b32_e32 v6, v14
	v_ashrrev_i32_e32 v10, 31, v10
	s_wait_alu 0xfffd
	v_xor_b32_e32 v8, vcc_lo, v8
	v_cmp_gt_i32_e32 vcc_lo, 0, v14
	v_and_b32_e32 v5, v5, v7
	v_not_b32_e32 v7, v9
	v_ashrrev_i32_e32 v6, 31, v6
	s_wait_alu 0xf1ff
	v_xor_b32_e32 v10, s18, v10
	v_lshlrev_b32_e32 v4, 6, v4
	v_and_b32_e32 v5, v5, v8
	v_cmp_gt_i32_e64 s18, 0, v9
	v_ashrrev_i32_e32 v7, 31, v7
	s_wait_alu 0xfffd
	v_xor_b32_e32 v6, vcc_lo, v6
	v_add_nc_u32_e32 v16, v50, v4
	v_and_b32_e32 v5, v5, v10
	s_wait_alu 0xf1ff
	v_xor_b32_e32 v4, s18, v7
	ds_load_b32 v14, v16 offset:64
	v_and_b32_e32 v5, v5, v6
	; wave barrier
	s_delay_alu instid0(VALU_DEP_1) | instskip(NEXT) | instid1(VALU_DEP_1)
	v_and_b32_e32 v4, v5, v4
	v_mbcnt_lo_u32_b32 v15, v4, 0
	v_cmp_ne_u32_e64 s18, 0, v4
	s_delay_alu instid0(VALU_DEP_2)
	v_cmp_eq_u32_e32 vcc_lo, 0, v15
	s_and_b32 s22, s18, vcc_lo
	s_wait_alu 0xfffe
	s_and_saveexec_b32 s18, s22
	s_cbranch_execz .LBB125_71
; %bb.70:                               ;   in Loop: Header=BB125_67 Depth=1
	s_wait_dscnt 0x0
	v_bcnt_u32_b32 v4, v4, v14
	ds_store_b32 v16, v4 offset:64
.LBB125_71:                             ;   in Loop: Header=BB125_67 Depth=1
	s_wait_alu 0xfffe
	s_or_b32 exec_lo, exec_lo, s18
	v_lshrrev_b32_e32 v4, v51, v60
	; wave barrier
	s_delay_alu instid0(VALU_DEP_1) | instskip(NEXT) | instid1(VALU_DEP_1)
	v_and_b32_e32 v4, s21, v4
	v_and_b32_e32 v5, 1, v4
	v_lshlrev_b32_e32 v6, 30, v4
	v_lshlrev_b32_e32 v7, 29, v4
	;; [unrolled: 1-line block ×4, first 2 shown]
	v_add_co_u32 v5, s18, v5, -1
	s_wait_alu 0xf1ff
	v_cndmask_b32_e64 v9, 0, 1, s18
	v_not_b32_e32 v18, v6
	v_cmp_gt_i32_e64 s18, 0, v6
	v_not_b32_e32 v6, v7
	v_lshlrev_b32_e32 v11, 26, v4
	v_cmp_ne_u32_e32 vcc_lo, 0, v9
	v_ashrrev_i32_e32 v18, 31, v18
	v_lshlrev_b32_e32 v17, 25, v4
	v_ashrrev_i32_e32 v6, 31, v6
	v_lshlrev_b32_e32 v9, 24, v4
	s_wait_alu 0xfffd
	v_xor_b32_e32 v5, vcc_lo, v5
	v_cmp_gt_i32_e32 vcc_lo, 0, v7
	v_not_b32_e32 v7, v8
	s_wait_alu 0xf1ff
	v_xor_b32_e32 v18, s18, v18
	v_cmp_gt_i32_e64 s18, 0, v8
	v_and_b32_e32 v5, exec_lo, v5
	v_not_b32_e32 v8, v10
	v_ashrrev_i32_e32 v7, 31, v7
	s_wait_alu 0xfffd
	v_xor_b32_e32 v6, vcc_lo, v6
	v_cmp_gt_i32_e32 vcc_lo, 0, v10
	v_and_b32_e32 v5, v5, v18
	v_not_b32_e32 v10, v11
	v_ashrrev_i32_e32 v8, 31, v8
	s_wait_alu 0xf1ff
	v_xor_b32_e32 v7, s18, v7
	v_cmp_gt_i32_e64 s18, 0, v11
	v_and_b32_e32 v5, v5, v6
	v_not_b32_e32 v6, v17
	v_ashrrev_i32_e32 v10, 31, v10
	s_wait_alu 0xfffd
	v_xor_b32_e32 v8, vcc_lo, v8
	v_cmp_gt_i32_e32 vcc_lo, 0, v17
	v_and_b32_e32 v5, v5, v7
	v_not_b32_e32 v7, v9
	v_ashrrev_i32_e32 v6, 31, v6
	s_wait_alu 0xf1ff
	v_xor_b32_e32 v10, s18, v10
	v_lshlrev_b32_e32 v4, 6, v4
	v_and_b32_e32 v5, v5, v8
	v_cmp_gt_i32_e64 s18, 0, v9
	v_ashrrev_i32_e32 v7, 31, v7
	s_wait_alu 0xfffd
	v_xor_b32_e32 v6, vcc_lo, v6
	v_add_nc_u32_e32 v19, v50, v4
	v_and_b32_e32 v5, v5, v10
	s_wait_alu 0xf1ff
	v_xor_b32_e32 v4, s18, v7
	ds_load_b32 v17, v19 offset:64
	v_and_b32_e32 v5, v5, v6
	; wave barrier
	s_delay_alu instid0(VALU_DEP_1) | instskip(NEXT) | instid1(VALU_DEP_1)
	v_and_b32_e32 v4, v5, v4
	v_mbcnt_lo_u32_b32 v18, v4, 0
	v_cmp_ne_u32_e64 s18, 0, v4
	s_delay_alu instid0(VALU_DEP_2)
	v_cmp_eq_u32_e32 vcc_lo, 0, v18
	s_and_b32 s22, s18, vcc_lo
	s_wait_alu 0xfffe
	s_and_saveexec_b32 s18, s22
	s_cbranch_execz .LBB125_73
; %bb.72:                               ;   in Loop: Header=BB125_67 Depth=1
	s_wait_dscnt 0x0
	v_bcnt_u32_b32 v4, v4, v17
	ds_store_b32 v19, v4 offset:64
.LBB125_73:                             ;   in Loop: Header=BB125_67 Depth=1
	s_wait_alu 0xfffe
	s_or_b32 exec_lo, exec_lo, s18
	v_lshrrev_b32_e32 v4, v51, v59
	; wave barrier
	s_delay_alu instid0(VALU_DEP_1) | instskip(NEXT) | instid1(VALU_DEP_1)
	v_and_b32_e32 v4, s21, v4
	v_and_b32_e32 v5, 1, v4
	v_lshlrev_b32_e32 v6, 30, v4
	v_lshlrev_b32_e32 v7, 29, v4
	;; [unrolled: 1-line block ×4, first 2 shown]
	v_add_co_u32 v5, s18, v5, -1
	s_wait_alu 0xf1ff
	v_cndmask_b32_e64 v9, 0, 1, s18
	v_not_b32_e32 v39, v6
	v_cmp_gt_i32_e64 s18, 0, v6
	v_not_b32_e32 v6, v7
	v_lshlrev_b32_e32 v11, 26, v4
	v_cmp_ne_u32_e32 vcc_lo, 0, v9
	v_ashrrev_i32_e32 v39, 31, v39
	v_lshlrev_b32_e32 v38, 25, v4
	v_ashrrev_i32_e32 v6, 31, v6
	v_lshlrev_b32_e32 v9, 24, v4
	s_wait_alu 0xfffd
	v_xor_b32_e32 v5, vcc_lo, v5
	v_cmp_gt_i32_e32 vcc_lo, 0, v7
	v_not_b32_e32 v7, v8
	s_wait_alu 0xf1ff
	v_xor_b32_e32 v39, s18, v39
	v_cmp_gt_i32_e64 s18, 0, v8
	v_and_b32_e32 v5, exec_lo, v5
	v_not_b32_e32 v8, v10
	v_ashrrev_i32_e32 v7, 31, v7
	s_wait_alu 0xfffd
	v_xor_b32_e32 v6, vcc_lo, v6
	v_cmp_gt_i32_e32 vcc_lo, 0, v10
	v_and_b32_e32 v5, v5, v39
	v_not_b32_e32 v10, v11
	v_ashrrev_i32_e32 v8, 31, v8
	s_wait_alu 0xf1ff
	v_xor_b32_e32 v7, s18, v7
	v_cmp_gt_i32_e64 s18, 0, v11
	v_and_b32_e32 v5, v5, v6
	v_not_b32_e32 v6, v38
	v_ashrrev_i32_e32 v10, 31, v10
	s_wait_alu 0xfffd
	v_xor_b32_e32 v8, vcc_lo, v8
	v_cmp_gt_i32_e32 vcc_lo, 0, v38
	v_and_b32_e32 v5, v5, v7
	v_not_b32_e32 v7, v9
	v_ashrrev_i32_e32 v6, 31, v6
	s_wait_alu 0xf1ff
	v_xor_b32_e32 v10, s18, v10
	v_lshlrev_b32_e32 v4, 6, v4
	v_and_b32_e32 v5, v5, v8
	v_cmp_gt_i32_e64 s18, 0, v9
	v_ashrrev_i32_e32 v7, 31, v7
	s_wait_alu 0xfffd
	v_xor_b32_e32 v6, vcc_lo, v6
	v_add_nc_u32_e32 v43, v50, v4
	v_and_b32_e32 v5, v5, v10
	s_wait_alu 0xf1ff
	v_xor_b32_e32 v4, s18, v7
	ds_load_b32 v38, v43 offset:64
	v_and_b32_e32 v5, v5, v6
	; wave barrier
	s_delay_alu instid0(VALU_DEP_1) | instskip(NEXT) | instid1(VALU_DEP_1)
	v_and_b32_e32 v4, v5, v4
	v_mbcnt_lo_u32_b32 v39, v4, 0
	v_cmp_ne_u32_e64 s18, 0, v4
	s_delay_alu instid0(VALU_DEP_2)
	v_cmp_eq_u32_e32 vcc_lo, 0, v39
	s_and_b32 s22, s18, vcc_lo
	s_wait_alu 0xfffe
	s_and_saveexec_b32 s18, s22
	s_cbranch_execz .LBB125_75
; %bb.74:                               ;   in Loop: Header=BB125_67 Depth=1
	s_wait_dscnt 0x0
	v_bcnt_u32_b32 v4, v4, v38
	ds_store_b32 v43, v4 offset:64
.LBB125_75:                             ;   in Loop: Header=BB125_67 Depth=1
	s_wait_alu 0xfffe
	s_or_b32 exec_lo, exec_lo, s18
	v_lshrrev_b32_e32 v4, v51, v58
	; wave barrier
	s_delay_alu instid0(VALU_DEP_1) | instskip(NEXT) | instid1(VALU_DEP_1)
	v_and_b32_e32 v4, s21, v4
	v_and_b32_e32 v5, 1, v4
	v_lshlrev_b32_e32 v6, 30, v4
	v_lshlrev_b32_e32 v7, 29, v4
	v_lshlrev_b32_e32 v8, 28, v4
	v_lshlrev_b32_e32 v10, 27, v4
	v_add_co_u32 v5, s18, v5, -1
	s_wait_alu 0xf1ff
	v_cndmask_b32_e64 v9, 0, 1, s18
	v_not_b32_e32 v45, v6
	v_cmp_gt_i32_e64 s18, 0, v6
	v_not_b32_e32 v6, v7
	v_lshlrev_b32_e32 v11, 26, v4
	v_cmp_ne_u32_e32 vcc_lo, 0, v9
	v_ashrrev_i32_e32 v45, 31, v45
	v_lshlrev_b32_e32 v44, 25, v4
	v_ashrrev_i32_e32 v6, 31, v6
	v_lshlrev_b32_e32 v9, 24, v4
	s_wait_alu 0xfffd
	v_xor_b32_e32 v5, vcc_lo, v5
	v_cmp_gt_i32_e32 vcc_lo, 0, v7
	v_not_b32_e32 v7, v8
	s_wait_alu 0xf1ff
	v_xor_b32_e32 v45, s18, v45
	v_cmp_gt_i32_e64 s18, 0, v8
	v_and_b32_e32 v5, exec_lo, v5
	v_not_b32_e32 v8, v10
	v_ashrrev_i32_e32 v7, 31, v7
	s_wait_alu 0xfffd
	v_xor_b32_e32 v6, vcc_lo, v6
	v_cmp_gt_i32_e32 vcc_lo, 0, v10
	v_and_b32_e32 v5, v5, v45
	v_not_b32_e32 v10, v11
	v_ashrrev_i32_e32 v8, 31, v8
	s_wait_alu 0xf1ff
	v_xor_b32_e32 v7, s18, v7
	v_cmp_gt_i32_e64 s18, 0, v11
	v_and_b32_e32 v5, v5, v6
	v_not_b32_e32 v6, v44
	v_ashrrev_i32_e32 v10, 31, v10
	s_wait_alu 0xfffd
	v_xor_b32_e32 v8, vcc_lo, v8
	v_cmp_gt_i32_e32 vcc_lo, 0, v44
	v_and_b32_e32 v5, v5, v7
	v_not_b32_e32 v7, v9
	v_ashrrev_i32_e32 v6, 31, v6
	s_wait_alu 0xf1ff
	v_xor_b32_e32 v10, s18, v10
	v_lshlrev_b32_e32 v4, 6, v4
	v_and_b32_e32 v5, v5, v8
	v_cmp_gt_i32_e64 s18, 0, v9
	v_ashrrev_i32_e32 v7, 31, v7
	s_wait_alu 0xfffd
	v_xor_b32_e32 v6, vcc_lo, v6
	v_add_nc_u32_e32 v46, v50, v4
	v_and_b32_e32 v5, v5, v10
	s_wait_alu 0xf1ff
	v_xor_b32_e32 v4, s18, v7
	ds_load_b32 v44, v46 offset:64
	v_and_b32_e32 v5, v5, v6
	; wave barrier
	s_delay_alu instid0(VALU_DEP_1) | instskip(NEXT) | instid1(VALU_DEP_1)
	v_and_b32_e32 v4, v5, v4
	v_mbcnt_lo_u32_b32 v45, v4, 0
	v_cmp_ne_u32_e64 s18, 0, v4
	s_delay_alu instid0(VALU_DEP_2)
	v_cmp_eq_u32_e32 vcc_lo, 0, v45
	s_and_b32 s22, s18, vcc_lo
	s_wait_alu 0xfffe
	s_and_saveexec_b32 s18, s22
	s_cbranch_execz .LBB125_77
; %bb.76:                               ;   in Loop: Header=BB125_67 Depth=1
	s_wait_dscnt 0x0
	v_bcnt_u32_b32 v4, v4, v44
	ds_store_b32 v46, v4 offset:64
.LBB125_77:                             ;   in Loop: Header=BB125_67 Depth=1
	s_wait_alu 0xfffe
	s_or_b32 exec_lo, exec_lo, s18
	v_lshrrev_b32_e32 v4, v51, v57
	; wave barrier
	s_delay_alu instid0(VALU_DEP_1) | instskip(NEXT) | instid1(VALU_DEP_1)
	v_and_b32_e32 v4, s21, v4
	v_and_b32_e32 v5, 1, v4
	v_lshlrev_b32_e32 v6, 30, v4
	v_lshlrev_b32_e32 v7, 29, v4
	;; [unrolled: 1-line block ×4, first 2 shown]
	v_add_co_u32 v5, s18, v5, -1
	s_wait_alu 0xf1ff
	v_cndmask_b32_e64 v9, 0, 1, s18
	v_not_b32_e32 v48, v6
	v_cmp_gt_i32_e64 s18, 0, v6
	v_not_b32_e32 v6, v7
	v_lshlrev_b32_e32 v11, 26, v4
	v_cmp_ne_u32_e32 vcc_lo, 0, v9
	v_ashrrev_i32_e32 v48, 31, v48
	v_lshlrev_b32_e32 v47, 25, v4
	v_ashrrev_i32_e32 v6, 31, v6
	v_lshlrev_b32_e32 v9, 24, v4
	s_wait_alu 0xfffd
	v_xor_b32_e32 v5, vcc_lo, v5
	v_cmp_gt_i32_e32 vcc_lo, 0, v7
	v_not_b32_e32 v7, v8
	s_wait_alu 0xf1ff
	v_xor_b32_e32 v48, s18, v48
	v_cmp_gt_i32_e64 s18, 0, v8
	v_and_b32_e32 v5, exec_lo, v5
	v_not_b32_e32 v8, v10
	v_ashrrev_i32_e32 v7, 31, v7
	s_wait_alu 0xfffd
	v_xor_b32_e32 v6, vcc_lo, v6
	v_cmp_gt_i32_e32 vcc_lo, 0, v10
	v_and_b32_e32 v5, v5, v48
	v_not_b32_e32 v10, v11
	v_ashrrev_i32_e32 v8, 31, v8
	s_wait_alu 0xf1ff
	v_xor_b32_e32 v7, s18, v7
	v_cmp_gt_i32_e64 s18, 0, v11
	v_and_b32_e32 v5, v5, v6
	v_not_b32_e32 v6, v47
	v_ashrrev_i32_e32 v10, 31, v10
	s_wait_alu 0xfffd
	v_xor_b32_e32 v8, vcc_lo, v8
	v_cmp_gt_i32_e32 vcc_lo, 0, v47
	v_and_b32_e32 v5, v5, v7
	v_not_b32_e32 v7, v9
	v_ashrrev_i32_e32 v6, 31, v6
	s_wait_alu 0xf1ff
	v_xor_b32_e32 v10, s18, v10
	v_lshlrev_b32_e32 v4, 6, v4
	v_and_b32_e32 v5, v5, v8
	v_cmp_gt_i32_e64 s18, 0, v9
	v_ashrrev_i32_e32 v7, 31, v7
	s_wait_alu 0xfffd
	v_xor_b32_e32 v6, vcc_lo, v6
	v_add_nc_u32_e32 v62, v50, v4
	v_and_b32_e32 v5, v5, v10
	s_wait_alu 0xf1ff
	v_xor_b32_e32 v4, s18, v7
	ds_load_b32 v47, v62 offset:64
	v_and_b32_e32 v5, v5, v6
	; wave barrier
	s_delay_alu instid0(VALU_DEP_1) | instskip(NEXT) | instid1(VALU_DEP_1)
	v_and_b32_e32 v4, v5, v4
	v_mbcnt_lo_u32_b32 v48, v4, 0
	v_cmp_ne_u32_e64 s18, 0, v4
	s_delay_alu instid0(VALU_DEP_2)
	v_cmp_eq_u32_e32 vcc_lo, 0, v48
	s_and_b32 s22, s18, vcc_lo
	s_wait_alu 0xfffe
	s_and_saveexec_b32 s18, s22
	s_cbranch_execz .LBB125_79
; %bb.78:                               ;   in Loop: Header=BB125_67 Depth=1
	s_wait_dscnt 0x0
	v_bcnt_u32_b32 v4, v4, v47
	ds_store_b32 v62, v4 offset:64
.LBB125_79:                             ;   in Loop: Header=BB125_67 Depth=1
	s_wait_alu 0xfffe
	s_or_b32 exec_lo, exec_lo, s18
	v_lshrrev_b32_e32 v4, v51, v56
	; wave barrier
	s_delay_alu instid0(VALU_DEP_1) | instskip(NEXT) | instid1(VALU_DEP_1)
	v_and_b32_e32 v4, s21, v4
	v_and_b32_e32 v5, 1, v4
	v_lshlrev_b32_e32 v6, 30, v4
	v_lshlrev_b32_e32 v7, 29, v4
	;; [unrolled: 1-line block ×4, first 2 shown]
	v_add_co_u32 v5, s18, v5, -1
	s_wait_alu 0xf1ff
	v_cndmask_b32_e64 v9, 0, 1, s18
	v_not_b32_e32 v64, v6
	v_cmp_gt_i32_e64 s18, 0, v6
	v_not_b32_e32 v6, v7
	v_lshlrev_b32_e32 v11, 26, v4
	v_cmp_ne_u32_e32 vcc_lo, 0, v9
	v_ashrrev_i32_e32 v64, 31, v64
	v_lshlrev_b32_e32 v63, 25, v4
	v_ashrrev_i32_e32 v6, 31, v6
	v_lshlrev_b32_e32 v9, 24, v4
	s_wait_alu 0xfffd
	v_xor_b32_e32 v5, vcc_lo, v5
	v_cmp_gt_i32_e32 vcc_lo, 0, v7
	v_not_b32_e32 v7, v8
	s_wait_alu 0xf1ff
	v_xor_b32_e32 v64, s18, v64
	v_cmp_gt_i32_e64 s18, 0, v8
	v_and_b32_e32 v5, exec_lo, v5
	v_not_b32_e32 v8, v10
	v_ashrrev_i32_e32 v7, 31, v7
	s_wait_alu 0xfffd
	v_xor_b32_e32 v6, vcc_lo, v6
	v_cmp_gt_i32_e32 vcc_lo, 0, v10
	v_and_b32_e32 v5, v5, v64
	v_not_b32_e32 v10, v11
	v_ashrrev_i32_e32 v8, 31, v8
	s_wait_alu 0xf1ff
	v_xor_b32_e32 v7, s18, v7
	v_cmp_gt_i32_e64 s18, 0, v11
	v_and_b32_e32 v5, v5, v6
	v_not_b32_e32 v6, v63
	v_ashrrev_i32_e32 v10, 31, v10
	s_wait_alu 0xfffd
	v_xor_b32_e32 v8, vcc_lo, v8
	v_cmp_gt_i32_e32 vcc_lo, 0, v63
	v_and_b32_e32 v5, v5, v7
	v_not_b32_e32 v7, v9
	v_ashrrev_i32_e32 v6, 31, v6
	s_wait_alu 0xf1ff
	v_xor_b32_e32 v10, s18, v10
	v_lshlrev_b32_e32 v4, 6, v4
	v_and_b32_e32 v5, v5, v8
	v_cmp_gt_i32_e64 s18, 0, v9
	v_ashrrev_i32_e32 v7, 31, v7
	s_wait_alu 0xfffd
	v_xor_b32_e32 v6, vcc_lo, v6
	v_add_nc_u32_e32 v65, v50, v4
	v_and_b32_e32 v5, v5, v10
	s_wait_alu 0xf1ff
	v_xor_b32_e32 v4, s18, v7
	ds_load_b32 v63, v65 offset:64
	v_and_b32_e32 v5, v5, v6
	; wave barrier
	s_delay_alu instid0(VALU_DEP_1) | instskip(NEXT) | instid1(VALU_DEP_1)
	v_and_b32_e32 v4, v5, v4
	v_mbcnt_lo_u32_b32 v64, v4, 0
	v_cmp_ne_u32_e64 s18, 0, v4
	s_delay_alu instid0(VALU_DEP_2)
	v_cmp_eq_u32_e32 vcc_lo, 0, v64
	s_and_b32 s22, s18, vcc_lo
	s_wait_alu 0xfffe
	s_and_saveexec_b32 s18, s22
	s_cbranch_execz .LBB125_81
; %bb.80:                               ;   in Loop: Header=BB125_67 Depth=1
	s_wait_dscnt 0x0
	v_bcnt_u32_b32 v4, v4, v63
	ds_store_b32 v65, v4 offset:64
.LBB125_81:                             ;   in Loop: Header=BB125_67 Depth=1
	s_wait_alu 0xfffe
	s_or_b32 exec_lo, exec_lo, s18
	v_lshrrev_b32_e32 v4, v51, v55
	; wave barrier
	s_delay_alu instid0(VALU_DEP_1) | instskip(NEXT) | instid1(VALU_DEP_1)
	v_and_b32_e32 v4, s21, v4
	v_and_b32_e32 v5, 1, v4
	v_lshlrev_b32_e32 v6, 30, v4
	v_lshlrev_b32_e32 v7, 29, v4
	;; [unrolled: 1-line block ×4, first 2 shown]
	v_add_co_u32 v5, s18, v5, -1
	s_wait_alu 0xf1ff
	v_cndmask_b32_e64 v9, 0, 1, s18
	v_not_b32_e32 v67, v6
	v_cmp_gt_i32_e64 s18, 0, v6
	v_not_b32_e32 v6, v7
	v_lshlrev_b32_e32 v11, 26, v4
	v_cmp_ne_u32_e32 vcc_lo, 0, v9
	v_ashrrev_i32_e32 v67, 31, v67
	v_lshlrev_b32_e32 v66, 25, v4
	v_ashrrev_i32_e32 v6, 31, v6
	v_lshlrev_b32_e32 v9, 24, v4
	s_wait_alu 0xfffd
	v_xor_b32_e32 v5, vcc_lo, v5
	v_cmp_gt_i32_e32 vcc_lo, 0, v7
	v_not_b32_e32 v7, v8
	s_wait_alu 0xf1ff
	v_xor_b32_e32 v67, s18, v67
	v_cmp_gt_i32_e64 s18, 0, v8
	v_and_b32_e32 v5, exec_lo, v5
	v_not_b32_e32 v8, v10
	v_ashrrev_i32_e32 v7, 31, v7
	s_wait_alu 0xfffd
	v_xor_b32_e32 v6, vcc_lo, v6
	v_cmp_gt_i32_e32 vcc_lo, 0, v10
	v_and_b32_e32 v5, v5, v67
	v_not_b32_e32 v10, v11
	v_ashrrev_i32_e32 v8, 31, v8
	s_wait_alu 0xf1ff
	v_xor_b32_e32 v7, s18, v7
	v_cmp_gt_i32_e64 s18, 0, v11
	v_and_b32_e32 v5, v5, v6
	v_not_b32_e32 v6, v66
	v_ashrrev_i32_e32 v10, 31, v10
	s_wait_alu 0xfffd
	v_xor_b32_e32 v8, vcc_lo, v8
	v_cmp_gt_i32_e32 vcc_lo, 0, v66
	v_and_b32_e32 v5, v5, v7
	v_not_b32_e32 v7, v9
	v_ashrrev_i32_e32 v6, 31, v6
	s_wait_alu 0xf1ff
	v_xor_b32_e32 v10, s18, v10
	v_lshlrev_b32_e32 v4, 6, v4
	v_and_b32_e32 v5, v5, v8
	v_cmp_gt_i32_e64 s18, 0, v9
	v_ashrrev_i32_e32 v7, 31, v7
	s_wait_alu 0xfffd
	v_xor_b32_e32 v6, vcc_lo, v6
	v_add_nc_u32_e32 v66, v50, v4
	v_and_b32_e32 v5, v5, v10
	s_wait_alu 0xf1ff
	v_xor_b32_e32 v4, s18, v7
	ds_load_b32 v71, v66 offset:64
	v_and_b32_e32 v5, v5, v6
	; wave barrier
	s_delay_alu instid0(VALU_DEP_1) | instskip(NEXT) | instid1(VALU_DEP_1)
	v_and_b32_e32 v4, v5, v4
	v_mbcnt_lo_u32_b32 v72, v4, 0
	v_cmp_ne_u32_e64 s18, 0, v4
	s_delay_alu instid0(VALU_DEP_2)
	v_cmp_eq_u32_e32 vcc_lo, 0, v72
	s_and_b32 s21, s18, vcc_lo
	s_wait_alu 0xfffe
	s_and_saveexec_b32 s18, s21
	s_cbranch_execz .LBB125_83
; %bb.82:                               ;   in Loop: Header=BB125_67 Depth=1
	s_wait_dscnt 0x0
	v_bcnt_u32_b32 v4, v4, v71
	ds_store_b32 v66, v4 offset:64
.LBB125_83:                             ;   in Loop: Header=BB125_67 Depth=1
	s_wait_alu 0xfffe
	s_or_b32 exec_lo, exec_lo, s18
	; wave barrier
	s_wait_loadcnt_dscnt 0x0
	s_barrier_signal -1
	s_barrier_wait -1
	global_inv scope:SCOPE_SE
	ds_load_b128 v[8:11], v90 offset:64
	ds_load_b128 v[4:7], v90 offset:80
	s_wait_dscnt 0x1
	v_add_nc_u32_e32 v67, v9, v8
	s_delay_alu instid0(VALU_DEP_1) | instskip(SKIP_1) | instid1(VALU_DEP_1)
	v_add3_u32 v67, v67, v10, v11
	s_wait_dscnt 0x0
	v_add3_u32 v67, v67, v4, v5
	s_delay_alu instid0(VALU_DEP_1) | instskip(NEXT) | instid1(VALU_DEP_1)
	v_add3_u32 v7, v67, v6, v7
	v_mov_b32_dpp v67, v7 row_shr:1 row_mask:0xf bank_mask:0xf
	s_delay_alu instid0(VALU_DEP_1) | instskip(NEXT) | instid1(VALU_DEP_1)
	v_cndmask_b32_e64 v67, v67, 0, s8
	v_add_nc_u32_e32 v7, v67, v7
	s_delay_alu instid0(VALU_DEP_1) | instskip(NEXT) | instid1(VALU_DEP_1)
	v_mov_b32_dpp v67, v7 row_shr:2 row_mask:0xf bank_mask:0xf
	v_cndmask_b32_e64 v67, 0, v67, s9
	s_delay_alu instid0(VALU_DEP_1) | instskip(NEXT) | instid1(VALU_DEP_1)
	v_add_nc_u32_e32 v7, v7, v67
	v_mov_b32_dpp v67, v7 row_shr:4 row_mask:0xf bank_mask:0xf
	s_delay_alu instid0(VALU_DEP_1) | instskip(NEXT) | instid1(VALU_DEP_1)
	v_cndmask_b32_e64 v67, 0, v67, s11
	v_add_nc_u32_e32 v7, v7, v67
	s_delay_alu instid0(VALU_DEP_1) | instskip(NEXT) | instid1(VALU_DEP_1)
	v_mov_b32_dpp v67, v7 row_shr:8 row_mask:0xf bank_mask:0xf
	v_cndmask_b32_e64 v67, 0, v67, s12
	s_delay_alu instid0(VALU_DEP_1) | instskip(SKIP_3) | instid1(VALU_DEP_1)
	v_add_nc_u32_e32 v7, v7, v67
	ds_swizzle_b32 v67, v7 offset:swizzle(BROADCAST,32,15)
	s_wait_dscnt 0x0
	v_cndmask_b32_e64 v67, v67, 0, s13
	v_add_nc_u32_e32 v7, v7, v67
	s_and_saveexec_b32 s18, s14
; %bb.84:                               ;   in Loop: Header=BB125_67 Depth=1
	ds_store_b32 v92, v7
; %bb.85:                               ;   in Loop: Header=BB125_67 Depth=1
	s_wait_alu 0xfffe
	s_or_b32 exec_lo, exec_lo, s18
	s_wait_loadcnt_dscnt 0x0
	s_barrier_signal -1
	s_barrier_wait -1
	global_inv scope:SCOPE_SE
	s_and_saveexec_b32 s18, s15
	s_cbranch_execz .LBB125_87
; %bb.86:                               ;   in Loop: Header=BB125_67 Depth=1
	ds_load_b32 v67, v52
	s_wait_dscnt 0x0
	v_mov_b32_dpp v68, v67 row_shr:1 row_mask:0xf bank_mask:0xf
	s_delay_alu instid0(VALU_DEP_1) | instskip(NEXT) | instid1(VALU_DEP_1)
	v_cndmask_b32_e64 v68, v68, 0, s8
	v_add_nc_u32_e32 v67, v68, v67
	s_delay_alu instid0(VALU_DEP_1) | instskip(NEXT) | instid1(VALU_DEP_1)
	v_mov_b32_dpp v68, v67 row_shr:2 row_mask:0xf bank_mask:0xf
	v_cndmask_b32_e64 v68, 0, v68, s9
	s_delay_alu instid0(VALU_DEP_1) | instskip(NEXT) | instid1(VALU_DEP_1)
	v_add_nc_u32_e32 v67, v67, v68
	v_mov_b32_dpp v68, v67 row_shr:4 row_mask:0xf bank_mask:0xf
	s_delay_alu instid0(VALU_DEP_1) | instskip(NEXT) | instid1(VALU_DEP_1)
	v_cndmask_b32_e64 v68, 0, v68, s11
	v_add_nc_u32_e32 v67, v67, v68
	s_delay_alu instid0(VALU_DEP_1) | instskip(NEXT) | instid1(VALU_DEP_1)
	v_mov_b32_dpp v68, v67 row_shr:8 row_mask:0xf bank_mask:0xf
	v_cndmask_b32_e64 v68, 0, v68, s12
	s_delay_alu instid0(VALU_DEP_1)
	v_add_nc_u32_e32 v67, v67, v68
	ds_store_b32 v52, v67
.LBB125_87:                             ;   in Loop: Header=BB125_67 Depth=1
	s_wait_alu 0xfffe
	s_or_b32 exec_lo, exec_lo, s18
	v_mov_b32_e32 v67, 0
	s_wait_loadcnt_dscnt 0x0
	s_barrier_signal -1
	s_barrier_wait -1
	global_inv scope:SCOPE_SE
	s_and_saveexec_b32 s18, s16
; %bb.88:                               ;   in Loop: Header=BB125_67 Depth=1
	ds_load_b32 v67, v49
; %bb.89:                               ;   in Loop: Header=BB125_67 Depth=1
	s_wait_alu 0xfffe
	s_or_b32 exec_lo, exec_lo, s18
	s_wait_dscnt 0x0
	v_add_nc_u32_e32 v7, v67, v7
	v_cmp_lt_u32_e32 vcc_lo, 23, v51
	v_readfirstlane_b32 s18, v0
	s_mov_b32 s21, -1
	ds_bpermute_b32 v7, v36, v7
	s_and_b32 vcc_lo, exec_lo, vcc_lo
	s_wait_dscnt 0x0
	v_cndmask_b32_e64 v7, v7, v67, s10
	s_delay_alu instid0(VALU_DEP_1) | instskip(NEXT) | instid1(VALU_DEP_1)
	v_cndmask_b32_e64 v7, v7, 0, s17
	v_add_nc_u32_e32 v8, v7, v8
	s_delay_alu instid0(VALU_DEP_1) | instskip(NEXT) | instid1(VALU_DEP_1)
	v_add_nc_u32_e32 v9, v8, v9
	v_add_nc_u32_e32 v10, v9, v10
	s_delay_alu instid0(VALU_DEP_1) | instskip(NEXT) | instid1(VALU_DEP_1)
	v_add_nc_u32_e32 v67, v10, v11
	;; [unrolled: 3-line block ×3, first 2 shown]
	v_add_nc_u32_e32 v70, v69, v6
	ds_store_b128 v90, v[7:10] offset:64
	ds_store_b128 v90, v[67:70] offset:80
	s_wait_loadcnt_dscnt 0x0
	s_barrier_signal -1
	s_barrier_wait -1
	global_inv scope:SCOPE_SE
	ds_load_b32 v4, v13 offset:64
	ds_load_b32 v5, v16 offset:64
	;; [unrolled: 1-line block ×8, first 2 shown]
	s_wait_dscnt 0x7
	v_add_nc_u32_e32 v70, v4, v12
	s_wait_dscnt 0x6
	v_add3_u32 v69, v15, v14, v5
	s_wait_dscnt 0x5
	v_add3_u32 v68, v18, v17, v6
	;; [unrolled: 2-line block ×7, first 2 shown]
                                        ; implicit-def: $vgpr48
                                        ; implicit-def: $vgpr46
                                        ; implicit-def: $vgpr44
                                        ; implicit-def: $vgpr39
                                        ; implicit-def: $vgpr18_vgpr19
                                        ; implicit-def: $vgpr14_vgpr15
                                        ; implicit-def: $vgpr10_vgpr11
                                        ; implicit-def: $vgpr6_vgpr7
	s_wait_alu 0xfffe
	s_cbranch_vccnz .LBB125_66
; %bb.90:                               ;   in Loop: Header=BB125_67 Depth=1
	v_lshlrev_b32_e32 v4, 2, v70
	v_lshlrev_b32_e32 v5, 2, v69
	v_lshlrev_b32_e32 v6, 2, v68
	s_wait_loadcnt 0x0
	s_barrier_signal -1
	s_barrier_wait -1
	global_inv scope:SCOPE_SE
	ds_store_b32 v4, v54
	ds_store_b32 v5, v61
	;; [unrolled: 1-line block ×3, first 2 shown]
	v_lshlrev_b32_e32 v7, 2, v67
	v_add_nc_u32_e32 v4, v4, v4
	v_lshlrev_b32_e32 v8, 2, v66
	v_add_nc_u32_e32 v5, v5, v5
	;; [unrolled: 2-line block ×3, first 2 shown]
	v_lshlrev_b32_e32 v10, 2, v63
	v_lshlrev_b32_e32 v11, 2, v62
	ds_store_b32 v7, v59
	ds_store_b32 v8, v58
	;; [unrolled: 1-line block ×5, first 2 shown]
	s_wait_loadcnt_dscnt 0x0
	s_barrier_signal -1
	s_barrier_wait -1
	global_inv scope:SCOPE_SE
	ds_load_2addr_b32 v[38:39], v91 offset1:32
	ds_load_2addr_b32 v[43:44], v91 offset0:64 offset1:96
	ds_load_2addr_b32 v[45:46], v91 offset0:128 offset1:160
	;; [unrolled: 1-line block ×3, first 2 shown]
	s_wait_loadcnt_dscnt 0x0
	s_barrier_signal -1
	s_barrier_wait -1
	global_inv scope:SCOPE_SE
	ds_store_b64 v4, v[34:35]
	ds_store_b64 v5, v[32:33]
	;; [unrolled: 1-line block ×3, first 2 shown]
	v_add_nc_u32_e32 v4, v7, v7
	v_add_nc_u32_e32 v5, v8, v8
	;; [unrolled: 1-line block ×5, first 2 shown]
	ds_store_b64 v4, v[28:29]
	ds_store_b64 v5, v[26:27]
	;; [unrolled: 1-line block ×5, first 2 shown]
	s_wait_loadcnt_dscnt 0x0
	s_barrier_signal -1
	s_barrier_wait -1
	global_inv scope:SCOPE_SE
	ds_load_2addr_b64 v[4:7], v53 offset1:32
	ds_load_2addr_b64 v[8:11], v53 offset0:64 offset1:96
	ds_load_2addr_b64 v[12:15], v53 offset0:128 offset1:160
	;; [unrolled: 1-line block ×3, first 2 shown]
	v_add_nc_u32_e32 v51, 8, v51
	s_add_co_i32 s18, s20, -8
	s_mov_b32 s21, 0
	s_wait_loadcnt_dscnt 0x0
	s_barrier_signal -1
	s_barrier_wait -1
	global_inv scope:SCOPE_SE
	s_branch .LBB125_66
.LBB125_91:
	v_lshlrev_b32_e32 v8, 2, v70
	v_lshlrev_b32_e32 v9, 2, v69
	;; [unrolled: 1-line block ×3, first 2 shown]
	s_wait_loadcnt 0x0
	s_barrier_signal -1
	s_barrier_wait -1
	global_inv scope:SCOPE_SE
	ds_store_b32 v8, v54
	ds_store_b32 v9, v61
	ds_store_b32 v10, v60
	v_lshlrev_b32_e32 v11, 2, v67
	v_add_nc_u32_e32 v8, v8, v8
	v_lshlrev_b32_e32 v12, 2, v66
	v_add_nc_u32_e32 v9, v9, v9
	;; [unrolled: 2-line block ×3, first 2 shown]
	v_lshlrev_b32_e32 v14, 2, v63
	v_lshlrev_b32_e32 v15, 2, v62
	ds_store_b32 v11, v59
	ds_store_b32 v12, v58
	;; [unrolled: 1-line block ×5, first 2 shown]
	s_wait_loadcnt_dscnt 0x0
	s_barrier_signal -1
	s_barrier_wait -1
	global_inv scope:SCOPE_SE
	ds_load_b128 v[0:3], v90
	ds_load_b128 v[4:7], v90 offset:16
	s_wait_loadcnt_dscnt 0x0
	s_barrier_signal -1
	s_barrier_wait -1
	global_inv scope:SCOPE_SE
	ds_store_b64 v8, v[34:35]
	ds_store_b64 v9, v[32:33]
	;; [unrolled: 1-line block ×3, first 2 shown]
	v_add_nc_u32_e32 v8, v11, v11
	v_add_nc_u32_e32 v9, v12, v12
	;; [unrolled: 1-line block ×5, first 2 shown]
	ds_store_b64 v8, v[28:29]
	ds_store_b64 v9, v[26:27]
	;; [unrolled: 1-line block ×5, first 2 shown]
	v_lshl_add_u32 v8, v42, 5, v90
	s_wait_loadcnt_dscnt 0x0
	s_barrier_signal -1
	s_barrier_wait -1
	global_inv scope:SCOPE_SE
	ds_load_b128 v[29:32], v8
	ds_load_b128 v[25:28], v8 offset:16
	ds_load_b128 v[21:24], v8 offset:32
	;; [unrolled: 1-line block ×3, first 2 shown]
	v_xor_b32_e32 v33, 0x7fffffff, v0
	v_xor_b32_e32 v35, 0x7fffffff, v1
	;; [unrolled: 1-line block ×8, first 2 shown]
.LBB125_92:
	s_wait_loadcnt_dscnt 0x0
	s_barrier_signal -1
	s_barrier_wait -1
	global_inv scope:SCOPE_SE
	ds_store_2addr_b32 v80, v33, v35 offset1:1
	ds_store_2addr_b32 v80, v34, v38 offset0:2 offset1:3
	ds_store_2addr_b32 v80, v36, v51 offset0:4 offset1:5
	;; [unrolled: 1-line block ×3, first 2 shown]
	s_wait_loadcnt_dscnt 0x0
	s_barrier_signal -1
	s_barrier_wait -1
	global_inv scope:SCOPE_SE
	ds_load_b32 v8, v41 offset:2048
	ds_load_b32 v7, v74 offset:4096
	;; [unrolled: 1-line block ×7, first 2 shown]
	v_mov_b32_e32 v41, 0
	s_delay_alu instid0(VALU_DEP_1) | instskip(NEXT) | instid1(VALU_DEP_1)
	v_lshlrev_b64_e32 v[0:1], 2, v[40:41]
	v_add_co_u32 v0, vcc_lo, s30, v0
	s_wait_alu 0xfffd
	s_delay_alu instid0(VALU_DEP_2)
	v_add_co_ci_u32_e64 v1, null, s31, v1, vcc_lo
	s_and_saveexec_b32 s8, s0
	s_cbranch_execnz .LBB125_111
; %bb.93:
	s_wait_alu 0xfffe
	s_or_b32 exec_lo, exec_lo, s8
	s_and_saveexec_b32 s8, s1
	s_cbranch_execnz .LBB125_112
.LBB125_94:
	s_wait_alu 0xfffe
	s_or_b32 exec_lo, exec_lo, s8
	s_and_saveexec_b32 s8, s2
	s_cbranch_execnz .LBB125_113
.LBB125_95:
	s_wait_alu 0xfffe
	s_or_b32 exec_lo, exec_lo, s8
	s_and_saveexec_b32 s8, s3
	s_cbranch_execnz .LBB125_114
.LBB125_96:
	s_wait_alu 0xfffe
	s_or_b32 exec_lo, exec_lo, s8
	s_and_saveexec_b32 s8, s4
	s_cbranch_execnz .LBB125_115
.LBB125_97:
	s_wait_alu 0xfffe
	s_or_b32 exec_lo, exec_lo, s8
	s_and_saveexec_b32 s8, s5
	s_cbranch_execnz .LBB125_116
.LBB125_98:
	s_wait_alu 0xfffe
	s_or_b32 exec_lo, exec_lo, s8
	s_and_saveexec_b32 s8, s6
	s_cbranch_execnz .LBB125_117
.LBB125_99:
	s_wait_alu 0xfffe
	s_or_b32 exec_lo, exec_lo, s8
	s_and_saveexec_b32 s8, s7
	s_cbranch_execz .LBB125_101
.LBB125_100:
	s_mul_i32 s10, s26, 0xe00
	s_mov_b32 s11, 0
	s_wait_alu 0xfffe
	s_lshl_b64 s[10:11], s[10:11], 2
	s_wait_alu 0xfffe
	v_add_co_u32 v0, vcc_lo, v0, s10
	s_wait_alu 0xfffd
	v_add_co_ci_u32_e64 v1, null, s11, v1, vcc_lo
	s_wait_dscnt 0x0
	global_store_b32 v[0:1], v2, off
.LBB125_101:
	s_wait_alu 0xfffe
	s_or_b32 exec_lo, exec_lo, s8
	s_wait_storecnt 0x0
	s_wait_loadcnt_dscnt 0x0
	s_barrier_signal -1
	s_barrier_wait -1
	global_inv scope:SCOPE_SE
	ds_store_2addr_b64 v89, v[29:30], v[31:32] offset1:1
	ds_store_2addr_b64 v89, v[25:26], v[27:28] offset0:2 offset1:3
	ds_store_2addr_b64 v89, v[21:22], v[23:24] offset0:4 offset1:5
	;; [unrolled: 1-line block ×3, first 2 shown]
	s_wait_loadcnt_dscnt 0x0
	s_barrier_signal -1
	s_barrier_wait -1
	global_inv scope:SCOPE_SE
	ds_load_b64 v[14:15], v82 offset:4096
	ds_load_b64 v[12:13], v83 offset:8192
	;; [unrolled: 1-line block ×7, first 2 shown]
	v_mov_b32_e32 v38, 0
	s_delay_alu instid0(VALU_DEP_1) | instskip(NEXT) | instid1(VALU_DEP_1)
	v_lshlrev_b64_e32 v[2:3], 3, v[37:38]
	v_add_co_u32 v2, vcc_lo, s24, v2
	s_wait_alu 0xfffd
	s_delay_alu instid0(VALU_DEP_2)
	v_add_co_ci_u32_e64 v3, null, s25, v3, vcc_lo
	s_and_saveexec_b32 s8, s0
	s_cbranch_execnz .LBB125_118
; %bb.102:
	s_wait_alu 0xfffe
	s_or_b32 exec_lo, exec_lo, s8
	s_and_saveexec_b32 s0, s1
	s_cbranch_execnz .LBB125_119
.LBB125_103:
	s_or_b32 exec_lo, exec_lo, s0
	s_and_saveexec_b32 s0, s2
	s_cbranch_execnz .LBB125_120
.LBB125_104:
	s_or_b32 exec_lo, exec_lo, s0
	s_and_saveexec_b32 s0, s3
	s_cbranch_execnz .LBB125_121
.LBB125_105:
	s_or_b32 exec_lo, exec_lo, s0
	s_and_saveexec_b32 s0, s4
	s_cbranch_execnz .LBB125_122
.LBB125_106:
	s_or_b32 exec_lo, exec_lo, s0
	s_and_saveexec_b32 s0, s5
	s_cbranch_execnz .LBB125_123
.LBB125_107:
	s_or_b32 exec_lo, exec_lo, s0
	s_and_saveexec_b32 s0, s6
	s_cbranch_execnz .LBB125_124
.LBB125_108:
	s_or_b32 exec_lo, exec_lo, s0
	s_and_saveexec_b32 s0, s7
	s_cbranch_execz .LBB125_110
.LBB125_109:
	s_mul_i32 s0, s28, 0xe00
	s_mov_b32 s1, 0
	s_delay_alu instid0(SALU_CYCLE_1) | instskip(NEXT) | instid1(SALU_CYCLE_1)
	s_lshl_b64 s[0:1], s[0:1], 3
	v_add_co_u32 v2, vcc_lo, v2, s0
	s_wait_alu 0xfffd
	v_add_co_ci_u32_e64 v3, null, s1, v3, vcc_lo
	s_wait_dscnt 0x0
	global_store_b64 v[2:3], v[0:1], off
.LBB125_110:
	s_nop 0
	s_sendmsg sendmsg(MSG_DEALLOC_VGPRS)
	s_endpgm
.LBB125_111:
	ds_load_b32 v9, v73
	s_wait_dscnt 0x0
	global_store_b32 v[0:1], v9, off
	s_wait_alu 0xfffe
	s_or_b32 exec_lo, exec_lo, s8
	s_and_saveexec_b32 s8, s1
	s_cbranch_execz .LBB125_94
.LBB125_112:
	s_lshl_b32 s10, s26, 9
	s_mov_b32 s11, 0
	s_wait_alu 0xfffe
	s_lshl_b64 s[10:11], s[10:11], 2
	s_wait_alu 0xfffe
	v_add_co_u32 v9, vcc_lo, v0, s10
	s_wait_alu 0xfffd
	v_add_co_ci_u32_e64 v10, null, s11, v1, vcc_lo
	s_wait_dscnt 0x6
	global_store_b32 v[9:10], v8, off
	s_or_b32 exec_lo, exec_lo, s8
	s_and_saveexec_b32 s8, s2
	s_cbranch_execz .LBB125_95
.LBB125_113:
	s_lshl_b32 s10, s26, 10
	s_mov_b32 s11, 0
	s_wait_alu 0xfffe
	s_lshl_b64 s[10:11], s[10:11], 2
	s_wait_dscnt 0x6
	s_wait_alu 0xfffe
	v_add_co_u32 v8, vcc_lo, v0, s10
	s_wait_alu 0xfffd
	v_add_co_ci_u32_e64 v9, null, s11, v1, vcc_lo
	s_wait_dscnt 0x5
	global_store_b32 v[8:9], v7, off
	s_or_b32 exec_lo, exec_lo, s8
	s_and_saveexec_b32 s8, s3
	s_cbranch_execz .LBB125_96
.LBB125_114:
	s_mul_i32 s10, s26, 0x600
	s_mov_b32 s11, 0
	s_wait_alu 0xfffe
	s_lshl_b64 s[10:11], s[10:11], 2
	s_wait_dscnt 0x5
	s_wait_alu 0xfffe
	v_add_co_u32 v7, vcc_lo, v0, s10
	s_wait_alu 0xfffd
	v_add_co_ci_u32_e64 v8, null, s11, v1, vcc_lo
	s_wait_dscnt 0x4
	global_store_b32 v[7:8], v6, off
	s_or_b32 exec_lo, exec_lo, s8
	s_and_saveexec_b32 s8, s4
	s_cbranch_execz .LBB125_97
.LBB125_115:
	s_lshl_b32 s10, s26, 11
	s_mov_b32 s11, 0
	s_wait_alu 0xfffe
	s_lshl_b64 s[10:11], s[10:11], 2
	s_wait_dscnt 0x4
	s_wait_alu 0xfffe
	v_add_co_u32 v6, vcc_lo, v0, s10
	s_wait_alu 0xfffd
	v_add_co_ci_u32_e64 v7, null, s11, v1, vcc_lo
	s_wait_dscnt 0x3
	global_store_b32 v[6:7], v5, off
	s_or_b32 exec_lo, exec_lo, s8
	s_and_saveexec_b32 s8, s5
	s_cbranch_execz .LBB125_98
.LBB125_116:
	s_mul_i32 s10, s26, 0xa00
	s_mov_b32 s11, 0
	s_wait_alu 0xfffe
	s_lshl_b64 s[10:11], s[10:11], 2
	s_wait_dscnt 0x3
	s_wait_alu 0xfffe
	v_add_co_u32 v5, vcc_lo, v0, s10
	s_wait_alu 0xfffd
	v_add_co_ci_u32_e64 v6, null, s11, v1, vcc_lo
	s_wait_dscnt 0x2
	global_store_b32 v[5:6], v4, off
	s_or_b32 exec_lo, exec_lo, s8
	s_and_saveexec_b32 s8, s6
	s_cbranch_execz .LBB125_99
.LBB125_117:
	s_mul_i32 s10, s26, 0xc00
	s_mov_b32 s11, 0
	s_wait_alu 0xfffe
	s_lshl_b64 s[10:11], s[10:11], 2
	s_wait_dscnt 0x2
	s_wait_alu 0xfffe
	v_add_co_u32 v4, vcc_lo, v0, s10
	s_wait_alu 0xfffd
	v_add_co_ci_u32_e64 v5, null, s11, v1, vcc_lo
	s_wait_dscnt 0x1
	global_store_b32 v[4:5], v3, off
	s_or_b32 exec_lo, exec_lo, s8
	s_and_saveexec_b32 s8, s7
	s_cbranch_execnz .LBB125_100
	s_branch .LBB125_101
.LBB125_118:
	ds_load_b64 v[16:17], v81
	s_wait_dscnt 0x0
	global_store_b64 v[2:3], v[16:17], off
	s_wait_alu 0xfffe
	s_or_b32 exec_lo, exec_lo, s8
	s_and_saveexec_b32 s0, s1
	s_cbranch_execz .LBB125_103
.LBB125_119:
	s_lshl_b32 s8, s28, 9
	s_mov_b32 s9, 0
	s_wait_alu 0xfffe
	s_lshl_b64 s[8:9], s[8:9], 3
	s_wait_alu 0xfffe
	v_add_co_u32 v16, vcc_lo, v2, s8
	s_wait_alu 0xfffd
	v_add_co_ci_u32_e64 v17, null, s9, v3, vcc_lo
	s_wait_dscnt 0x6
	global_store_b64 v[16:17], v[14:15], off
	s_or_b32 exec_lo, exec_lo, s0
	s_and_saveexec_b32 s0, s2
	s_cbranch_execz .LBB125_104
.LBB125_120:
	s_lshl_b32 s8, s28, 10
	s_mov_b32 s9, 0
	s_wait_alu 0xfffe
	s_lshl_b64 s[8:9], s[8:9], 3
	s_wait_dscnt 0x6
	s_wait_alu 0xfffe
	v_add_co_u32 v14, vcc_lo, v2, s8
	s_wait_alu 0xfffd
	v_add_co_ci_u32_e64 v15, null, s9, v3, vcc_lo
	s_wait_dscnt 0x5
	global_store_b64 v[14:15], v[12:13], off
	s_or_b32 exec_lo, exec_lo, s0
	s_and_saveexec_b32 s0, s3
	s_cbranch_execz .LBB125_105
.LBB125_121:
	s_mul_i32 s2, s28, 0x600
	s_mov_b32 s3, 0
	s_wait_alu 0xfffe
	s_lshl_b64 s[2:3], s[2:3], 3
	s_wait_dscnt 0x5
	s_wait_alu 0xfffe
	v_add_co_u32 v12, vcc_lo, v2, s2
	s_wait_alu 0xfffd
	v_add_co_ci_u32_e64 v13, null, s3, v3, vcc_lo
	s_wait_dscnt 0x4
	global_store_b64 v[12:13], v[10:11], off
	s_or_b32 exec_lo, exec_lo, s0
	s_and_saveexec_b32 s0, s4
	s_cbranch_execz .LBB125_106
.LBB125_122:
	s_lshl_b32 s2, s28, 11
	s_mov_b32 s3, 0
	s_wait_alu 0xfffe
	s_lshl_b64 s[2:3], s[2:3], 3
	s_wait_dscnt 0x4
	s_wait_alu 0xfffe
	v_add_co_u32 v10, vcc_lo, v2, s2
	s_wait_alu 0xfffd
	v_add_co_ci_u32_e64 v11, null, s3, v3, vcc_lo
	s_wait_dscnt 0x3
	global_store_b64 v[10:11], v[8:9], off
	s_or_b32 exec_lo, exec_lo, s0
	s_and_saveexec_b32 s0, s5
	s_cbranch_execz .LBB125_107
.LBB125_123:
	s_mul_i32 s2, s28, 0xa00
	s_mov_b32 s3, 0
	s_wait_alu 0xfffe
	s_lshl_b64 s[2:3], s[2:3], 3
	s_wait_dscnt 0x3
	s_wait_alu 0xfffe
	v_add_co_u32 v8, vcc_lo, v2, s2
	s_wait_alu 0xfffd
	v_add_co_ci_u32_e64 v9, null, s3, v3, vcc_lo
	s_wait_dscnt 0x2
	global_store_b64 v[8:9], v[6:7], off
	s_or_b32 exec_lo, exec_lo, s0
	s_and_saveexec_b32 s0, s6
	s_cbranch_execz .LBB125_108
.LBB125_124:
	s_mul_i32 s2, s28, 0xc00
	s_mov_b32 s3, 0
	s_wait_alu 0xfffe
	s_lshl_b64 s[2:3], s[2:3], 3
	s_wait_dscnt 0x2
	s_wait_alu 0xfffe
	v_add_co_u32 v6, vcc_lo, v2, s2
	s_wait_alu 0xfffd
	v_add_co_ci_u32_e64 v7, null, s3, v3, vcc_lo
	s_wait_dscnt 0x1
	global_store_b64 v[6:7], v[4:5], off
	s_or_b32 exec_lo, exec_lo, s0
	s_and_saveexec_b32 s0, s7
	s_cbranch_execnz .LBB125_109
	s_branch .LBB125_110
	.section	.rodata,"a",@progbits
	.p2align	6, 0x0
	.amdhsa_kernel _ZN2at6native18radixSortKVInPlaceILi2ELin1ELi512ELi8EiljEEvNS_4cuda6detail10TensorInfoIT3_T5_EES6_S6_S6_NS4_IT4_S6_EES6_b
		.amdhsa_group_segment_fixed_size 33792
		.amdhsa_private_segment_fixed_size 0
		.amdhsa_kernarg_size 712
		.amdhsa_user_sgpr_count 2
		.amdhsa_user_sgpr_dispatch_ptr 0
		.amdhsa_user_sgpr_queue_ptr 0
		.amdhsa_user_sgpr_kernarg_segment_ptr 1
		.amdhsa_user_sgpr_dispatch_id 0
		.amdhsa_user_sgpr_private_segment_size 0
		.amdhsa_wavefront_size32 1
		.amdhsa_uses_dynamic_stack 0
		.amdhsa_enable_private_segment 0
		.amdhsa_system_sgpr_workgroup_id_x 1
		.amdhsa_system_sgpr_workgroup_id_y 1
		.amdhsa_system_sgpr_workgroup_id_z 1
		.amdhsa_system_sgpr_workgroup_info 0
		.amdhsa_system_vgpr_workitem_id 2
		.amdhsa_next_free_vgpr 127
		.amdhsa_next_free_sgpr 36
		.amdhsa_reserve_vcc 1
		.amdhsa_float_round_mode_32 0
		.amdhsa_float_round_mode_16_64 0
		.amdhsa_float_denorm_mode_32 3
		.amdhsa_float_denorm_mode_16_64 3
		.amdhsa_fp16_overflow 0
		.amdhsa_workgroup_processor_mode 1
		.amdhsa_memory_ordered 1
		.amdhsa_forward_progress 1
		.amdhsa_inst_pref_size 114
		.amdhsa_round_robin_scheduling 0
		.amdhsa_exception_fp_ieee_invalid_op 0
		.amdhsa_exception_fp_denorm_src 0
		.amdhsa_exception_fp_ieee_div_zero 0
		.amdhsa_exception_fp_ieee_overflow 0
		.amdhsa_exception_fp_ieee_underflow 0
		.amdhsa_exception_fp_ieee_inexact 0
		.amdhsa_exception_int_div_zero 0
	.end_amdhsa_kernel
	.section	.text._ZN2at6native18radixSortKVInPlaceILi2ELin1ELi512ELi8EiljEEvNS_4cuda6detail10TensorInfoIT3_T5_EES6_S6_S6_NS4_IT4_S6_EES6_b,"axG",@progbits,_ZN2at6native18radixSortKVInPlaceILi2ELin1ELi512ELi8EiljEEvNS_4cuda6detail10TensorInfoIT3_T5_EES6_S6_S6_NS4_IT4_S6_EES6_b,comdat
.Lfunc_end125:
	.size	_ZN2at6native18radixSortKVInPlaceILi2ELin1ELi512ELi8EiljEEvNS_4cuda6detail10TensorInfoIT3_T5_EES6_S6_S6_NS4_IT4_S6_EES6_b, .Lfunc_end125-_ZN2at6native18radixSortKVInPlaceILi2ELin1ELi512ELi8EiljEEvNS_4cuda6detail10TensorInfoIT3_T5_EES6_S6_S6_NS4_IT4_S6_EES6_b
                                        ; -- End function
	.set _ZN2at6native18radixSortKVInPlaceILi2ELin1ELi512ELi8EiljEEvNS_4cuda6detail10TensorInfoIT3_T5_EES6_S6_S6_NS4_IT4_S6_EES6_b.num_vgpr, 127
	.set _ZN2at6native18radixSortKVInPlaceILi2ELin1ELi512ELi8EiljEEvNS_4cuda6detail10TensorInfoIT3_T5_EES6_S6_S6_NS4_IT4_S6_EES6_b.num_agpr, 0
	.set _ZN2at6native18radixSortKVInPlaceILi2ELin1ELi512ELi8EiljEEvNS_4cuda6detail10TensorInfoIT3_T5_EES6_S6_S6_NS4_IT4_S6_EES6_b.numbered_sgpr, 36
	.set _ZN2at6native18radixSortKVInPlaceILi2ELin1ELi512ELi8EiljEEvNS_4cuda6detail10TensorInfoIT3_T5_EES6_S6_S6_NS4_IT4_S6_EES6_b.num_named_barrier, 0
	.set _ZN2at6native18radixSortKVInPlaceILi2ELin1ELi512ELi8EiljEEvNS_4cuda6detail10TensorInfoIT3_T5_EES6_S6_S6_NS4_IT4_S6_EES6_b.private_seg_size, 0
	.set _ZN2at6native18radixSortKVInPlaceILi2ELin1ELi512ELi8EiljEEvNS_4cuda6detail10TensorInfoIT3_T5_EES6_S6_S6_NS4_IT4_S6_EES6_b.uses_vcc, 1
	.set _ZN2at6native18radixSortKVInPlaceILi2ELin1ELi512ELi8EiljEEvNS_4cuda6detail10TensorInfoIT3_T5_EES6_S6_S6_NS4_IT4_S6_EES6_b.uses_flat_scratch, 0
	.set _ZN2at6native18radixSortKVInPlaceILi2ELin1ELi512ELi8EiljEEvNS_4cuda6detail10TensorInfoIT3_T5_EES6_S6_S6_NS4_IT4_S6_EES6_b.has_dyn_sized_stack, 0
	.set _ZN2at6native18radixSortKVInPlaceILi2ELin1ELi512ELi8EiljEEvNS_4cuda6detail10TensorInfoIT3_T5_EES6_S6_S6_NS4_IT4_S6_EES6_b.has_recursion, 0
	.set _ZN2at6native18radixSortKVInPlaceILi2ELin1ELi512ELi8EiljEEvNS_4cuda6detail10TensorInfoIT3_T5_EES6_S6_S6_NS4_IT4_S6_EES6_b.has_indirect_call, 0
	.section	.AMDGPU.csdata,"",@progbits
; Kernel info:
; codeLenInByte = 14576
; TotalNumSgprs: 38
; NumVgprs: 127
; ScratchSize: 0
; MemoryBound: 0
; FloatMode: 240
; IeeeMode: 1
; LDSByteSize: 33792 bytes/workgroup (compile time only)
; SGPRBlocks: 0
; VGPRBlocks: 15
; NumSGPRsForWavesPerEU: 38
; NumVGPRsForWavesPerEU: 127
; Occupancy: 10
; WaveLimiterHint : 1
; COMPUTE_PGM_RSRC2:SCRATCH_EN: 0
; COMPUTE_PGM_RSRC2:USER_SGPR: 2
; COMPUTE_PGM_RSRC2:TRAP_HANDLER: 0
; COMPUTE_PGM_RSRC2:TGID_X_EN: 1
; COMPUTE_PGM_RSRC2:TGID_Y_EN: 1
; COMPUTE_PGM_RSRC2:TGID_Z_EN: 1
; COMPUTE_PGM_RSRC2:TIDIG_COMP_CNT: 2
	.section	.text._ZN2at6native18radixSortKVInPlaceILi2ELin1ELi256ELi8EiljEEvNS_4cuda6detail10TensorInfoIT3_T5_EES6_S6_S6_NS4_IT4_S6_EES6_b,"axG",@progbits,_ZN2at6native18radixSortKVInPlaceILi2ELin1ELi256ELi8EiljEEvNS_4cuda6detail10TensorInfoIT3_T5_EES6_S6_S6_NS4_IT4_S6_EES6_b,comdat
	.protected	_ZN2at6native18radixSortKVInPlaceILi2ELin1ELi256ELi8EiljEEvNS_4cuda6detail10TensorInfoIT3_T5_EES6_S6_S6_NS4_IT4_S6_EES6_b ; -- Begin function _ZN2at6native18radixSortKVInPlaceILi2ELin1ELi256ELi8EiljEEvNS_4cuda6detail10TensorInfoIT3_T5_EES6_S6_S6_NS4_IT4_S6_EES6_b
	.globl	_ZN2at6native18radixSortKVInPlaceILi2ELin1ELi256ELi8EiljEEvNS_4cuda6detail10TensorInfoIT3_T5_EES6_S6_S6_NS4_IT4_S6_EES6_b
	.p2align	8
	.type	_ZN2at6native18radixSortKVInPlaceILi2ELin1ELi256ELi8EiljEEvNS_4cuda6detail10TensorInfoIT3_T5_EES6_S6_S6_NS4_IT4_S6_EES6_b,@function
_ZN2at6native18radixSortKVInPlaceILi2ELin1ELi256ELi8EiljEEvNS_4cuda6detail10TensorInfoIT3_T5_EES6_S6_S6_NS4_IT4_S6_EES6_b: ; @_ZN2at6native18radixSortKVInPlaceILi2ELin1ELi256ELi8EiljEEvNS_4cuda6detail10TensorInfoIT3_T5_EES6_S6_S6_NS4_IT4_S6_EES6_b
; %bb.0:
	s_clause 0x1
	s_load_b64 s[2:3], s[0:1], 0x1c8
	s_load_b96 s[20:22], s[0:1], 0xd8
	s_lshr_b32 s4, ttmp7, 16
	s_wait_kmcnt 0x0
	s_mul_i32 s3, s3, s4
	s_and_b32 s4, ttmp7, 0xffff
	s_delay_alu instid0(SALU_CYCLE_1) | instskip(NEXT) | instid1(SALU_CYCLE_1)
	s_add_co_i32 s3, s3, s4
	s_mul_i32 s2, s3, s2
	s_delay_alu instid0(SALU_CYCLE_1) | instskip(NEXT) | instid1(SALU_CYCLE_1)
	s_add_co_i32 s2, s2, ttmp9
	s_cmp_ge_u32 s2, s20
	s_cbranch_scc1 .LBB126_110
; %bb.1:
	s_clause 0x2
	s_load_b32 s10, s[0:1], 0xc
	s_load_b64 s[4:5], s[0:1], 0x6c
	s_load_b32 s8, s[0:1], 0x1b8
	s_add_nc_u64 s[14:15], s[0:1], 0xe8
	s_mov_b32 s18, s2
	s_wait_kmcnt 0x0
	s_cvt_f32_u32 s3, s10
	s_delay_alu instid0(SALU_CYCLE_3) | instskip(NEXT) | instid1(TRANS32_DEP_1)
	v_rcp_iflag_f32_e32 v1, s3
	v_readfirstlane_b32 s3, v1
	s_mul_f32 s3, s3, 0x4f7ffffe
	s_wait_alu 0xfffe
	s_delay_alu instid0(SALU_CYCLE_2) | instskip(SKIP_2) | instid1(SALU_CYCLE_1)
	s_cvt_u32_f32 s6, s3
	s_sub_co_i32 s3, 0, s10
	s_wait_alu 0xfffe
	s_mul_i32 s7, s3, s6
	s_mov_b32 s3, 0
	s_mul_hi_u32 s9, s6, s7
	s_wait_alu 0xfffe
	s_mov_b32 s7, s3
	s_add_co_i32 s6, s6, s9
	s_cmp_lt_i32 s8, 2
	s_mov_b32 s13, s3
	s_cbranch_scc1 .LBB126_4
; %bb.2:
	s_add_co_i32 s12, s8, -1
	s_mov_b32 s13, 0
	s_add_co_i32 s11, s8, 1
	s_lshl_b64 s[16:17], s[12:13], 2
	s_mov_b32 s18, s2
	s_add_nc_u64 s[16:17], s[14:15], s[16:17]
	s_delay_alu instid0(SALU_CYCLE_1)
	s_add_nc_u64 s[8:9], s[16:17], 8
.LBB126_3:                              ; =>This Inner Loop Header: Depth=1
	s_clause 0x1
	s_load_b32 s12, s[8:9], 0x0
	s_load_b32 s16, s[8:9], 0x64
	s_mov_b32 s20, s18
	s_add_nc_u64 s[8:9], s[8:9], -4
	s_wait_kmcnt 0x0
	s_cvt_f32_u32 s17, s12
	s_sub_co_i32 s19, 0, s12
	s_wait_alu 0xfffe
	s_delay_alu instid0(SALU_CYCLE_1) | instskip(NEXT) | instid1(TRANS32_DEP_1)
	v_rcp_iflag_f32_e32 v1, s17
	v_readfirstlane_b32 s17, v1
	s_mul_f32 s17, s17, 0x4f7ffffe
	s_wait_alu 0xfffe
	s_delay_alu instid0(SALU_CYCLE_2) | instskip(SKIP_1) | instid1(SALU_CYCLE_2)
	s_cvt_u32_f32 s17, s17
	s_wait_alu 0xfffe
	s_mul_i32 s19, s19, s17
	s_delay_alu instid0(SALU_CYCLE_1) | instskip(NEXT) | instid1(SALU_CYCLE_1)
	s_mul_hi_u32 s19, s17, s19
	s_add_co_i32 s17, s17, s19
	s_wait_alu 0xfffe
	s_mul_hi_u32 s17, s18, s17
	s_wait_alu 0xfffe
	s_mul_i32 s18, s17, s12
	s_add_co_i32 s19, s17, 1
	s_sub_co_i32 s18, s20, s18
	s_delay_alu instid0(SALU_CYCLE_1)
	s_sub_co_i32 s23, s18, s12
	s_cmp_ge_u32 s18, s12
	s_cselect_b32 s17, s19, s17
	s_cselect_b32 s18, s23, s18
	s_wait_alu 0xfffe
	s_add_co_i32 s19, s17, 1
	s_cmp_ge_u32 s18, s12
	s_cselect_b32 s18, s19, s17
	s_add_co_i32 s11, s11, -1
	s_mul_i32 s12, s18, s12
	s_delay_alu instid0(SALU_CYCLE_1) | instskip(NEXT) | instid1(SALU_CYCLE_1)
	s_sub_co_i32 s12, s20, s12
	s_mul_i32 s12, s16, s12
	s_delay_alu instid0(SALU_CYCLE_1)
	s_add_co_i32 s13, s12, s13
	s_cmp_gt_u32 s11, 2
	s_cbranch_scc1 .LBB126_3
.LBB126_4:
	s_mul_u64 s[6:7], s[2:3], s[6:7]
	s_clause 0x1
	s_load_b64 s[16:17], s[0:1], 0x0
	s_load_b64 s[28:29], s[0:1], 0x1c0
	s_mul_i32 s3, s7, s10
	s_add_nc_u64 s[36:37], s[0:1], 0x1c8
	s_wait_alu 0xfffe
	s_sub_co_i32 s0, s2, s3
	s_add_co_i32 s1, s7, 1
	s_sub_co_i32 s3, s0, s10
	s_cmp_ge_u32 s0, s10
	s_cselect_b32 s1, s1, s7
	s_wait_alu 0xfffe
	s_cselect_b32 s0, s3, s0
	s_add_co_i32 s3, s1, 1
	s_cmp_ge_u32 s0, s10
	s_wait_alu 0xfffe
	s_cselect_b32 s0, s3, s1
	s_mov_b32 s3, 0
	s_mul_i32 s1, s0, s10
	s_mul_i32 s0, s0, s4
	s_sub_co_i32 s1, s2, s1
	s_delay_alu instid0(SALU_CYCLE_1) | instskip(NEXT) | instid1(SALU_CYCLE_1)
	s_mul_i32 s1, s1, s5
	s_add_co_i32 s2, s0, s1
	s_wait_kmcnt 0x0
	s_bitcmp1_b32 s29, 0
	s_brev_b32 s0, 1
	s_cselect_b32 s12, -1, 0
	s_delay_alu instid0(SALU_CYCLE_1)
	s_and_b32 s1, s12, exec_lo
	s_cselect_b32 s4, s0, 0x7fffffff
	s_wait_alu 0xfffe
	s_lshl_b64 s[2:3], s[2:3], 2
	s_mov_b32 s5, s4
	s_mov_b32 s6, s4
	s_mov_b32 s7, s4
	s_mov_b32 s8, s4
	s_mov_b32 s9, s4
	s_mov_b32 s10, s4
	s_mov_b32 s11, s4
	v_dual_mov_b32 v1, s4 :: v_dual_and_b32 v42, 0x3ff, v0
	v_dual_mov_b32 v2, s5 :: v_dual_mov_b32 v3, s6
	v_dual_mov_b32 v4, s7 :: v_dual_mov_b32 v5, s8
	s_delay_alu instid0(VALU_DEP_3)
	v_mul_lo_u32 v40, s22, v42
	v_cmp_gt_u32_e64 s0, s21, v42
	v_dual_mov_b32 v6, s9 :: v_dual_mov_b32 v7, s10
	v_dual_mov_b32 v8, s11 :: v_dual_mov_b32 v9, s4
	s_wait_alu 0xfffe
	s_add_nc_u64 s[30:31], s[16:17], s[2:3]
	s_and_saveexec_b32 s1, s0
	s_cbranch_execz .LBB126_6
; %bb.5:
	v_mov_b32_e32 v41, 0
	s_delay_alu instid0(VALU_DEP_1) | instskip(NEXT) | instid1(VALU_DEP_1)
	v_lshlrev_b64_e32 v[1:2], 2, v[40:41]
	v_add_co_u32 v1, vcc_lo, s30, v1
	s_delay_alu instid0(VALU_DEP_1)
	v_add_co_ci_u32_e64 v2, null, s31, v2, vcc_lo
	global_load_b32 v9, v[1:2], off
	v_dual_mov_b32 v1, s4 :: v_dual_mov_b32 v4, s7
	v_dual_mov_b32 v2, s5 :: v_dual_mov_b32 v3, s6
	v_dual_mov_b32 v6, s9 :: v_dual_mov_b32 v5, s8
	v_dual_mov_b32 v8, s11 :: v_dual_mov_b32 v7, s10
.LBB126_6:
	s_or_b32 exec_lo, exec_lo, s1
	v_add_nc_u32_e32 v15, 0x100, v42
	s_delay_alu instid0(VALU_DEP_1)
	v_cmp_gt_u32_e64 s1, s21, v15
	s_and_saveexec_b32 s2, s1
	s_cbranch_execz .LBB126_8
; %bb.7:
	v_mul_lo_u32 v1, s22, v15
	v_mov_b32_e32 v2, 0
	s_delay_alu instid0(VALU_DEP_1) | instskip(NEXT) | instid1(VALU_DEP_1)
	v_lshlrev_b64_e32 v[1:2], 2, v[1:2]
	v_add_co_u32 v1, vcc_lo, s30, v1
	s_wait_alu 0xfffd
	s_delay_alu instid0(VALU_DEP_2)
	v_add_co_ci_u32_e64 v2, null, s31, v2, vcc_lo
	global_load_b32 v2, v[1:2], off
.LBB126_8:
	s_wait_alu 0xfffe
	s_or_b32 exec_lo, exec_lo, s2
	v_add_nc_u32_e32 v16, 0x200, v42
	s_delay_alu instid0(VALU_DEP_1)
	v_cmp_gt_u32_e64 s2, s21, v16
	s_and_saveexec_b32 s3, s2
	s_cbranch_execz .LBB126_10
; %bb.9:
	v_mul_lo_u32 v10, s22, v16
	v_mov_b32_e32 v11, 0
	s_delay_alu instid0(VALU_DEP_1) | instskip(NEXT) | instid1(VALU_DEP_1)
	v_lshlrev_b64_e32 v[10:11], 2, v[10:11]
	v_add_co_u32 v10, vcc_lo, s30, v10
	s_wait_alu 0xfffd
	s_delay_alu instid0(VALU_DEP_2)
	v_add_co_ci_u32_e64 v11, null, s31, v11, vcc_lo
	global_load_b32 v3, v[10:11], off
.LBB126_10:
	s_wait_alu 0xfffe
	s_or_b32 exec_lo, exec_lo, s3
	v_add_nc_u32_e32 v19, 0x300, v42
	s_delay_alu instid0(VALU_DEP_1)
	v_cmp_gt_u32_e64 s3, s21, v19
	s_and_saveexec_b32 s4, s3
	s_cbranch_execz .LBB126_12
; %bb.11:
	v_mul_lo_u32 v10, s22, v19
	v_mov_b32_e32 v11, 0
	s_delay_alu instid0(VALU_DEP_1) | instskip(NEXT) | instid1(VALU_DEP_1)
	v_lshlrev_b64_e32 v[10:11], 2, v[10:11]
	v_add_co_u32 v10, vcc_lo, s30, v10
	s_wait_alu 0xfffd
	s_delay_alu instid0(VALU_DEP_2)
	v_add_co_ci_u32_e64 v11, null, s31, v11, vcc_lo
	global_load_b32 v4, v[10:11], off
.LBB126_12:
	s_wait_alu 0xfffe
	s_or_b32 exec_lo, exec_lo, s4
	v_or_b32_e32 v20, 0x400, v42
	s_delay_alu instid0(VALU_DEP_1)
	v_cmp_gt_u32_e64 s4, s21, v20
	s_and_saveexec_b32 s5, s4
	s_cbranch_execz .LBB126_14
; %bb.13:
	v_mul_lo_u32 v10, s22, v20
	v_mov_b32_e32 v11, 0
	s_delay_alu instid0(VALU_DEP_1) | instskip(NEXT) | instid1(VALU_DEP_1)
	v_lshlrev_b64_e32 v[10:11], 2, v[10:11]
	v_add_co_u32 v10, vcc_lo, s30, v10
	s_wait_alu 0xfffd
	s_delay_alu instid0(VALU_DEP_2)
	v_add_co_ci_u32_e64 v11, null, s31, v11, vcc_lo
	global_load_b32 v5, v[10:11], off
.LBB126_14:
	s_wait_alu 0xfffe
	s_or_b32 exec_lo, exec_lo, s5
	v_add_nc_u32_e32 v21, 0x500, v42
	s_delay_alu instid0(VALU_DEP_1)
	v_cmp_gt_u32_e64 s5, s21, v21
	s_and_saveexec_b32 s6, s5
	s_cbranch_execz .LBB126_16
; %bb.15:
	v_mul_lo_u32 v10, s22, v21
	v_mov_b32_e32 v11, 0
	s_delay_alu instid0(VALU_DEP_1) | instskip(NEXT) | instid1(VALU_DEP_1)
	v_lshlrev_b64_e32 v[10:11], 2, v[10:11]
	v_add_co_u32 v10, vcc_lo, s30, v10
	s_wait_alu 0xfffd
	s_delay_alu instid0(VALU_DEP_2)
	v_add_co_ci_u32_e64 v11, null, s31, v11, vcc_lo
	global_load_b32 v6, v[10:11], off
.LBB126_16:
	s_wait_alu 0xfffe
	s_or_b32 exec_lo, exec_lo, s6
	v_add_nc_u32_e32 v22, 0x600, v42
	s_delay_alu instid0(VALU_DEP_1)
	v_cmp_gt_u32_e64 s6, s21, v22
	s_and_saveexec_b32 s7, s6
	s_cbranch_execz .LBB126_18
; %bb.17:
	v_mul_lo_u32 v10, s22, v22
	v_mov_b32_e32 v11, 0
	s_delay_alu instid0(VALU_DEP_1) | instskip(NEXT) | instid1(VALU_DEP_1)
	v_lshlrev_b64_e32 v[10:11], 2, v[10:11]
	v_add_co_u32 v10, vcc_lo, s30, v10
	s_wait_alu 0xfffd
	s_delay_alu instid0(VALU_DEP_2)
	v_add_co_ci_u32_e64 v11, null, s31, v11, vcc_lo
	global_load_b32 v7, v[10:11], off
.LBB126_18:
	s_wait_alu 0xfffe
	s_or_b32 exec_lo, exec_lo, s7
	s_clause 0x1
	s_load_b32 s10, s[14:15], 0x6c
	s_load_b64 s[8:9], s[14:15], 0x0
	v_add_nc_u32_e32 v23, 0x700, v42
	s_delay_alu instid0(VALU_DEP_1)
	v_cmp_gt_u32_e64 s7, s21, v23
	s_and_saveexec_b32 s11, s7
	s_cbranch_execz .LBB126_20
; %bb.19:
	v_mul_lo_u32 v10, s22, v23
	v_mov_b32_e32 v11, 0
	s_delay_alu instid0(VALU_DEP_1) | instskip(NEXT) | instid1(VALU_DEP_1)
	v_lshlrev_b64_e32 v[10:11], 2, v[10:11]
	v_add_co_u32 v10, vcc_lo, s30, v10
	s_wait_alu 0xfffd
	s_delay_alu instid0(VALU_DEP_2)
	v_add_co_ci_u32_e64 v11, null, s31, v11, vcc_lo
	global_load_b32 v8, v[10:11], off
.LBB126_20:
	s_wait_alu 0xfffe
	s_or_b32 exec_lo, exec_lo, s11
	v_lshrrev_b32_e32 v17, 5, v42
	v_lshrrev_b32_e32 v1, 5, v15
	;; [unrolled: 1-line block ×3, first 2 shown]
	s_wait_kmcnt 0x0
	s_mul_i32 s10, s10, s18
	v_mul_lo_u32 v37, s28, v42
	v_dual_mov_b32 v38, 0 :: v_dual_add_nc_u32 v27, v17, v42
	v_add_nc_u32_e32 v26, v1, v42
	v_lshrrev_b32_e32 v1, 5, v19
	v_dual_mov_b32 v13, 0 :: v_dual_add_nc_u32 v24, v10, v42
	s_delay_alu instid0(VALU_DEP_4) | instskip(NEXT) | instid1(VALU_DEP_3)
	v_dual_mov_b32 v10, v38 :: v_dual_lshlrev_b32 v73, 2, v27
	v_add_nc_u32_e32 v25, v1, v42
	v_lshrrev_b32_e32 v1, 5, v20
	v_mov_b32_e32 v39, v38
	v_lshlrev_b32_e32 v41, 2, v26
	v_lshlrev_b32_e32 v74, 2, v24
	;; [unrolled: 1-line block ×3, first 2 shown]
	v_add_nc_u32_e32 v28, v1, v42
	v_lshrrev_b32_e32 v1, 5, v21
	s_wait_loadcnt 0x0
	ds_store_b32 v73, v9
	ds_store_b32 v41, v2 offset:1024
	ds_store_b32 v74, v3 offset:2048
	v_lshrrev_b32_e32 v2, 5, v22
	v_lshrrev_b32_e32 v3, 5, v23
	v_lshlrev_b32_e32 v75, 2, v25
	v_add_nc_u32_e32 v32, v1, v42
	v_lshrrev_b32_e32 v1, 2, v42
	v_add_nc_u32_e32 v30, v2, v42
	v_add_nc_u32_e32 v29, v3, v42
	ds_store_b32 v75, v4 offset:3072
	v_mov_b32_e32 v3, v38
	v_add_nc_u32_e32 v31, v1, v18
	v_dual_mov_b32 v1, v38 :: v_dual_lshlrev_b32 v76, 2, v28
	v_dual_mov_b32 v11, v38 :: v_dual_lshlrev_b32 v78, 2, v30
	s_delay_alu instid0(VALU_DEP_3)
	v_lshlrev_b32_e32 v80, 2, v31
	v_dual_mov_b32 v12, v38 :: v_dual_lshlrev_b32 v79, 2, v29
	ds_store_b32 v76, v5 offset:4096
	v_mov_b32_e32 v5, v38
	v_dual_mov_b32 v14, 0 :: v_dual_lshlrev_b32 v77, 2, v32
	ds_store_b32 v77, v6 offset:5120
	ds_store_b32 v78, v7 offset:6144
	;; [unrolled: 1-line block ×3, first 2 shown]
	s_wait_dscnt 0x0
	s_barrier_signal -1
	s_barrier_wait -1
	global_inv scope:SCOPE_SE
	ds_load_2addr_b32 v[49:50], v80 offset1:1
	ds_load_2addr_b32 v[47:48], v80 offset0:2 offset1:3
	ds_load_2addr_b32 v[45:46], v80 offset0:4 offset1:5
	;; [unrolled: 1-line block ×3, first 2 shown]
	s_mov_b32 s11, 0
	s_wait_alu 0xfffe
	s_add_co_i32 s10, s10, s13
	v_dual_mov_b32 v9, v38 :: v_dual_mov_b32 v2, v38
	v_mov_b32_e32 v4, v38
	v_dual_mov_b32 v6, v38 :: v_dual_mov_b32 v7, v38
	v_mov_b32_e32 v8, v38
	s_wait_alu 0xfffe
	s_lshl_b64 s[10:11], s[10:11], 3
	s_wait_loadcnt_dscnt 0x0
	s_wait_alu 0xfffe
	s_add_nc_u64 s[34:35], s[8:9], s[10:11]
	s_barrier_signal -1
	s_barrier_wait -1
	global_inv scope:SCOPE_SE
	s_and_saveexec_b32 s8, s0
	s_cbranch_execnz .LBB126_56
; %bb.21:
	s_wait_alu 0xfffe
	s_or_b32 exec_lo, exec_lo, s8
	s_and_saveexec_b32 s8, s1
	s_cbranch_execnz .LBB126_57
.LBB126_22:
	s_wait_alu 0xfffe
	s_or_b32 exec_lo, exec_lo, s8
	s_and_saveexec_b32 s8, s2
	s_cbranch_execnz .LBB126_58
.LBB126_23:
	s_wait_alu 0xfffe
	s_or_b32 exec_lo, exec_lo, s8
	s_and_saveexec_b32 s8, s3
	s_cbranch_execnz .LBB126_59
.LBB126_24:
	s_wait_alu 0xfffe
	s_or_b32 exec_lo, exec_lo, s8
	s_and_saveexec_b32 s8, s4
	s_cbranch_execnz .LBB126_60
.LBB126_25:
	s_wait_alu 0xfffe
	s_or_b32 exec_lo, exec_lo, s8
	s_and_saveexec_b32 s8, s5
	s_cbranch_execnz .LBB126_61
.LBB126_26:
	s_wait_alu 0xfffe
	s_or_b32 exec_lo, exec_lo, s8
	s_and_saveexec_b32 s8, s6
	s_cbranch_execnz .LBB126_62
.LBB126_27:
	s_wait_alu 0xfffe
	s_or_b32 exec_lo, exec_lo, s8
	s_xor_b32 s8, s12, -1
	s_and_saveexec_b32 s9, s7
	s_cbranch_execz .LBB126_29
.LBB126_28:
	v_mul_lo_u32 v11, s28, v23
	v_mov_b32_e32 v12, 0
	s_delay_alu instid0(VALU_DEP_1) | instskip(NEXT) | instid1(VALU_DEP_1)
	v_lshlrev_b64_e32 v[11:12], 3, v[11:12]
	v_add_co_u32 v11, vcc_lo, s34, v11
	s_wait_alu 0xfffd
	s_delay_alu instid0(VALU_DEP_2)
	v_add_co_ci_u32_e64 v12, null, s35, v12, vcc_lo
	global_load_b64 v[11:12], v[11:12], off
.LBB126_29:
	s_wait_alu 0xfffe
	s_or_b32 exec_lo, exec_lo, s9
	v_lshlrev_b32_e32 v81, 3, v27
	v_lshlrev_b32_e32 v84, 3, v25
	;; [unrolled: 1-line block ×9, first 2 shown]
	s_wait_loadcnt 0x0
	ds_store_b64 v81, v[13:14]
	ds_store_b64 v82, v[38:39] offset:2048
	ds_store_b64 v83, v[9:10] offset:4096
	;; [unrolled: 1-line block ×7, first 2 shown]
	s_wait_dscnt 0x0
	s_barrier_signal -1
	s_barrier_wait -1
	global_inv scope:SCOPE_SE
	ds_load_2addr_b64 v[5:8], v89 offset1:1
	ds_load_2addr_b64 v[1:4], v89 offset0:2 offset1:3
	v_mbcnt_lo_u32_b32 v93, -1, 0
	v_and_b32_e32 v20, 0x1f00, v18
	ds_load_2addr_b64 v[13:16], v89 offset0:4 offset1:5
	ds_load_2addr_b64 v[9:12], v89 offset0:6 offset1:7
	v_and_b32_e32 v19, 0x3e0, v42
	s_and_b32 vcc_lo, exec_lo, s8
	v_bfe_u32 v98, v0, 10, 10
	v_or_b32_e32 v20, v93, v20
	v_bfe_u32 v99, v0, 20, 10
	v_or_b32_e32 v21, v93, v19
	v_lshlrev_b32_e32 v90, 2, v18
	v_and_b32_e32 v96, 15, v93
	v_lshlrev_b32_e32 v91, 2, v20
	v_and_b32_e32 v95, 16, v93
	v_lshlrev_b32_e32 v101, 3, v21
	v_lshlrev_b32_e32 v102, 5, v21
	v_min_u32_e32 v97, 0xe0, v19
	v_lshl_add_u32 v100, v20, 2, v91
	v_cmp_gt_u32_e64 s8, 8, v42
	v_cmp_lt_u32_e64 s9, 31, v42
	v_cmp_eq_u32_e64 s10, 0, v42
	v_lshlrev_b32_e32 v92, 2, v17
	v_mul_i32_i24_e32 v94, 0xffffffe4, v42
	v_and_b32_e32 v0, 7, v93
	s_mov_b32 s24, 0
	s_mov_b32 s11, -1
	s_wait_loadcnt_dscnt 0x0
	s_barrier_signal -1
	s_barrier_wait -1
	global_inv scope:SCOPE_SE
	s_wait_alu 0xfffe
	s_cbranch_vccz .LBB126_63
; %bb.30:
	v_xor_b32_e32 v17, 0x80000000, v49
	v_xor_b32_e32 v18, 0x80000000, v50
	;; [unrolled: 1-line block ×8, first 2 shown]
	ds_store_b128 v102, v[17:20]
	ds_store_b128 v102, v[21:24] offset:16
	v_dual_mov_b32 v106, 0 :: v_dual_lshlrev_b32 v17, 3, v101
	; wave barrier
	ds_load_2addr_b32 v[65:66], v91 offset1:32
	ds_load_2addr_b32 v[67:68], v91 offset0:64 offset1:96
	ds_load_2addr_b32 v[69:70], v91 offset0:128 offset1:160
	;; [unrolled: 1-line block ×3, first 2 shown]
	s_wait_loadcnt_dscnt 0x0
	s_barrier_signal -1
	s_barrier_wait -1
	global_inv scope:SCOPE_SE
	ds_store_b128 v17, v[5:8]
	ds_store_b128 v17, v[1:4] offset:16
	ds_store_b128 v17, v[13:16] offset:32
	;; [unrolled: 1-line block ×3, first 2 shown]
	; wave barrier
	ds_load_2addr_b64 v[21:24], v100 offset1:32
	ds_load_2addr_b64 v[25:28], v100 offset0:64 offset1:96
	ds_load_2addr_b64 v[29:32], v100 offset0:128 offset1:160
	;; [unrolled: 1-line block ×3, first 2 shown]
	s_wait_loadcnt_dscnt 0x0
	s_barrier_signal -1
	s_barrier_wait -1
	global_inv scope:SCOPE_SE
	s_load_b32 s11, s[36:37], 0xc
	s_getpc_b64 s[12:13]
	s_sext_i32_i16 s13, s13
	s_add_co_u32 s12, s12, _ZN7rocprim17ROCPRIM_400000_NS16block_radix_sortIiLj256ELj8ElLj1ELj1ELj0ELNS0_26block_radix_rank_algorithmE1ELNS0_18block_padding_hintE2ELNS0_4arch9wavefront6targetE0EE19radix_bits_per_passE@rel32@lo+8
	s_add_co_ci_u32 s13, s13, _ZN7rocprim17ROCPRIM_400000_NS16block_radix_sortIiLj256ELj8ElLj1ELj1ELj0ELNS0_26block_radix_rank_algorithmE1ELNS0_18block_padding_hintE2ELNS0_4arch9wavefront6targetE0EE19radix_bits_per_passE@rel32@hi+16
	s_mov_b32 s25, s24
	s_load_b32 s23, s[12:13], 0x0
	s_mov_b32 s26, s24
	s_mov_b32 s27, s24
	v_cmp_lt_u32_e64 s13, 1, v96
	v_cmp_lt_u32_e64 s15, 7, v96
	v_cmp_eq_u32_e64 s16, 0, v95
	v_cmp_eq_u32_e64 s18, 0, v0
	v_cmp_lt_u32_e64 s19, 1, v0
	v_add_nc_u32_e32 v104, -4, v92
	v_cmp_lt_u32_e64 s20, 3, v0
	v_add_nc_u32_e32 v107, v90, v94
	v_add_nc_u32_e32 v108, v91, v91
	s_wait_kmcnt 0x0
	s_lshr_b32 s14, s11, 16
	s_and_b32 s12, s11, 0xffff
	v_mad_u32_u24 v17, v99, s14, v98
	v_sub_co_u32 v19, s11, v93, 1
	v_cmp_lt_u32_e64 s14, 3, v96
	s_delay_alu instid0(VALU_DEP_3) | instskip(NEXT) | instid1(VALU_DEP_3)
	v_mad_co_u64_u32 v[17:18], null, v17, s12, v[42:43]
	v_cmp_gt_i32_e32 vcc_lo, 0, v19
	v_or_b32_e32 v18, 31, v97
	v_cmp_eq_u32_e64 s12, 0, v96
	s_wait_alu 0xfffd
	v_cndmask_b32_e32 v19, v19, v93, vcc_lo
	v_lshrrev_b32_e32 v17, 3, v17
	v_cmp_eq_u32_e64 s17, v42, v18
	s_delay_alu instid0(VALU_DEP_3) | instskip(NEXT) | instid1(VALU_DEP_3)
	v_lshlrev_b32_e32 v103, 2, v19
	v_and_b32_e32 v105, 0x1ffffffc, v17
	v_dual_mov_b32 v17, s24 :: v_dual_mov_b32 v18, s25
	v_dual_mov_b32 v19, s26 :: v_dual_mov_b32 v20, s27
	s_mov_b32 s24, 32
	s_branch .LBB126_32
.LBB126_31:                             ;   in Loop: Header=BB126_32 Depth=1
	s_wait_alu 0xfffe
	s_and_not1_b32 vcc_lo, exec_lo, s25
	s_mov_b32 s24, s21
	s_wait_alu 0xfffe
	s_cbranch_vccz .LBB126_64
.LBB126_32:                             ; =>This Inner Loop Header: Depth=1
	v_dual_mov_b32 v109, v65 :: v_dual_mov_b32 v110, v72
	s_wait_alu 0xfffe
	s_min_u32 s21, s23, s24
	v_mov_b32_e32 v60, v26
	s_wait_alu 0xfffe
	s_lshl_b32 s21, -1, s21
	v_lshrrev_b32_e32 v38, v106, v109
	s_wait_alu 0xfffe
	s_not_b32 s25, s21
	v_mov_b32_e32 v62, v24
	v_mov_b32_e32 v64, v22
	ds_store_b128 v90, v[17:20] offset:32
	ds_store_b128 v90, v[17:20] offset:48
	s_wait_alu 0xfffe
	v_dual_mov_b32 v112, v70 :: v_dual_and_b32 v65, s25, v38
	v_mov_b32_e32 v111, v71
	s_wait_loadcnt_dscnt 0x0
	s_barrier_signal -1
	s_delay_alu instid0(VALU_DEP_2) | instskip(SKIP_2) | instid1(VALU_DEP_3)
	v_and_b32_e32 v38, 1, v65
	v_dual_mov_b32 v114, v68 :: v_dual_lshlrev_b32 v39, 30, v65
	v_dual_mov_b32 v116, v66 :: v_dual_lshlrev_b32 v51, 29, v65
	v_add_co_u32 v38, s21, v38, -1
	s_wait_alu 0xf1ff
	v_cndmask_b32_e64 v53, 0, 1, s21
	v_not_b32_e32 v57, v39
	v_dual_mov_b32 v113, v69 :: v_dual_lshlrev_b32 v52, 28, v65
	v_cmp_gt_i32_e64 s21, 0, v39
	s_delay_alu instid0(VALU_DEP_4)
	v_cmp_ne_u32_e32 vcc_lo, 0, v53
	v_not_b32_e32 v39, v51
	v_ashrrev_i32_e32 v57, 31, v57
	v_dual_mov_b32 v115, v67 :: v_dual_lshlrev_b32 v54, 27, v65
	s_wait_alu 0xfffd
	v_xor_b32_e32 v38, vcc_lo, v38
	v_cmp_gt_i32_e32 vcc_lo, 0, v51
	v_not_b32_e32 v51, v52
	v_ashrrev_i32_e32 v39, 31, v39
	s_wait_alu 0xf1ff
	v_xor_b32_e32 v57, s21, v57
	v_and_b32_e32 v38, exec_lo, v38
	v_cmp_gt_i32_e64 s21, 0, v52
	v_not_b32_e32 v52, v54
	v_lshlrev_b32_e32 v55, 26, v65
	v_ashrrev_i32_e32 v51, 31, v51
	s_wait_alu 0xfffd
	v_xor_b32_e32 v39, vcc_lo, v39
	v_and_b32_e32 v38, v38, v57
	v_lshlrev_b32_e32 v56, 25, v65
	v_cmp_gt_i32_e32 vcc_lo, 0, v54
	v_ashrrev_i32_e32 v52, 31, v52
	v_not_b32_e32 v54, v55
	s_wait_alu 0xf1ff
	v_xor_b32_e32 v51, s21, v51
	v_and_b32_e32 v38, v38, v39
	v_cmp_gt_i32_e64 s21, 0, v55
	v_not_b32_e32 v39, v56
	s_wait_alu 0xfffd
	v_xor_b32_e32 v52, vcc_lo, v52
	v_cmp_gt_i32_e32 vcc_lo, 0, v56
	v_dual_mov_b32 v56, v30 :: v_dual_lshlrev_b32 v53, 24, v65
	v_ashrrev_i32_e32 v54, 31, v54
	v_dual_mov_b32 v55, v29 :: v_dual_and_b32 v38, v38, v51
	v_ashrrev_i32_e32 v39, 31, v39
	s_delay_alu instid0(VALU_DEP_4)
	v_not_b32_e32 v51, v53
	s_wait_alu 0xf1ff
	v_xor_b32_e32 v54, s21, v54
	v_cmp_gt_i32_e64 s21, 0, v53
	v_dual_mov_b32 v59, v25 :: v_dual_and_b32 v38, v38, v52
	v_ashrrev_i32_e32 v51, 31, v51
	s_wait_alu 0xfffd
	v_xor_b32_e32 v39, vcc_lo, v39
	s_delay_alu instid0(VALU_DEP_3)
	v_dual_mov_b32 v61, v23 :: v_dual_and_b32 v38, v38, v54
	v_mov_b32_e32 v63, v21
	s_wait_alu 0xf1ff
	v_xor_b32_e32 v57, s21, v51
	v_dual_mov_b32 v52, v34 :: v_dual_lshlrev_b32 v21, 5, v65
	v_and_b32_e32 v58, v38, v39
	v_dual_mov_b32 v54, v32 :: v_dual_mov_b32 v53, v31
	v_dual_mov_b32 v39, v36 :: v_dual_mov_b32 v38, v35
	s_delay_alu instid0(VALU_DEP_3) | instskip(SKIP_2) | instid1(VALU_DEP_3)
	v_dual_mov_b32 v58, v28 :: v_dual_and_b32 v31, v58, v57
	v_mov_b32_e32 v51, v33
	v_dual_mov_b32 v57, v27 :: v_dual_add_nc_u32 v30, v105, v21
	v_mbcnt_lo_u32_b32 v29, v31, 0
	v_cmp_ne_u32_e64 s21, 0, v31
	s_barrier_wait -1
	global_inv scope:SCOPE_SE
	v_cmp_eq_u32_e32 vcc_lo, 0, v29
	; wave barrier
	s_and_b32 s26, s21, vcc_lo
	s_wait_alu 0xfffe
	s_and_saveexec_b32 s21, s26
; %bb.33:                               ;   in Loop: Header=BB126_32 Depth=1
	v_bcnt_u32_b32 v21, v31, 0
	ds_store_b32 v30, v21 offset:32
; %bb.34:                               ;   in Loop: Header=BB126_32 Depth=1
	s_wait_alu 0xfffe
	s_or_b32 exec_lo, exec_lo, s21
	v_lshrrev_b32_e32 v21, v106, v116
	; wave barrier
	s_delay_alu instid0(VALU_DEP_1) | instskip(NEXT) | instid1(VALU_DEP_1)
	v_and_b32_e32 v21, s25, v21
	v_and_b32_e32 v22, 1, v21
	v_lshlrev_b32_e32 v23, 30, v21
	v_lshlrev_b32_e32 v24, 29, v21
	;; [unrolled: 1-line block ×4, first 2 shown]
	v_add_co_u32 v22, s21, v22, -1
	s_wait_alu 0xf1ff
	v_cndmask_b32_e64 v26, 0, 1, s21
	v_not_b32_e32 v32, v23
	v_cmp_gt_i32_e64 s21, 0, v23
	v_not_b32_e32 v23, v24
	v_lshlrev_b32_e32 v28, 26, v21
	v_cmp_ne_u32_e32 vcc_lo, 0, v26
	v_ashrrev_i32_e32 v32, 31, v32
	v_lshlrev_b32_e32 v31, 25, v21
	v_ashrrev_i32_e32 v23, 31, v23
	v_lshlrev_b32_e32 v26, 24, v21
	s_wait_alu 0xfffd
	v_xor_b32_e32 v22, vcc_lo, v22
	v_cmp_gt_i32_e32 vcc_lo, 0, v24
	v_not_b32_e32 v24, v25
	s_wait_alu 0xf1ff
	v_xor_b32_e32 v32, s21, v32
	v_cmp_gt_i32_e64 s21, 0, v25
	v_and_b32_e32 v22, exec_lo, v22
	v_not_b32_e32 v25, v27
	v_ashrrev_i32_e32 v24, 31, v24
	s_wait_alu 0xfffd
	v_xor_b32_e32 v23, vcc_lo, v23
	v_cmp_gt_i32_e32 vcc_lo, 0, v27
	v_and_b32_e32 v22, v22, v32
	v_not_b32_e32 v27, v28
	v_ashrrev_i32_e32 v25, 31, v25
	s_wait_alu 0xf1ff
	v_xor_b32_e32 v24, s21, v24
	v_cmp_gt_i32_e64 s21, 0, v28
	v_and_b32_e32 v22, v22, v23
	v_not_b32_e32 v23, v31
	v_ashrrev_i32_e32 v27, 31, v27
	s_wait_alu 0xfffd
	v_xor_b32_e32 v25, vcc_lo, v25
	v_cmp_gt_i32_e32 vcc_lo, 0, v31
	v_and_b32_e32 v22, v22, v24
	v_not_b32_e32 v24, v26
	v_ashrrev_i32_e32 v23, 31, v23
	s_wait_alu 0xf1ff
	v_xor_b32_e32 v27, s21, v27
	v_lshlrev_b32_e32 v21, 5, v21
	v_and_b32_e32 v22, v22, v25
	v_cmp_gt_i32_e64 s21, 0, v26
	v_ashrrev_i32_e32 v24, 31, v24
	s_wait_alu 0xfffd
	v_xor_b32_e32 v23, vcc_lo, v23
	v_add_nc_u32_e32 v33, v105, v21
	v_and_b32_e32 v22, v22, v27
	s_wait_alu 0xf1ff
	v_xor_b32_e32 v21, s21, v24
	ds_load_b32 v31, v33 offset:32
	v_and_b32_e32 v22, v22, v23
	; wave barrier
	s_delay_alu instid0(VALU_DEP_1) | instskip(NEXT) | instid1(VALU_DEP_1)
	v_and_b32_e32 v21, v22, v21
	v_mbcnt_lo_u32_b32 v32, v21, 0
	v_cmp_ne_u32_e64 s21, 0, v21
	s_delay_alu instid0(VALU_DEP_2)
	v_cmp_eq_u32_e32 vcc_lo, 0, v32
	s_and_b32 s26, s21, vcc_lo
	s_wait_alu 0xfffe
	s_and_saveexec_b32 s21, s26
	s_cbranch_execz .LBB126_36
; %bb.35:                               ;   in Loop: Header=BB126_32 Depth=1
	s_wait_dscnt 0x0
	v_bcnt_u32_b32 v21, v21, v31
	ds_store_b32 v33, v21 offset:32
.LBB126_36:                             ;   in Loop: Header=BB126_32 Depth=1
	s_wait_alu 0xfffe
	s_or_b32 exec_lo, exec_lo, s21
	v_lshrrev_b32_e32 v21, v106, v115
	; wave barrier
	s_delay_alu instid0(VALU_DEP_1) | instskip(NEXT) | instid1(VALU_DEP_1)
	v_and_b32_e32 v21, s25, v21
	v_and_b32_e32 v22, 1, v21
	v_lshlrev_b32_e32 v23, 30, v21
	v_lshlrev_b32_e32 v24, 29, v21
	;; [unrolled: 1-line block ×4, first 2 shown]
	v_add_co_u32 v22, s21, v22, -1
	s_wait_alu 0xf1ff
	v_cndmask_b32_e64 v26, 0, 1, s21
	v_not_b32_e32 v35, v23
	v_cmp_gt_i32_e64 s21, 0, v23
	v_not_b32_e32 v23, v24
	v_lshlrev_b32_e32 v28, 26, v21
	v_cmp_ne_u32_e32 vcc_lo, 0, v26
	v_ashrrev_i32_e32 v35, 31, v35
	v_lshlrev_b32_e32 v34, 25, v21
	v_ashrrev_i32_e32 v23, 31, v23
	v_lshlrev_b32_e32 v26, 24, v21
	s_wait_alu 0xfffd
	v_xor_b32_e32 v22, vcc_lo, v22
	v_cmp_gt_i32_e32 vcc_lo, 0, v24
	v_not_b32_e32 v24, v25
	s_wait_alu 0xf1ff
	v_xor_b32_e32 v35, s21, v35
	v_cmp_gt_i32_e64 s21, 0, v25
	v_and_b32_e32 v22, exec_lo, v22
	v_not_b32_e32 v25, v27
	v_ashrrev_i32_e32 v24, 31, v24
	s_wait_alu 0xfffd
	v_xor_b32_e32 v23, vcc_lo, v23
	v_cmp_gt_i32_e32 vcc_lo, 0, v27
	v_and_b32_e32 v22, v22, v35
	v_not_b32_e32 v27, v28
	v_ashrrev_i32_e32 v25, 31, v25
	s_wait_alu 0xf1ff
	v_xor_b32_e32 v24, s21, v24
	v_cmp_gt_i32_e64 s21, 0, v28
	v_and_b32_e32 v22, v22, v23
	v_not_b32_e32 v23, v34
	v_ashrrev_i32_e32 v27, 31, v27
	s_wait_alu 0xfffd
	v_xor_b32_e32 v25, vcc_lo, v25
	v_cmp_gt_i32_e32 vcc_lo, 0, v34
	v_and_b32_e32 v22, v22, v24
	v_not_b32_e32 v24, v26
	v_ashrrev_i32_e32 v23, 31, v23
	s_wait_alu 0xf1ff
	v_xor_b32_e32 v27, s21, v27
	v_lshlrev_b32_e32 v21, 5, v21
	v_and_b32_e32 v22, v22, v25
	v_cmp_gt_i32_e64 s21, 0, v26
	v_ashrrev_i32_e32 v24, 31, v24
	s_wait_alu 0xfffd
	v_xor_b32_e32 v23, vcc_lo, v23
	v_add_nc_u32_e32 v36, v105, v21
	v_and_b32_e32 v22, v22, v27
	s_wait_alu 0xf1ff
	v_xor_b32_e32 v21, s21, v24
	ds_load_b32 v34, v36 offset:32
	v_and_b32_e32 v22, v22, v23
	; wave barrier
	s_delay_alu instid0(VALU_DEP_1) | instskip(NEXT) | instid1(VALU_DEP_1)
	v_and_b32_e32 v21, v22, v21
	v_mbcnt_lo_u32_b32 v35, v21, 0
	v_cmp_ne_u32_e64 s21, 0, v21
	s_delay_alu instid0(VALU_DEP_2)
	v_cmp_eq_u32_e32 vcc_lo, 0, v35
	s_and_b32 s26, s21, vcc_lo
	s_wait_alu 0xfffe
	s_and_saveexec_b32 s21, s26
	s_cbranch_execz .LBB126_38
; %bb.37:                               ;   in Loop: Header=BB126_32 Depth=1
	s_wait_dscnt 0x0
	v_bcnt_u32_b32 v21, v21, v34
	ds_store_b32 v36, v21 offset:32
.LBB126_38:                             ;   in Loop: Header=BB126_32 Depth=1
	s_wait_alu 0xfffe
	s_or_b32 exec_lo, exec_lo, s21
	v_lshrrev_b32_e32 v21, v106, v114
	; wave barrier
	s_delay_alu instid0(VALU_DEP_1) | instskip(NEXT) | instid1(VALU_DEP_1)
	v_and_b32_e32 v21, s25, v21
	v_and_b32_e32 v22, 1, v21
	v_lshlrev_b32_e32 v23, 30, v21
	v_lshlrev_b32_e32 v24, 29, v21
	;; [unrolled: 1-line block ×4, first 2 shown]
	v_add_co_u32 v22, s21, v22, -1
	s_wait_alu 0xf1ff
	v_cndmask_b32_e64 v26, 0, 1, s21
	v_not_b32_e32 v66, v23
	v_cmp_gt_i32_e64 s21, 0, v23
	v_not_b32_e32 v23, v24
	v_lshlrev_b32_e32 v28, 26, v21
	v_cmp_ne_u32_e32 vcc_lo, 0, v26
	v_ashrrev_i32_e32 v66, 31, v66
	v_lshlrev_b32_e32 v65, 25, v21
	v_ashrrev_i32_e32 v23, 31, v23
	v_lshlrev_b32_e32 v26, 24, v21
	s_wait_alu 0xfffd
	v_xor_b32_e32 v22, vcc_lo, v22
	v_cmp_gt_i32_e32 vcc_lo, 0, v24
	v_not_b32_e32 v24, v25
	s_wait_alu 0xf1ff
	v_xor_b32_e32 v66, s21, v66
	v_cmp_gt_i32_e64 s21, 0, v25
	v_and_b32_e32 v22, exec_lo, v22
	v_not_b32_e32 v25, v27
	v_ashrrev_i32_e32 v24, 31, v24
	s_wait_alu 0xfffd
	v_xor_b32_e32 v23, vcc_lo, v23
	v_cmp_gt_i32_e32 vcc_lo, 0, v27
	v_and_b32_e32 v22, v22, v66
	v_not_b32_e32 v27, v28
	v_ashrrev_i32_e32 v25, 31, v25
	s_wait_alu 0xf1ff
	v_xor_b32_e32 v24, s21, v24
	v_cmp_gt_i32_e64 s21, 0, v28
	v_and_b32_e32 v22, v22, v23
	v_not_b32_e32 v23, v65
	v_ashrrev_i32_e32 v27, 31, v27
	s_wait_alu 0xfffd
	v_xor_b32_e32 v25, vcc_lo, v25
	v_cmp_gt_i32_e32 vcc_lo, 0, v65
	v_and_b32_e32 v22, v22, v24
	v_not_b32_e32 v24, v26
	v_ashrrev_i32_e32 v23, 31, v23
	s_wait_alu 0xf1ff
	v_xor_b32_e32 v27, s21, v27
	v_lshlrev_b32_e32 v21, 5, v21
	v_and_b32_e32 v22, v22, v25
	v_cmp_gt_i32_e64 s21, 0, v26
	v_ashrrev_i32_e32 v24, 31, v24
	s_wait_alu 0xfffd
	v_xor_b32_e32 v23, vcc_lo, v23
	v_add_nc_u32_e32 v67, v105, v21
	v_and_b32_e32 v22, v22, v27
	s_wait_alu 0xf1ff
	v_xor_b32_e32 v21, s21, v24
	ds_load_b32 v65, v67 offset:32
	v_and_b32_e32 v22, v22, v23
	; wave barrier
	s_delay_alu instid0(VALU_DEP_1) | instskip(NEXT) | instid1(VALU_DEP_1)
	v_and_b32_e32 v21, v22, v21
	v_mbcnt_lo_u32_b32 v66, v21, 0
	v_cmp_ne_u32_e64 s21, 0, v21
	s_delay_alu instid0(VALU_DEP_2)
	v_cmp_eq_u32_e32 vcc_lo, 0, v66
	s_and_b32 s26, s21, vcc_lo
	s_wait_alu 0xfffe
	s_and_saveexec_b32 s21, s26
	s_cbranch_execz .LBB126_40
; %bb.39:                               ;   in Loop: Header=BB126_32 Depth=1
	s_wait_dscnt 0x0
	v_bcnt_u32_b32 v21, v21, v65
	ds_store_b32 v67, v21 offset:32
.LBB126_40:                             ;   in Loop: Header=BB126_32 Depth=1
	s_wait_alu 0xfffe
	s_or_b32 exec_lo, exec_lo, s21
	v_lshrrev_b32_e32 v21, v106, v113
	; wave barrier
	s_delay_alu instid0(VALU_DEP_1) | instskip(NEXT) | instid1(VALU_DEP_1)
	v_and_b32_e32 v21, s25, v21
	v_and_b32_e32 v22, 1, v21
	v_lshlrev_b32_e32 v23, 30, v21
	v_lshlrev_b32_e32 v24, 29, v21
	;; [unrolled: 1-line block ×4, first 2 shown]
	v_add_co_u32 v22, s21, v22, -1
	s_wait_alu 0xf1ff
	v_cndmask_b32_e64 v26, 0, 1, s21
	v_not_b32_e32 v69, v23
	v_cmp_gt_i32_e64 s21, 0, v23
	v_not_b32_e32 v23, v24
	v_lshlrev_b32_e32 v28, 26, v21
	v_cmp_ne_u32_e32 vcc_lo, 0, v26
	v_ashrrev_i32_e32 v69, 31, v69
	v_lshlrev_b32_e32 v68, 25, v21
	v_ashrrev_i32_e32 v23, 31, v23
	v_lshlrev_b32_e32 v26, 24, v21
	s_wait_alu 0xfffd
	v_xor_b32_e32 v22, vcc_lo, v22
	v_cmp_gt_i32_e32 vcc_lo, 0, v24
	v_not_b32_e32 v24, v25
	s_wait_alu 0xf1ff
	v_xor_b32_e32 v69, s21, v69
	v_cmp_gt_i32_e64 s21, 0, v25
	v_and_b32_e32 v22, exec_lo, v22
	v_not_b32_e32 v25, v27
	v_ashrrev_i32_e32 v24, 31, v24
	s_wait_alu 0xfffd
	v_xor_b32_e32 v23, vcc_lo, v23
	v_cmp_gt_i32_e32 vcc_lo, 0, v27
	v_and_b32_e32 v22, v22, v69
	v_not_b32_e32 v27, v28
	v_ashrrev_i32_e32 v25, 31, v25
	s_wait_alu 0xf1ff
	v_xor_b32_e32 v24, s21, v24
	v_cmp_gt_i32_e64 s21, 0, v28
	v_and_b32_e32 v22, v22, v23
	v_not_b32_e32 v23, v68
	v_ashrrev_i32_e32 v27, 31, v27
	s_wait_alu 0xfffd
	v_xor_b32_e32 v25, vcc_lo, v25
	v_cmp_gt_i32_e32 vcc_lo, 0, v68
	v_and_b32_e32 v22, v22, v24
	v_not_b32_e32 v24, v26
	v_ashrrev_i32_e32 v23, 31, v23
	s_wait_alu 0xf1ff
	v_xor_b32_e32 v27, s21, v27
	v_lshlrev_b32_e32 v21, 5, v21
	v_and_b32_e32 v22, v22, v25
	v_cmp_gt_i32_e64 s21, 0, v26
	v_ashrrev_i32_e32 v24, 31, v24
	s_wait_alu 0xfffd
	v_xor_b32_e32 v23, vcc_lo, v23
	v_add_nc_u32_e32 v70, v105, v21
	v_and_b32_e32 v22, v22, v27
	s_wait_alu 0xf1ff
	v_xor_b32_e32 v21, s21, v24
	ds_load_b32 v68, v70 offset:32
	v_and_b32_e32 v22, v22, v23
	; wave barrier
	s_delay_alu instid0(VALU_DEP_1) | instskip(NEXT) | instid1(VALU_DEP_1)
	v_and_b32_e32 v21, v22, v21
	v_mbcnt_lo_u32_b32 v69, v21, 0
	v_cmp_ne_u32_e64 s21, 0, v21
	s_delay_alu instid0(VALU_DEP_2)
	v_cmp_eq_u32_e32 vcc_lo, 0, v69
	s_and_b32 s26, s21, vcc_lo
	s_wait_alu 0xfffe
	s_and_saveexec_b32 s21, s26
	s_cbranch_execz .LBB126_42
; %bb.41:                               ;   in Loop: Header=BB126_32 Depth=1
	s_wait_dscnt 0x0
	v_bcnt_u32_b32 v21, v21, v68
	ds_store_b32 v70, v21 offset:32
.LBB126_42:                             ;   in Loop: Header=BB126_32 Depth=1
	s_wait_alu 0xfffe
	s_or_b32 exec_lo, exec_lo, s21
	v_lshrrev_b32_e32 v21, v106, v112
	; wave barrier
	s_delay_alu instid0(VALU_DEP_1) | instskip(NEXT) | instid1(VALU_DEP_1)
	v_and_b32_e32 v21, s25, v21
	v_and_b32_e32 v22, 1, v21
	v_lshlrev_b32_e32 v23, 30, v21
	v_lshlrev_b32_e32 v24, 29, v21
	;; [unrolled: 1-line block ×4, first 2 shown]
	v_add_co_u32 v22, s21, v22, -1
	s_wait_alu 0xf1ff
	v_cndmask_b32_e64 v26, 0, 1, s21
	v_not_b32_e32 v72, v23
	v_cmp_gt_i32_e64 s21, 0, v23
	v_not_b32_e32 v23, v24
	v_lshlrev_b32_e32 v28, 26, v21
	v_cmp_ne_u32_e32 vcc_lo, 0, v26
	v_ashrrev_i32_e32 v72, 31, v72
	v_lshlrev_b32_e32 v71, 25, v21
	v_ashrrev_i32_e32 v23, 31, v23
	v_lshlrev_b32_e32 v26, 24, v21
	s_wait_alu 0xfffd
	v_xor_b32_e32 v22, vcc_lo, v22
	v_cmp_gt_i32_e32 vcc_lo, 0, v24
	v_not_b32_e32 v24, v25
	s_wait_alu 0xf1ff
	v_xor_b32_e32 v72, s21, v72
	v_cmp_gt_i32_e64 s21, 0, v25
	v_and_b32_e32 v22, exec_lo, v22
	v_not_b32_e32 v25, v27
	v_ashrrev_i32_e32 v24, 31, v24
	s_wait_alu 0xfffd
	v_xor_b32_e32 v23, vcc_lo, v23
	v_cmp_gt_i32_e32 vcc_lo, 0, v27
	v_and_b32_e32 v22, v22, v72
	v_not_b32_e32 v27, v28
	v_ashrrev_i32_e32 v25, 31, v25
	s_wait_alu 0xf1ff
	v_xor_b32_e32 v24, s21, v24
	v_cmp_gt_i32_e64 s21, 0, v28
	v_and_b32_e32 v22, v22, v23
	v_not_b32_e32 v23, v71
	v_ashrrev_i32_e32 v27, 31, v27
	s_wait_alu 0xfffd
	v_xor_b32_e32 v25, vcc_lo, v25
	v_cmp_gt_i32_e32 vcc_lo, 0, v71
	v_and_b32_e32 v22, v22, v24
	v_not_b32_e32 v24, v26
	v_ashrrev_i32_e32 v23, 31, v23
	s_wait_alu 0xf1ff
	v_xor_b32_e32 v27, s21, v27
	v_lshlrev_b32_e32 v21, 5, v21
	v_and_b32_e32 v22, v22, v25
	v_cmp_gt_i32_e64 s21, 0, v26
	v_ashrrev_i32_e32 v24, 31, v24
	s_wait_alu 0xfffd
	v_xor_b32_e32 v23, vcc_lo, v23
	v_add_nc_u32_e32 v117, v105, v21
	v_and_b32_e32 v22, v22, v27
	s_wait_alu 0xf1ff
	v_xor_b32_e32 v21, s21, v24
	ds_load_b32 v71, v117 offset:32
	v_and_b32_e32 v22, v22, v23
	; wave barrier
	s_delay_alu instid0(VALU_DEP_1) | instskip(NEXT) | instid1(VALU_DEP_1)
	v_and_b32_e32 v21, v22, v21
	v_mbcnt_lo_u32_b32 v72, v21, 0
	v_cmp_ne_u32_e64 s21, 0, v21
	s_delay_alu instid0(VALU_DEP_2)
	v_cmp_eq_u32_e32 vcc_lo, 0, v72
	s_and_b32 s26, s21, vcc_lo
	s_wait_alu 0xfffe
	s_and_saveexec_b32 s21, s26
	s_cbranch_execz .LBB126_44
; %bb.43:                               ;   in Loop: Header=BB126_32 Depth=1
	s_wait_dscnt 0x0
	v_bcnt_u32_b32 v21, v21, v71
	ds_store_b32 v117, v21 offset:32
.LBB126_44:                             ;   in Loop: Header=BB126_32 Depth=1
	s_wait_alu 0xfffe
	s_or_b32 exec_lo, exec_lo, s21
	v_lshrrev_b32_e32 v21, v106, v111
	; wave barrier
	s_delay_alu instid0(VALU_DEP_1) | instskip(NEXT) | instid1(VALU_DEP_1)
	v_and_b32_e32 v21, s25, v21
	v_and_b32_e32 v22, 1, v21
	v_lshlrev_b32_e32 v23, 30, v21
	v_lshlrev_b32_e32 v24, 29, v21
	;; [unrolled: 1-line block ×4, first 2 shown]
	v_add_co_u32 v22, s21, v22, -1
	s_wait_alu 0xf1ff
	v_cndmask_b32_e64 v26, 0, 1, s21
	v_not_b32_e32 v119, v23
	v_cmp_gt_i32_e64 s21, 0, v23
	v_not_b32_e32 v23, v24
	v_lshlrev_b32_e32 v28, 26, v21
	v_cmp_ne_u32_e32 vcc_lo, 0, v26
	v_ashrrev_i32_e32 v119, 31, v119
	v_lshlrev_b32_e32 v118, 25, v21
	v_ashrrev_i32_e32 v23, 31, v23
	v_lshlrev_b32_e32 v26, 24, v21
	s_wait_alu 0xfffd
	v_xor_b32_e32 v22, vcc_lo, v22
	v_cmp_gt_i32_e32 vcc_lo, 0, v24
	v_not_b32_e32 v24, v25
	s_wait_alu 0xf1ff
	v_xor_b32_e32 v119, s21, v119
	v_cmp_gt_i32_e64 s21, 0, v25
	v_and_b32_e32 v22, exec_lo, v22
	v_not_b32_e32 v25, v27
	v_ashrrev_i32_e32 v24, 31, v24
	s_wait_alu 0xfffd
	v_xor_b32_e32 v23, vcc_lo, v23
	v_cmp_gt_i32_e32 vcc_lo, 0, v27
	v_and_b32_e32 v22, v22, v119
	v_not_b32_e32 v27, v28
	v_ashrrev_i32_e32 v25, 31, v25
	s_wait_alu 0xf1ff
	v_xor_b32_e32 v24, s21, v24
	v_cmp_gt_i32_e64 s21, 0, v28
	v_and_b32_e32 v22, v22, v23
	v_not_b32_e32 v23, v118
	v_ashrrev_i32_e32 v27, 31, v27
	s_wait_alu 0xfffd
	v_xor_b32_e32 v25, vcc_lo, v25
	v_cmp_gt_i32_e32 vcc_lo, 0, v118
	v_and_b32_e32 v22, v22, v24
	v_not_b32_e32 v24, v26
	v_ashrrev_i32_e32 v23, 31, v23
	s_wait_alu 0xf1ff
	v_xor_b32_e32 v27, s21, v27
	v_lshlrev_b32_e32 v21, 5, v21
	v_and_b32_e32 v22, v22, v25
	v_cmp_gt_i32_e64 s21, 0, v26
	v_ashrrev_i32_e32 v24, 31, v24
	s_wait_alu 0xfffd
	v_xor_b32_e32 v23, vcc_lo, v23
	v_add_nc_u32_e32 v120, v105, v21
	v_and_b32_e32 v22, v22, v27
	s_wait_alu 0xf1ff
	v_xor_b32_e32 v21, s21, v24
	ds_load_b32 v118, v120 offset:32
	v_and_b32_e32 v22, v22, v23
	; wave barrier
	s_delay_alu instid0(VALU_DEP_1) | instskip(NEXT) | instid1(VALU_DEP_1)
	v_and_b32_e32 v21, v22, v21
	v_mbcnt_lo_u32_b32 v119, v21, 0
	v_cmp_ne_u32_e64 s21, 0, v21
	s_delay_alu instid0(VALU_DEP_2)
	v_cmp_eq_u32_e32 vcc_lo, 0, v119
	s_and_b32 s26, s21, vcc_lo
	s_wait_alu 0xfffe
	s_and_saveexec_b32 s21, s26
	s_cbranch_execz .LBB126_46
; %bb.45:                               ;   in Loop: Header=BB126_32 Depth=1
	s_wait_dscnt 0x0
	v_bcnt_u32_b32 v21, v21, v118
	ds_store_b32 v120, v21 offset:32
.LBB126_46:                             ;   in Loop: Header=BB126_32 Depth=1
	s_wait_alu 0xfffe
	s_or_b32 exec_lo, exec_lo, s21
	v_lshrrev_b32_e32 v21, v106, v110
	; wave barrier
	s_delay_alu instid0(VALU_DEP_1) | instskip(NEXT) | instid1(VALU_DEP_1)
	v_and_b32_e32 v21, s25, v21
	v_and_b32_e32 v22, 1, v21
	v_lshlrev_b32_e32 v23, 30, v21
	v_lshlrev_b32_e32 v24, 29, v21
	;; [unrolled: 1-line block ×4, first 2 shown]
	v_add_co_u32 v22, s21, v22, -1
	s_wait_alu 0xf1ff
	v_cndmask_b32_e64 v26, 0, 1, s21
	v_not_b32_e32 v122, v23
	v_cmp_gt_i32_e64 s21, 0, v23
	v_not_b32_e32 v23, v24
	v_lshlrev_b32_e32 v28, 26, v21
	v_cmp_ne_u32_e32 vcc_lo, 0, v26
	v_ashrrev_i32_e32 v122, 31, v122
	v_lshlrev_b32_e32 v121, 25, v21
	v_ashrrev_i32_e32 v23, 31, v23
	v_lshlrev_b32_e32 v26, 24, v21
	s_wait_alu 0xfffd
	v_xor_b32_e32 v22, vcc_lo, v22
	v_cmp_gt_i32_e32 vcc_lo, 0, v24
	v_not_b32_e32 v24, v25
	s_wait_alu 0xf1ff
	v_xor_b32_e32 v122, s21, v122
	v_cmp_gt_i32_e64 s21, 0, v25
	v_and_b32_e32 v22, exec_lo, v22
	v_not_b32_e32 v25, v27
	v_ashrrev_i32_e32 v24, 31, v24
	s_wait_alu 0xfffd
	v_xor_b32_e32 v23, vcc_lo, v23
	v_cmp_gt_i32_e32 vcc_lo, 0, v27
	v_and_b32_e32 v22, v22, v122
	v_not_b32_e32 v27, v28
	v_ashrrev_i32_e32 v25, 31, v25
	s_wait_alu 0xf1ff
	v_xor_b32_e32 v24, s21, v24
	v_cmp_gt_i32_e64 s21, 0, v28
	v_and_b32_e32 v22, v22, v23
	v_not_b32_e32 v23, v121
	v_ashrrev_i32_e32 v27, 31, v27
	s_wait_alu 0xfffd
	v_xor_b32_e32 v25, vcc_lo, v25
	v_cmp_gt_i32_e32 vcc_lo, 0, v121
	v_and_b32_e32 v22, v22, v24
	v_not_b32_e32 v24, v26
	v_ashrrev_i32_e32 v23, 31, v23
	s_wait_alu 0xf1ff
	v_xor_b32_e32 v27, s21, v27
	v_lshlrev_b32_e32 v21, 5, v21
	v_and_b32_e32 v22, v22, v25
	v_cmp_gt_i32_e64 s21, 0, v26
	v_ashrrev_i32_e32 v24, 31, v24
	s_wait_alu 0xfffd
	v_xor_b32_e32 v23, vcc_lo, v23
	v_add_nc_u32_e32 v121, v105, v21
	v_and_b32_e32 v22, v22, v27
	s_wait_alu 0xf1ff
	v_xor_b32_e32 v21, s21, v24
	ds_load_b32 v126, v121 offset:32
	v_and_b32_e32 v22, v22, v23
	; wave barrier
	s_delay_alu instid0(VALU_DEP_1) | instskip(NEXT) | instid1(VALU_DEP_1)
	v_and_b32_e32 v21, v22, v21
	v_mbcnt_lo_u32_b32 v127, v21, 0
	v_cmp_ne_u32_e64 s21, 0, v21
	s_delay_alu instid0(VALU_DEP_2)
	v_cmp_eq_u32_e32 vcc_lo, 0, v127
	s_and_b32 s25, s21, vcc_lo
	s_wait_alu 0xfffe
	s_and_saveexec_b32 s21, s25
	s_cbranch_execz .LBB126_48
; %bb.47:                               ;   in Loop: Header=BB126_32 Depth=1
	s_wait_dscnt 0x0
	v_bcnt_u32_b32 v21, v21, v126
	ds_store_b32 v121, v21 offset:32
.LBB126_48:                             ;   in Loop: Header=BB126_32 Depth=1
	s_wait_alu 0xfffe
	s_or_b32 exec_lo, exec_lo, s21
	; wave barrier
	s_wait_loadcnt_dscnt 0x0
	s_barrier_signal -1
	s_barrier_wait -1
	global_inv scope:SCOPE_SE
	ds_load_b128 v[25:28], v90 offset:32
	ds_load_b128 v[21:24], v90 offset:48
	s_wait_dscnt 0x1
	v_add_nc_u32_e32 v122, v26, v25
	s_delay_alu instid0(VALU_DEP_1) | instskip(SKIP_1) | instid1(VALU_DEP_1)
	v_add3_u32 v122, v122, v27, v28
	s_wait_dscnt 0x0
	v_add3_u32 v122, v122, v21, v22
	s_delay_alu instid0(VALU_DEP_1) | instskip(NEXT) | instid1(VALU_DEP_1)
	v_add3_u32 v24, v122, v23, v24
	v_mov_b32_dpp v122, v24 row_shr:1 row_mask:0xf bank_mask:0xf
	s_delay_alu instid0(VALU_DEP_1) | instskip(NEXT) | instid1(VALU_DEP_1)
	v_cndmask_b32_e64 v122, v122, 0, s12
	v_add_nc_u32_e32 v24, v122, v24
	s_delay_alu instid0(VALU_DEP_1) | instskip(NEXT) | instid1(VALU_DEP_1)
	v_mov_b32_dpp v122, v24 row_shr:2 row_mask:0xf bank_mask:0xf
	v_cndmask_b32_e64 v122, 0, v122, s13
	s_delay_alu instid0(VALU_DEP_1) | instskip(NEXT) | instid1(VALU_DEP_1)
	v_add_nc_u32_e32 v24, v24, v122
	v_mov_b32_dpp v122, v24 row_shr:4 row_mask:0xf bank_mask:0xf
	s_delay_alu instid0(VALU_DEP_1) | instskip(NEXT) | instid1(VALU_DEP_1)
	v_cndmask_b32_e64 v122, 0, v122, s14
	v_add_nc_u32_e32 v24, v24, v122
	s_delay_alu instid0(VALU_DEP_1) | instskip(NEXT) | instid1(VALU_DEP_1)
	v_mov_b32_dpp v122, v24 row_shr:8 row_mask:0xf bank_mask:0xf
	v_cndmask_b32_e64 v122, 0, v122, s15
	s_delay_alu instid0(VALU_DEP_1) | instskip(SKIP_3) | instid1(VALU_DEP_1)
	v_add_nc_u32_e32 v24, v24, v122
	ds_swizzle_b32 v122, v24 offset:swizzle(BROADCAST,32,15)
	s_wait_dscnt 0x0
	v_cndmask_b32_e64 v122, v122, 0, s16
	v_add_nc_u32_e32 v24, v24, v122
	s_and_saveexec_b32 s21, s17
; %bb.49:                               ;   in Loop: Header=BB126_32 Depth=1
	ds_store_b32 v92, v24
; %bb.50:                               ;   in Loop: Header=BB126_32 Depth=1
	s_wait_alu 0xfffe
	s_or_b32 exec_lo, exec_lo, s21
	s_wait_loadcnt_dscnt 0x0
	s_barrier_signal -1
	s_barrier_wait -1
	global_inv scope:SCOPE_SE
	s_and_saveexec_b32 s21, s8
	s_cbranch_execz .LBB126_52
; %bb.51:                               ;   in Loop: Header=BB126_32 Depth=1
	ds_load_b32 v122, v107
	s_wait_dscnt 0x0
	v_mov_b32_dpp v123, v122 row_shr:1 row_mask:0xf bank_mask:0xf
	s_delay_alu instid0(VALU_DEP_1) | instskip(NEXT) | instid1(VALU_DEP_1)
	v_cndmask_b32_e64 v123, v123, 0, s18
	v_add_nc_u32_e32 v122, v123, v122
	s_delay_alu instid0(VALU_DEP_1) | instskip(NEXT) | instid1(VALU_DEP_1)
	v_mov_b32_dpp v123, v122 row_shr:2 row_mask:0xf bank_mask:0xf
	v_cndmask_b32_e64 v123, 0, v123, s19
	s_delay_alu instid0(VALU_DEP_1) | instskip(NEXT) | instid1(VALU_DEP_1)
	v_add_nc_u32_e32 v122, v122, v123
	v_mov_b32_dpp v123, v122 row_shr:4 row_mask:0xf bank_mask:0xf
	s_delay_alu instid0(VALU_DEP_1) | instskip(NEXT) | instid1(VALU_DEP_1)
	v_cndmask_b32_e64 v123, 0, v123, s20
	v_add_nc_u32_e32 v122, v122, v123
	ds_store_b32 v107, v122
.LBB126_52:                             ;   in Loop: Header=BB126_32 Depth=1
	s_wait_alu 0xfffe
	s_or_b32 exec_lo, exec_lo, s21
	v_mov_b32_e32 v122, 0
	s_wait_loadcnt_dscnt 0x0
	s_barrier_signal -1
	s_barrier_wait -1
	global_inv scope:SCOPE_SE
	s_and_saveexec_b32 s21, s9
; %bb.53:                               ;   in Loop: Header=BB126_32 Depth=1
	ds_load_b32 v122, v104
; %bb.54:                               ;   in Loop: Header=BB126_32 Depth=1
	s_wait_alu 0xfffe
	s_or_b32 exec_lo, exec_lo, s21
	s_wait_dscnt 0x0
	v_add_nc_u32_e32 v24, v122, v24
	v_cmp_lt_u32_e32 vcc_lo, 23, v106
	v_readfirstlane_b32 s21, v0
	s_mov_b32 s25, -1
	ds_bpermute_b32 v24, v103, v24
	s_and_b32 vcc_lo, exec_lo, vcc_lo
	s_wait_dscnt 0x0
	v_cndmask_b32_e64 v24, v24, v122, s11
	s_delay_alu instid0(VALU_DEP_1) | instskip(NEXT) | instid1(VALU_DEP_1)
	v_cndmask_b32_e64 v24, v24, 0, s10
	v_add_nc_u32_e32 v25, v24, v25
	s_delay_alu instid0(VALU_DEP_1) | instskip(NEXT) | instid1(VALU_DEP_1)
	v_add_nc_u32_e32 v26, v25, v26
	v_add_nc_u32_e32 v27, v26, v27
	s_delay_alu instid0(VALU_DEP_1) | instskip(NEXT) | instid1(VALU_DEP_1)
	v_add_nc_u32_e32 v122, v27, v28
	;; [unrolled: 3-line block ×3, first 2 shown]
	v_add_nc_u32_e32 v125, v124, v23
	ds_store_b128 v90, v[24:27] offset:32
	ds_store_b128 v90, v[122:125] offset:48
	s_wait_loadcnt_dscnt 0x0
	s_barrier_signal -1
	s_barrier_wait -1
	global_inv scope:SCOPE_SE
	ds_load_b32 v21, v30 offset:32
	ds_load_b32 v22, v33 offset:32
	ds_load_b32 v23, v36 offset:32
	ds_load_b32 v24, v67 offset:32
	ds_load_b32 v25, v70 offset:32
	ds_load_b32 v26, v117 offset:32
	ds_load_b32 v27, v120 offset:32
	ds_load_b32 v28, v121 offset:32
	s_wait_dscnt 0x7
	v_add_nc_u32_e32 v125, v21, v29
	s_wait_dscnt 0x6
	v_add3_u32 v124, v32, v31, v22
	s_wait_dscnt 0x5
	v_add3_u32 v123, v35, v34, v23
	;; [unrolled: 2-line block ×7, first 2 shown]
                                        ; implicit-def: $vgpr72
                                        ; implicit-def: $vgpr70
                                        ; implicit-def: $vgpr68
                                        ; implicit-def: $vgpr66
                                        ; implicit-def: $vgpr35_vgpr36
                                        ; implicit-def: $vgpr31_vgpr32
                                        ; implicit-def: $vgpr27_vgpr28
                                        ; implicit-def: $vgpr23_vgpr24
	s_wait_alu 0xfffe
	s_cbranch_vccnz .LBB126_31
; %bb.55:                               ;   in Loop: Header=BB126_32 Depth=1
	v_lshlrev_b32_e32 v21, 2, v125
	v_lshlrev_b32_e32 v22, 2, v124
	;; [unrolled: 1-line block ×3, first 2 shown]
	s_wait_loadcnt 0x0
	s_barrier_signal -1
	s_barrier_wait -1
	global_inv scope:SCOPE_SE
	ds_store_b32 v21, v109
	ds_store_b32 v22, v116
	;; [unrolled: 1-line block ×3, first 2 shown]
	v_lshlrev_b32_e32 v24, 2, v122
	v_add_nc_u32_e32 v21, v21, v21
	v_lshlrev_b32_e32 v25, 2, v121
	v_add_nc_u32_e32 v22, v22, v22
	v_lshlrev_b32_e32 v26, 2, v120
	v_add_nc_u32_e32 v23, v23, v23
	v_lshlrev_b32_e32 v27, 2, v118
	v_lshlrev_b32_e32 v28, 2, v117
	ds_store_b32 v24, v114
	ds_store_b32 v25, v113
	;; [unrolled: 1-line block ×5, first 2 shown]
	s_wait_loadcnt_dscnt 0x0
	s_barrier_signal -1
	s_barrier_wait -1
	global_inv scope:SCOPE_SE
	ds_load_2addr_b32 v[65:66], v91 offset1:32
	ds_load_2addr_b32 v[67:68], v91 offset0:64 offset1:96
	ds_load_2addr_b32 v[69:70], v91 offset0:128 offset1:160
	;; [unrolled: 1-line block ×3, first 2 shown]
	s_wait_loadcnt_dscnt 0x0
	s_barrier_signal -1
	s_barrier_wait -1
	global_inv scope:SCOPE_SE
	ds_store_b64 v21, v[63:64]
	ds_store_b64 v22, v[61:62]
	;; [unrolled: 1-line block ×3, first 2 shown]
	v_add_nc_u32_e32 v21, v24, v24
	v_add_nc_u32_e32 v22, v25, v25
	;; [unrolled: 1-line block ×5, first 2 shown]
	ds_store_b64 v21, v[57:58]
	ds_store_b64 v22, v[55:56]
	;; [unrolled: 1-line block ×5, first 2 shown]
	s_wait_loadcnt_dscnt 0x0
	s_barrier_signal -1
	s_barrier_wait -1
	global_inv scope:SCOPE_SE
	ds_load_2addr_b64 v[21:24], v108 offset1:32
	ds_load_2addr_b64 v[25:28], v108 offset0:64 offset1:96
	ds_load_2addr_b64 v[29:32], v108 offset0:128 offset1:160
	;; [unrolled: 1-line block ×3, first 2 shown]
	v_add_nc_u32_e32 v106, 8, v106
	s_add_co_i32 s21, s24, -8
	s_mov_b32 s25, 0
	s_wait_loadcnt_dscnt 0x0
	s_barrier_signal -1
	s_barrier_wait -1
	global_inv scope:SCOPE_SE
	s_branch .LBB126_31
.LBB126_56:
	v_lshlrev_b64_e32 v[1:2], 3, v[37:38]
	v_dual_mov_b32 v39, v38 :: v_dual_mov_b32 v10, v38
	v_mov_b32_e32 v9, v38
	v_dual_mov_b32 v3, v38 :: v_dual_mov_b32 v6, v38
	s_delay_alu instid0(VALU_DEP_4)
	v_add_co_u32 v1, vcc_lo, s34, v1
	s_wait_alu 0xfffd
	v_add_co_ci_u32_e64 v2, null, s35, v2, vcc_lo
	v_dual_mov_b32 v5, v38 :: v_dual_mov_b32 v8, v38
	v_dual_mov_b32 v7, v38 :: v_dual_mov_b32 v12, v38
	global_load_b64 v[13:14], v[1:2], off
	v_dual_mov_b32 v1, v38 :: v_dual_mov_b32 v4, v38
	v_dual_mov_b32 v2, v38 :: v_dual_mov_b32 v11, v38
	s_wait_alu 0xfffe
	s_or_b32 exec_lo, exec_lo, s8
	s_and_saveexec_b32 s8, s1
	s_cbranch_execz .LBB126_22
.LBB126_57:
	v_mul_lo_u32 v33, s28, v15
	v_mov_b32_e32 v34, 0
	s_delay_alu instid0(VALU_DEP_1) | instskip(NEXT) | instid1(VALU_DEP_1)
	v_lshlrev_b64_e32 v[33:34], 3, v[33:34]
	v_add_co_u32 v33, vcc_lo, s34, v33
	s_wait_alu 0xfffd
	s_delay_alu instid0(VALU_DEP_2)
	v_add_co_ci_u32_e64 v34, null, s35, v34, vcc_lo
	global_load_b64 v[38:39], v[33:34], off
	s_wait_alu 0xfffe
	s_or_b32 exec_lo, exec_lo, s8
	s_and_saveexec_b32 s8, s2
	s_cbranch_execz .LBB126_23
.LBB126_58:
	v_mul_lo_u32 v9, s28, v16
	v_mov_b32_e32 v10, 0
	s_delay_alu instid0(VALU_DEP_1) | instskip(NEXT) | instid1(VALU_DEP_1)
	v_lshlrev_b64_e32 v[9:10], 3, v[9:10]
	v_add_co_u32 v9, vcc_lo, s34, v9
	s_wait_alu 0xfffd
	s_delay_alu instid0(VALU_DEP_2)
	v_add_co_ci_u32_e64 v10, null, s35, v10, vcc_lo
	global_load_b64 v[9:10], v[9:10], off
	s_wait_alu 0xfffe
	s_or_b32 exec_lo, exec_lo, s8
	s_and_saveexec_b32 s8, s3
	s_cbranch_execz .LBB126_24
.LBB126_59:
	v_mul_lo_u32 v1, s28, v19
	v_mov_b32_e32 v2, 0
	s_delay_alu instid0(VALU_DEP_1) | instskip(NEXT) | instid1(VALU_DEP_1)
	v_lshlrev_b64_e32 v[1:2], 3, v[1:2]
	v_add_co_u32 v1, vcc_lo, s34, v1
	s_wait_alu 0xfffd
	s_delay_alu instid0(VALU_DEP_2)
	v_add_co_ci_u32_e64 v2, null, s35, v2, vcc_lo
	global_load_b64 v[1:2], v[1:2], off
	s_wait_alu 0xfffe
	s_or_b32 exec_lo, exec_lo, s8
	s_and_saveexec_b32 s8, s4
	s_cbranch_execz .LBB126_25
.LBB126_60:
	v_mul_lo_u32 v3, s28, v20
	v_mov_b32_e32 v4, 0
	s_delay_alu instid0(VALU_DEP_1) | instskip(NEXT) | instid1(VALU_DEP_1)
	v_lshlrev_b64_e32 v[3:4], 3, v[3:4]
	v_add_co_u32 v3, vcc_lo, s34, v3
	s_wait_alu 0xfffd
	s_delay_alu instid0(VALU_DEP_2)
	v_add_co_ci_u32_e64 v4, null, s35, v4, vcc_lo
	global_load_b64 v[3:4], v[3:4], off
	s_wait_alu 0xfffe
	s_or_b32 exec_lo, exec_lo, s8
	s_and_saveexec_b32 s8, s5
	s_cbranch_execz .LBB126_26
.LBB126_61:
	v_mul_lo_u32 v5, s28, v21
	v_mov_b32_e32 v6, 0
	s_delay_alu instid0(VALU_DEP_1) | instskip(NEXT) | instid1(VALU_DEP_1)
	v_lshlrev_b64_e32 v[5:6], 3, v[5:6]
	v_add_co_u32 v5, vcc_lo, s34, v5
	s_wait_alu 0xfffd
	s_delay_alu instid0(VALU_DEP_2)
	v_add_co_ci_u32_e64 v6, null, s35, v6, vcc_lo
	global_load_b64 v[5:6], v[5:6], off
	s_wait_alu 0xfffe
	s_or_b32 exec_lo, exec_lo, s8
	s_and_saveexec_b32 s8, s6
	s_cbranch_execz .LBB126_27
.LBB126_62:
	v_mul_lo_u32 v7, s28, v22
	v_mov_b32_e32 v8, 0
	s_delay_alu instid0(VALU_DEP_1) | instskip(NEXT) | instid1(VALU_DEP_1)
	v_lshlrev_b64_e32 v[7:8], 3, v[7:8]
	v_add_co_u32 v7, vcc_lo, s34, v7
	s_wait_alu 0xfffd
	s_delay_alu instid0(VALU_DEP_2)
	v_add_co_ci_u32_e64 v8, null, s35, v8, vcc_lo
	global_load_b64 v[7:8], v[7:8], off
	s_wait_alu 0xfffe
	s_or_b32 exec_lo, exec_lo, s8
	s_xor_b32 s8, s12, -1
	s_and_saveexec_b32 s9, s7
	s_cbranch_execnz .LBB126_28
	s_branch .LBB126_29
.LBB126_63:
                                        ; implicit-def: $vgpr52
                                        ; implicit-def: $vgpr39
                                        ; implicit-def: $vgpr51
                                        ; implicit-def: $vgpr36
                                        ; implicit-def: $vgpr38
                                        ; implicit-def: $vgpr34
                                        ; implicit-def: $vgpr35
                                        ; implicit-def: $vgpr33
                                        ; implicit-def: $vgpr19_vgpr20
                                        ; implicit-def: $vgpr23_vgpr24
                                        ; implicit-def: $vgpr27_vgpr28
                                        ; implicit-def: $vgpr31_vgpr32
	s_and_b32 vcc_lo, exec_lo, s11
	s_wait_alu 0xfffe
	s_cbranch_vccnz .LBB126_65
	s_branch .LBB126_92
.LBB126_64:
	v_lshlrev_b32_e32 v17, 2, v125
	v_lshlrev_b32_e32 v18, 2, v124
	;; [unrolled: 1-line block ×3, first 2 shown]
	s_wait_loadcnt 0x0
	s_barrier_signal -1
	s_barrier_wait -1
	global_inv scope:SCOPE_SE
	ds_store_b32 v17, v109
	ds_store_b32 v18, v116
	;; [unrolled: 1-line block ×3, first 2 shown]
	v_lshlrev_b32_e32 v20, 2, v122
	v_add_nc_u32_e32 v17, v17, v17
	v_lshlrev_b32_e32 v21, 2, v121
	v_add_nc_u32_e32 v18, v18, v18
	v_lshlrev_b32_e32 v22, 2, v120
	v_add_nc_u32_e32 v19, v19, v19
	v_lshlrev_b32_e32 v23, 2, v118
	v_lshlrev_b32_e32 v24, 2, v117
	ds_store_b32 v20, v114
	ds_store_b32 v21, v113
	;; [unrolled: 1-line block ×5, first 2 shown]
	s_wait_loadcnt_dscnt 0x0
	s_barrier_signal -1
	s_barrier_wait -1
	global_inv scope:SCOPE_SE
	ds_load_b128 v[65:68], v90
	ds_load_b128 v[69:72], v90 offset:16
	s_wait_loadcnt_dscnt 0x0
	s_barrier_signal -1
	s_barrier_wait -1
	global_inv scope:SCOPE_SE
	ds_store_b64 v17, v[63:64]
	ds_store_b64 v18, v[61:62]
	;; [unrolled: 1-line block ×3, first 2 shown]
	v_add_nc_u32_e32 v17, v20, v20
	v_add_nc_u32_e32 v18, v21, v21
	v_add_nc_u32_e32 v19, v22, v22
	v_add_nc_u32_e32 v20, v23, v23
	v_add_nc_u32_e32 v21, v24, v24
	ds_store_b64 v17, v[57:58]
	ds_store_b64 v18, v[55:56]
	;; [unrolled: 1-line block ×5, first 2 shown]
	v_lshl_add_u32 v17, v42, 5, v90
	s_wait_loadcnt_dscnt 0x0
	s_barrier_signal -1
	s_barrier_wait -1
	global_inv scope:SCOPE_SE
	ds_load_b128 v[29:32], v17
	ds_load_b128 v[25:28], v17 offset:16
	ds_load_b128 v[21:24], v17 offset:32
	ds_load_b128 v[17:20], v17 offset:48
	v_xor_b32_e32 v33, 0x80000000, v65
	v_xor_b32_e32 v35, 0x80000000, v66
	;; [unrolled: 1-line block ×8, first 2 shown]
	s_branch .LBB126_92
.LBB126_65:
	s_wait_dscnt 0x0
	v_xor_b32_e32 v17, 0x7fffffff, v49
	v_xor_b32_e32 v18, 0x7fffffff, v50
	;; [unrolled: 1-line block ×8, first 2 shown]
	ds_store_b128 v102, v[17:20]
	ds_store_b128 v102, v[21:24] offset:16
	v_lshl_add_u32 v17, v101, 2, v102
	; wave barrier
	ds_load_2addr_b32 v[38:39], v91 offset1:32
	ds_load_2addr_b32 v[43:44], v91 offset0:64 offset1:96
	ds_load_2addr_b32 v[45:46], v91 offset0:128 offset1:160
	;; [unrolled: 1-line block ×3, first 2 shown]
	s_wait_loadcnt_dscnt 0x0
	s_barrier_signal -1
	s_barrier_wait -1
	global_inv scope:SCOPE_SE
	ds_store_b128 v17, v[5:8]
	ds_store_b128 v17, v[1:4] offset:16
	ds_store_b128 v17, v[13:16] offset:32
	;; [unrolled: 1-line block ×3, first 2 shown]
	; wave barrier
	ds_load_2addr_b64 v[4:7], v100 offset1:32
	ds_load_2addr_b64 v[8:11], v100 offset0:64 offset1:96
	ds_load_2addr_b64 v[12:15], v100 offset0:128 offset1:160
	;; [unrolled: 1-line block ×3, first 2 shown]
	s_wait_loadcnt_dscnt 0x0
	s_barrier_signal -1
	s_barrier_wait -1
	global_inv scope:SCOPE_SE
	s_load_b32 s10, s[36:37], 0xc
	s_getpc_b64 s[8:9]
	s_wait_alu 0xfffe
	s_sext_i32_i16 s9, s9
	s_add_co_u32 s8, s8, _ZN7rocprim17ROCPRIM_400000_NS16block_radix_sortIiLj256ELj8ElLj1ELj1ELj0ELNS0_26block_radix_rank_algorithmE1ELNS0_18block_padding_hintE2ELNS0_4arch9wavefront6targetE0EE19radix_bits_per_passE@rel32@lo+12
	s_wait_alu 0xfffe
	s_add_co_ci_u32 s9, s9, _ZN7rocprim17ROCPRIM_400000_NS16block_radix_sortIiLj256ELj8ElLj1ELj1ELj0ELNS0_26block_radix_rank_algorithmE1ELNS0_18block_padding_hintE2ELNS0_4arch9wavefront6targetE0EE19radix_bits_per_passE@rel32@hi+24
	v_or_b32_e32 v3, 31, v97
	s_load_b32 s23, s[8:9], 0x0
	s_mov_b32 s24, 0
	v_cmp_eq_u32_e64 s18, 0, v0
	s_mov_b32 s25, s24
	s_mov_b32 s26, s24
	;; [unrolled: 1-line block ×3, first 2 shown]
	v_cmp_eq_u32_e64 s14, v42, v3
	v_cmp_lt_u32_e64 s19, 1, v0
	v_cmp_lt_u32_e64 s20, 3, v0
	;; [unrolled: 1-line block ×3, first 2 shown]
	v_cmp_eq_u32_e64 s13, 0, v95
	v_cmp_gt_u32_e64 s15, 8, v42
	v_cmp_lt_u32_e64 s16, 31, v42
	v_cmp_eq_u32_e64 s17, 0, v42
	v_add_nc_u32_e32 v52, v90, v94
	v_add_nc_u32_e32 v49, -4, v92
	v_mov_b32_e32 v51, 0
	s_wait_kmcnt 0x0
	s_lshr_b32 s11, s10, 16
	s_and_b32 s8, s10, 0xffff
	s_wait_alu 0xfffe
	v_mad_u32_u24 v1, v99, s11, v98
	v_cmp_lt_u32_e64 s10, 1, v96
	v_cmp_lt_u32_e64 s11, 3, v96
	v_add_nc_u32_e32 v53, v91, v91
	s_delay_alu instid0(VALU_DEP_4) | instskip(SKIP_2) | instid1(VALU_DEP_2)
	v_mad_co_u64_u32 v[1:2], null, v1, s8, v[42:43]
	v_sub_co_u32 v2, s9, v93, 1
	v_cmp_eq_u32_e64 s8, 0, v96
	v_cmp_gt_i32_e32 vcc_lo, 0, v2
	s_delay_alu instid0(VALU_DEP_4) | instskip(SKIP_2) | instid1(VALU_DEP_2)
	v_lshrrev_b32_e32 v1, 3, v1
	s_wait_alu 0xfffd
	v_cndmask_b32_e32 v2, v2, v93, vcc_lo
	v_and_b32_e32 v50, 0x1ffffffc, v1
	s_delay_alu instid0(VALU_DEP_2)
	v_lshlrev_b32_e32 v36, 2, v2
	v_dual_mov_b32 v0, s24 :: v_dual_mov_b32 v3, s27
	v_dual_mov_b32 v1, s25 :: v_dual_mov_b32 v2, s26
	s_mov_b32 s24, 32
	s_branch .LBB126_67
.LBB126_66:                             ;   in Loop: Header=BB126_67 Depth=1
	s_wait_alu 0xfffe
	s_and_not1_b32 vcc_lo, exec_lo, s25
	s_mov_b32 s24, s21
	s_wait_alu 0xfffe
	s_cbranch_vccz .LBB126_91
.LBB126_67:                             ; =>This Inner Loop Header: Depth=1
	v_dual_mov_b32 v54, v38 :: v_dual_mov_b32 v55, v48
	s_wait_alu 0xfffe
	s_min_u32 s21, s23, s24
	ds_store_b128 v90, v[0:3] offset:32
	ds_store_b128 v90, v[0:3] offset:48
	s_wait_alu 0xfffe
	s_lshl_b32 s21, -1, s21
	v_lshrrev_b32_e32 v20, v51, v54
	s_wait_alu 0xfffe
	s_not_b32 s25, s21
	s_wait_loadcnt_dscnt 0x0
	s_barrier_signal -1
	s_barrier_wait -1
	s_wait_alu 0xfffe
	v_dual_mov_b32 v57, v46 :: v_dual_and_b32 v38, s25, v20
	v_mov_b32_e32 v56, v47
	global_inv scope:SCOPE_SE
	v_dual_mov_b32 v59, v44 :: v_dual_and_b32 v20, 1, v38
	v_lshlrev_b32_e32 v21, 30, v38
	v_dual_mov_b32 v61, v39 :: v_dual_lshlrev_b32 v22, 29, v38
	s_delay_alu instid0(VALU_DEP_3)
	v_add_co_u32 v20, s21, v20, -1
	s_wait_alu 0xf1ff
	v_cndmask_b32_e64 v24, 0, 1, s21
	v_not_b32_e32 v28, v21
	v_dual_mov_b32 v58, v45 :: v_dual_lshlrev_b32 v23, 28, v38
	v_cmp_gt_i32_e64 s21, 0, v21
	s_delay_alu instid0(VALU_DEP_4)
	v_cmp_ne_u32_e32 vcc_lo, 0, v24
	v_not_b32_e32 v21, v22
	v_ashrrev_i32_e32 v28, 31, v28
	v_dual_mov_b32 v60, v43 :: v_dual_lshlrev_b32 v25, 27, v38
	s_wait_alu 0xfffd
	v_xor_b32_e32 v20, vcc_lo, v20
	v_cmp_gt_i32_e32 vcc_lo, 0, v22
	v_not_b32_e32 v22, v23
	v_ashrrev_i32_e32 v21, 31, v21
	s_wait_alu 0xf1ff
	v_xor_b32_e32 v28, s21, v28
	v_and_b32_e32 v20, exec_lo, v20
	v_lshlrev_b32_e32 v26, 26, v38
	v_cmp_gt_i32_e64 s21, 0, v23
	v_not_b32_e32 v23, v25
	v_ashrrev_i32_e32 v22, 31, v22
	s_wait_alu 0xfffd
	v_xor_b32_e32 v21, vcc_lo, v21
	v_and_b32_e32 v20, v20, v28
	v_lshlrev_b32_e32 v27, 25, v38
	v_cmp_gt_i32_e32 vcc_lo, 0, v25
	v_not_b32_e32 v25, v26
	v_ashrrev_i32_e32 v23, 31, v23
	s_wait_alu 0xf1ff
	v_xor_b32_e32 v22, s21, v22
	v_and_b32_e32 v20, v20, v21
	v_lshlrev_b32_e32 v24, 24, v38
	v_cmp_gt_i32_e64 s21, 0, v26
	v_not_b32_e32 v21, v27
	v_ashrrev_i32_e32 v25, 31, v25
	s_wait_alu 0xfffd
	v_xor_b32_e32 v23, vcc_lo, v23
	v_dual_mov_b32 v31, v9 :: v_dual_and_b32 v20, v20, v22
	v_cmp_gt_i32_e32 vcc_lo, 0, v27
	v_not_b32_e32 v22, v24
	v_ashrrev_i32_e32 v21, 31, v21
	s_wait_alu 0xf1ff
	v_xor_b32_e32 v25, s21, v25
	v_dual_mov_b32 v33, v7 :: v_dual_and_b32 v20, v20, v23
	v_cmp_gt_i32_e64 s21, 0, v24
	v_ashrrev_i32_e32 v22, 31, v22
	s_wait_alu 0xfffd
	v_xor_b32_e32 v21, vcc_lo, v21
	v_dual_mov_b32 v35, v5 :: v_dual_and_b32 v20, v20, v25
	v_mov_b32_e32 v25, v15
	s_wait_alu 0xf1ff
	v_xor_b32_e32 v28, s21, v22
	s_delay_alu instid0(VALU_DEP_3) | instskip(SKIP_3) | instid1(VALU_DEP_4)
	v_dual_mov_b32 v24, v14 :: v_dual_and_b32 v29, v20, v21
	v_dual_mov_b32 v27, v13 :: v_dual_mov_b32 v26, v12
	v_mov_b32_e32 v34, v4
	v_lshlrev_b32_e32 v4, 5, v38
	v_dual_mov_b32 v21, v19 :: v_dual_and_b32 v14, v29, v28
	v_mov_b32_e32 v23, v17
	v_dual_mov_b32 v29, v11 :: v_dual_mov_b32 v20, v18
	s_delay_alu instid0(VALU_DEP_3) | instskip(SKIP_3) | instid1(VALU_DEP_4)
	v_mbcnt_lo_u32_b32 v12, v14, 0
	v_cmp_ne_u32_e64 s21, 0, v14
	v_dual_mov_b32 v22, v16 :: v_dual_add_nc_u32 v13, v50, v4
	v_mov_b32_e32 v28, v10
	v_cmp_eq_u32_e32 vcc_lo, 0, v12
	v_mov_b32_e32 v30, v8
	v_mov_b32_e32 v32, v6
	; wave barrier
	s_and_b32 s26, s21, vcc_lo
	s_wait_alu 0xfffe
	s_and_saveexec_b32 s21, s26
; %bb.68:                               ;   in Loop: Header=BB126_67 Depth=1
	v_bcnt_u32_b32 v4, v14, 0
	ds_store_b32 v13, v4 offset:32
; %bb.69:                               ;   in Loop: Header=BB126_67 Depth=1
	s_wait_alu 0xfffe
	s_or_b32 exec_lo, exec_lo, s21
	v_lshrrev_b32_e32 v4, v51, v61
	; wave barrier
	s_delay_alu instid0(VALU_DEP_1) | instskip(NEXT) | instid1(VALU_DEP_1)
	v_and_b32_e32 v4, s25, v4
	v_and_b32_e32 v5, 1, v4
	v_lshlrev_b32_e32 v6, 30, v4
	v_lshlrev_b32_e32 v7, 29, v4
	;; [unrolled: 1-line block ×4, first 2 shown]
	v_add_co_u32 v5, s21, v5, -1
	s_wait_alu 0xf1ff
	v_cndmask_b32_e64 v9, 0, 1, s21
	v_not_b32_e32 v15, v6
	v_cmp_gt_i32_e64 s21, 0, v6
	v_not_b32_e32 v6, v7
	v_lshlrev_b32_e32 v11, 26, v4
	v_cmp_ne_u32_e32 vcc_lo, 0, v9
	v_ashrrev_i32_e32 v15, 31, v15
	v_lshlrev_b32_e32 v14, 25, v4
	v_ashrrev_i32_e32 v6, 31, v6
	v_lshlrev_b32_e32 v9, 24, v4
	s_wait_alu 0xfffd
	v_xor_b32_e32 v5, vcc_lo, v5
	v_cmp_gt_i32_e32 vcc_lo, 0, v7
	v_not_b32_e32 v7, v8
	s_wait_alu 0xf1ff
	v_xor_b32_e32 v15, s21, v15
	v_cmp_gt_i32_e64 s21, 0, v8
	v_and_b32_e32 v5, exec_lo, v5
	v_not_b32_e32 v8, v10
	v_ashrrev_i32_e32 v7, 31, v7
	s_wait_alu 0xfffd
	v_xor_b32_e32 v6, vcc_lo, v6
	v_cmp_gt_i32_e32 vcc_lo, 0, v10
	v_and_b32_e32 v5, v5, v15
	v_not_b32_e32 v10, v11
	v_ashrrev_i32_e32 v8, 31, v8
	s_wait_alu 0xf1ff
	v_xor_b32_e32 v7, s21, v7
	v_cmp_gt_i32_e64 s21, 0, v11
	v_and_b32_e32 v5, v5, v6
	v_not_b32_e32 v6, v14
	v_ashrrev_i32_e32 v10, 31, v10
	s_wait_alu 0xfffd
	v_xor_b32_e32 v8, vcc_lo, v8
	v_cmp_gt_i32_e32 vcc_lo, 0, v14
	v_and_b32_e32 v5, v5, v7
	v_not_b32_e32 v7, v9
	v_ashrrev_i32_e32 v6, 31, v6
	s_wait_alu 0xf1ff
	v_xor_b32_e32 v10, s21, v10
	v_lshlrev_b32_e32 v4, 5, v4
	v_and_b32_e32 v5, v5, v8
	v_cmp_gt_i32_e64 s21, 0, v9
	v_ashrrev_i32_e32 v7, 31, v7
	s_wait_alu 0xfffd
	v_xor_b32_e32 v6, vcc_lo, v6
	v_add_nc_u32_e32 v16, v50, v4
	v_and_b32_e32 v5, v5, v10
	s_wait_alu 0xf1ff
	v_xor_b32_e32 v4, s21, v7
	ds_load_b32 v14, v16 offset:32
	v_and_b32_e32 v5, v5, v6
	; wave barrier
	s_delay_alu instid0(VALU_DEP_1) | instskip(NEXT) | instid1(VALU_DEP_1)
	v_and_b32_e32 v4, v5, v4
	v_mbcnt_lo_u32_b32 v15, v4, 0
	v_cmp_ne_u32_e64 s21, 0, v4
	s_delay_alu instid0(VALU_DEP_2)
	v_cmp_eq_u32_e32 vcc_lo, 0, v15
	s_and_b32 s26, s21, vcc_lo
	s_wait_alu 0xfffe
	s_and_saveexec_b32 s21, s26
	s_cbranch_execz .LBB126_71
; %bb.70:                               ;   in Loop: Header=BB126_67 Depth=1
	s_wait_dscnt 0x0
	v_bcnt_u32_b32 v4, v4, v14
	ds_store_b32 v16, v4 offset:32
.LBB126_71:                             ;   in Loop: Header=BB126_67 Depth=1
	s_wait_alu 0xfffe
	s_or_b32 exec_lo, exec_lo, s21
	v_lshrrev_b32_e32 v4, v51, v60
	; wave barrier
	s_delay_alu instid0(VALU_DEP_1) | instskip(NEXT) | instid1(VALU_DEP_1)
	v_and_b32_e32 v4, s25, v4
	v_and_b32_e32 v5, 1, v4
	v_lshlrev_b32_e32 v6, 30, v4
	v_lshlrev_b32_e32 v7, 29, v4
	;; [unrolled: 1-line block ×4, first 2 shown]
	v_add_co_u32 v5, s21, v5, -1
	s_wait_alu 0xf1ff
	v_cndmask_b32_e64 v9, 0, 1, s21
	v_not_b32_e32 v18, v6
	v_cmp_gt_i32_e64 s21, 0, v6
	v_not_b32_e32 v6, v7
	v_lshlrev_b32_e32 v11, 26, v4
	v_cmp_ne_u32_e32 vcc_lo, 0, v9
	v_ashrrev_i32_e32 v18, 31, v18
	v_lshlrev_b32_e32 v17, 25, v4
	v_ashrrev_i32_e32 v6, 31, v6
	v_lshlrev_b32_e32 v9, 24, v4
	s_wait_alu 0xfffd
	v_xor_b32_e32 v5, vcc_lo, v5
	v_cmp_gt_i32_e32 vcc_lo, 0, v7
	v_not_b32_e32 v7, v8
	s_wait_alu 0xf1ff
	v_xor_b32_e32 v18, s21, v18
	v_cmp_gt_i32_e64 s21, 0, v8
	v_and_b32_e32 v5, exec_lo, v5
	v_not_b32_e32 v8, v10
	v_ashrrev_i32_e32 v7, 31, v7
	s_wait_alu 0xfffd
	v_xor_b32_e32 v6, vcc_lo, v6
	v_cmp_gt_i32_e32 vcc_lo, 0, v10
	v_and_b32_e32 v5, v5, v18
	v_not_b32_e32 v10, v11
	v_ashrrev_i32_e32 v8, 31, v8
	s_wait_alu 0xf1ff
	v_xor_b32_e32 v7, s21, v7
	v_cmp_gt_i32_e64 s21, 0, v11
	v_and_b32_e32 v5, v5, v6
	v_not_b32_e32 v6, v17
	v_ashrrev_i32_e32 v10, 31, v10
	s_wait_alu 0xfffd
	v_xor_b32_e32 v8, vcc_lo, v8
	v_cmp_gt_i32_e32 vcc_lo, 0, v17
	v_and_b32_e32 v5, v5, v7
	v_not_b32_e32 v7, v9
	v_ashrrev_i32_e32 v6, 31, v6
	s_wait_alu 0xf1ff
	v_xor_b32_e32 v10, s21, v10
	v_lshlrev_b32_e32 v4, 5, v4
	v_and_b32_e32 v5, v5, v8
	v_cmp_gt_i32_e64 s21, 0, v9
	v_ashrrev_i32_e32 v7, 31, v7
	s_wait_alu 0xfffd
	v_xor_b32_e32 v6, vcc_lo, v6
	v_add_nc_u32_e32 v19, v50, v4
	v_and_b32_e32 v5, v5, v10
	s_wait_alu 0xf1ff
	v_xor_b32_e32 v4, s21, v7
	ds_load_b32 v17, v19 offset:32
	v_and_b32_e32 v5, v5, v6
	; wave barrier
	s_delay_alu instid0(VALU_DEP_1) | instskip(NEXT) | instid1(VALU_DEP_1)
	v_and_b32_e32 v4, v5, v4
	v_mbcnt_lo_u32_b32 v18, v4, 0
	v_cmp_ne_u32_e64 s21, 0, v4
	s_delay_alu instid0(VALU_DEP_2)
	v_cmp_eq_u32_e32 vcc_lo, 0, v18
	s_and_b32 s26, s21, vcc_lo
	s_wait_alu 0xfffe
	s_and_saveexec_b32 s21, s26
	s_cbranch_execz .LBB126_73
; %bb.72:                               ;   in Loop: Header=BB126_67 Depth=1
	s_wait_dscnt 0x0
	v_bcnt_u32_b32 v4, v4, v17
	ds_store_b32 v19, v4 offset:32
.LBB126_73:                             ;   in Loop: Header=BB126_67 Depth=1
	s_wait_alu 0xfffe
	s_or_b32 exec_lo, exec_lo, s21
	v_lshrrev_b32_e32 v4, v51, v59
	; wave barrier
	s_delay_alu instid0(VALU_DEP_1) | instskip(NEXT) | instid1(VALU_DEP_1)
	v_and_b32_e32 v4, s25, v4
	v_and_b32_e32 v5, 1, v4
	v_lshlrev_b32_e32 v6, 30, v4
	v_lshlrev_b32_e32 v7, 29, v4
	;; [unrolled: 1-line block ×4, first 2 shown]
	v_add_co_u32 v5, s21, v5, -1
	s_wait_alu 0xf1ff
	v_cndmask_b32_e64 v9, 0, 1, s21
	v_not_b32_e32 v39, v6
	v_cmp_gt_i32_e64 s21, 0, v6
	v_not_b32_e32 v6, v7
	v_lshlrev_b32_e32 v11, 26, v4
	v_cmp_ne_u32_e32 vcc_lo, 0, v9
	v_ashrrev_i32_e32 v39, 31, v39
	v_lshlrev_b32_e32 v38, 25, v4
	v_ashrrev_i32_e32 v6, 31, v6
	v_lshlrev_b32_e32 v9, 24, v4
	s_wait_alu 0xfffd
	v_xor_b32_e32 v5, vcc_lo, v5
	v_cmp_gt_i32_e32 vcc_lo, 0, v7
	v_not_b32_e32 v7, v8
	s_wait_alu 0xf1ff
	v_xor_b32_e32 v39, s21, v39
	v_cmp_gt_i32_e64 s21, 0, v8
	v_and_b32_e32 v5, exec_lo, v5
	v_not_b32_e32 v8, v10
	v_ashrrev_i32_e32 v7, 31, v7
	s_wait_alu 0xfffd
	v_xor_b32_e32 v6, vcc_lo, v6
	v_cmp_gt_i32_e32 vcc_lo, 0, v10
	v_and_b32_e32 v5, v5, v39
	v_not_b32_e32 v10, v11
	v_ashrrev_i32_e32 v8, 31, v8
	s_wait_alu 0xf1ff
	v_xor_b32_e32 v7, s21, v7
	v_cmp_gt_i32_e64 s21, 0, v11
	v_and_b32_e32 v5, v5, v6
	v_not_b32_e32 v6, v38
	v_ashrrev_i32_e32 v10, 31, v10
	s_wait_alu 0xfffd
	v_xor_b32_e32 v8, vcc_lo, v8
	v_cmp_gt_i32_e32 vcc_lo, 0, v38
	v_and_b32_e32 v5, v5, v7
	v_not_b32_e32 v7, v9
	v_ashrrev_i32_e32 v6, 31, v6
	s_wait_alu 0xf1ff
	v_xor_b32_e32 v10, s21, v10
	v_lshlrev_b32_e32 v4, 5, v4
	v_and_b32_e32 v5, v5, v8
	v_cmp_gt_i32_e64 s21, 0, v9
	v_ashrrev_i32_e32 v7, 31, v7
	s_wait_alu 0xfffd
	v_xor_b32_e32 v6, vcc_lo, v6
	v_add_nc_u32_e32 v43, v50, v4
	v_and_b32_e32 v5, v5, v10
	s_wait_alu 0xf1ff
	v_xor_b32_e32 v4, s21, v7
	ds_load_b32 v38, v43 offset:32
	v_and_b32_e32 v5, v5, v6
	; wave barrier
	s_delay_alu instid0(VALU_DEP_1) | instskip(NEXT) | instid1(VALU_DEP_1)
	v_and_b32_e32 v4, v5, v4
	v_mbcnt_lo_u32_b32 v39, v4, 0
	v_cmp_ne_u32_e64 s21, 0, v4
	s_delay_alu instid0(VALU_DEP_2)
	v_cmp_eq_u32_e32 vcc_lo, 0, v39
	s_and_b32 s26, s21, vcc_lo
	s_wait_alu 0xfffe
	s_and_saveexec_b32 s21, s26
	s_cbranch_execz .LBB126_75
; %bb.74:                               ;   in Loop: Header=BB126_67 Depth=1
	s_wait_dscnt 0x0
	v_bcnt_u32_b32 v4, v4, v38
	ds_store_b32 v43, v4 offset:32
.LBB126_75:                             ;   in Loop: Header=BB126_67 Depth=1
	s_wait_alu 0xfffe
	s_or_b32 exec_lo, exec_lo, s21
	v_lshrrev_b32_e32 v4, v51, v58
	; wave barrier
	s_delay_alu instid0(VALU_DEP_1) | instskip(NEXT) | instid1(VALU_DEP_1)
	v_and_b32_e32 v4, s25, v4
	v_and_b32_e32 v5, 1, v4
	v_lshlrev_b32_e32 v6, 30, v4
	v_lshlrev_b32_e32 v7, 29, v4
	;; [unrolled: 1-line block ×4, first 2 shown]
	v_add_co_u32 v5, s21, v5, -1
	s_wait_alu 0xf1ff
	v_cndmask_b32_e64 v9, 0, 1, s21
	v_not_b32_e32 v45, v6
	v_cmp_gt_i32_e64 s21, 0, v6
	v_not_b32_e32 v6, v7
	v_lshlrev_b32_e32 v11, 26, v4
	v_cmp_ne_u32_e32 vcc_lo, 0, v9
	v_ashrrev_i32_e32 v45, 31, v45
	v_lshlrev_b32_e32 v44, 25, v4
	v_ashrrev_i32_e32 v6, 31, v6
	v_lshlrev_b32_e32 v9, 24, v4
	s_wait_alu 0xfffd
	v_xor_b32_e32 v5, vcc_lo, v5
	v_cmp_gt_i32_e32 vcc_lo, 0, v7
	v_not_b32_e32 v7, v8
	s_wait_alu 0xf1ff
	v_xor_b32_e32 v45, s21, v45
	v_cmp_gt_i32_e64 s21, 0, v8
	v_and_b32_e32 v5, exec_lo, v5
	v_not_b32_e32 v8, v10
	v_ashrrev_i32_e32 v7, 31, v7
	s_wait_alu 0xfffd
	v_xor_b32_e32 v6, vcc_lo, v6
	v_cmp_gt_i32_e32 vcc_lo, 0, v10
	v_and_b32_e32 v5, v5, v45
	v_not_b32_e32 v10, v11
	v_ashrrev_i32_e32 v8, 31, v8
	s_wait_alu 0xf1ff
	v_xor_b32_e32 v7, s21, v7
	v_cmp_gt_i32_e64 s21, 0, v11
	v_and_b32_e32 v5, v5, v6
	v_not_b32_e32 v6, v44
	v_ashrrev_i32_e32 v10, 31, v10
	s_wait_alu 0xfffd
	v_xor_b32_e32 v8, vcc_lo, v8
	v_cmp_gt_i32_e32 vcc_lo, 0, v44
	v_and_b32_e32 v5, v5, v7
	v_not_b32_e32 v7, v9
	v_ashrrev_i32_e32 v6, 31, v6
	s_wait_alu 0xf1ff
	v_xor_b32_e32 v10, s21, v10
	v_lshlrev_b32_e32 v4, 5, v4
	v_and_b32_e32 v5, v5, v8
	v_cmp_gt_i32_e64 s21, 0, v9
	v_ashrrev_i32_e32 v7, 31, v7
	s_wait_alu 0xfffd
	v_xor_b32_e32 v6, vcc_lo, v6
	v_add_nc_u32_e32 v46, v50, v4
	v_and_b32_e32 v5, v5, v10
	s_wait_alu 0xf1ff
	v_xor_b32_e32 v4, s21, v7
	ds_load_b32 v44, v46 offset:32
	v_and_b32_e32 v5, v5, v6
	; wave barrier
	s_delay_alu instid0(VALU_DEP_1) | instskip(NEXT) | instid1(VALU_DEP_1)
	v_and_b32_e32 v4, v5, v4
	v_mbcnt_lo_u32_b32 v45, v4, 0
	v_cmp_ne_u32_e64 s21, 0, v4
	s_delay_alu instid0(VALU_DEP_2)
	v_cmp_eq_u32_e32 vcc_lo, 0, v45
	s_and_b32 s26, s21, vcc_lo
	s_wait_alu 0xfffe
	s_and_saveexec_b32 s21, s26
	s_cbranch_execz .LBB126_77
; %bb.76:                               ;   in Loop: Header=BB126_67 Depth=1
	s_wait_dscnt 0x0
	v_bcnt_u32_b32 v4, v4, v44
	ds_store_b32 v46, v4 offset:32
.LBB126_77:                             ;   in Loop: Header=BB126_67 Depth=1
	s_wait_alu 0xfffe
	s_or_b32 exec_lo, exec_lo, s21
	v_lshrrev_b32_e32 v4, v51, v57
	; wave barrier
	s_delay_alu instid0(VALU_DEP_1) | instskip(NEXT) | instid1(VALU_DEP_1)
	v_and_b32_e32 v4, s25, v4
	v_and_b32_e32 v5, 1, v4
	v_lshlrev_b32_e32 v6, 30, v4
	v_lshlrev_b32_e32 v7, 29, v4
	;; [unrolled: 1-line block ×4, first 2 shown]
	v_add_co_u32 v5, s21, v5, -1
	s_wait_alu 0xf1ff
	v_cndmask_b32_e64 v9, 0, 1, s21
	v_not_b32_e32 v48, v6
	v_cmp_gt_i32_e64 s21, 0, v6
	v_not_b32_e32 v6, v7
	v_lshlrev_b32_e32 v11, 26, v4
	v_cmp_ne_u32_e32 vcc_lo, 0, v9
	v_ashrrev_i32_e32 v48, 31, v48
	v_lshlrev_b32_e32 v47, 25, v4
	v_ashrrev_i32_e32 v6, 31, v6
	v_lshlrev_b32_e32 v9, 24, v4
	s_wait_alu 0xfffd
	v_xor_b32_e32 v5, vcc_lo, v5
	v_cmp_gt_i32_e32 vcc_lo, 0, v7
	v_not_b32_e32 v7, v8
	s_wait_alu 0xf1ff
	v_xor_b32_e32 v48, s21, v48
	v_cmp_gt_i32_e64 s21, 0, v8
	v_and_b32_e32 v5, exec_lo, v5
	v_not_b32_e32 v8, v10
	v_ashrrev_i32_e32 v7, 31, v7
	s_wait_alu 0xfffd
	v_xor_b32_e32 v6, vcc_lo, v6
	v_cmp_gt_i32_e32 vcc_lo, 0, v10
	v_and_b32_e32 v5, v5, v48
	v_not_b32_e32 v10, v11
	v_ashrrev_i32_e32 v8, 31, v8
	s_wait_alu 0xf1ff
	v_xor_b32_e32 v7, s21, v7
	v_cmp_gt_i32_e64 s21, 0, v11
	v_and_b32_e32 v5, v5, v6
	v_not_b32_e32 v6, v47
	v_ashrrev_i32_e32 v10, 31, v10
	s_wait_alu 0xfffd
	v_xor_b32_e32 v8, vcc_lo, v8
	v_cmp_gt_i32_e32 vcc_lo, 0, v47
	v_and_b32_e32 v5, v5, v7
	v_not_b32_e32 v7, v9
	v_ashrrev_i32_e32 v6, 31, v6
	s_wait_alu 0xf1ff
	v_xor_b32_e32 v10, s21, v10
	v_lshlrev_b32_e32 v4, 5, v4
	v_and_b32_e32 v5, v5, v8
	v_cmp_gt_i32_e64 s21, 0, v9
	v_ashrrev_i32_e32 v7, 31, v7
	s_wait_alu 0xfffd
	v_xor_b32_e32 v6, vcc_lo, v6
	v_add_nc_u32_e32 v62, v50, v4
	v_and_b32_e32 v5, v5, v10
	s_wait_alu 0xf1ff
	v_xor_b32_e32 v4, s21, v7
	ds_load_b32 v47, v62 offset:32
	v_and_b32_e32 v5, v5, v6
	; wave barrier
	s_delay_alu instid0(VALU_DEP_1) | instskip(NEXT) | instid1(VALU_DEP_1)
	v_and_b32_e32 v4, v5, v4
	v_mbcnt_lo_u32_b32 v48, v4, 0
	v_cmp_ne_u32_e64 s21, 0, v4
	s_delay_alu instid0(VALU_DEP_2)
	v_cmp_eq_u32_e32 vcc_lo, 0, v48
	s_and_b32 s26, s21, vcc_lo
	s_wait_alu 0xfffe
	s_and_saveexec_b32 s21, s26
	s_cbranch_execz .LBB126_79
; %bb.78:                               ;   in Loop: Header=BB126_67 Depth=1
	s_wait_dscnt 0x0
	v_bcnt_u32_b32 v4, v4, v47
	ds_store_b32 v62, v4 offset:32
.LBB126_79:                             ;   in Loop: Header=BB126_67 Depth=1
	s_wait_alu 0xfffe
	s_or_b32 exec_lo, exec_lo, s21
	v_lshrrev_b32_e32 v4, v51, v56
	; wave barrier
	s_delay_alu instid0(VALU_DEP_1) | instskip(NEXT) | instid1(VALU_DEP_1)
	v_and_b32_e32 v4, s25, v4
	v_and_b32_e32 v5, 1, v4
	v_lshlrev_b32_e32 v6, 30, v4
	v_lshlrev_b32_e32 v7, 29, v4
	;; [unrolled: 1-line block ×4, first 2 shown]
	v_add_co_u32 v5, s21, v5, -1
	s_wait_alu 0xf1ff
	v_cndmask_b32_e64 v9, 0, 1, s21
	v_not_b32_e32 v64, v6
	v_cmp_gt_i32_e64 s21, 0, v6
	v_not_b32_e32 v6, v7
	v_lshlrev_b32_e32 v11, 26, v4
	v_cmp_ne_u32_e32 vcc_lo, 0, v9
	v_ashrrev_i32_e32 v64, 31, v64
	v_lshlrev_b32_e32 v63, 25, v4
	v_ashrrev_i32_e32 v6, 31, v6
	v_lshlrev_b32_e32 v9, 24, v4
	s_wait_alu 0xfffd
	v_xor_b32_e32 v5, vcc_lo, v5
	v_cmp_gt_i32_e32 vcc_lo, 0, v7
	v_not_b32_e32 v7, v8
	s_wait_alu 0xf1ff
	v_xor_b32_e32 v64, s21, v64
	v_cmp_gt_i32_e64 s21, 0, v8
	v_and_b32_e32 v5, exec_lo, v5
	v_not_b32_e32 v8, v10
	v_ashrrev_i32_e32 v7, 31, v7
	s_wait_alu 0xfffd
	v_xor_b32_e32 v6, vcc_lo, v6
	v_cmp_gt_i32_e32 vcc_lo, 0, v10
	v_and_b32_e32 v5, v5, v64
	v_not_b32_e32 v10, v11
	v_ashrrev_i32_e32 v8, 31, v8
	s_wait_alu 0xf1ff
	v_xor_b32_e32 v7, s21, v7
	v_cmp_gt_i32_e64 s21, 0, v11
	v_and_b32_e32 v5, v5, v6
	v_not_b32_e32 v6, v63
	v_ashrrev_i32_e32 v10, 31, v10
	s_wait_alu 0xfffd
	v_xor_b32_e32 v8, vcc_lo, v8
	v_cmp_gt_i32_e32 vcc_lo, 0, v63
	v_and_b32_e32 v5, v5, v7
	v_not_b32_e32 v7, v9
	v_ashrrev_i32_e32 v6, 31, v6
	s_wait_alu 0xf1ff
	v_xor_b32_e32 v10, s21, v10
	v_lshlrev_b32_e32 v4, 5, v4
	v_and_b32_e32 v5, v5, v8
	v_cmp_gt_i32_e64 s21, 0, v9
	v_ashrrev_i32_e32 v7, 31, v7
	s_wait_alu 0xfffd
	v_xor_b32_e32 v6, vcc_lo, v6
	v_add_nc_u32_e32 v65, v50, v4
	v_and_b32_e32 v5, v5, v10
	s_wait_alu 0xf1ff
	v_xor_b32_e32 v4, s21, v7
	ds_load_b32 v63, v65 offset:32
	v_and_b32_e32 v5, v5, v6
	; wave barrier
	s_delay_alu instid0(VALU_DEP_1) | instskip(NEXT) | instid1(VALU_DEP_1)
	v_and_b32_e32 v4, v5, v4
	v_mbcnt_lo_u32_b32 v64, v4, 0
	v_cmp_ne_u32_e64 s21, 0, v4
	s_delay_alu instid0(VALU_DEP_2)
	v_cmp_eq_u32_e32 vcc_lo, 0, v64
	s_and_b32 s26, s21, vcc_lo
	s_wait_alu 0xfffe
	s_and_saveexec_b32 s21, s26
	s_cbranch_execz .LBB126_81
; %bb.80:                               ;   in Loop: Header=BB126_67 Depth=1
	s_wait_dscnt 0x0
	v_bcnt_u32_b32 v4, v4, v63
	ds_store_b32 v65, v4 offset:32
.LBB126_81:                             ;   in Loop: Header=BB126_67 Depth=1
	s_wait_alu 0xfffe
	s_or_b32 exec_lo, exec_lo, s21
	v_lshrrev_b32_e32 v4, v51, v55
	; wave barrier
	s_delay_alu instid0(VALU_DEP_1) | instskip(NEXT) | instid1(VALU_DEP_1)
	v_and_b32_e32 v4, s25, v4
	v_and_b32_e32 v5, 1, v4
	v_lshlrev_b32_e32 v6, 30, v4
	v_lshlrev_b32_e32 v7, 29, v4
	;; [unrolled: 1-line block ×4, first 2 shown]
	v_add_co_u32 v5, s21, v5, -1
	s_wait_alu 0xf1ff
	v_cndmask_b32_e64 v9, 0, 1, s21
	v_not_b32_e32 v67, v6
	v_cmp_gt_i32_e64 s21, 0, v6
	v_not_b32_e32 v6, v7
	v_lshlrev_b32_e32 v11, 26, v4
	v_cmp_ne_u32_e32 vcc_lo, 0, v9
	v_ashrrev_i32_e32 v67, 31, v67
	v_lshlrev_b32_e32 v66, 25, v4
	v_ashrrev_i32_e32 v6, 31, v6
	v_lshlrev_b32_e32 v9, 24, v4
	s_wait_alu 0xfffd
	v_xor_b32_e32 v5, vcc_lo, v5
	v_cmp_gt_i32_e32 vcc_lo, 0, v7
	v_not_b32_e32 v7, v8
	s_wait_alu 0xf1ff
	v_xor_b32_e32 v67, s21, v67
	v_cmp_gt_i32_e64 s21, 0, v8
	v_and_b32_e32 v5, exec_lo, v5
	v_not_b32_e32 v8, v10
	v_ashrrev_i32_e32 v7, 31, v7
	s_wait_alu 0xfffd
	v_xor_b32_e32 v6, vcc_lo, v6
	v_cmp_gt_i32_e32 vcc_lo, 0, v10
	v_and_b32_e32 v5, v5, v67
	v_not_b32_e32 v10, v11
	v_ashrrev_i32_e32 v8, 31, v8
	s_wait_alu 0xf1ff
	v_xor_b32_e32 v7, s21, v7
	v_cmp_gt_i32_e64 s21, 0, v11
	v_and_b32_e32 v5, v5, v6
	v_not_b32_e32 v6, v66
	v_ashrrev_i32_e32 v10, 31, v10
	s_wait_alu 0xfffd
	v_xor_b32_e32 v8, vcc_lo, v8
	v_cmp_gt_i32_e32 vcc_lo, 0, v66
	v_and_b32_e32 v5, v5, v7
	v_not_b32_e32 v7, v9
	v_ashrrev_i32_e32 v6, 31, v6
	s_wait_alu 0xf1ff
	v_xor_b32_e32 v10, s21, v10
	v_lshlrev_b32_e32 v4, 5, v4
	v_and_b32_e32 v5, v5, v8
	v_cmp_gt_i32_e64 s21, 0, v9
	v_ashrrev_i32_e32 v7, 31, v7
	s_wait_alu 0xfffd
	v_xor_b32_e32 v6, vcc_lo, v6
	v_add_nc_u32_e32 v66, v50, v4
	v_and_b32_e32 v5, v5, v10
	s_wait_alu 0xf1ff
	v_xor_b32_e32 v4, s21, v7
	ds_load_b32 v71, v66 offset:32
	v_and_b32_e32 v5, v5, v6
	; wave barrier
	s_delay_alu instid0(VALU_DEP_1) | instskip(NEXT) | instid1(VALU_DEP_1)
	v_and_b32_e32 v4, v5, v4
	v_mbcnt_lo_u32_b32 v72, v4, 0
	v_cmp_ne_u32_e64 s21, 0, v4
	s_delay_alu instid0(VALU_DEP_2)
	v_cmp_eq_u32_e32 vcc_lo, 0, v72
	s_and_b32 s25, s21, vcc_lo
	s_wait_alu 0xfffe
	s_and_saveexec_b32 s21, s25
	s_cbranch_execz .LBB126_83
; %bb.82:                               ;   in Loop: Header=BB126_67 Depth=1
	s_wait_dscnt 0x0
	v_bcnt_u32_b32 v4, v4, v71
	ds_store_b32 v66, v4 offset:32
.LBB126_83:                             ;   in Loop: Header=BB126_67 Depth=1
	s_wait_alu 0xfffe
	s_or_b32 exec_lo, exec_lo, s21
	; wave barrier
	s_wait_loadcnt_dscnt 0x0
	s_barrier_signal -1
	s_barrier_wait -1
	global_inv scope:SCOPE_SE
	ds_load_b128 v[8:11], v90 offset:32
	ds_load_b128 v[4:7], v90 offset:48
	s_wait_dscnt 0x1
	v_add_nc_u32_e32 v67, v9, v8
	s_delay_alu instid0(VALU_DEP_1) | instskip(SKIP_1) | instid1(VALU_DEP_1)
	v_add3_u32 v67, v67, v10, v11
	s_wait_dscnt 0x0
	v_add3_u32 v67, v67, v4, v5
	s_delay_alu instid0(VALU_DEP_1) | instskip(NEXT) | instid1(VALU_DEP_1)
	v_add3_u32 v7, v67, v6, v7
	v_mov_b32_dpp v67, v7 row_shr:1 row_mask:0xf bank_mask:0xf
	s_delay_alu instid0(VALU_DEP_1) | instskip(NEXT) | instid1(VALU_DEP_1)
	v_cndmask_b32_e64 v67, v67, 0, s8
	v_add_nc_u32_e32 v7, v67, v7
	s_delay_alu instid0(VALU_DEP_1) | instskip(NEXT) | instid1(VALU_DEP_1)
	v_mov_b32_dpp v67, v7 row_shr:2 row_mask:0xf bank_mask:0xf
	v_cndmask_b32_e64 v67, 0, v67, s10
	s_delay_alu instid0(VALU_DEP_1) | instskip(NEXT) | instid1(VALU_DEP_1)
	v_add_nc_u32_e32 v7, v7, v67
	v_mov_b32_dpp v67, v7 row_shr:4 row_mask:0xf bank_mask:0xf
	s_delay_alu instid0(VALU_DEP_1) | instskip(NEXT) | instid1(VALU_DEP_1)
	v_cndmask_b32_e64 v67, 0, v67, s11
	v_add_nc_u32_e32 v7, v7, v67
	s_delay_alu instid0(VALU_DEP_1) | instskip(NEXT) | instid1(VALU_DEP_1)
	v_mov_b32_dpp v67, v7 row_shr:8 row_mask:0xf bank_mask:0xf
	v_cndmask_b32_e64 v67, 0, v67, s12
	s_delay_alu instid0(VALU_DEP_1) | instskip(SKIP_3) | instid1(VALU_DEP_1)
	v_add_nc_u32_e32 v7, v7, v67
	ds_swizzle_b32 v67, v7 offset:swizzle(BROADCAST,32,15)
	s_wait_dscnt 0x0
	v_cndmask_b32_e64 v67, v67, 0, s13
	v_add_nc_u32_e32 v7, v7, v67
	s_and_saveexec_b32 s21, s14
; %bb.84:                               ;   in Loop: Header=BB126_67 Depth=1
	ds_store_b32 v92, v7
; %bb.85:                               ;   in Loop: Header=BB126_67 Depth=1
	s_wait_alu 0xfffe
	s_or_b32 exec_lo, exec_lo, s21
	s_wait_loadcnt_dscnt 0x0
	s_barrier_signal -1
	s_barrier_wait -1
	global_inv scope:SCOPE_SE
	s_and_saveexec_b32 s21, s15
	s_cbranch_execz .LBB126_87
; %bb.86:                               ;   in Loop: Header=BB126_67 Depth=1
	ds_load_b32 v67, v52
	s_wait_dscnt 0x0
	v_mov_b32_dpp v68, v67 row_shr:1 row_mask:0xf bank_mask:0xf
	s_delay_alu instid0(VALU_DEP_1) | instskip(NEXT) | instid1(VALU_DEP_1)
	v_cndmask_b32_e64 v68, v68, 0, s18
	v_add_nc_u32_e32 v67, v68, v67
	s_delay_alu instid0(VALU_DEP_1) | instskip(NEXT) | instid1(VALU_DEP_1)
	v_mov_b32_dpp v68, v67 row_shr:2 row_mask:0xf bank_mask:0xf
	v_cndmask_b32_e64 v68, 0, v68, s19
	s_delay_alu instid0(VALU_DEP_1) | instskip(NEXT) | instid1(VALU_DEP_1)
	v_add_nc_u32_e32 v67, v67, v68
	v_mov_b32_dpp v68, v67 row_shr:4 row_mask:0xf bank_mask:0xf
	s_delay_alu instid0(VALU_DEP_1) | instskip(NEXT) | instid1(VALU_DEP_1)
	v_cndmask_b32_e64 v68, 0, v68, s20
	v_add_nc_u32_e32 v67, v67, v68
	ds_store_b32 v52, v67
.LBB126_87:                             ;   in Loop: Header=BB126_67 Depth=1
	s_wait_alu 0xfffe
	s_or_b32 exec_lo, exec_lo, s21
	v_mov_b32_e32 v67, 0
	s_wait_loadcnt_dscnt 0x0
	s_barrier_signal -1
	s_barrier_wait -1
	global_inv scope:SCOPE_SE
	s_and_saveexec_b32 s21, s16
; %bb.88:                               ;   in Loop: Header=BB126_67 Depth=1
	ds_load_b32 v67, v49
; %bb.89:                               ;   in Loop: Header=BB126_67 Depth=1
	s_wait_alu 0xfffe
	s_or_b32 exec_lo, exec_lo, s21
	s_wait_dscnt 0x0
	v_add_nc_u32_e32 v7, v67, v7
	v_cmp_lt_u32_e32 vcc_lo, 23, v51
	v_readfirstlane_b32 s21, v0
	s_mov_b32 s25, -1
	ds_bpermute_b32 v7, v36, v7
	s_and_b32 vcc_lo, exec_lo, vcc_lo
	s_wait_dscnt 0x0
	v_cndmask_b32_e64 v7, v7, v67, s9
	s_delay_alu instid0(VALU_DEP_1) | instskip(NEXT) | instid1(VALU_DEP_1)
	v_cndmask_b32_e64 v7, v7, 0, s17
	v_add_nc_u32_e32 v8, v7, v8
	s_delay_alu instid0(VALU_DEP_1) | instskip(NEXT) | instid1(VALU_DEP_1)
	v_add_nc_u32_e32 v9, v8, v9
	v_add_nc_u32_e32 v10, v9, v10
	s_delay_alu instid0(VALU_DEP_1) | instskip(NEXT) | instid1(VALU_DEP_1)
	v_add_nc_u32_e32 v67, v10, v11
	;; [unrolled: 3-line block ×3, first 2 shown]
	v_add_nc_u32_e32 v70, v69, v6
	ds_store_b128 v90, v[7:10] offset:32
	ds_store_b128 v90, v[67:70] offset:48
	s_wait_loadcnt_dscnt 0x0
	s_barrier_signal -1
	s_barrier_wait -1
	global_inv scope:SCOPE_SE
	ds_load_b32 v4, v13 offset:32
	ds_load_b32 v5, v16 offset:32
	;; [unrolled: 1-line block ×8, first 2 shown]
	s_wait_dscnt 0x7
	v_add_nc_u32_e32 v70, v4, v12
	s_wait_dscnt 0x6
	v_add3_u32 v69, v15, v14, v5
	s_wait_dscnt 0x5
	v_add3_u32 v68, v18, v17, v6
	;; [unrolled: 2-line block ×7, first 2 shown]
                                        ; implicit-def: $vgpr48
                                        ; implicit-def: $vgpr46
                                        ; implicit-def: $vgpr44
                                        ; implicit-def: $vgpr39
                                        ; implicit-def: $vgpr18_vgpr19
                                        ; implicit-def: $vgpr14_vgpr15
                                        ; implicit-def: $vgpr10_vgpr11
                                        ; implicit-def: $vgpr6_vgpr7
	s_wait_alu 0xfffe
	s_cbranch_vccnz .LBB126_66
; %bb.90:                               ;   in Loop: Header=BB126_67 Depth=1
	v_lshlrev_b32_e32 v4, 2, v70
	v_lshlrev_b32_e32 v5, 2, v69
	;; [unrolled: 1-line block ×3, first 2 shown]
	s_wait_loadcnt 0x0
	s_barrier_signal -1
	s_barrier_wait -1
	global_inv scope:SCOPE_SE
	ds_store_b32 v4, v54
	ds_store_b32 v5, v61
	;; [unrolled: 1-line block ×3, first 2 shown]
	v_lshlrev_b32_e32 v7, 2, v67
	v_add_nc_u32_e32 v4, v4, v4
	v_lshlrev_b32_e32 v8, 2, v66
	v_add_nc_u32_e32 v5, v5, v5
	;; [unrolled: 2-line block ×3, first 2 shown]
	v_lshlrev_b32_e32 v10, 2, v63
	v_lshlrev_b32_e32 v11, 2, v62
	ds_store_b32 v7, v59
	ds_store_b32 v8, v58
	ds_store_b32 v9, v57
	ds_store_b32 v10, v56
	ds_store_b32 v11, v55
	s_wait_loadcnt_dscnt 0x0
	s_barrier_signal -1
	s_barrier_wait -1
	global_inv scope:SCOPE_SE
	ds_load_2addr_b32 v[38:39], v91 offset1:32
	ds_load_2addr_b32 v[43:44], v91 offset0:64 offset1:96
	ds_load_2addr_b32 v[45:46], v91 offset0:128 offset1:160
	;; [unrolled: 1-line block ×3, first 2 shown]
	s_wait_loadcnt_dscnt 0x0
	s_barrier_signal -1
	s_barrier_wait -1
	global_inv scope:SCOPE_SE
	ds_store_b64 v4, v[34:35]
	ds_store_b64 v5, v[32:33]
	;; [unrolled: 1-line block ×3, first 2 shown]
	v_add_nc_u32_e32 v4, v7, v7
	v_add_nc_u32_e32 v5, v8, v8
	;; [unrolled: 1-line block ×5, first 2 shown]
	ds_store_b64 v4, v[28:29]
	ds_store_b64 v5, v[26:27]
	;; [unrolled: 1-line block ×5, first 2 shown]
	s_wait_loadcnt_dscnt 0x0
	s_barrier_signal -1
	s_barrier_wait -1
	global_inv scope:SCOPE_SE
	ds_load_2addr_b64 v[4:7], v53 offset1:32
	ds_load_2addr_b64 v[8:11], v53 offset0:64 offset1:96
	ds_load_2addr_b64 v[12:15], v53 offset0:128 offset1:160
	;; [unrolled: 1-line block ×3, first 2 shown]
	v_add_nc_u32_e32 v51, 8, v51
	s_add_co_i32 s21, s24, -8
	s_mov_b32 s25, 0
	s_wait_loadcnt_dscnt 0x0
	s_barrier_signal -1
	s_barrier_wait -1
	global_inv scope:SCOPE_SE
	s_branch .LBB126_66
.LBB126_91:
	v_lshlrev_b32_e32 v8, 2, v70
	v_lshlrev_b32_e32 v9, 2, v69
	;; [unrolled: 1-line block ×3, first 2 shown]
	s_wait_loadcnt 0x0
	s_barrier_signal -1
	s_barrier_wait -1
	global_inv scope:SCOPE_SE
	ds_store_b32 v8, v54
	ds_store_b32 v9, v61
	;; [unrolled: 1-line block ×3, first 2 shown]
	v_lshlrev_b32_e32 v11, 2, v67
	v_add_nc_u32_e32 v8, v8, v8
	v_lshlrev_b32_e32 v12, 2, v66
	v_add_nc_u32_e32 v9, v9, v9
	;; [unrolled: 2-line block ×3, first 2 shown]
	v_lshlrev_b32_e32 v14, 2, v63
	v_lshlrev_b32_e32 v15, 2, v62
	ds_store_b32 v11, v59
	ds_store_b32 v12, v58
	;; [unrolled: 1-line block ×5, first 2 shown]
	s_wait_loadcnt_dscnt 0x0
	s_barrier_signal -1
	s_barrier_wait -1
	global_inv scope:SCOPE_SE
	ds_load_b128 v[0:3], v90
	ds_load_b128 v[4:7], v90 offset:16
	s_wait_loadcnt_dscnt 0x0
	s_barrier_signal -1
	s_barrier_wait -1
	global_inv scope:SCOPE_SE
	ds_store_b64 v8, v[34:35]
	ds_store_b64 v9, v[32:33]
	;; [unrolled: 1-line block ×3, first 2 shown]
	v_add_nc_u32_e32 v8, v11, v11
	v_add_nc_u32_e32 v9, v12, v12
	;; [unrolled: 1-line block ×5, first 2 shown]
	ds_store_b64 v8, v[28:29]
	ds_store_b64 v9, v[26:27]
	;; [unrolled: 1-line block ×5, first 2 shown]
	v_lshl_add_u32 v8, v42, 5, v90
	s_wait_loadcnt_dscnt 0x0
	s_barrier_signal -1
	s_barrier_wait -1
	global_inv scope:SCOPE_SE
	ds_load_b128 v[29:32], v8
	ds_load_b128 v[25:28], v8 offset:16
	ds_load_b128 v[21:24], v8 offset:32
	ds_load_b128 v[17:20], v8 offset:48
	v_xor_b32_e32 v33, 0x7fffffff, v0
	v_xor_b32_e32 v35, 0x7fffffff, v1
	;; [unrolled: 1-line block ×8, first 2 shown]
.LBB126_92:
	s_wait_loadcnt_dscnt 0x0
	s_barrier_signal -1
	s_barrier_wait -1
	global_inv scope:SCOPE_SE
	ds_store_2addr_b32 v80, v33, v35 offset1:1
	ds_store_2addr_b32 v80, v34, v38 offset0:2 offset1:3
	ds_store_2addr_b32 v80, v36, v51 offset0:4 offset1:5
	;; [unrolled: 1-line block ×3, first 2 shown]
	s_wait_loadcnt_dscnt 0x0
	s_barrier_signal -1
	s_barrier_wait -1
	global_inv scope:SCOPE_SE
	ds_load_b32 v8, v41 offset:1024
	ds_load_b32 v7, v74 offset:2048
	;; [unrolled: 1-line block ×7, first 2 shown]
	v_mov_b32_e32 v41, 0
	s_delay_alu instid0(VALU_DEP_1) | instskip(NEXT) | instid1(VALU_DEP_1)
	v_lshlrev_b64_e32 v[0:1], 2, v[40:41]
	v_add_co_u32 v0, vcc_lo, s30, v0
	s_wait_alu 0xfffd
	s_delay_alu instid0(VALU_DEP_2)
	v_add_co_ci_u32_e64 v1, null, s31, v1, vcc_lo
	s_and_saveexec_b32 s8, s0
	s_cbranch_execnz .LBB126_111
; %bb.93:
	s_wait_alu 0xfffe
	s_or_b32 exec_lo, exec_lo, s8
	s_and_saveexec_b32 s8, s1
	s_cbranch_execnz .LBB126_112
.LBB126_94:
	s_wait_alu 0xfffe
	s_or_b32 exec_lo, exec_lo, s8
	s_and_saveexec_b32 s8, s2
	s_cbranch_execnz .LBB126_113
.LBB126_95:
	s_wait_alu 0xfffe
	s_or_b32 exec_lo, exec_lo, s8
	s_and_saveexec_b32 s8, s3
	s_cbranch_execnz .LBB126_114
.LBB126_96:
	s_wait_alu 0xfffe
	s_or_b32 exec_lo, exec_lo, s8
	s_and_saveexec_b32 s8, s4
	s_cbranch_execnz .LBB126_115
.LBB126_97:
	s_wait_alu 0xfffe
	s_or_b32 exec_lo, exec_lo, s8
	s_and_saveexec_b32 s8, s5
	s_cbranch_execnz .LBB126_116
.LBB126_98:
	s_wait_alu 0xfffe
	s_or_b32 exec_lo, exec_lo, s8
	s_and_saveexec_b32 s8, s6
	s_cbranch_execnz .LBB126_117
.LBB126_99:
	s_wait_alu 0xfffe
	s_or_b32 exec_lo, exec_lo, s8
	s_and_saveexec_b32 s8, s7
	s_cbranch_execz .LBB126_101
.LBB126_100:
	s_mul_i32 s10, s22, 0x700
	s_mov_b32 s11, 0
	s_wait_alu 0xfffe
	s_lshl_b64 s[10:11], s[10:11], 2
	s_wait_alu 0xfffe
	v_add_co_u32 v0, vcc_lo, v0, s10
	s_wait_alu 0xfffd
	v_add_co_ci_u32_e64 v1, null, s11, v1, vcc_lo
	s_wait_dscnt 0x0
	global_store_b32 v[0:1], v2, off
.LBB126_101:
	s_wait_alu 0xfffe
	s_or_b32 exec_lo, exec_lo, s8
	s_wait_storecnt 0x0
	s_wait_loadcnt_dscnt 0x0
	s_barrier_signal -1
	s_barrier_wait -1
	global_inv scope:SCOPE_SE
	ds_store_2addr_b64 v89, v[29:30], v[31:32] offset1:1
	ds_store_2addr_b64 v89, v[25:26], v[27:28] offset0:2 offset1:3
	ds_store_2addr_b64 v89, v[21:22], v[23:24] offset0:4 offset1:5
	ds_store_2addr_b64 v89, v[17:18], v[19:20] offset0:6 offset1:7
	s_wait_loadcnt_dscnt 0x0
	s_barrier_signal -1
	s_barrier_wait -1
	global_inv scope:SCOPE_SE
	ds_load_b64 v[14:15], v82 offset:2048
	ds_load_b64 v[12:13], v83 offset:4096
	;; [unrolled: 1-line block ×7, first 2 shown]
	v_mov_b32_e32 v38, 0
	s_delay_alu instid0(VALU_DEP_1) | instskip(NEXT) | instid1(VALU_DEP_1)
	v_lshlrev_b64_e32 v[2:3], 3, v[37:38]
	v_add_co_u32 v2, vcc_lo, s34, v2
	s_wait_alu 0xfffd
	s_delay_alu instid0(VALU_DEP_2)
	v_add_co_ci_u32_e64 v3, null, s35, v3, vcc_lo
	s_and_saveexec_b32 s8, s0
	s_cbranch_execnz .LBB126_118
; %bb.102:
	s_wait_alu 0xfffe
	s_or_b32 exec_lo, exec_lo, s8
	s_and_saveexec_b32 s0, s1
	s_cbranch_execnz .LBB126_119
.LBB126_103:
	s_or_b32 exec_lo, exec_lo, s0
	s_and_saveexec_b32 s0, s2
	s_cbranch_execnz .LBB126_120
.LBB126_104:
	s_or_b32 exec_lo, exec_lo, s0
	s_and_saveexec_b32 s0, s3
	s_cbranch_execnz .LBB126_121
.LBB126_105:
	s_or_b32 exec_lo, exec_lo, s0
	s_and_saveexec_b32 s0, s4
	s_cbranch_execnz .LBB126_122
.LBB126_106:
	s_or_b32 exec_lo, exec_lo, s0
	s_and_saveexec_b32 s0, s5
	s_cbranch_execnz .LBB126_123
.LBB126_107:
	s_or_b32 exec_lo, exec_lo, s0
	s_and_saveexec_b32 s0, s6
	s_cbranch_execnz .LBB126_124
.LBB126_108:
	s_or_b32 exec_lo, exec_lo, s0
	s_and_saveexec_b32 s0, s7
	s_cbranch_execz .LBB126_110
.LBB126_109:
	s_mul_i32 s0, s28, 0x700
	s_mov_b32 s1, 0
	s_delay_alu instid0(SALU_CYCLE_1) | instskip(NEXT) | instid1(SALU_CYCLE_1)
	s_lshl_b64 s[0:1], s[0:1], 3
	v_add_co_u32 v2, vcc_lo, v2, s0
	s_wait_alu 0xfffd
	v_add_co_ci_u32_e64 v3, null, s1, v3, vcc_lo
	s_wait_dscnt 0x0
	global_store_b64 v[2:3], v[0:1], off
.LBB126_110:
	s_nop 0
	s_sendmsg sendmsg(MSG_DEALLOC_VGPRS)
	s_endpgm
.LBB126_111:
	ds_load_b32 v9, v73
	s_wait_dscnt 0x0
	global_store_b32 v[0:1], v9, off
	s_wait_alu 0xfffe
	s_or_b32 exec_lo, exec_lo, s8
	s_and_saveexec_b32 s8, s1
	s_cbranch_execz .LBB126_94
.LBB126_112:
	s_lshl_b32 s10, s22, 8
	s_mov_b32 s11, 0
	s_wait_alu 0xfffe
	s_lshl_b64 s[10:11], s[10:11], 2
	s_wait_alu 0xfffe
	v_add_co_u32 v9, vcc_lo, v0, s10
	s_wait_alu 0xfffd
	v_add_co_ci_u32_e64 v10, null, s11, v1, vcc_lo
	s_wait_dscnt 0x6
	global_store_b32 v[9:10], v8, off
	s_or_b32 exec_lo, exec_lo, s8
	s_and_saveexec_b32 s8, s2
	s_cbranch_execz .LBB126_95
.LBB126_113:
	s_lshl_b32 s10, s22, 9
	s_mov_b32 s11, 0
	s_wait_alu 0xfffe
	s_lshl_b64 s[10:11], s[10:11], 2
	s_wait_dscnt 0x6
	s_wait_alu 0xfffe
	v_add_co_u32 v8, vcc_lo, v0, s10
	s_wait_alu 0xfffd
	v_add_co_ci_u32_e64 v9, null, s11, v1, vcc_lo
	s_wait_dscnt 0x5
	global_store_b32 v[8:9], v7, off
	s_or_b32 exec_lo, exec_lo, s8
	s_and_saveexec_b32 s8, s3
	s_cbranch_execz .LBB126_96
.LBB126_114:
	s_mul_i32 s10, s22, 0x300
	s_mov_b32 s11, 0
	s_wait_alu 0xfffe
	s_lshl_b64 s[10:11], s[10:11], 2
	s_wait_dscnt 0x5
	s_wait_alu 0xfffe
	v_add_co_u32 v7, vcc_lo, v0, s10
	s_wait_alu 0xfffd
	v_add_co_ci_u32_e64 v8, null, s11, v1, vcc_lo
	s_wait_dscnt 0x4
	global_store_b32 v[7:8], v6, off
	s_or_b32 exec_lo, exec_lo, s8
	s_and_saveexec_b32 s8, s4
	s_cbranch_execz .LBB126_97
.LBB126_115:
	s_lshl_b32 s10, s22, 10
	s_mov_b32 s11, 0
	s_wait_alu 0xfffe
	s_lshl_b64 s[10:11], s[10:11], 2
	s_wait_dscnt 0x4
	s_wait_alu 0xfffe
	v_add_co_u32 v6, vcc_lo, v0, s10
	s_wait_alu 0xfffd
	v_add_co_ci_u32_e64 v7, null, s11, v1, vcc_lo
	s_wait_dscnt 0x3
	global_store_b32 v[6:7], v5, off
	s_or_b32 exec_lo, exec_lo, s8
	s_and_saveexec_b32 s8, s5
	s_cbranch_execz .LBB126_98
.LBB126_116:
	s_mul_i32 s10, s22, 0x500
	s_mov_b32 s11, 0
	s_wait_alu 0xfffe
	s_lshl_b64 s[10:11], s[10:11], 2
	s_wait_dscnt 0x3
	s_wait_alu 0xfffe
	v_add_co_u32 v5, vcc_lo, v0, s10
	s_wait_alu 0xfffd
	v_add_co_ci_u32_e64 v6, null, s11, v1, vcc_lo
	s_wait_dscnt 0x2
	global_store_b32 v[5:6], v4, off
	s_or_b32 exec_lo, exec_lo, s8
	s_and_saveexec_b32 s8, s6
	s_cbranch_execz .LBB126_99
.LBB126_117:
	s_mul_i32 s10, s22, 0x600
	s_mov_b32 s11, 0
	s_wait_alu 0xfffe
	s_lshl_b64 s[10:11], s[10:11], 2
	s_wait_dscnt 0x2
	s_wait_alu 0xfffe
	v_add_co_u32 v4, vcc_lo, v0, s10
	s_wait_alu 0xfffd
	v_add_co_ci_u32_e64 v5, null, s11, v1, vcc_lo
	s_wait_dscnt 0x1
	global_store_b32 v[4:5], v3, off
	s_or_b32 exec_lo, exec_lo, s8
	s_and_saveexec_b32 s8, s7
	s_cbranch_execnz .LBB126_100
	s_branch .LBB126_101
.LBB126_118:
	ds_load_b64 v[16:17], v81
	s_wait_dscnt 0x0
	global_store_b64 v[2:3], v[16:17], off
	s_wait_alu 0xfffe
	s_or_b32 exec_lo, exec_lo, s8
	s_and_saveexec_b32 s0, s1
	s_cbranch_execz .LBB126_103
.LBB126_119:
	s_lshl_b32 s8, s28, 8
	s_mov_b32 s9, 0
	s_wait_alu 0xfffe
	s_lshl_b64 s[8:9], s[8:9], 3
	s_wait_alu 0xfffe
	v_add_co_u32 v16, vcc_lo, v2, s8
	s_wait_alu 0xfffd
	v_add_co_ci_u32_e64 v17, null, s9, v3, vcc_lo
	s_wait_dscnt 0x6
	global_store_b64 v[16:17], v[14:15], off
	s_or_b32 exec_lo, exec_lo, s0
	s_and_saveexec_b32 s0, s2
	s_cbranch_execz .LBB126_104
.LBB126_120:
	s_lshl_b32 s8, s28, 9
	s_mov_b32 s9, 0
	s_wait_alu 0xfffe
	s_lshl_b64 s[8:9], s[8:9], 3
	s_wait_dscnt 0x6
	s_wait_alu 0xfffe
	v_add_co_u32 v14, vcc_lo, v2, s8
	s_wait_alu 0xfffd
	v_add_co_ci_u32_e64 v15, null, s9, v3, vcc_lo
	s_wait_dscnt 0x5
	global_store_b64 v[14:15], v[12:13], off
	s_or_b32 exec_lo, exec_lo, s0
	s_and_saveexec_b32 s0, s3
	s_cbranch_execz .LBB126_105
.LBB126_121:
	s_mul_i32 s2, s28, 0x300
	s_mov_b32 s3, 0
	s_wait_alu 0xfffe
	s_lshl_b64 s[2:3], s[2:3], 3
	s_wait_dscnt 0x5
	s_wait_alu 0xfffe
	v_add_co_u32 v12, vcc_lo, v2, s2
	s_wait_alu 0xfffd
	v_add_co_ci_u32_e64 v13, null, s3, v3, vcc_lo
	s_wait_dscnt 0x4
	global_store_b64 v[12:13], v[10:11], off
	s_or_b32 exec_lo, exec_lo, s0
	s_and_saveexec_b32 s0, s4
	s_cbranch_execz .LBB126_106
.LBB126_122:
	s_lshl_b32 s2, s28, 10
	s_mov_b32 s3, 0
	s_wait_alu 0xfffe
	s_lshl_b64 s[2:3], s[2:3], 3
	s_wait_dscnt 0x4
	s_wait_alu 0xfffe
	v_add_co_u32 v10, vcc_lo, v2, s2
	s_wait_alu 0xfffd
	v_add_co_ci_u32_e64 v11, null, s3, v3, vcc_lo
	s_wait_dscnt 0x3
	global_store_b64 v[10:11], v[8:9], off
	s_or_b32 exec_lo, exec_lo, s0
	s_and_saveexec_b32 s0, s5
	s_cbranch_execz .LBB126_107
.LBB126_123:
	s_mul_i32 s2, s28, 0x500
	s_mov_b32 s3, 0
	s_wait_alu 0xfffe
	s_lshl_b64 s[2:3], s[2:3], 3
	s_wait_dscnt 0x3
	s_wait_alu 0xfffe
	v_add_co_u32 v8, vcc_lo, v2, s2
	s_wait_alu 0xfffd
	v_add_co_ci_u32_e64 v9, null, s3, v3, vcc_lo
	s_wait_dscnt 0x2
	global_store_b64 v[8:9], v[6:7], off
	s_or_b32 exec_lo, exec_lo, s0
	s_and_saveexec_b32 s0, s6
	s_cbranch_execz .LBB126_108
.LBB126_124:
	s_mul_i32 s2, s28, 0x600
	s_mov_b32 s3, 0
	s_wait_alu 0xfffe
	s_lshl_b64 s[2:3], s[2:3], 3
	s_wait_dscnt 0x2
	s_wait_alu 0xfffe
	v_add_co_u32 v6, vcc_lo, v2, s2
	s_wait_alu 0xfffd
	v_add_co_ci_u32_e64 v7, null, s3, v3, vcc_lo
	s_wait_dscnt 0x1
	global_store_b64 v[6:7], v[4:5], off
	s_or_b32 exec_lo, exec_lo, s0
	s_and_saveexec_b32 s0, s7
	s_cbranch_execnz .LBB126_109
	s_branch .LBB126_110
	.section	.rodata,"a",@progbits
	.p2align	6, 0x0
	.amdhsa_kernel _ZN2at6native18radixSortKVInPlaceILi2ELin1ELi256ELi8EiljEEvNS_4cuda6detail10TensorInfoIT3_T5_EES6_S6_S6_NS4_IT4_S6_EES6_b
		.amdhsa_group_segment_fixed_size 16896
		.amdhsa_private_segment_fixed_size 0
		.amdhsa_kernarg_size 712
		.amdhsa_user_sgpr_count 2
		.amdhsa_user_sgpr_dispatch_ptr 0
		.amdhsa_user_sgpr_queue_ptr 0
		.amdhsa_user_sgpr_kernarg_segment_ptr 1
		.amdhsa_user_sgpr_dispatch_id 0
		.amdhsa_user_sgpr_private_segment_size 0
		.amdhsa_wavefront_size32 1
		.amdhsa_uses_dynamic_stack 0
		.amdhsa_enable_private_segment 0
		.amdhsa_system_sgpr_workgroup_id_x 1
		.amdhsa_system_sgpr_workgroup_id_y 1
		.amdhsa_system_sgpr_workgroup_id_z 1
		.amdhsa_system_sgpr_workgroup_info 0
		.amdhsa_system_vgpr_workitem_id 2
		.amdhsa_next_free_vgpr 128
		.amdhsa_next_free_sgpr 38
		.amdhsa_reserve_vcc 1
		.amdhsa_float_round_mode_32 0
		.amdhsa_float_round_mode_16_64 0
		.amdhsa_float_denorm_mode_32 3
		.amdhsa_float_denorm_mode_16_64 3
		.amdhsa_fp16_overflow 0
		.amdhsa_workgroup_processor_mode 1
		.amdhsa_memory_ordered 1
		.amdhsa_forward_progress 1
		.amdhsa_inst_pref_size 114
		.amdhsa_round_robin_scheduling 0
		.amdhsa_exception_fp_ieee_invalid_op 0
		.amdhsa_exception_fp_denorm_src 0
		.amdhsa_exception_fp_ieee_div_zero 0
		.amdhsa_exception_fp_ieee_overflow 0
		.amdhsa_exception_fp_ieee_underflow 0
		.amdhsa_exception_fp_ieee_inexact 0
		.amdhsa_exception_int_div_zero 0
	.end_amdhsa_kernel
	.section	.text._ZN2at6native18radixSortKVInPlaceILi2ELin1ELi256ELi8EiljEEvNS_4cuda6detail10TensorInfoIT3_T5_EES6_S6_S6_NS4_IT4_S6_EES6_b,"axG",@progbits,_ZN2at6native18radixSortKVInPlaceILi2ELin1ELi256ELi8EiljEEvNS_4cuda6detail10TensorInfoIT3_T5_EES6_S6_S6_NS4_IT4_S6_EES6_b,comdat
.Lfunc_end126:
	.size	_ZN2at6native18radixSortKVInPlaceILi2ELin1ELi256ELi8EiljEEvNS_4cuda6detail10TensorInfoIT3_T5_EES6_S6_S6_NS4_IT4_S6_EES6_b, .Lfunc_end126-_ZN2at6native18radixSortKVInPlaceILi2ELin1ELi256ELi8EiljEEvNS_4cuda6detail10TensorInfoIT3_T5_EES6_S6_S6_NS4_IT4_S6_EES6_b
                                        ; -- End function
	.set _ZN2at6native18radixSortKVInPlaceILi2ELin1ELi256ELi8EiljEEvNS_4cuda6detail10TensorInfoIT3_T5_EES6_S6_S6_NS4_IT4_S6_EES6_b.num_vgpr, 128
	.set _ZN2at6native18radixSortKVInPlaceILi2ELin1ELi256ELi8EiljEEvNS_4cuda6detail10TensorInfoIT3_T5_EES6_S6_S6_NS4_IT4_S6_EES6_b.num_agpr, 0
	.set _ZN2at6native18radixSortKVInPlaceILi2ELin1ELi256ELi8EiljEEvNS_4cuda6detail10TensorInfoIT3_T5_EES6_S6_S6_NS4_IT4_S6_EES6_b.numbered_sgpr, 38
	.set _ZN2at6native18radixSortKVInPlaceILi2ELin1ELi256ELi8EiljEEvNS_4cuda6detail10TensorInfoIT3_T5_EES6_S6_S6_NS4_IT4_S6_EES6_b.num_named_barrier, 0
	.set _ZN2at6native18radixSortKVInPlaceILi2ELin1ELi256ELi8EiljEEvNS_4cuda6detail10TensorInfoIT3_T5_EES6_S6_S6_NS4_IT4_S6_EES6_b.private_seg_size, 0
	.set _ZN2at6native18radixSortKVInPlaceILi2ELin1ELi256ELi8EiljEEvNS_4cuda6detail10TensorInfoIT3_T5_EES6_S6_S6_NS4_IT4_S6_EES6_b.uses_vcc, 1
	.set _ZN2at6native18radixSortKVInPlaceILi2ELin1ELi256ELi8EiljEEvNS_4cuda6detail10TensorInfoIT3_T5_EES6_S6_S6_NS4_IT4_S6_EES6_b.uses_flat_scratch, 0
	.set _ZN2at6native18radixSortKVInPlaceILi2ELin1ELi256ELi8EiljEEvNS_4cuda6detail10TensorInfoIT3_T5_EES6_S6_S6_NS4_IT4_S6_EES6_b.has_dyn_sized_stack, 0
	.set _ZN2at6native18radixSortKVInPlaceILi2ELin1ELi256ELi8EiljEEvNS_4cuda6detail10TensorInfoIT3_T5_EES6_S6_S6_NS4_IT4_S6_EES6_b.has_recursion, 0
	.set _ZN2at6native18radixSortKVInPlaceILi2ELin1ELi256ELi8EiljEEvNS_4cuda6detail10TensorInfoIT3_T5_EES6_S6_S6_NS4_IT4_S6_EES6_b.has_indirect_call, 0
	.section	.AMDGPU.csdata,"",@progbits
; Kernel info:
; codeLenInByte = 14560
; TotalNumSgprs: 40
; NumVgprs: 128
; ScratchSize: 0
; MemoryBound: 0
; FloatMode: 240
; IeeeMode: 1
; LDSByteSize: 16896 bytes/workgroup (compile time only)
; SGPRBlocks: 0
; VGPRBlocks: 15
; NumSGPRsForWavesPerEU: 40
; NumVGPRsForWavesPerEU: 128
; Occupancy: 10
; WaveLimiterHint : 1
; COMPUTE_PGM_RSRC2:SCRATCH_EN: 0
; COMPUTE_PGM_RSRC2:USER_SGPR: 2
; COMPUTE_PGM_RSRC2:TRAP_HANDLER: 0
; COMPUTE_PGM_RSRC2:TGID_X_EN: 1
; COMPUTE_PGM_RSRC2:TGID_Y_EN: 1
; COMPUTE_PGM_RSRC2:TGID_Z_EN: 1
; COMPUTE_PGM_RSRC2:TIDIG_COMP_CNT: 2
	.section	.text._ZN2at6native18radixSortKVInPlaceILi2ELin1ELi128ELi8EiljEEvNS_4cuda6detail10TensorInfoIT3_T5_EES6_S6_S6_NS4_IT4_S6_EES6_b,"axG",@progbits,_ZN2at6native18radixSortKVInPlaceILi2ELin1ELi128ELi8EiljEEvNS_4cuda6detail10TensorInfoIT3_T5_EES6_S6_S6_NS4_IT4_S6_EES6_b,comdat
	.protected	_ZN2at6native18radixSortKVInPlaceILi2ELin1ELi128ELi8EiljEEvNS_4cuda6detail10TensorInfoIT3_T5_EES6_S6_S6_NS4_IT4_S6_EES6_b ; -- Begin function _ZN2at6native18radixSortKVInPlaceILi2ELin1ELi128ELi8EiljEEvNS_4cuda6detail10TensorInfoIT3_T5_EES6_S6_S6_NS4_IT4_S6_EES6_b
	.globl	_ZN2at6native18radixSortKVInPlaceILi2ELin1ELi128ELi8EiljEEvNS_4cuda6detail10TensorInfoIT3_T5_EES6_S6_S6_NS4_IT4_S6_EES6_b
	.p2align	8
	.type	_ZN2at6native18radixSortKVInPlaceILi2ELin1ELi128ELi8EiljEEvNS_4cuda6detail10TensorInfoIT3_T5_EES6_S6_S6_NS4_IT4_S6_EES6_b,@function
_ZN2at6native18radixSortKVInPlaceILi2ELin1ELi128ELi8EiljEEvNS_4cuda6detail10TensorInfoIT3_T5_EES6_S6_S6_NS4_IT4_S6_EES6_b: ; @_ZN2at6native18radixSortKVInPlaceILi2ELin1ELi128ELi8EiljEEvNS_4cuda6detail10TensorInfoIT3_T5_EES6_S6_S6_NS4_IT4_S6_EES6_b
; %bb.0:
	s_clause 0x1
	s_load_b64 s[2:3], s[0:1], 0x1c8
	s_load_b96 s[24:26], s[0:1], 0xd8
	s_lshr_b32 s4, ttmp7, 16
	s_wait_kmcnt 0x0
	s_mul_i32 s3, s3, s4
	s_and_b32 s4, ttmp7, 0xffff
	s_delay_alu instid0(SALU_CYCLE_1) | instskip(NEXT) | instid1(SALU_CYCLE_1)
	s_add_co_i32 s3, s3, s4
	s_mul_i32 s2, s3, s2
	s_delay_alu instid0(SALU_CYCLE_1) | instskip(NEXT) | instid1(SALU_CYCLE_1)
	s_add_co_i32 s2, s2, ttmp9
	s_cmp_ge_u32 s2, s24
	s_cbranch_scc1 .LBB127_110
; %bb.1:
	s_clause 0x2
	s_load_b32 s10, s[0:1], 0xc
	s_load_b64 s[4:5], s[0:1], 0x6c
	s_load_b32 s8, s[0:1], 0x1b8
	s_add_nc_u64 s[14:15], s[0:1], 0xe8
	s_mov_b32 s18, s2
	s_wait_kmcnt 0x0
	s_cvt_f32_u32 s3, s10
	s_delay_alu instid0(SALU_CYCLE_3) | instskip(NEXT) | instid1(TRANS32_DEP_1)
	v_rcp_iflag_f32_e32 v1, s3
	v_readfirstlane_b32 s3, v1
	s_mul_f32 s3, s3, 0x4f7ffffe
	s_wait_alu 0xfffe
	s_delay_alu instid0(SALU_CYCLE_2) | instskip(SKIP_2) | instid1(SALU_CYCLE_1)
	s_cvt_u32_f32 s6, s3
	s_sub_co_i32 s3, 0, s10
	s_wait_alu 0xfffe
	s_mul_i32 s7, s3, s6
	s_mov_b32 s3, 0
	s_mul_hi_u32 s9, s6, s7
	s_wait_alu 0xfffe
	s_mov_b32 s7, s3
	s_add_co_i32 s6, s6, s9
	s_cmp_lt_i32 s8, 2
	s_mov_b32 s13, s3
	s_cbranch_scc1 .LBB127_4
; %bb.2:
	s_add_co_i32 s12, s8, -1
	s_mov_b32 s13, 0
	s_add_co_i32 s11, s8, 1
	s_lshl_b64 s[16:17], s[12:13], 2
	s_mov_b32 s18, s2
	s_add_nc_u64 s[16:17], s[14:15], s[16:17]
	s_delay_alu instid0(SALU_CYCLE_1)
	s_add_nc_u64 s[8:9], s[16:17], 8
.LBB127_3:                              ; =>This Inner Loop Header: Depth=1
	s_clause 0x1
	s_load_b32 s12, s[8:9], 0x0
	s_load_b32 s16, s[8:9], 0x64
	s_mov_b32 s20, s18
	s_add_nc_u64 s[8:9], s[8:9], -4
	s_wait_kmcnt 0x0
	s_cvt_f32_u32 s17, s12
	s_sub_co_i32 s19, 0, s12
	s_wait_alu 0xfffe
	s_delay_alu instid0(SALU_CYCLE_1) | instskip(NEXT) | instid1(TRANS32_DEP_1)
	v_rcp_iflag_f32_e32 v1, s17
	v_readfirstlane_b32 s17, v1
	s_mul_f32 s17, s17, 0x4f7ffffe
	s_wait_alu 0xfffe
	s_delay_alu instid0(SALU_CYCLE_2) | instskip(SKIP_1) | instid1(SALU_CYCLE_2)
	s_cvt_u32_f32 s17, s17
	s_wait_alu 0xfffe
	s_mul_i32 s19, s19, s17
	s_delay_alu instid0(SALU_CYCLE_1) | instskip(NEXT) | instid1(SALU_CYCLE_1)
	s_mul_hi_u32 s19, s17, s19
	s_add_co_i32 s17, s17, s19
	s_wait_alu 0xfffe
	s_mul_hi_u32 s17, s18, s17
	s_wait_alu 0xfffe
	s_mul_i32 s18, s17, s12
	s_add_co_i32 s19, s17, 1
	s_sub_co_i32 s18, s20, s18
	s_delay_alu instid0(SALU_CYCLE_1)
	s_sub_co_i32 s21, s18, s12
	s_cmp_ge_u32 s18, s12
	s_cselect_b32 s17, s19, s17
	s_cselect_b32 s18, s21, s18
	s_wait_alu 0xfffe
	s_add_co_i32 s19, s17, 1
	s_cmp_ge_u32 s18, s12
	s_cselect_b32 s18, s19, s17
	s_add_co_i32 s11, s11, -1
	s_mul_i32 s12, s18, s12
	s_delay_alu instid0(SALU_CYCLE_1) | instskip(NEXT) | instid1(SALU_CYCLE_1)
	s_sub_co_i32 s12, s20, s12
	s_mul_i32 s12, s16, s12
	s_delay_alu instid0(SALU_CYCLE_1)
	s_add_co_i32 s13, s12, s13
	s_cmp_gt_u32 s11, 2
	s_cbranch_scc1 .LBB127_3
.LBB127_4:
	s_mul_u64 s[6:7], s[2:3], s[6:7]
	s_clause 0x1
	s_load_b64 s[16:17], s[0:1], 0x0
	s_load_b64 s[28:29], s[0:1], 0x1c0
	s_mul_i32 s3, s7, s10
	s_add_nc_u64 s[34:35], s[0:1], 0x1c8
	s_wait_alu 0xfffe
	s_sub_co_i32 s0, s2, s3
	s_add_co_i32 s1, s7, 1
	s_sub_co_i32 s3, s0, s10
	s_cmp_ge_u32 s0, s10
	s_cselect_b32 s1, s1, s7
	s_wait_alu 0xfffe
	s_cselect_b32 s0, s3, s0
	s_add_co_i32 s3, s1, 1
	s_cmp_ge_u32 s0, s10
	s_wait_alu 0xfffe
	s_cselect_b32 s0, s3, s1
	s_mov_b32 s3, 0
	s_mul_i32 s1, s0, s10
	s_mul_i32 s0, s0, s4
	s_sub_co_i32 s1, s2, s1
	s_delay_alu instid0(SALU_CYCLE_1) | instskip(NEXT) | instid1(SALU_CYCLE_1)
	s_mul_i32 s1, s1, s5
	s_add_co_i32 s2, s0, s1
	s_wait_kmcnt 0x0
	s_bitcmp1_b32 s29, 0
	s_brev_b32 s0, 1
	s_cselect_b32 s12, -1, 0
	s_delay_alu instid0(SALU_CYCLE_1)
	s_and_b32 s1, s12, exec_lo
	s_cselect_b32 s4, s0, 0x7fffffff
	s_wait_alu 0xfffe
	s_lshl_b64 s[2:3], s[2:3], 2
	s_mov_b32 s5, s4
	s_mov_b32 s6, s4
	;; [unrolled: 1-line block ×7, first 2 shown]
	v_dual_mov_b32 v1, s4 :: v_dual_and_b32 v42, 0x3ff, v0
	v_dual_mov_b32 v2, s5 :: v_dual_mov_b32 v3, s6
	v_dual_mov_b32 v4, s7 :: v_dual_mov_b32 v5, s8
	s_delay_alu instid0(VALU_DEP_3)
	v_mul_lo_u32 v40, s26, v42
	v_cmp_gt_u32_e64 s0, s25, v42
	v_dual_mov_b32 v6, s9 :: v_dual_mov_b32 v7, s10
	v_dual_mov_b32 v8, s11 :: v_dual_mov_b32 v9, s4
	s_wait_alu 0xfffe
	s_add_nc_u64 s[30:31], s[16:17], s[2:3]
	s_and_saveexec_b32 s1, s0
	s_cbranch_execz .LBB127_6
; %bb.5:
	v_mov_b32_e32 v41, 0
	s_delay_alu instid0(VALU_DEP_1) | instskip(NEXT) | instid1(VALU_DEP_1)
	v_lshlrev_b64_e32 v[1:2], 2, v[40:41]
	v_add_co_u32 v1, vcc_lo, s30, v1
	s_delay_alu instid0(VALU_DEP_1)
	v_add_co_ci_u32_e64 v2, null, s31, v2, vcc_lo
	global_load_b32 v9, v[1:2], off
	v_dual_mov_b32 v1, s4 :: v_dual_mov_b32 v4, s7
	v_dual_mov_b32 v2, s5 :: v_dual_mov_b32 v3, s6
	;; [unrolled: 1-line block ×4, first 2 shown]
.LBB127_6:
	s_or_b32 exec_lo, exec_lo, s1
	v_add_nc_u32_e32 v15, 0x80, v42
	s_delay_alu instid0(VALU_DEP_1)
	v_cmp_gt_u32_e64 s1, s25, v15
	s_and_saveexec_b32 s2, s1
	s_cbranch_execz .LBB127_8
; %bb.7:
	v_mul_lo_u32 v1, s26, v15
	v_mov_b32_e32 v2, 0
	s_delay_alu instid0(VALU_DEP_1) | instskip(NEXT) | instid1(VALU_DEP_1)
	v_lshlrev_b64_e32 v[1:2], 2, v[1:2]
	v_add_co_u32 v1, vcc_lo, s30, v1
	s_wait_alu 0xfffd
	s_delay_alu instid0(VALU_DEP_2)
	v_add_co_ci_u32_e64 v2, null, s31, v2, vcc_lo
	global_load_b32 v2, v[1:2], off
.LBB127_8:
	s_wait_alu 0xfffe
	s_or_b32 exec_lo, exec_lo, s2
	v_add_nc_u32_e32 v16, 0x100, v42
	s_delay_alu instid0(VALU_DEP_1)
	v_cmp_gt_u32_e64 s2, s25, v16
	s_and_saveexec_b32 s3, s2
	s_cbranch_execz .LBB127_10
; %bb.9:
	v_mul_lo_u32 v10, s26, v16
	v_mov_b32_e32 v11, 0
	s_delay_alu instid0(VALU_DEP_1) | instskip(NEXT) | instid1(VALU_DEP_1)
	v_lshlrev_b64_e32 v[10:11], 2, v[10:11]
	v_add_co_u32 v10, vcc_lo, s30, v10
	s_wait_alu 0xfffd
	s_delay_alu instid0(VALU_DEP_2)
	v_add_co_ci_u32_e64 v11, null, s31, v11, vcc_lo
	global_load_b32 v3, v[10:11], off
.LBB127_10:
	s_wait_alu 0xfffe
	s_or_b32 exec_lo, exec_lo, s3
	v_add_nc_u32_e32 v19, 0x180, v42
	s_delay_alu instid0(VALU_DEP_1)
	v_cmp_gt_u32_e64 s3, s25, v19
	s_and_saveexec_b32 s4, s3
	s_cbranch_execz .LBB127_12
; %bb.11:
	v_mul_lo_u32 v10, s26, v19
	v_mov_b32_e32 v11, 0
	s_delay_alu instid0(VALU_DEP_1) | instskip(NEXT) | instid1(VALU_DEP_1)
	v_lshlrev_b64_e32 v[10:11], 2, v[10:11]
	v_add_co_u32 v10, vcc_lo, s30, v10
	s_wait_alu 0xfffd
	s_delay_alu instid0(VALU_DEP_2)
	v_add_co_ci_u32_e64 v11, null, s31, v11, vcc_lo
	global_load_b32 v4, v[10:11], off
.LBB127_12:
	s_wait_alu 0xfffe
	s_or_b32 exec_lo, exec_lo, s4
	v_add_nc_u32_e32 v20, 0x200, v42
	s_delay_alu instid0(VALU_DEP_1)
	v_cmp_gt_u32_e64 s4, s25, v20
	s_and_saveexec_b32 s5, s4
	s_cbranch_execz .LBB127_14
; %bb.13:
	v_mul_lo_u32 v10, s26, v20
	v_mov_b32_e32 v11, 0
	s_delay_alu instid0(VALU_DEP_1) | instskip(NEXT) | instid1(VALU_DEP_1)
	v_lshlrev_b64_e32 v[10:11], 2, v[10:11]
	v_add_co_u32 v10, vcc_lo, s30, v10
	s_wait_alu 0xfffd
	s_delay_alu instid0(VALU_DEP_2)
	v_add_co_ci_u32_e64 v11, null, s31, v11, vcc_lo
	global_load_b32 v5, v[10:11], off
.LBB127_14:
	s_wait_alu 0xfffe
	s_or_b32 exec_lo, exec_lo, s5
	v_add_nc_u32_e32 v21, 0x280, v42
	s_delay_alu instid0(VALU_DEP_1)
	v_cmp_gt_u32_e64 s5, s25, v21
	s_and_saveexec_b32 s6, s5
	s_cbranch_execz .LBB127_16
; %bb.15:
	v_mul_lo_u32 v10, s26, v21
	v_mov_b32_e32 v11, 0
	s_delay_alu instid0(VALU_DEP_1) | instskip(NEXT) | instid1(VALU_DEP_1)
	v_lshlrev_b64_e32 v[10:11], 2, v[10:11]
	v_add_co_u32 v10, vcc_lo, s30, v10
	s_wait_alu 0xfffd
	s_delay_alu instid0(VALU_DEP_2)
	v_add_co_ci_u32_e64 v11, null, s31, v11, vcc_lo
	global_load_b32 v6, v[10:11], off
.LBB127_16:
	s_wait_alu 0xfffe
	s_or_b32 exec_lo, exec_lo, s6
	v_add_nc_u32_e32 v22, 0x300, v42
	s_delay_alu instid0(VALU_DEP_1)
	v_cmp_gt_u32_e64 s6, s25, v22
	s_and_saveexec_b32 s7, s6
	s_cbranch_execz .LBB127_18
; %bb.17:
	v_mul_lo_u32 v10, s26, v22
	v_mov_b32_e32 v11, 0
	s_delay_alu instid0(VALU_DEP_1) | instskip(NEXT) | instid1(VALU_DEP_1)
	v_lshlrev_b64_e32 v[10:11], 2, v[10:11]
	v_add_co_u32 v10, vcc_lo, s30, v10
	s_wait_alu 0xfffd
	s_delay_alu instid0(VALU_DEP_2)
	v_add_co_ci_u32_e64 v11, null, s31, v11, vcc_lo
	global_load_b32 v7, v[10:11], off
.LBB127_18:
	s_wait_alu 0xfffe
	s_or_b32 exec_lo, exec_lo, s7
	s_clause 0x1
	s_load_b32 s10, s[14:15], 0x6c
	s_load_b64 s[8:9], s[14:15], 0x0
	v_add_nc_u32_e32 v23, 0x380, v42
	s_delay_alu instid0(VALU_DEP_1)
	v_cmp_gt_u32_e64 s7, s25, v23
	s_and_saveexec_b32 s11, s7
	s_cbranch_execz .LBB127_20
; %bb.19:
	v_mul_lo_u32 v10, s26, v23
	v_mov_b32_e32 v11, 0
	s_delay_alu instid0(VALU_DEP_1) | instskip(NEXT) | instid1(VALU_DEP_1)
	v_lshlrev_b64_e32 v[10:11], 2, v[10:11]
	v_add_co_u32 v10, vcc_lo, s30, v10
	s_wait_alu 0xfffd
	s_delay_alu instid0(VALU_DEP_2)
	v_add_co_ci_u32_e64 v11, null, s31, v11, vcc_lo
	global_load_b32 v8, v[10:11], off
.LBB127_20:
	s_wait_alu 0xfffe
	s_or_b32 exec_lo, exec_lo, s11
	v_lshrrev_b32_e32 v17, 5, v42
	v_lshrrev_b32_e32 v1, 5, v15
	v_lshrrev_b32_e32 v10, 5, v16
	s_wait_kmcnt 0x0
	s_mul_i32 s10, s10, s18
	v_mul_lo_u32 v37, s28, v42
	v_dual_mov_b32 v38, 0 :: v_dual_add_nc_u32 v27, v17, v42
	v_add_nc_u32_e32 v26, v1, v42
	v_lshrrev_b32_e32 v1, 5, v19
	v_dual_mov_b32 v13, 0 :: v_dual_add_nc_u32 v24, v10, v42
	s_delay_alu instid0(VALU_DEP_4) | instskip(NEXT) | instid1(VALU_DEP_3)
	v_dual_mov_b32 v10, v38 :: v_dual_lshlrev_b32 v73, 2, v27
	v_add_nc_u32_e32 v25, v1, v42
	v_lshrrev_b32_e32 v1, 5, v20
	v_mov_b32_e32 v39, v38
	v_lshlrev_b32_e32 v41, 2, v26
	v_lshlrev_b32_e32 v74, 2, v24
	;; [unrolled: 1-line block ×3, first 2 shown]
	v_add_nc_u32_e32 v28, v1, v42
	v_lshrrev_b32_e32 v1, 5, v21
	s_wait_loadcnt 0x0
	ds_store_b32 v73, v9
	ds_store_b32 v41, v2 offset:512
	ds_store_b32 v74, v3 offset:1024
	v_lshrrev_b32_e32 v2, 5, v22
	v_lshrrev_b32_e32 v3, 5, v23
	v_lshlrev_b32_e32 v75, 2, v25
	v_add_nc_u32_e32 v32, v1, v42
	v_lshrrev_b32_e32 v1, 2, v42
	v_add_nc_u32_e32 v30, v2, v42
	v_add_nc_u32_e32 v29, v3, v42
	ds_store_b32 v75, v4 offset:1536
	v_mov_b32_e32 v3, v38
	v_add_nc_u32_e32 v31, v1, v18
	v_dual_mov_b32 v1, v38 :: v_dual_lshlrev_b32 v76, 2, v28
	v_dual_mov_b32 v11, v38 :: v_dual_lshlrev_b32 v78, 2, v30
	s_delay_alu instid0(VALU_DEP_3)
	v_lshlrev_b32_e32 v80, 2, v31
	v_dual_mov_b32 v12, v38 :: v_dual_lshlrev_b32 v79, 2, v29
	ds_store_b32 v76, v5 offset:2048
	v_mov_b32_e32 v5, v38
	v_dual_mov_b32 v14, 0 :: v_dual_lshlrev_b32 v77, 2, v32
	ds_store_b32 v77, v6 offset:2560
	ds_store_b32 v78, v7 offset:3072
	;; [unrolled: 1-line block ×3, first 2 shown]
	s_wait_dscnt 0x0
	s_barrier_signal -1
	s_barrier_wait -1
	global_inv scope:SCOPE_SE
	ds_load_2addr_b32 v[49:50], v80 offset1:1
	ds_load_2addr_b32 v[47:48], v80 offset0:2 offset1:3
	ds_load_2addr_b32 v[45:46], v80 offset0:4 offset1:5
	;; [unrolled: 1-line block ×3, first 2 shown]
	s_mov_b32 s11, 0
	s_wait_alu 0xfffe
	s_add_co_i32 s10, s10, s13
	v_dual_mov_b32 v9, v38 :: v_dual_mov_b32 v2, v38
	v_mov_b32_e32 v4, v38
	v_dual_mov_b32 v6, v38 :: v_dual_mov_b32 v7, v38
	v_mov_b32_e32 v8, v38
	s_wait_alu 0xfffe
	s_lshl_b64 s[10:11], s[10:11], 3
	s_wait_loadcnt_dscnt 0x0
	s_wait_alu 0xfffe
	s_add_nc_u64 s[24:25], s[8:9], s[10:11]
	s_barrier_signal -1
	s_barrier_wait -1
	global_inv scope:SCOPE_SE
	s_and_saveexec_b32 s8, s0
	s_cbranch_execnz .LBB127_56
; %bb.21:
	s_wait_alu 0xfffe
	s_or_b32 exec_lo, exec_lo, s8
	s_and_saveexec_b32 s8, s1
	s_cbranch_execnz .LBB127_57
.LBB127_22:
	s_wait_alu 0xfffe
	s_or_b32 exec_lo, exec_lo, s8
	s_and_saveexec_b32 s8, s2
	s_cbranch_execnz .LBB127_58
.LBB127_23:
	s_wait_alu 0xfffe
	s_or_b32 exec_lo, exec_lo, s8
	s_and_saveexec_b32 s8, s3
	s_cbranch_execnz .LBB127_59
.LBB127_24:
	s_wait_alu 0xfffe
	s_or_b32 exec_lo, exec_lo, s8
	s_and_saveexec_b32 s8, s4
	s_cbranch_execnz .LBB127_60
.LBB127_25:
	s_wait_alu 0xfffe
	s_or_b32 exec_lo, exec_lo, s8
	s_and_saveexec_b32 s8, s5
	s_cbranch_execnz .LBB127_61
.LBB127_26:
	s_wait_alu 0xfffe
	s_or_b32 exec_lo, exec_lo, s8
	s_and_saveexec_b32 s8, s6
	s_cbranch_execnz .LBB127_62
.LBB127_27:
	s_wait_alu 0xfffe
	s_or_b32 exec_lo, exec_lo, s8
	s_xor_b32 s8, s12, -1
	s_and_saveexec_b32 s9, s7
	s_cbranch_execz .LBB127_29
.LBB127_28:
	v_mul_lo_u32 v11, s28, v23
	v_mov_b32_e32 v12, 0
	s_delay_alu instid0(VALU_DEP_1) | instskip(NEXT) | instid1(VALU_DEP_1)
	v_lshlrev_b64_e32 v[11:12], 3, v[11:12]
	v_add_co_u32 v11, vcc_lo, s24, v11
	s_wait_alu 0xfffd
	s_delay_alu instid0(VALU_DEP_2)
	v_add_co_ci_u32_e64 v12, null, s25, v12, vcc_lo
	global_load_b64 v[11:12], v[11:12], off
.LBB127_29:
	s_wait_alu 0xfffe
	s_or_b32 exec_lo, exec_lo, s9
	v_lshlrev_b32_e32 v81, 3, v27
	v_lshlrev_b32_e32 v84, 3, v25
	v_lshlrev_b32_e32 v89, 3, v31
	v_lshlrev_b32_e32 v82, 3, v26
	v_lshlrev_b32_e32 v85, 3, v28
	v_lshlrev_b32_e32 v83, 3, v24
	v_lshlrev_b32_e32 v86, 3, v32
	v_lshlrev_b32_e32 v87, 3, v30
	v_lshlrev_b32_e32 v88, 3, v29
	s_wait_loadcnt 0x0
	ds_store_b64 v81, v[13:14]
	ds_store_b64 v82, v[38:39] offset:1024
	ds_store_b64 v83, v[9:10] offset:2048
	;; [unrolled: 1-line block ×7, first 2 shown]
	s_wait_dscnt 0x0
	s_barrier_signal -1
	s_barrier_wait -1
	global_inv scope:SCOPE_SE
	ds_load_2addr_b64 v[5:8], v89 offset1:1
	ds_load_2addr_b64 v[1:4], v89 offset0:2 offset1:3
	v_mbcnt_lo_u32_b32 v93, -1, 0
	v_and_b32_e32 v20, 0x1f00, v18
	ds_load_2addr_b64 v[13:16], v89 offset0:4 offset1:5
	ds_load_2addr_b64 v[9:12], v89 offset0:6 offset1:7
	v_and_b32_e32 v19, 0x3e0, v42
	s_and_b32 vcc_lo, exec_lo, s8
	v_bfe_u32 v98, v0, 10, 10
	v_or_b32_e32 v20, v93, v20
	v_bfe_u32 v99, v0, 20, 10
	v_or_b32_e32 v21, v93, v19
	v_lshlrev_b32_e32 v90, 2, v18
	v_and_b32_e32 v96, 15, v93
	v_lshlrev_b32_e32 v91, 2, v20
	v_and_b32_e32 v95, 16, v93
	v_lshlrev_b32_e32 v101, 3, v21
	v_lshlrev_b32_e32 v102, 5, v21
	v_min_u32_e32 v97, 0x60, v19
	v_lshl_add_u32 v100, v20, 2, v91
	v_cmp_gt_u32_e64 s8, 4, v42
	v_cmp_lt_u32_e64 s9, 31, v42
	v_cmp_eq_u32_e64 s10, 0, v42
	v_lshlrev_b32_e32 v92, 2, v17
	v_mul_i32_i24_e32 v94, 0xffffffe4, v42
	v_and_b32_e32 v0, 3, v93
	s_mov_b32 s20, 0
	s_mov_b32 s11, -1
	s_wait_loadcnt_dscnt 0x0
	s_barrier_signal -1
	s_barrier_wait -1
	global_inv scope:SCOPE_SE
	s_wait_alu 0xfffe
	s_cbranch_vccz .LBB127_63
; %bb.30:
	v_xor_b32_e32 v17, 0x80000000, v49
	v_xor_b32_e32 v18, 0x80000000, v50
	;; [unrolled: 1-line block ×8, first 2 shown]
	ds_store_b128 v102, v[17:20]
	ds_store_b128 v102, v[21:24] offset:16
	v_dual_mov_b32 v106, 0 :: v_dual_lshlrev_b32 v17, 3, v101
	; wave barrier
	ds_load_2addr_b32 v[65:66], v91 offset1:32
	ds_load_2addr_b32 v[67:68], v91 offset0:64 offset1:96
	ds_load_2addr_b32 v[69:70], v91 offset0:128 offset1:160
	;; [unrolled: 1-line block ×3, first 2 shown]
	s_wait_loadcnt_dscnt 0x0
	s_barrier_signal -1
	s_barrier_wait -1
	global_inv scope:SCOPE_SE
	ds_store_b128 v17, v[5:8]
	ds_store_b128 v17, v[1:4] offset:16
	ds_store_b128 v17, v[13:16] offset:32
	;; [unrolled: 1-line block ×3, first 2 shown]
	; wave barrier
	ds_load_2addr_b64 v[21:24], v100 offset1:32
	ds_load_2addr_b64 v[25:28], v100 offset0:64 offset1:96
	ds_load_2addr_b64 v[29:32], v100 offset0:128 offset1:160
	;; [unrolled: 1-line block ×3, first 2 shown]
	s_wait_loadcnt_dscnt 0x0
	s_barrier_signal -1
	s_barrier_wait -1
	global_inv scope:SCOPE_SE
	s_load_b32 s11, s[34:35], 0xc
	s_getpc_b64 s[12:13]
	s_sext_i32_i16 s13, s13
	s_add_co_u32 s12, s12, _ZN7rocprim17ROCPRIM_400000_NS16block_radix_sortIiLj128ELj8ElLj1ELj1ELj0ELNS0_26block_radix_rank_algorithmE1ELNS0_18block_padding_hintE2ELNS0_4arch9wavefront6targetE0EE19radix_bits_per_passE@rel32@lo+8
	s_add_co_ci_u32 s13, s13, _ZN7rocprim17ROCPRIM_400000_NS16block_radix_sortIiLj128ELj8ElLj1ELj1ELj0ELNS0_26block_radix_rank_algorithmE1ELNS0_18block_padding_hintE2ELNS0_4arch9wavefront6targetE0EE19radix_bits_per_passE@rel32@hi+16
	v_or_b32_e32 v19, 31, v97
	s_load_b32 s27, s[12:13], 0x0
	s_mov_b32 s21, s20
	s_mov_b32 s22, s20
	;; [unrolled: 1-line block ×3, first 2 shown]
	v_cmp_eq_u32_e64 s17, v42, v19
	v_add_nc_u32_e32 v104, -4, v92
	v_cmp_eq_u32_e64 s12, 0, v96
	v_cmp_lt_u32_e64 s13, 1, v96
	v_cmp_lt_u32_e64 s15, 7, v96
	v_cmp_eq_u32_e64 s16, 0, v95
	v_cmp_eq_u32_e64 s18, 0, v0
	v_cmp_lt_u32_e64 s19, 1, v0
	v_add_nc_u32_e32 v107, v90, v94
	v_add_nc_u32_e32 v108, v91, v91
	s_wait_kmcnt 0x0
	s_lshr_b32 s14, s11, 16
	s_and_b32 s11, s11, 0xffff
	v_mad_u32_u24 v17, v99, s14, v98
	v_cmp_lt_u32_e64 s14, 3, v96
	s_wait_alu 0xfffe
	s_delay_alu instid0(VALU_DEP_2) | instskip(SKIP_1) | instid1(VALU_DEP_1)
	v_mad_co_u64_u32 v[17:18], null, v17, s11, v[42:43]
	v_sub_co_u32 v18, s11, v93, 1
	v_cmp_gt_i32_e32 vcc_lo, 0, v18
	s_delay_alu instid0(VALU_DEP_3) | instskip(SKIP_2) | instid1(VALU_DEP_2)
	v_lshrrev_b32_e32 v17, 3, v17
	s_wait_alu 0xfffd
	v_cndmask_b32_e32 v18, v18, v93, vcc_lo
	v_and_b32_e32 v105, 0x1ffffffc, v17
	s_delay_alu instid0(VALU_DEP_2)
	v_lshlrev_b32_e32 v103, 2, v18
	v_dual_mov_b32 v17, s20 :: v_dual_mov_b32 v18, s21
	v_dual_mov_b32 v19, s22 :: v_dual_mov_b32 v20, s23
	s_mov_b32 s21, 32
	s_branch .LBB127_32
.LBB127_31:                             ;   in Loop: Header=BB127_32 Depth=1
	s_wait_alu 0xfffe
	s_and_not1_b32 vcc_lo, exec_lo, s22
	s_mov_b32 s21, s20
	s_wait_alu 0xfffe
	s_cbranch_vccz .LBB127_64
.LBB127_32:                             ; =>This Inner Loop Header: Depth=1
	v_dual_mov_b32 v109, v65 :: v_dual_mov_b32 v110, v72
	s_wait_alu 0xfffe
	s_min_u32 s20, s27, s21
	v_mov_b32_e32 v60, v26
	s_wait_alu 0xfffe
	s_lshl_b32 s20, -1, s20
	v_lshrrev_b32_e32 v38, v106, v109
	s_wait_alu 0xfffe
	s_not_b32 s22, s20
	v_mov_b32_e32 v62, v24
	v_mov_b32_e32 v64, v22
	ds_store_b128 v90, v[17:20] offset:16
	ds_store_b128 v90, v[17:20] offset:32
	s_wait_alu 0xfffe
	v_dual_mov_b32 v112, v70 :: v_dual_and_b32 v65, s22, v38
	v_mov_b32_e32 v111, v71
	s_wait_loadcnt_dscnt 0x0
	s_barrier_signal -1
	s_delay_alu instid0(VALU_DEP_2) | instskip(SKIP_2) | instid1(VALU_DEP_3)
	v_and_b32_e32 v38, 1, v65
	v_dual_mov_b32 v114, v68 :: v_dual_lshlrev_b32 v39, 30, v65
	v_dual_mov_b32 v116, v66 :: v_dual_lshlrev_b32 v51, 29, v65
	v_add_co_u32 v38, s20, v38, -1
	s_wait_alu 0xf1ff
	v_cndmask_b32_e64 v53, 0, 1, s20
	v_not_b32_e32 v57, v39
	v_dual_mov_b32 v113, v69 :: v_dual_lshlrev_b32 v52, 28, v65
	v_cmp_gt_i32_e64 s20, 0, v39
	s_delay_alu instid0(VALU_DEP_4)
	v_cmp_ne_u32_e32 vcc_lo, 0, v53
	v_not_b32_e32 v39, v51
	v_ashrrev_i32_e32 v57, 31, v57
	v_dual_mov_b32 v115, v67 :: v_dual_lshlrev_b32 v54, 27, v65
	s_wait_alu 0xfffd
	v_xor_b32_e32 v38, vcc_lo, v38
	v_cmp_gt_i32_e32 vcc_lo, 0, v51
	v_not_b32_e32 v51, v52
	v_ashrrev_i32_e32 v39, 31, v39
	s_wait_alu 0xf1ff
	v_xor_b32_e32 v57, s20, v57
	v_and_b32_e32 v38, exec_lo, v38
	v_cmp_gt_i32_e64 s20, 0, v52
	v_not_b32_e32 v52, v54
	v_lshlrev_b32_e32 v55, 26, v65
	v_ashrrev_i32_e32 v51, 31, v51
	s_wait_alu 0xfffd
	v_xor_b32_e32 v39, vcc_lo, v39
	v_and_b32_e32 v38, v38, v57
	v_lshlrev_b32_e32 v56, 25, v65
	v_cmp_gt_i32_e32 vcc_lo, 0, v54
	v_ashrrev_i32_e32 v52, 31, v52
	v_not_b32_e32 v54, v55
	s_wait_alu 0xf1ff
	v_xor_b32_e32 v51, s20, v51
	v_and_b32_e32 v38, v38, v39
	v_cmp_gt_i32_e64 s20, 0, v55
	v_not_b32_e32 v39, v56
	s_wait_alu 0xfffd
	v_xor_b32_e32 v52, vcc_lo, v52
	v_cmp_gt_i32_e32 vcc_lo, 0, v56
	v_dual_mov_b32 v56, v30 :: v_dual_lshlrev_b32 v53, 24, v65
	v_ashrrev_i32_e32 v54, 31, v54
	v_dual_mov_b32 v55, v29 :: v_dual_and_b32 v38, v38, v51
	v_ashrrev_i32_e32 v39, 31, v39
	s_delay_alu instid0(VALU_DEP_4)
	v_not_b32_e32 v51, v53
	s_wait_alu 0xf1ff
	v_xor_b32_e32 v54, s20, v54
	v_cmp_gt_i32_e64 s20, 0, v53
	v_dual_mov_b32 v59, v25 :: v_dual_and_b32 v38, v38, v52
	v_ashrrev_i32_e32 v51, 31, v51
	s_wait_alu 0xfffd
	v_xor_b32_e32 v39, vcc_lo, v39
	s_delay_alu instid0(VALU_DEP_3)
	v_dual_mov_b32 v61, v23 :: v_dual_and_b32 v38, v38, v54
	v_mov_b32_e32 v63, v21
	s_wait_alu 0xf1ff
	v_xor_b32_e32 v57, s20, v51
	v_dual_mov_b32 v52, v34 :: v_dual_lshlrev_b32 v21, 4, v65
	v_and_b32_e32 v58, v38, v39
	v_dual_mov_b32 v54, v32 :: v_dual_mov_b32 v53, v31
	v_dual_mov_b32 v39, v36 :: v_dual_mov_b32 v38, v35
	s_delay_alu instid0(VALU_DEP_3) | instskip(SKIP_2) | instid1(VALU_DEP_3)
	v_dual_mov_b32 v58, v28 :: v_dual_and_b32 v31, v58, v57
	v_mov_b32_e32 v51, v33
	v_dual_mov_b32 v57, v27 :: v_dual_add_nc_u32 v30, v105, v21
	v_mbcnt_lo_u32_b32 v29, v31, 0
	v_cmp_ne_u32_e64 s20, 0, v31
	s_barrier_wait -1
	global_inv scope:SCOPE_SE
	v_cmp_eq_u32_e32 vcc_lo, 0, v29
	; wave barrier
	s_and_b32 s23, s20, vcc_lo
	s_wait_alu 0xfffe
	s_and_saveexec_b32 s20, s23
; %bb.33:                               ;   in Loop: Header=BB127_32 Depth=1
	v_bcnt_u32_b32 v21, v31, 0
	ds_store_b32 v30, v21 offset:16
; %bb.34:                               ;   in Loop: Header=BB127_32 Depth=1
	s_wait_alu 0xfffe
	s_or_b32 exec_lo, exec_lo, s20
	v_lshrrev_b32_e32 v21, v106, v116
	; wave barrier
	s_delay_alu instid0(VALU_DEP_1) | instskip(NEXT) | instid1(VALU_DEP_1)
	v_and_b32_e32 v21, s22, v21
	v_and_b32_e32 v22, 1, v21
	v_lshlrev_b32_e32 v23, 30, v21
	v_lshlrev_b32_e32 v24, 29, v21
	;; [unrolled: 1-line block ×4, first 2 shown]
	v_add_co_u32 v22, s20, v22, -1
	s_wait_alu 0xf1ff
	v_cndmask_b32_e64 v26, 0, 1, s20
	v_not_b32_e32 v32, v23
	v_cmp_gt_i32_e64 s20, 0, v23
	v_not_b32_e32 v23, v24
	v_lshlrev_b32_e32 v28, 26, v21
	v_cmp_ne_u32_e32 vcc_lo, 0, v26
	v_ashrrev_i32_e32 v32, 31, v32
	v_lshlrev_b32_e32 v31, 25, v21
	v_ashrrev_i32_e32 v23, 31, v23
	v_lshlrev_b32_e32 v26, 24, v21
	s_wait_alu 0xfffd
	v_xor_b32_e32 v22, vcc_lo, v22
	v_cmp_gt_i32_e32 vcc_lo, 0, v24
	v_not_b32_e32 v24, v25
	s_wait_alu 0xf1ff
	v_xor_b32_e32 v32, s20, v32
	v_cmp_gt_i32_e64 s20, 0, v25
	v_and_b32_e32 v22, exec_lo, v22
	v_not_b32_e32 v25, v27
	v_ashrrev_i32_e32 v24, 31, v24
	s_wait_alu 0xfffd
	v_xor_b32_e32 v23, vcc_lo, v23
	v_cmp_gt_i32_e32 vcc_lo, 0, v27
	v_and_b32_e32 v22, v22, v32
	v_not_b32_e32 v27, v28
	v_ashrrev_i32_e32 v25, 31, v25
	s_wait_alu 0xf1ff
	v_xor_b32_e32 v24, s20, v24
	v_cmp_gt_i32_e64 s20, 0, v28
	v_and_b32_e32 v22, v22, v23
	v_not_b32_e32 v23, v31
	v_ashrrev_i32_e32 v27, 31, v27
	s_wait_alu 0xfffd
	v_xor_b32_e32 v25, vcc_lo, v25
	v_cmp_gt_i32_e32 vcc_lo, 0, v31
	v_and_b32_e32 v22, v22, v24
	v_not_b32_e32 v24, v26
	v_ashrrev_i32_e32 v23, 31, v23
	s_wait_alu 0xf1ff
	v_xor_b32_e32 v27, s20, v27
	v_lshlrev_b32_e32 v21, 4, v21
	v_and_b32_e32 v22, v22, v25
	v_cmp_gt_i32_e64 s20, 0, v26
	v_ashrrev_i32_e32 v24, 31, v24
	s_wait_alu 0xfffd
	v_xor_b32_e32 v23, vcc_lo, v23
	v_add_nc_u32_e32 v33, v105, v21
	v_and_b32_e32 v22, v22, v27
	s_wait_alu 0xf1ff
	v_xor_b32_e32 v21, s20, v24
	ds_load_b32 v31, v33 offset:16
	v_and_b32_e32 v22, v22, v23
	; wave barrier
	s_delay_alu instid0(VALU_DEP_1) | instskip(NEXT) | instid1(VALU_DEP_1)
	v_and_b32_e32 v21, v22, v21
	v_mbcnt_lo_u32_b32 v32, v21, 0
	v_cmp_ne_u32_e64 s20, 0, v21
	s_delay_alu instid0(VALU_DEP_2)
	v_cmp_eq_u32_e32 vcc_lo, 0, v32
	s_and_b32 s23, s20, vcc_lo
	s_wait_alu 0xfffe
	s_and_saveexec_b32 s20, s23
	s_cbranch_execz .LBB127_36
; %bb.35:                               ;   in Loop: Header=BB127_32 Depth=1
	s_wait_dscnt 0x0
	v_bcnt_u32_b32 v21, v21, v31
	ds_store_b32 v33, v21 offset:16
.LBB127_36:                             ;   in Loop: Header=BB127_32 Depth=1
	s_wait_alu 0xfffe
	s_or_b32 exec_lo, exec_lo, s20
	v_lshrrev_b32_e32 v21, v106, v115
	; wave barrier
	s_delay_alu instid0(VALU_DEP_1) | instskip(NEXT) | instid1(VALU_DEP_1)
	v_and_b32_e32 v21, s22, v21
	v_and_b32_e32 v22, 1, v21
	v_lshlrev_b32_e32 v23, 30, v21
	v_lshlrev_b32_e32 v24, 29, v21
	;; [unrolled: 1-line block ×4, first 2 shown]
	v_add_co_u32 v22, s20, v22, -1
	s_wait_alu 0xf1ff
	v_cndmask_b32_e64 v26, 0, 1, s20
	v_not_b32_e32 v35, v23
	v_cmp_gt_i32_e64 s20, 0, v23
	v_not_b32_e32 v23, v24
	v_lshlrev_b32_e32 v28, 26, v21
	v_cmp_ne_u32_e32 vcc_lo, 0, v26
	v_ashrrev_i32_e32 v35, 31, v35
	v_lshlrev_b32_e32 v34, 25, v21
	v_ashrrev_i32_e32 v23, 31, v23
	v_lshlrev_b32_e32 v26, 24, v21
	s_wait_alu 0xfffd
	v_xor_b32_e32 v22, vcc_lo, v22
	v_cmp_gt_i32_e32 vcc_lo, 0, v24
	v_not_b32_e32 v24, v25
	s_wait_alu 0xf1ff
	v_xor_b32_e32 v35, s20, v35
	v_cmp_gt_i32_e64 s20, 0, v25
	v_and_b32_e32 v22, exec_lo, v22
	v_not_b32_e32 v25, v27
	v_ashrrev_i32_e32 v24, 31, v24
	s_wait_alu 0xfffd
	v_xor_b32_e32 v23, vcc_lo, v23
	v_cmp_gt_i32_e32 vcc_lo, 0, v27
	v_and_b32_e32 v22, v22, v35
	v_not_b32_e32 v27, v28
	v_ashrrev_i32_e32 v25, 31, v25
	s_wait_alu 0xf1ff
	v_xor_b32_e32 v24, s20, v24
	v_cmp_gt_i32_e64 s20, 0, v28
	v_and_b32_e32 v22, v22, v23
	v_not_b32_e32 v23, v34
	v_ashrrev_i32_e32 v27, 31, v27
	s_wait_alu 0xfffd
	v_xor_b32_e32 v25, vcc_lo, v25
	v_cmp_gt_i32_e32 vcc_lo, 0, v34
	v_and_b32_e32 v22, v22, v24
	v_not_b32_e32 v24, v26
	v_ashrrev_i32_e32 v23, 31, v23
	s_wait_alu 0xf1ff
	v_xor_b32_e32 v27, s20, v27
	v_lshlrev_b32_e32 v21, 4, v21
	v_and_b32_e32 v22, v22, v25
	v_cmp_gt_i32_e64 s20, 0, v26
	v_ashrrev_i32_e32 v24, 31, v24
	s_wait_alu 0xfffd
	v_xor_b32_e32 v23, vcc_lo, v23
	v_add_nc_u32_e32 v36, v105, v21
	v_and_b32_e32 v22, v22, v27
	s_wait_alu 0xf1ff
	v_xor_b32_e32 v21, s20, v24
	ds_load_b32 v34, v36 offset:16
	v_and_b32_e32 v22, v22, v23
	; wave barrier
	s_delay_alu instid0(VALU_DEP_1) | instskip(NEXT) | instid1(VALU_DEP_1)
	v_and_b32_e32 v21, v22, v21
	v_mbcnt_lo_u32_b32 v35, v21, 0
	v_cmp_ne_u32_e64 s20, 0, v21
	s_delay_alu instid0(VALU_DEP_2)
	v_cmp_eq_u32_e32 vcc_lo, 0, v35
	s_and_b32 s23, s20, vcc_lo
	s_wait_alu 0xfffe
	s_and_saveexec_b32 s20, s23
	s_cbranch_execz .LBB127_38
; %bb.37:                               ;   in Loop: Header=BB127_32 Depth=1
	s_wait_dscnt 0x0
	v_bcnt_u32_b32 v21, v21, v34
	ds_store_b32 v36, v21 offset:16
.LBB127_38:                             ;   in Loop: Header=BB127_32 Depth=1
	s_wait_alu 0xfffe
	s_or_b32 exec_lo, exec_lo, s20
	v_lshrrev_b32_e32 v21, v106, v114
	; wave barrier
	s_delay_alu instid0(VALU_DEP_1) | instskip(NEXT) | instid1(VALU_DEP_1)
	v_and_b32_e32 v21, s22, v21
	v_and_b32_e32 v22, 1, v21
	v_lshlrev_b32_e32 v23, 30, v21
	v_lshlrev_b32_e32 v24, 29, v21
	;; [unrolled: 1-line block ×4, first 2 shown]
	v_add_co_u32 v22, s20, v22, -1
	s_wait_alu 0xf1ff
	v_cndmask_b32_e64 v26, 0, 1, s20
	v_not_b32_e32 v66, v23
	v_cmp_gt_i32_e64 s20, 0, v23
	v_not_b32_e32 v23, v24
	v_lshlrev_b32_e32 v28, 26, v21
	v_cmp_ne_u32_e32 vcc_lo, 0, v26
	v_ashrrev_i32_e32 v66, 31, v66
	v_lshlrev_b32_e32 v65, 25, v21
	v_ashrrev_i32_e32 v23, 31, v23
	v_lshlrev_b32_e32 v26, 24, v21
	s_wait_alu 0xfffd
	v_xor_b32_e32 v22, vcc_lo, v22
	v_cmp_gt_i32_e32 vcc_lo, 0, v24
	v_not_b32_e32 v24, v25
	s_wait_alu 0xf1ff
	v_xor_b32_e32 v66, s20, v66
	v_cmp_gt_i32_e64 s20, 0, v25
	v_and_b32_e32 v22, exec_lo, v22
	v_not_b32_e32 v25, v27
	v_ashrrev_i32_e32 v24, 31, v24
	s_wait_alu 0xfffd
	v_xor_b32_e32 v23, vcc_lo, v23
	v_cmp_gt_i32_e32 vcc_lo, 0, v27
	v_and_b32_e32 v22, v22, v66
	v_not_b32_e32 v27, v28
	v_ashrrev_i32_e32 v25, 31, v25
	s_wait_alu 0xf1ff
	v_xor_b32_e32 v24, s20, v24
	v_cmp_gt_i32_e64 s20, 0, v28
	v_and_b32_e32 v22, v22, v23
	v_not_b32_e32 v23, v65
	v_ashrrev_i32_e32 v27, 31, v27
	s_wait_alu 0xfffd
	v_xor_b32_e32 v25, vcc_lo, v25
	v_cmp_gt_i32_e32 vcc_lo, 0, v65
	v_and_b32_e32 v22, v22, v24
	v_not_b32_e32 v24, v26
	v_ashrrev_i32_e32 v23, 31, v23
	s_wait_alu 0xf1ff
	v_xor_b32_e32 v27, s20, v27
	v_lshlrev_b32_e32 v21, 4, v21
	v_and_b32_e32 v22, v22, v25
	v_cmp_gt_i32_e64 s20, 0, v26
	v_ashrrev_i32_e32 v24, 31, v24
	s_wait_alu 0xfffd
	v_xor_b32_e32 v23, vcc_lo, v23
	v_add_nc_u32_e32 v67, v105, v21
	v_and_b32_e32 v22, v22, v27
	s_wait_alu 0xf1ff
	v_xor_b32_e32 v21, s20, v24
	ds_load_b32 v65, v67 offset:16
	v_and_b32_e32 v22, v22, v23
	; wave barrier
	s_delay_alu instid0(VALU_DEP_1) | instskip(NEXT) | instid1(VALU_DEP_1)
	v_and_b32_e32 v21, v22, v21
	v_mbcnt_lo_u32_b32 v66, v21, 0
	v_cmp_ne_u32_e64 s20, 0, v21
	s_delay_alu instid0(VALU_DEP_2)
	v_cmp_eq_u32_e32 vcc_lo, 0, v66
	s_and_b32 s23, s20, vcc_lo
	s_wait_alu 0xfffe
	s_and_saveexec_b32 s20, s23
	s_cbranch_execz .LBB127_40
; %bb.39:                               ;   in Loop: Header=BB127_32 Depth=1
	s_wait_dscnt 0x0
	v_bcnt_u32_b32 v21, v21, v65
	ds_store_b32 v67, v21 offset:16
.LBB127_40:                             ;   in Loop: Header=BB127_32 Depth=1
	s_wait_alu 0xfffe
	s_or_b32 exec_lo, exec_lo, s20
	v_lshrrev_b32_e32 v21, v106, v113
	; wave barrier
	s_delay_alu instid0(VALU_DEP_1) | instskip(NEXT) | instid1(VALU_DEP_1)
	v_and_b32_e32 v21, s22, v21
	v_and_b32_e32 v22, 1, v21
	v_lshlrev_b32_e32 v23, 30, v21
	v_lshlrev_b32_e32 v24, 29, v21
	;; [unrolled: 1-line block ×4, first 2 shown]
	v_add_co_u32 v22, s20, v22, -1
	s_wait_alu 0xf1ff
	v_cndmask_b32_e64 v26, 0, 1, s20
	v_not_b32_e32 v69, v23
	v_cmp_gt_i32_e64 s20, 0, v23
	v_not_b32_e32 v23, v24
	v_lshlrev_b32_e32 v28, 26, v21
	v_cmp_ne_u32_e32 vcc_lo, 0, v26
	v_ashrrev_i32_e32 v69, 31, v69
	v_lshlrev_b32_e32 v68, 25, v21
	v_ashrrev_i32_e32 v23, 31, v23
	v_lshlrev_b32_e32 v26, 24, v21
	s_wait_alu 0xfffd
	v_xor_b32_e32 v22, vcc_lo, v22
	v_cmp_gt_i32_e32 vcc_lo, 0, v24
	v_not_b32_e32 v24, v25
	s_wait_alu 0xf1ff
	v_xor_b32_e32 v69, s20, v69
	v_cmp_gt_i32_e64 s20, 0, v25
	v_and_b32_e32 v22, exec_lo, v22
	v_not_b32_e32 v25, v27
	v_ashrrev_i32_e32 v24, 31, v24
	s_wait_alu 0xfffd
	v_xor_b32_e32 v23, vcc_lo, v23
	v_cmp_gt_i32_e32 vcc_lo, 0, v27
	v_and_b32_e32 v22, v22, v69
	v_not_b32_e32 v27, v28
	v_ashrrev_i32_e32 v25, 31, v25
	s_wait_alu 0xf1ff
	v_xor_b32_e32 v24, s20, v24
	v_cmp_gt_i32_e64 s20, 0, v28
	v_and_b32_e32 v22, v22, v23
	v_not_b32_e32 v23, v68
	v_ashrrev_i32_e32 v27, 31, v27
	s_wait_alu 0xfffd
	v_xor_b32_e32 v25, vcc_lo, v25
	v_cmp_gt_i32_e32 vcc_lo, 0, v68
	v_and_b32_e32 v22, v22, v24
	v_not_b32_e32 v24, v26
	v_ashrrev_i32_e32 v23, 31, v23
	s_wait_alu 0xf1ff
	v_xor_b32_e32 v27, s20, v27
	v_lshlrev_b32_e32 v21, 4, v21
	v_and_b32_e32 v22, v22, v25
	v_cmp_gt_i32_e64 s20, 0, v26
	v_ashrrev_i32_e32 v24, 31, v24
	s_wait_alu 0xfffd
	v_xor_b32_e32 v23, vcc_lo, v23
	v_add_nc_u32_e32 v70, v105, v21
	v_and_b32_e32 v22, v22, v27
	s_wait_alu 0xf1ff
	v_xor_b32_e32 v21, s20, v24
	ds_load_b32 v68, v70 offset:16
	v_and_b32_e32 v22, v22, v23
	; wave barrier
	s_delay_alu instid0(VALU_DEP_1) | instskip(NEXT) | instid1(VALU_DEP_1)
	v_and_b32_e32 v21, v22, v21
	v_mbcnt_lo_u32_b32 v69, v21, 0
	v_cmp_ne_u32_e64 s20, 0, v21
	s_delay_alu instid0(VALU_DEP_2)
	v_cmp_eq_u32_e32 vcc_lo, 0, v69
	s_and_b32 s23, s20, vcc_lo
	s_wait_alu 0xfffe
	s_and_saveexec_b32 s20, s23
	s_cbranch_execz .LBB127_42
; %bb.41:                               ;   in Loop: Header=BB127_32 Depth=1
	s_wait_dscnt 0x0
	v_bcnt_u32_b32 v21, v21, v68
	ds_store_b32 v70, v21 offset:16
.LBB127_42:                             ;   in Loop: Header=BB127_32 Depth=1
	s_wait_alu 0xfffe
	s_or_b32 exec_lo, exec_lo, s20
	v_lshrrev_b32_e32 v21, v106, v112
	; wave barrier
	s_delay_alu instid0(VALU_DEP_1) | instskip(NEXT) | instid1(VALU_DEP_1)
	v_and_b32_e32 v21, s22, v21
	v_and_b32_e32 v22, 1, v21
	v_lshlrev_b32_e32 v23, 30, v21
	v_lshlrev_b32_e32 v24, 29, v21
	v_lshlrev_b32_e32 v25, 28, v21
	v_lshlrev_b32_e32 v27, 27, v21
	v_add_co_u32 v22, s20, v22, -1
	s_wait_alu 0xf1ff
	v_cndmask_b32_e64 v26, 0, 1, s20
	v_not_b32_e32 v72, v23
	v_cmp_gt_i32_e64 s20, 0, v23
	v_not_b32_e32 v23, v24
	v_lshlrev_b32_e32 v28, 26, v21
	v_cmp_ne_u32_e32 vcc_lo, 0, v26
	v_ashrrev_i32_e32 v72, 31, v72
	v_lshlrev_b32_e32 v71, 25, v21
	v_ashrrev_i32_e32 v23, 31, v23
	v_lshlrev_b32_e32 v26, 24, v21
	s_wait_alu 0xfffd
	v_xor_b32_e32 v22, vcc_lo, v22
	v_cmp_gt_i32_e32 vcc_lo, 0, v24
	v_not_b32_e32 v24, v25
	s_wait_alu 0xf1ff
	v_xor_b32_e32 v72, s20, v72
	v_cmp_gt_i32_e64 s20, 0, v25
	v_and_b32_e32 v22, exec_lo, v22
	v_not_b32_e32 v25, v27
	v_ashrrev_i32_e32 v24, 31, v24
	s_wait_alu 0xfffd
	v_xor_b32_e32 v23, vcc_lo, v23
	v_cmp_gt_i32_e32 vcc_lo, 0, v27
	v_and_b32_e32 v22, v22, v72
	v_not_b32_e32 v27, v28
	v_ashrrev_i32_e32 v25, 31, v25
	s_wait_alu 0xf1ff
	v_xor_b32_e32 v24, s20, v24
	v_cmp_gt_i32_e64 s20, 0, v28
	v_and_b32_e32 v22, v22, v23
	v_not_b32_e32 v23, v71
	v_ashrrev_i32_e32 v27, 31, v27
	s_wait_alu 0xfffd
	v_xor_b32_e32 v25, vcc_lo, v25
	v_cmp_gt_i32_e32 vcc_lo, 0, v71
	v_and_b32_e32 v22, v22, v24
	v_not_b32_e32 v24, v26
	v_ashrrev_i32_e32 v23, 31, v23
	s_wait_alu 0xf1ff
	v_xor_b32_e32 v27, s20, v27
	v_lshlrev_b32_e32 v21, 4, v21
	v_and_b32_e32 v22, v22, v25
	v_cmp_gt_i32_e64 s20, 0, v26
	v_ashrrev_i32_e32 v24, 31, v24
	s_wait_alu 0xfffd
	v_xor_b32_e32 v23, vcc_lo, v23
	v_add_nc_u32_e32 v117, v105, v21
	v_and_b32_e32 v22, v22, v27
	s_wait_alu 0xf1ff
	v_xor_b32_e32 v21, s20, v24
	ds_load_b32 v71, v117 offset:16
	v_and_b32_e32 v22, v22, v23
	; wave barrier
	s_delay_alu instid0(VALU_DEP_1) | instskip(NEXT) | instid1(VALU_DEP_1)
	v_and_b32_e32 v21, v22, v21
	v_mbcnt_lo_u32_b32 v72, v21, 0
	v_cmp_ne_u32_e64 s20, 0, v21
	s_delay_alu instid0(VALU_DEP_2)
	v_cmp_eq_u32_e32 vcc_lo, 0, v72
	s_and_b32 s23, s20, vcc_lo
	s_wait_alu 0xfffe
	s_and_saveexec_b32 s20, s23
	s_cbranch_execz .LBB127_44
; %bb.43:                               ;   in Loop: Header=BB127_32 Depth=1
	s_wait_dscnt 0x0
	v_bcnt_u32_b32 v21, v21, v71
	ds_store_b32 v117, v21 offset:16
.LBB127_44:                             ;   in Loop: Header=BB127_32 Depth=1
	s_wait_alu 0xfffe
	s_or_b32 exec_lo, exec_lo, s20
	v_lshrrev_b32_e32 v21, v106, v111
	; wave barrier
	s_delay_alu instid0(VALU_DEP_1) | instskip(NEXT) | instid1(VALU_DEP_1)
	v_and_b32_e32 v21, s22, v21
	v_and_b32_e32 v22, 1, v21
	v_lshlrev_b32_e32 v23, 30, v21
	v_lshlrev_b32_e32 v24, 29, v21
	;; [unrolled: 1-line block ×4, first 2 shown]
	v_add_co_u32 v22, s20, v22, -1
	s_wait_alu 0xf1ff
	v_cndmask_b32_e64 v26, 0, 1, s20
	v_not_b32_e32 v119, v23
	v_cmp_gt_i32_e64 s20, 0, v23
	v_not_b32_e32 v23, v24
	v_lshlrev_b32_e32 v28, 26, v21
	v_cmp_ne_u32_e32 vcc_lo, 0, v26
	v_ashrrev_i32_e32 v119, 31, v119
	v_lshlrev_b32_e32 v118, 25, v21
	v_ashrrev_i32_e32 v23, 31, v23
	v_lshlrev_b32_e32 v26, 24, v21
	s_wait_alu 0xfffd
	v_xor_b32_e32 v22, vcc_lo, v22
	v_cmp_gt_i32_e32 vcc_lo, 0, v24
	v_not_b32_e32 v24, v25
	s_wait_alu 0xf1ff
	v_xor_b32_e32 v119, s20, v119
	v_cmp_gt_i32_e64 s20, 0, v25
	v_and_b32_e32 v22, exec_lo, v22
	v_not_b32_e32 v25, v27
	v_ashrrev_i32_e32 v24, 31, v24
	s_wait_alu 0xfffd
	v_xor_b32_e32 v23, vcc_lo, v23
	v_cmp_gt_i32_e32 vcc_lo, 0, v27
	v_and_b32_e32 v22, v22, v119
	v_not_b32_e32 v27, v28
	v_ashrrev_i32_e32 v25, 31, v25
	s_wait_alu 0xf1ff
	v_xor_b32_e32 v24, s20, v24
	v_cmp_gt_i32_e64 s20, 0, v28
	v_and_b32_e32 v22, v22, v23
	v_not_b32_e32 v23, v118
	v_ashrrev_i32_e32 v27, 31, v27
	s_wait_alu 0xfffd
	v_xor_b32_e32 v25, vcc_lo, v25
	v_cmp_gt_i32_e32 vcc_lo, 0, v118
	v_and_b32_e32 v22, v22, v24
	v_not_b32_e32 v24, v26
	v_ashrrev_i32_e32 v23, 31, v23
	s_wait_alu 0xf1ff
	v_xor_b32_e32 v27, s20, v27
	v_lshlrev_b32_e32 v21, 4, v21
	v_and_b32_e32 v22, v22, v25
	v_cmp_gt_i32_e64 s20, 0, v26
	v_ashrrev_i32_e32 v24, 31, v24
	s_wait_alu 0xfffd
	v_xor_b32_e32 v23, vcc_lo, v23
	v_add_nc_u32_e32 v120, v105, v21
	v_and_b32_e32 v22, v22, v27
	s_wait_alu 0xf1ff
	v_xor_b32_e32 v21, s20, v24
	ds_load_b32 v118, v120 offset:16
	v_and_b32_e32 v22, v22, v23
	; wave barrier
	s_delay_alu instid0(VALU_DEP_1) | instskip(NEXT) | instid1(VALU_DEP_1)
	v_and_b32_e32 v21, v22, v21
	v_mbcnt_lo_u32_b32 v119, v21, 0
	v_cmp_ne_u32_e64 s20, 0, v21
	s_delay_alu instid0(VALU_DEP_2)
	v_cmp_eq_u32_e32 vcc_lo, 0, v119
	s_and_b32 s23, s20, vcc_lo
	s_wait_alu 0xfffe
	s_and_saveexec_b32 s20, s23
	s_cbranch_execz .LBB127_46
; %bb.45:                               ;   in Loop: Header=BB127_32 Depth=1
	s_wait_dscnt 0x0
	v_bcnt_u32_b32 v21, v21, v118
	ds_store_b32 v120, v21 offset:16
.LBB127_46:                             ;   in Loop: Header=BB127_32 Depth=1
	s_wait_alu 0xfffe
	s_or_b32 exec_lo, exec_lo, s20
	v_lshrrev_b32_e32 v21, v106, v110
	; wave barrier
	s_delay_alu instid0(VALU_DEP_1) | instskip(NEXT) | instid1(VALU_DEP_1)
	v_and_b32_e32 v21, s22, v21
	v_and_b32_e32 v22, 1, v21
	v_lshlrev_b32_e32 v23, 30, v21
	v_lshlrev_b32_e32 v24, 29, v21
	;; [unrolled: 1-line block ×4, first 2 shown]
	v_add_co_u32 v22, s20, v22, -1
	s_wait_alu 0xf1ff
	v_cndmask_b32_e64 v26, 0, 1, s20
	v_not_b32_e32 v122, v23
	v_cmp_gt_i32_e64 s20, 0, v23
	v_not_b32_e32 v23, v24
	v_lshlrev_b32_e32 v28, 26, v21
	v_cmp_ne_u32_e32 vcc_lo, 0, v26
	v_ashrrev_i32_e32 v122, 31, v122
	v_lshlrev_b32_e32 v121, 25, v21
	v_ashrrev_i32_e32 v23, 31, v23
	v_lshlrev_b32_e32 v26, 24, v21
	s_wait_alu 0xfffd
	v_xor_b32_e32 v22, vcc_lo, v22
	v_cmp_gt_i32_e32 vcc_lo, 0, v24
	v_not_b32_e32 v24, v25
	s_wait_alu 0xf1ff
	v_xor_b32_e32 v122, s20, v122
	v_cmp_gt_i32_e64 s20, 0, v25
	v_and_b32_e32 v22, exec_lo, v22
	v_not_b32_e32 v25, v27
	v_ashrrev_i32_e32 v24, 31, v24
	s_wait_alu 0xfffd
	v_xor_b32_e32 v23, vcc_lo, v23
	v_cmp_gt_i32_e32 vcc_lo, 0, v27
	v_and_b32_e32 v22, v22, v122
	v_not_b32_e32 v27, v28
	v_ashrrev_i32_e32 v25, 31, v25
	s_wait_alu 0xf1ff
	v_xor_b32_e32 v24, s20, v24
	v_cmp_gt_i32_e64 s20, 0, v28
	v_and_b32_e32 v22, v22, v23
	v_not_b32_e32 v23, v121
	v_ashrrev_i32_e32 v27, 31, v27
	s_wait_alu 0xfffd
	v_xor_b32_e32 v25, vcc_lo, v25
	v_cmp_gt_i32_e32 vcc_lo, 0, v121
	v_and_b32_e32 v22, v22, v24
	v_not_b32_e32 v24, v26
	v_ashrrev_i32_e32 v23, 31, v23
	s_wait_alu 0xf1ff
	v_xor_b32_e32 v27, s20, v27
	v_lshlrev_b32_e32 v21, 4, v21
	v_and_b32_e32 v22, v22, v25
	v_cmp_gt_i32_e64 s20, 0, v26
	v_ashrrev_i32_e32 v24, 31, v24
	s_wait_alu 0xfffd
	v_xor_b32_e32 v23, vcc_lo, v23
	v_add_nc_u32_e32 v121, v105, v21
	v_and_b32_e32 v22, v22, v27
	s_wait_alu 0xf1ff
	v_xor_b32_e32 v21, s20, v24
	ds_load_b32 v126, v121 offset:16
	v_and_b32_e32 v22, v22, v23
	; wave barrier
	s_delay_alu instid0(VALU_DEP_1) | instskip(NEXT) | instid1(VALU_DEP_1)
	v_and_b32_e32 v21, v22, v21
	v_mbcnt_lo_u32_b32 v127, v21, 0
	v_cmp_ne_u32_e64 s20, 0, v21
	s_delay_alu instid0(VALU_DEP_2)
	v_cmp_eq_u32_e32 vcc_lo, 0, v127
	s_and_b32 s22, s20, vcc_lo
	s_wait_alu 0xfffe
	s_and_saveexec_b32 s20, s22
	s_cbranch_execz .LBB127_48
; %bb.47:                               ;   in Loop: Header=BB127_32 Depth=1
	s_wait_dscnt 0x0
	v_bcnt_u32_b32 v21, v21, v126
	ds_store_b32 v121, v21 offset:16
.LBB127_48:                             ;   in Loop: Header=BB127_32 Depth=1
	s_wait_alu 0xfffe
	s_or_b32 exec_lo, exec_lo, s20
	; wave barrier
	s_wait_loadcnt_dscnt 0x0
	s_barrier_signal -1
	s_barrier_wait -1
	global_inv scope:SCOPE_SE
	ds_load_b128 v[25:28], v90 offset:16
	ds_load_b128 v[21:24], v90 offset:32
	s_wait_dscnt 0x1
	v_add_nc_u32_e32 v122, v26, v25
	s_delay_alu instid0(VALU_DEP_1) | instskip(SKIP_1) | instid1(VALU_DEP_1)
	v_add3_u32 v122, v122, v27, v28
	s_wait_dscnt 0x0
	v_add3_u32 v122, v122, v21, v22
	s_delay_alu instid0(VALU_DEP_1) | instskip(NEXT) | instid1(VALU_DEP_1)
	v_add3_u32 v24, v122, v23, v24
	v_mov_b32_dpp v122, v24 row_shr:1 row_mask:0xf bank_mask:0xf
	s_delay_alu instid0(VALU_DEP_1) | instskip(NEXT) | instid1(VALU_DEP_1)
	v_cndmask_b32_e64 v122, v122, 0, s12
	v_add_nc_u32_e32 v24, v122, v24
	s_delay_alu instid0(VALU_DEP_1) | instskip(NEXT) | instid1(VALU_DEP_1)
	v_mov_b32_dpp v122, v24 row_shr:2 row_mask:0xf bank_mask:0xf
	v_cndmask_b32_e64 v122, 0, v122, s13
	s_delay_alu instid0(VALU_DEP_1) | instskip(NEXT) | instid1(VALU_DEP_1)
	v_add_nc_u32_e32 v24, v24, v122
	v_mov_b32_dpp v122, v24 row_shr:4 row_mask:0xf bank_mask:0xf
	s_delay_alu instid0(VALU_DEP_1) | instskip(NEXT) | instid1(VALU_DEP_1)
	v_cndmask_b32_e64 v122, 0, v122, s14
	v_add_nc_u32_e32 v24, v24, v122
	s_delay_alu instid0(VALU_DEP_1) | instskip(NEXT) | instid1(VALU_DEP_1)
	v_mov_b32_dpp v122, v24 row_shr:8 row_mask:0xf bank_mask:0xf
	v_cndmask_b32_e64 v122, 0, v122, s15
	s_delay_alu instid0(VALU_DEP_1) | instskip(SKIP_3) | instid1(VALU_DEP_1)
	v_add_nc_u32_e32 v24, v24, v122
	ds_swizzle_b32 v122, v24 offset:swizzle(BROADCAST,32,15)
	s_wait_dscnt 0x0
	v_cndmask_b32_e64 v122, v122, 0, s16
	v_add_nc_u32_e32 v24, v24, v122
	s_and_saveexec_b32 s20, s17
; %bb.49:                               ;   in Loop: Header=BB127_32 Depth=1
	ds_store_b32 v92, v24
; %bb.50:                               ;   in Loop: Header=BB127_32 Depth=1
	s_wait_alu 0xfffe
	s_or_b32 exec_lo, exec_lo, s20
	s_wait_loadcnt_dscnt 0x0
	s_barrier_signal -1
	s_barrier_wait -1
	global_inv scope:SCOPE_SE
	s_and_saveexec_b32 s20, s8
	s_cbranch_execz .LBB127_52
; %bb.51:                               ;   in Loop: Header=BB127_32 Depth=1
	ds_load_b32 v122, v107
	s_wait_dscnt 0x0
	v_mov_b32_dpp v123, v122 row_shr:1 row_mask:0xf bank_mask:0xf
	s_delay_alu instid0(VALU_DEP_1) | instskip(NEXT) | instid1(VALU_DEP_1)
	v_cndmask_b32_e64 v123, v123, 0, s18
	v_add_nc_u32_e32 v122, v123, v122
	s_delay_alu instid0(VALU_DEP_1) | instskip(NEXT) | instid1(VALU_DEP_1)
	v_mov_b32_dpp v123, v122 row_shr:2 row_mask:0xf bank_mask:0xf
	v_cndmask_b32_e64 v123, 0, v123, s19
	s_delay_alu instid0(VALU_DEP_1)
	v_add_nc_u32_e32 v122, v122, v123
	ds_store_b32 v107, v122
.LBB127_52:                             ;   in Loop: Header=BB127_32 Depth=1
	s_wait_alu 0xfffe
	s_or_b32 exec_lo, exec_lo, s20
	v_mov_b32_e32 v122, 0
	s_wait_loadcnt_dscnt 0x0
	s_barrier_signal -1
	s_barrier_wait -1
	global_inv scope:SCOPE_SE
	s_and_saveexec_b32 s20, s9
; %bb.53:                               ;   in Loop: Header=BB127_32 Depth=1
	ds_load_b32 v122, v104
; %bb.54:                               ;   in Loop: Header=BB127_32 Depth=1
	s_wait_alu 0xfffe
	s_or_b32 exec_lo, exec_lo, s20
	s_wait_dscnt 0x0
	v_add_nc_u32_e32 v24, v122, v24
	v_cmp_lt_u32_e32 vcc_lo, 23, v106
	v_readfirstlane_b32 s20, v0
	s_mov_b32 s22, -1
	ds_bpermute_b32 v24, v103, v24
	s_and_b32 vcc_lo, exec_lo, vcc_lo
	s_wait_dscnt 0x0
	v_cndmask_b32_e64 v24, v24, v122, s11
	s_delay_alu instid0(VALU_DEP_1) | instskip(NEXT) | instid1(VALU_DEP_1)
	v_cndmask_b32_e64 v24, v24, 0, s10
	v_add_nc_u32_e32 v25, v24, v25
	s_delay_alu instid0(VALU_DEP_1) | instskip(NEXT) | instid1(VALU_DEP_1)
	v_add_nc_u32_e32 v26, v25, v26
	v_add_nc_u32_e32 v27, v26, v27
	s_delay_alu instid0(VALU_DEP_1) | instskip(NEXT) | instid1(VALU_DEP_1)
	v_add_nc_u32_e32 v122, v27, v28
	;; [unrolled: 3-line block ×3, first 2 shown]
	v_add_nc_u32_e32 v125, v124, v23
	ds_store_b128 v90, v[24:27] offset:16
	ds_store_b128 v90, v[122:125] offset:32
	s_wait_loadcnt_dscnt 0x0
	s_barrier_signal -1
	s_barrier_wait -1
	global_inv scope:SCOPE_SE
	ds_load_b32 v21, v30 offset:16
	ds_load_b32 v22, v33 offset:16
	;; [unrolled: 1-line block ×8, first 2 shown]
	s_wait_dscnt 0x7
	v_add_nc_u32_e32 v125, v21, v29
	s_wait_dscnt 0x6
	v_add3_u32 v124, v32, v31, v22
	s_wait_dscnt 0x5
	v_add3_u32 v123, v35, v34, v23
	;; [unrolled: 2-line block ×7, first 2 shown]
                                        ; implicit-def: $vgpr72
                                        ; implicit-def: $vgpr70
                                        ; implicit-def: $vgpr68
                                        ; implicit-def: $vgpr66
                                        ; implicit-def: $vgpr35_vgpr36
                                        ; implicit-def: $vgpr31_vgpr32
                                        ; implicit-def: $vgpr27_vgpr28
                                        ; implicit-def: $vgpr23_vgpr24
	s_wait_alu 0xfffe
	s_cbranch_vccnz .LBB127_31
; %bb.55:                               ;   in Loop: Header=BB127_32 Depth=1
	v_lshlrev_b32_e32 v21, 2, v125
	v_lshlrev_b32_e32 v22, 2, v124
	;; [unrolled: 1-line block ×3, first 2 shown]
	s_wait_loadcnt 0x0
	s_barrier_signal -1
	s_barrier_wait -1
	global_inv scope:SCOPE_SE
	ds_store_b32 v21, v109
	ds_store_b32 v22, v116
	;; [unrolled: 1-line block ×3, first 2 shown]
	v_lshlrev_b32_e32 v24, 2, v122
	v_add_nc_u32_e32 v21, v21, v21
	v_lshlrev_b32_e32 v25, 2, v121
	v_add_nc_u32_e32 v22, v22, v22
	;; [unrolled: 2-line block ×3, first 2 shown]
	v_lshlrev_b32_e32 v27, 2, v118
	v_lshlrev_b32_e32 v28, 2, v117
	ds_store_b32 v24, v114
	ds_store_b32 v25, v113
	;; [unrolled: 1-line block ×5, first 2 shown]
	s_wait_loadcnt_dscnt 0x0
	s_barrier_signal -1
	s_barrier_wait -1
	global_inv scope:SCOPE_SE
	ds_load_2addr_b32 v[65:66], v91 offset1:32
	ds_load_2addr_b32 v[67:68], v91 offset0:64 offset1:96
	ds_load_2addr_b32 v[69:70], v91 offset0:128 offset1:160
	;; [unrolled: 1-line block ×3, first 2 shown]
	s_wait_loadcnt_dscnt 0x0
	s_barrier_signal -1
	s_barrier_wait -1
	global_inv scope:SCOPE_SE
	ds_store_b64 v21, v[63:64]
	ds_store_b64 v22, v[61:62]
	;; [unrolled: 1-line block ×3, first 2 shown]
	v_add_nc_u32_e32 v21, v24, v24
	v_add_nc_u32_e32 v22, v25, v25
	;; [unrolled: 1-line block ×5, first 2 shown]
	ds_store_b64 v21, v[57:58]
	ds_store_b64 v22, v[55:56]
	;; [unrolled: 1-line block ×5, first 2 shown]
	s_wait_loadcnt_dscnt 0x0
	s_barrier_signal -1
	s_barrier_wait -1
	global_inv scope:SCOPE_SE
	ds_load_2addr_b64 v[21:24], v108 offset1:32
	ds_load_2addr_b64 v[25:28], v108 offset0:64 offset1:96
	ds_load_2addr_b64 v[29:32], v108 offset0:128 offset1:160
	;; [unrolled: 1-line block ×3, first 2 shown]
	v_add_nc_u32_e32 v106, 8, v106
	s_add_co_i32 s20, s21, -8
	s_mov_b32 s22, 0
	s_wait_loadcnt_dscnt 0x0
	s_barrier_signal -1
	s_barrier_wait -1
	global_inv scope:SCOPE_SE
	s_branch .LBB127_31
.LBB127_56:
	v_lshlrev_b64_e32 v[1:2], 3, v[37:38]
	v_dual_mov_b32 v39, v38 :: v_dual_mov_b32 v10, v38
	v_mov_b32_e32 v9, v38
	v_dual_mov_b32 v3, v38 :: v_dual_mov_b32 v6, v38
	s_wait_alu 0xfffe
	s_delay_alu instid0(VALU_DEP_4)
	v_add_co_u32 v1, vcc_lo, s24, v1
	s_wait_alu 0xfffd
	v_add_co_ci_u32_e64 v2, null, s25, v2, vcc_lo
	v_dual_mov_b32 v5, v38 :: v_dual_mov_b32 v8, v38
	v_dual_mov_b32 v7, v38 :: v_dual_mov_b32 v12, v38
	global_load_b64 v[13:14], v[1:2], off
	v_dual_mov_b32 v1, v38 :: v_dual_mov_b32 v4, v38
	v_dual_mov_b32 v2, v38 :: v_dual_mov_b32 v11, v38
	s_or_b32 exec_lo, exec_lo, s8
	s_and_saveexec_b32 s8, s1
	s_cbranch_execz .LBB127_22
.LBB127_57:
	v_mul_lo_u32 v33, s28, v15
	v_mov_b32_e32 v34, 0
	s_delay_alu instid0(VALU_DEP_1) | instskip(NEXT) | instid1(VALU_DEP_1)
	v_lshlrev_b64_e32 v[33:34], 3, v[33:34]
	v_add_co_u32 v33, vcc_lo, s24, v33
	s_wait_alu 0xfffd
	s_delay_alu instid0(VALU_DEP_2)
	v_add_co_ci_u32_e64 v34, null, s25, v34, vcc_lo
	global_load_b64 v[38:39], v[33:34], off
	s_wait_alu 0xfffe
	s_or_b32 exec_lo, exec_lo, s8
	s_and_saveexec_b32 s8, s2
	s_cbranch_execz .LBB127_23
.LBB127_58:
	v_mul_lo_u32 v9, s28, v16
	v_mov_b32_e32 v10, 0
	s_delay_alu instid0(VALU_DEP_1) | instskip(NEXT) | instid1(VALU_DEP_1)
	v_lshlrev_b64_e32 v[9:10], 3, v[9:10]
	v_add_co_u32 v9, vcc_lo, s24, v9
	s_wait_alu 0xfffd
	s_delay_alu instid0(VALU_DEP_2)
	v_add_co_ci_u32_e64 v10, null, s25, v10, vcc_lo
	global_load_b64 v[9:10], v[9:10], off
	s_wait_alu 0xfffe
	s_or_b32 exec_lo, exec_lo, s8
	s_and_saveexec_b32 s8, s3
	s_cbranch_execz .LBB127_24
.LBB127_59:
	v_mul_lo_u32 v1, s28, v19
	v_mov_b32_e32 v2, 0
	s_delay_alu instid0(VALU_DEP_1) | instskip(NEXT) | instid1(VALU_DEP_1)
	v_lshlrev_b64_e32 v[1:2], 3, v[1:2]
	v_add_co_u32 v1, vcc_lo, s24, v1
	s_wait_alu 0xfffd
	s_delay_alu instid0(VALU_DEP_2)
	v_add_co_ci_u32_e64 v2, null, s25, v2, vcc_lo
	global_load_b64 v[1:2], v[1:2], off
	s_wait_alu 0xfffe
	s_or_b32 exec_lo, exec_lo, s8
	s_and_saveexec_b32 s8, s4
	s_cbranch_execz .LBB127_25
.LBB127_60:
	v_mul_lo_u32 v3, s28, v20
	v_mov_b32_e32 v4, 0
	s_delay_alu instid0(VALU_DEP_1) | instskip(NEXT) | instid1(VALU_DEP_1)
	v_lshlrev_b64_e32 v[3:4], 3, v[3:4]
	v_add_co_u32 v3, vcc_lo, s24, v3
	s_wait_alu 0xfffd
	s_delay_alu instid0(VALU_DEP_2)
	v_add_co_ci_u32_e64 v4, null, s25, v4, vcc_lo
	global_load_b64 v[3:4], v[3:4], off
	s_wait_alu 0xfffe
	s_or_b32 exec_lo, exec_lo, s8
	s_and_saveexec_b32 s8, s5
	s_cbranch_execz .LBB127_26
.LBB127_61:
	v_mul_lo_u32 v5, s28, v21
	v_mov_b32_e32 v6, 0
	s_delay_alu instid0(VALU_DEP_1) | instskip(NEXT) | instid1(VALU_DEP_1)
	v_lshlrev_b64_e32 v[5:6], 3, v[5:6]
	v_add_co_u32 v5, vcc_lo, s24, v5
	s_wait_alu 0xfffd
	s_delay_alu instid0(VALU_DEP_2)
	v_add_co_ci_u32_e64 v6, null, s25, v6, vcc_lo
	global_load_b64 v[5:6], v[5:6], off
	s_wait_alu 0xfffe
	s_or_b32 exec_lo, exec_lo, s8
	s_and_saveexec_b32 s8, s6
	s_cbranch_execz .LBB127_27
.LBB127_62:
	v_mul_lo_u32 v7, s28, v22
	v_mov_b32_e32 v8, 0
	s_delay_alu instid0(VALU_DEP_1) | instskip(NEXT) | instid1(VALU_DEP_1)
	v_lshlrev_b64_e32 v[7:8], 3, v[7:8]
	v_add_co_u32 v7, vcc_lo, s24, v7
	s_wait_alu 0xfffd
	s_delay_alu instid0(VALU_DEP_2)
	v_add_co_ci_u32_e64 v8, null, s25, v8, vcc_lo
	global_load_b64 v[7:8], v[7:8], off
	s_wait_alu 0xfffe
	s_or_b32 exec_lo, exec_lo, s8
	s_xor_b32 s8, s12, -1
	s_and_saveexec_b32 s9, s7
	s_cbranch_execnz .LBB127_28
	s_branch .LBB127_29
.LBB127_63:
                                        ; implicit-def: $vgpr52
                                        ; implicit-def: $vgpr39
                                        ; implicit-def: $vgpr51
                                        ; implicit-def: $vgpr36
                                        ; implicit-def: $vgpr38
                                        ; implicit-def: $vgpr34
                                        ; implicit-def: $vgpr35
                                        ; implicit-def: $vgpr33
                                        ; implicit-def: $vgpr19_vgpr20
                                        ; implicit-def: $vgpr23_vgpr24
                                        ; implicit-def: $vgpr27_vgpr28
                                        ; implicit-def: $vgpr31_vgpr32
	s_and_b32 vcc_lo, exec_lo, s11
	s_wait_alu 0xfffe
	s_cbranch_vccnz .LBB127_65
	s_branch .LBB127_92
.LBB127_64:
	v_lshlrev_b32_e32 v17, 2, v125
	v_lshlrev_b32_e32 v18, 2, v124
	;; [unrolled: 1-line block ×3, first 2 shown]
	s_wait_loadcnt 0x0
	s_barrier_signal -1
	s_barrier_wait -1
	global_inv scope:SCOPE_SE
	ds_store_b32 v17, v109
	ds_store_b32 v18, v116
	;; [unrolled: 1-line block ×3, first 2 shown]
	v_lshlrev_b32_e32 v20, 2, v122
	v_add_nc_u32_e32 v17, v17, v17
	v_lshlrev_b32_e32 v21, 2, v121
	v_add_nc_u32_e32 v18, v18, v18
	;; [unrolled: 2-line block ×3, first 2 shown]
	v_lshlrev_b32_e32 v23, 2, v118
	v_lshlrev_b32_e32 v24, 2, v117
	ds_store_b32 v20, v114
	ds_store_b32 v21, v113
	;; [unrolled: 1-line block ×5, first 2 shown]
	s_wait_loadcnt_dscnt 0x0
	s_barrier_signal -1
	s_barrier_wait -1
	global_inv scope:SCOPE_SE
	ds_load_b128 v[65:68], v90
	ds_load_b128 v[69:72], v90 offset:16
	s_wait_loadcnt_dscnt 0x0
	s_barrier_signal -1
	s_barrier_wait -1
	global_inv scope:SCOPE_SE
	ds_store_b64 v17, v[63:64]
	ds_store_b64 v18, v[61:62]
	;; [unrolled: 1-line block ×3, first 2 shown]
	v_add_nc_u32_e32 v17, v20, v20
	v_add_nc_u32_e32 v18, v21, v21
	;; [unrolled: 1-line block ×5, first 2 shown]
	ds_store_b64 v17, v[57:58]
	ds_store_b64 v18, v[55:56]
	ds_store_b64 v19, v[53:54]
	ds_store_b64 v20, v[51:52]
	ds_store_b64 v21, v[38:39]
	v_lshl_add_u32 v17, v42, 5, v90
	s_wait_loadcnt_dscnt 0x0
	s_barrier_signal -1
	s_barrier_wait -1
	global_inv scope:SCOPE_SE
	ds_load_b128 v[29:32], v17
	ds_load_b128 v[25:28], v17 offset:16
	ds_load_b128 v[21:24], v17 offset:32
	;; [unrolled: 1-line block ×3, first 2 shown]
	v_xor_b32_e32 v33, 0x80000000, v65
	v_xor_b32_e32 v35, 0x80000000, v66
	;; [unrolled: 1-line block ×8, first 2 shown]
	s_branch .LBB127_92
.LBB127_65:
	s_wait_dscnt 0x0
	v_xor_b32_e32 v17, 0x7fffffff, v49
	v_xor_b32_e32 v18, 0x7fffffff, v50
	;; [unrolled: 1-line block ×8, first 2 shown]
	ds_store_b128 v102, v[17:20]
	ds_store_b128 v102, v[21:24] offset:16
	v_lshl_add_u32 v17, v101, 2, v102
	; wave barrier
	ds_load_2addr_b32 v[38:39], v91 offset1:32
	ds_load_2addr_b32 v[43:44], v91 offset0:64 offset1:96
	ds_load_2addr_b32 v[45:46], v91 offset0:128 offset1:160
	;; [unrolled: 1-line block ×3, first 2 shown]
	s_wait_loadcnt_dscnt 0x0
	s_barrier_signal -1
	s_barrier_wait -1
	global_inv scope:SCOPE_SE
	ds_store_b128 v17, v[5:8]
	ds_store_b128 v17, v[1:4] offset:16
	ds_store_b128 v17, v[13:16] offset:32
	;; [unrolled: 1-line block ×3, first 2 shown]
	; wave barrier
	ds_load_2addr_b64 v[4:7], v100 offset1:32
	ds_load_2addr_b64 v[8:11], v100 offset0:64 offset1:96
	ds_load_2addr_b64 v[12:15], v100 offset0:128 offset1:160
	;; [unrolled: 1-line block ×3, first 2 shown]
	s_wait_loadcnt_dscnt 0x0
	s_barrier_signal -1
	s_barrier_wait -1
	global_inv scope:SCOPE_SE
	s_load_b32 s10, s[34:35], 0xc
	s_getpc_b64 s[8:9]
	s_wait_alu 0xfffe
	s_sext_i32_i16 s9, s9
	s_add_co_u32 s8, s8, _ZN7rocprim17ROCPRIM_400000_NS16block_radix_sortIiLj128ELj8ElLj1ELj1ELj0ELNS0_26block_radix_rank_algorithmE1ELNS0_18block_padding_hintE2ELNS0_4arch9wavefront6targetE0EE19radix_bits_per_passE@rel32@lo+12
	s_wait_alu 0xfffe
	s_add_co_ci_u32 s9, s9, _ZN7rocprim17ROCPRIM_400000_NS16block_radix_sortIiLj128ELj8ElLj1ELj1ELj0ELNS0_26block_radix_rank_algorithmE1ELNS0_18block_padding_hintE2ELNS0_4arch9wavefront6targetE0EE19radix_bits_per_passE@rel32@hi+24
	v_or_b32_e32 v3, 31, v97
	s_load_b32 s21, s[8:9], 0x0
	s_mov_b32 s36, 0
	v_cmp_eq_u32_e64 s18, 0, v0
	s_mov_b32 s37, s36
	s_mov_b32 s38, s36
	s_mov_b32 s39, s36
	v_cmp_eq_u32_e64 s14, v42, v3
	v_cmp_lt_u32_e64 s19, 1, v0
	v_cmp_lt_u32_e64 s12, 7, v96
	v_cmp_eq_u32_e64 s13, 0, v95
	v_cmp_gt_u32_e64 s15, 4, v42
	v_cmp_lt_u32_e64 s16, 31, v42
	v_cmp_eq_u32_e64 s17, 0, v42
	v_add_nc_u32_e32 v52, v90, v94
	s_mov_b32 s22, 32
	v_add_nc_u32_e32 v49, -4, v92
	v_mov_b32_e32 v51, 0
	s_wait_kmcnt 0x0
	s_lshr_b32 s11, s10, 16
	s_and_b32 s8, s10, 0xffff
	s_wait_alu 0xfffe
	v_mad_u32_u24 v1, v99, s11, v98
	v_cmp_lt_u32_e64 s10, 1, v96
	v_cmp_lt_u32_e64 s11, 3, v96
	v_add_nc_u32_e32 v53, v91, v91
	s_delay_alu instid0(VALU_DEP_4) | instskip(SKIP_2) | instid1(VALU_DEP_2)
	v_mad_co_u64_u32 v[1:2], null, v1, s8, v[42:43]
	v_sub_co_u32 v2, s9, v93, 1
	v_cmp_eq_u32_e64 s8, 0, v96
	v_cmp_gt_i32_e32 vcc_lo, 0, v2
	s_delay_alu instid0(VALU_DEP_4) | instskip(SKIP_2) | instid1(VALU_DEP_2)
	v_lshrrev_b32_e32 v1, 3, v1
	s_wait_alu 0xfffd
	v_cndmask_b32_e32 v2, v2, v93, vcc_lo
	v_and_b32_e32 v50, 0x1ffffffc, v1
	s_delay_alu instid0(VALU_DEP_2)
	v_lshlrev_b32_e32 v36, 2, v2
	v_dual_mov_b32 v0, s36 :: v_dual_mov_b32 v3, s39
	v_dual_mov_b32 v1, s37 :: v_dual_mov_b32 v2, s38
	s_branch .LBB127_67
.LBB127_66:                             ;   in Loop: Header=BB127_67 Depth=1
	s_wait_alu 0xfffe
	s_and_not1_b32 vcc_lo, exec_lo, s23
	s_mov_b32 s22, s20
	s_wait_alu 0xfffe
	s_cbranch_vccz .LBB127_91
.LBB127_67:                             ; =>This Inner Loop Header: Depth=1
	v_dual_mov_b32 v54, v38 :: v_dual_mov_b32 v55, v48
	s_min_u32 s20, s21, s22
	ds_store_b128 v90, v[0:3] offset:16
	ds_store_b128 v90, v[0:3] offset:32
	s_wait_alu 0xfffe
	s_lshl_b32 s20, -1, s20
	v_lshrrev_b32_e32 v20, v51, v54
	s_wait_alu 0xfffe
	s_not_b32 s23, s20
	s_wait_loadcnt_dscnt 0x0
	s_barrier_signal -1
	s_barrier_wait -1
	s_wait_alu 0xfffe
	v_dual_mov_b32 v57, v46 :: v_dual_and_b32 v38, s23, v20
	v_mov_b32_e32 v56, v47
	global_inv scope:SCOPE_SE
	v_dual_mov_b32 v59, v44 :: v_dual_and_b32 v20, 1, v38
	v_lshlrev_b32_e32 v21, 30, v38
	v_dual_mov_b32 v61, v39 :: v_dual_lshlrev_b32 v22, 29, v38
	s_delay_alu instid0(VALU_DEP_3)
	v_add_co_u32 v20, s20, v20, -1
	s_wait_alu 0xf1ff
	v_cndmask_b32_e64 v24, 0, 1, s20
	v_not_b32_e32 v28, v21
	v_dual_mov_b32 v58, v45 :: v_dual_lshlrev_b32 v23, 28, v38
	v_cmp_gt_i32_e64 s20, 0, v21
	s_delay_alu instid0(VALU_DEP_4)
	v_cmp_ne_u32_e32 vcc_lo, 0, v24
	v_not_b32_e32 v21, v22
	v_ashrrev_i32_e32 v28, 31, v28
	v_dual_mov_b32 v60, v43 :: v_dual_lshlrev_b32 v25, 27, v38
	s_wait_alu 0xfffd
	v_xor_b32_e32 v20, vcc_lo, v20
	v_cmp_gt_i32_e32 vcc_lo, 0, v22
	v_not_b32_e32 v22, v23
	v_ashrrev_i32_e32 v21, 31, v21
	s_wait_alu 0xf1ff
	v_xor_b32_e32 v28, s20, v28
	v_and_b32_e32 v20, exec_lo, v20
	v_lshlrev_b32_e32 v26, 26, v38
	v_cmp_gt_i32_e64 s20, 0, v23
	v_not_b32_e32 v23, v25
	v_ashrrev_i32_e32 v22, 31, v22
	s_wait_alu 0xfffd
	v_xor_b32_e32 v21, vcc_lo, v21
	v_and_b32_e32 v20, v20, v28
	v_lshlrev_b32_e32 v27, 25, v38
	v_cmp_gt_i32_e32 vcc_lo, 0, v25
	v_not_b32_e32 v25, v26
	v_ashrrev_i32_e32 v23, 31, v23
	s_wait_alu 0xf1ff
	v_xor_b32_e32 v22, s20, v22
	v_and_b32_e32 v20, v20, v21
	v_lshlrev_b32_e32 v24, 24, v38
	v_cmp_gt_i32_e64 s20, 0, v26
	v_not_b32_e32 v21, v27
	v_ashrrev_i32_e32 v25, 31, v25
	s_wait_alu 0xfffd
	v_xor_b32_e32 v23, vcc_lo, v23
	v_dual_mov_b32 v31, v9 :: v_dual_and_b32 v20, v20, v22
	v_cmp_gt_i32_e32 vcc_lo, 0, v27
	v_not_b32_e32 v22, v24
	v_ashrrev_i32_e32 v21, 31, v21
	s_wait_alu 0xf1ff
	v_xor_b32_e32 v25, s20, v25
	v_dual_mov_b32 v33, v7 :: v_dual_and_b32 v20, v20, v23
	v_cmp_gt_i32_e64 s20, 0, v24
	v_ashrrev_i32_e32 v22, 31, v22
	s_wait_alu 0xfffd
	v_xor_b32_e32 v21, vcc_lo, v21
	v_dual_mov_b32 v35, v5 :: v_dual_and_b32 v20, v20, v25
	v_mov_b32_e32 v25, v15
	s_wait_alu 0xf1ff
	v_xor_b32_e32 v28, s20, v22
	s_delay_alu instid0(VALU_DEP_3) | instskip(SKIP_3) | instid1(VALU_DEP_4)
	v_dual_mov_b32 v24, v14 :: v_dual_and_b32 v29, v20, v21
	v_dual_mov_b32 v27, v13 :: v_dual_mov_b32 v26, v12
	v_mov_b32_e32 v34, v4
	v_lshlrev_b32_e32 v4, 4, v38
	v_dual_mov_b32 v21, v19 :: v_dual_and_b32 v14, v29, v28
	v_mov_b32_e32 v23, v17
	v_dual_mov_b32 v29, v11 :: v_dual_mov_b32 v20, v18
	s_delay_alu instid0(VALU_DEP_3) | instskip(SKIP_3) | instid1(VALU_DEP_4)
	v_mbcnt_lo_u32_b32 v12, v14, 0
	v_cmp_ne_u32_e64 s20, 0, v14
	v_dual_mov_b32 v22, v16 :: v_dual_add_nc_u32 v13, v50, v4
	v_mov_b32_e32 v28, v10
	v_cmp_eq_u32_e32 vcc_lo, 0, v12
	v_mov_b32_e32 v30, v8
	v_mov_b32_e32 v32, v6
	; wave barrier
	s_and_b32 s27, s20, vcc_lo
	s_wait_alu 0xfffe
	s_and_saveexec_b32 s20, s27
; %bb.68:                               ;   in Loop: Header=BB127_67 Depth=1
	v_bcnt_u32_b32 v4, v14, 0
	ds_store_b32 v13, v4 offset:16
; %bb.69:                               ;   in Loop: Header=BB127_67 Depth=1
	s_wait_alu 0xfffe
	s_or_b32 exec_lo, exec_lo, s20
	v_lshrrev_b32_e32 v4, v51, v61
	; wave barrier
	s_delay_alu instid0(VALU_DEP_1) | instskip(NEXT) | instid1(VALU_DEP_1)
	v_and_b32_e32 v4, s23, v4
	v_and_b32_e32 v5, 1, v4
	v_lshlrev_b32_e32 v6, 30, v4
	v_lshlrev_b32_e32 v7, 29, v4
	;; [unrolled: 1-line block ×4, first 2 shown]
	v_add_co_u32 v5, s20, v5, -1
	s_wait_alu 0xf1ff
	v_cndmask_b32_e64 v9, 0, 1, s20
	v_not_b32_e32 v15, v6
	v_cmp_gt_i32_e64 s20, 0, v6
	v_not_b32_e32 v6, v7
	v_lshlrev_b32_e32 v11, 26, v4
	v_cmp_ne_u32_e32 vcc_lo, 0, v9
	v_ashrrev_i32_e32 v15, 31, v15
	v_lshlrev_b32_e32 v14, 25, v4
	v_ashrrev_i32_e32 v6, 31, v6
	v_lshlrev_b32_e32 v9, 24, v4
	s_wait_alu 0xfffd
	v_xor_b32_e32 v5, vcc_lo, v5
	v_cmp_gt_i32_e32 vcc_lo, 0, v7
	v_not_b32_e32 v7, v8
	s_wait_alu 0xf1ff
	v_xor_b32_e32 v15, s20, v15
	v_cmp_gt_i32_e64 s20, 0, v8
	v_and_b32_e32 v5, exec_lo, v5
	v_not_b32_e32 v8, v10
	v_ashrrev_i32_e32 v7, 31, v7
	s_wait_alu 0xfffd
	v_xor_b32_e32 v6, vcc_lo, v6
	v_cmp_gt_i32_e32 vcc_lo, 0, v10
	v_and_b32_e32 v5, v5, v15
	v_not_b32_e32 v10, v11
	v_ashrrev_i32_e32 v8, 31, v8
	s_wait_alu 0xf1ff
	v_xor_b32_e32 v7, s20, v7
	v_cmp_gt_i32_e64 s20, 0, v11
	v_and_b32_e32 v5, v5, v6
	v_not_b32_e32 v6, v14
	v_ashrrev_i32_e32 v10, 31, v10
	s_wait_alu 0xfffd
	v_xor_b32_e32 v8, vcc_lo, v8
	v_cmp_gt_i32_e32 vcc_lo, 0, v14
	v_and_b32_e32 v5, v5, v7
	v_not_b32_e32 v7, v9
	v_ashrrev_i32_e32 v6, 31, v6
	s_wait_alu 0xf1ff
	v_xor_b32_e32 v10, s20, v10
	v_lshlrev_b32_e32 v4, 4, v4
	v_and_b32_e32 v5, v5, v8
	v_cmp_gt_i32_e64 s20, 0, v9
	v_ashrrev_i32_e32 v7, 31, v7
	s_wait_alu 0xfffd
	v_xor_b32_e32 v6, vcc_lo, v6
	v_add_nc_u32_e32 v16, v50, v4
	v_and_b32_e32 v5, v5, v10
	s_wait_alu 0xf1ff
	v_xor_b32_e32 v4, s20, v7
	ds_load_b32 v14, v16 offset:16
	v_and_b32_e32 v5, v5, v6
	; wave barrier
	s_delay_alu instid0(VALU_DEP_1) | instskip(NEXT) | instid1(VALU_DEP_1)
	v_and_b32_e32 v4, v5, v4
	v_mbcnt_lo_u32_b32 v15, v4, 0
	v_cmp_ne_u32_e64 s20, 0, v4
	s_delay_alu instid0(VALU_DEP_2)
	v_cmp_eq_u32_e32 vcc_lo, 0, v15
	s_and_b32 s27, s20, vcc_lo
	s_wait_alu 0xfffe
	s_and_saveexec_b32 s20, s27
	s_cbranch_execz .LBB127_71
; %bb.70:                               ;   in Loop: Header=BB127_67 Depth=1
	s_wait_dscnt 0x0
	v_bcnt_u32_b32 v4, v4, v14
	ds_store_b32 v16, v4 offset:16
.LBB127_71:                             ;   in Loop: Header=BB127_67 Depth=1
	s_wait_alu 0xfffe
	s_or_b32 exec_lo, exec_lo, s20
	v_lshrrev_b32_e32 v4, v51, v60
	; wave barrier
	s_delay_alu instid0(VALU_DEP_1) | instskip(NEXT) | instid1(VALU_DEP_1)
	v_and_b32_e32 v4, s23, v4
	v_and_b32_e32 v5, 1, v4
	v_lshlrev_b32_e32 v6, 30, v4
	v_lshlrev_b32_e32 v7, 29, v4
	;; [unrolled: 1-line block ×4, first 2 shown]
	v_add_co_u32 v5, s20, v5, -1
	s_wait_alu 0xf1ff
	v_cndmask_b32_e64 v9, 0, 1, s20
	v_not_b32_e32 v18, v6
	v_cmp_gt_i32_e64 s20, 0, v6
	v_not_b32_e32 v6, v7
	v_lshlrev_b32_e32 v11, 26, v4
	v_cmp_ne_u32_e32 vcc_lo, 0, v9
	v_ashrrev_i32_e32 v18, 31, v18
	v_lshlrev_b32_e32 v17, 25, v4
	v_ashrrev_i32_e32 v6, 31, v6
	v_lshlrev_b32_e32 v9, 24, v4
	s_wait_alu 0xfffd
	v_xor_b32_e32 v5, vcc_lo, v5
	v_cmp_gt_i32_e32 vcc_lo, 0, v7
	v_not_b32_e32 v7, v8
	s_wait_alu 0xf1ff
	v_xor_b32_e32 v18, s20, v18
	v_cmp_gt_i32_e64 s20, 0, v8
	v_and_b32_e32 v5, exec_lo, v5
	v_not_b32_e32 v8, v10
	v_ashrrev_i32_e32 v7, 31, v7
	s_wait_alu 0xfffd
	v_xor_b32_e32 v6, vcc_lo, v6
	v_cmp_gt_i32_e32 vcc_lo, 0, v10
	v_and_b32_e32 v5, v5, v18
	v_not_b32_e32 v10, v11
	v_ashrrev_i32_e32 v8, 31, v8
	s_wait_alu 0xf1ff
	v_xor_b32_e32 v7, s20, v7
	v_cmp_gt_i32_e64 s20, 0, v11
	v_and_b32_e32 v5, v5, v6
	v_not_b32_e32 v6, v17
	v_ashrrev_i32_e32 v10, 31, v10
	s_wait_alu 0xfffd
	v_xor_b32_e32 v8, vcc_lo, v8
	v_cmp_gt_i32_e32 vcc_lo, 0, v17
	v_and_b32_e32 v5, v5, v7
	v_not_b32_e32 v7, v9
	v_ashrrev_i32_e32 v6, 31, v6
	s_wait_alu 0xf1ff
	v_xor_b32_e32 v10, s20, v10
	v_lshlrev_b32_e32 v4, 4, v4
	v_and_b32_e32 v5, v5, v8
	v_cmp_gt_i32_e64 s20, 0, v9
	v_ashrrev_i32_e32 v7, 31, v7
	s_wait_alu 0xfffd
	v_xor_b32_e32 v6, vcc_lo, v6
	v_add_nc_u32_e32 v19, v50, v4
	v_and_b32_e32 v5, v5, v10
	s_wait_alu 0xf1ff
	v_xor_b32_e32 v4, s20, v7
	ds_load_b32 v17, v19 offset:16
	v_and_b32_e32 v5, v5, v6
	; wave barrier
	s_delay_alu instid0(VALU_DEP_1) | instskip(NEXT) | instid1(VALU_DEP_1)
	v_and_b32_e32 v4, v5, v4
	v_mbcnt_lo_u32_b32 v18, v4, 0
	v_cmp_ne_u32_e64 s20, 0, v4
	s_delay_alu instid0(VALU_DEP_2)
	v_cmp_eq_u32_e32 vcc_lo, 0, v18
	s_and_b32 s27, s20, vcc_lo
	s_wait_alu 0xfffe
	s_and_saveexec_b32 s20, s27
	s_cbranch_execz .LBB127_73
; %bb.72:                               ;   in Loop: Header=BB127_67 Depth=1
	s_wait_dscnt 0x0
	v_bcnt_u32_b32 v4, v4, v17
	ds_store_b32 v19, v4 offset:16
.LBB127_73:                             ;   in Loop: Header=BB127_67 Depth=1
	s_wait_alu 0xfffe
	s_or_b32 exec_lo, exec_lo, s20
	v_lshrrev_b32_e32 v4, v51, v59
	; wave barrier
	s_delay_alu instid0(VALU_DEP_1) | instskip(NEXT) | instid1(VALU_DEP_1)
	v_and_b32_e32 v4, s23, v4
	v_and_b32_e32 v5, 1, v4
	v_lshlrev_b32_e32 v6, 30, v4
	v_lshlrev_b32_e32 v7, 29, v4
	;; [unrolled: 1-line block ×4, first 2 shown]
	v_add_co_u32 v5, s20, v5, -1
	s_wait_alu 0xf1ff
	v_cndmask_b32_e64 v9, 0, 1, s20
	v_not_b32_e32 v39, v6
	v_cmp_gt_i32_e64 s20, 0, v6
	v_not_b32_e32 v6, v7
	v_lshlrev_b32_e32 v11, 26, v4
	v_cmp_ne_u32_e32 vcc_lo, 0, v9
	v_ashrrev_i32_e32 v39, 31, v39
	v_lshlrev_b32_e32 v38, 25, v4
	v_ashrrev_i32_e32 v6, 31, v6
	v_lshlrev_b32_e32 v9, 24, v4
	s_wait_alu 0xfffd
	v_xor_b32_e32 v5, vcc_lo, v5
	v_cmp_gt_i32_e32 vcc_lo, 0, v7
	v_not_b32_e32 v7, v8
	s_wait_alu 0xf1ff
	v_xor_b32_e32 v39, s20, v39
	v_cmp_gt_i32_e64 s20, 0, v8
	v_and_b32_e32 v5, exec_lo, v5
	v_not_b32_e32 v8, v10
	v_ashrrev_i32_e32 v7, 31, v7
	s_wait_alu 0xfffd
	v_xor_b32_e32 v6, vcc_lo, v6
	v_cmp_gt_i32_e32 vcc_lo, 0, v10
	v_and_b32_e32 v5, v5, v39
	v_not_b32_e32 v10, v11
	v_ashrrev_i32_e32 v8, 31, v8
	s_wait_alu 0xf1ff
	v_xor_b32_e32 v7, s20, v7
	v_cmp_gt_i32_e64 s20, 0, v11
	v_and_b32_e32 v5, v5, v6
	v_not_b32_e32 v6, v38
	v_ashrrev_i32_e32 v10, 31, v10
	s_wait_alu 0xfffd
	v_xor_b32_e32 v8, vcc_lo, v8
	v_cmp_gt_i32_e32 vcc_lo, 0, v38
	v_and_b32_e32 v5, v5, v7
	v_not_b32_e32 v7, v9
	v_ashrrev_i32_e32 v6, 31, v6
	s_wait_alu 0xf1ff
	v_xor_b32_e32 v10, s20, v10
	v_lshlrev_b32_e32 v4, 4, v4
	v_and_b32_e32 v5, v5, v8
	v_cmp_gt_i32_e64 s20, 0, v9
	v_ashrrev_i32_e32 v7, 31, v7
	s_wait_alu 0xfffd
	v_xor_b32_e32 v6, vcc_lo, v6
	v_add_nc_u32_e32 v43, v50, v4
	v_and_b32_e32 v5, v5, v10
	s_wait_alu 0xf1ff
	v_xor_b32_e32 v4, s20, v7
	ds_load_b32 v38, v43 offset:16
	v_and_b32_e32 v5, v5, v6
	; wave barrier
	s_delay_alu instid0(VALU_DEP_1) | instskip(NEXT) | instid1(VALU_DEP_1)
	v_and_b32_e32 v4, v5, v4
	v_mbcnt_lo_u32_b32 v39, v4, 0
	v_cmp_ne_u32_e64 s20, 0, v4
	s_delay_alu instid0(VALU_DEP_2)
	v_cmp_eq_u32_e32 vcc_lo, 0, v39
	s_and_b32 s27, s20, vcc_lo
	s_wait_alu 0xfffe
	s_and_saveexec_b32 s20, s27
	s_cbranch_execz .LBB127_75
; %bb.74:                               ;   in Loop: Header=BB127_67 Depth=1
	s_wait_dscnt 0x0
	v_bcnt_u32_b32 v4, v4, v38
	ds_store_b32 v43, v4 offset:16
.LBB127_75:                             ;   in Loop: Header=BB127_67 Depth=1
	s_wait_alu 0xfffe
	s_or_b32 exec_lo, exec_lo, s20
	v_lshrrev_b32_e32 v4, v51, v58
	; wave barrier
	s_delay_alu instid0(VALU_DEP_1) | instskip(NEXT) | instid1(VALU_DEP_1)
	v_and_b32_e32 v4, s23, v4
	v_and_b32_e32 v5, 1, v4
	v_lshlrev_b32_e32 v6, 30, v4
	v_lshlrev_b32_e32 v7, 29, v4
	;; [unrolled: 1-line block ×4, first 2 shown]
	v_add_co_u32 v5, s20, v5, -1
	s_wait_alu 0xf1ff
	v_cndmask_b32_e64 v9, 0, 1, s20
	v_not_b32_e32 v45, v6
	v_cmp_gt_i32_e64 s20, 0, v6
	v_not_b32_e32 v6, v7
	v_lshlrev_b32_e32 v11, 26, v4
	v_cmp_ne_u32_e32 vcc_lo, 0, v9
	v_ashrrev_i32_e32 v45, 31, v45
	v_lshlrev_b32_e32 v44, 25, v4
	v_ashrrev_i32_e32 v6, 31, v6
	v_lshlrev_b32_e32 v9, 24, v4
	s_wait_alu 0xfffd
	v_xor_b32_e32 v5, vcc_lo, v5
	v_cmp_gt_i32_e32 vcc_lo, 0, v7
	v_not_b32_e32 v7, v8
	s_wait_alu 0xf1ff
	v_xor_b32_e32 v45, s20, v45
	v_cmp_gt_i32_e64 s20, 0, v8
	v_and_b32_e32 v5, exec_lo, v5
	v_not_b32_e32 v8, v10
	v_ashrrev_i32_e32 v7, 31, v7
	s_wait_alu 0xfffd
	v_xor_b32_e32 v6, vcc_lo, v6
	v_cmp_gt_i32_e32 vcc_lo, 0, v10
	v_and_b32_e32 v5, v5, v45
	v_not_b32_e32 v10, v11
	v_ashrrev_i32_e32 v8, 31, v8
	s_wait_alu 0xf1ff
	v_xor_b32_e32 v7, s20, v7
	v_cmp_gt_i32_e64 s20, 0, v11
	v_and_b32_e32 v5, v5, v6
	v_not_b32_e32 v6, v44
	v_ashrrev_i32_e32 v10, 31, v10
	s_wait_alu 0xfffd
	v_xor_b32_e32 v8, vcc_lo, v8
	v_cmp_gt_i32_e32 vcc_lo, 0, v44
	v_and_b32_e32 v5, v5, v7
	v_not_b32_e32 v7, v9
	v_ashrrev_i32_e32 v6, 31, v6
	s_wait_alu 0xf1ff
	v_xor_b32_e32 v10, s20, v10
	v_lshlrev_b32_e32 v4, 4, v4
	v_and_b32_e32 v5, v5, v8
	v_cmp_gt_i32_e64 s20, 0, v9
	v_ashrrev_i32_e32 v7, 31, v7
	s_wait_alu 0xfffd
	v_xor_b32_e32 v6, vcc_lo, v6
	v_add_nc_u32_e32 v46, v50, v4
	v_and_b32_e32 v5, v5, v10
	s_wait_alu 0xf1ff
	v_xor_b32_e32 v4, s20, v7
	ds_load_b32 v44, v46 offset:16
	v_and_b32_e32 v5, v5, v6
	; wave barrier
	s_delay_alu instid0(VALU_DEP_1) | instskip(NEXT) | instid1(VALU_DEP_1)
	v_and_b32_e32 v4, v5, v4
	v_mbcnt_lo_u32_b32 v45, v4, 0
	v_cmp_ne_u32_e64 s20, 0, v4
	s_delay_alu instid0(VALU_DEP_2)
	v_cmp_eq_u32_e32 vcc_lo, 0, v45
	s_and_b32 s27, s20, vcc_lo
	s_wait_alu 0xfffe
	s_and_saveexec_b32 s20, s27
	s_cbranch_execz .LBB127_77
; %bb.76:                               ;   in Loop: Header=BB127_67 Depth=1
	s_wait_dscnt 0x0
	v_bcnt_u32_b32 v4, v4, v44
	ds_store_b32 v46, v4 offset:16
.LBB127_77:                             ;   in Loop: Header=BB127_67 Depth=1
	s_wait_alu 0xfffe
	s_or_b32 exec_lo, exec_lo, s20
	v_lshrrev_b32_e32 v4, v51, v57
	; wave barrier
	s_delay_alu instid0(VALU_DEP_1) | instskip(NEXT) | instid1(VALU_DEP_1)
	v_and_b32_e32 v4, s23, v4
	v_and_b32_e32 v5, 1, v4
	v_lshlrev_b32_e32 v6, 30, v4
	v_lshlrev_b32_e32 v7, 29, v4
	v_lshlrev_b32_e32 v8, 28, v4
	v_lshlrev_b32_e32 v10, 27, v4
	v_add_co_u32 v5, s20, v5, -1
	s_wait_alu 0xf1ff
	v_cndmask_b32_e64 v9, 0, 1, s20
	v_not_b32_e32 v48, v6
	v_cmp_gt_i32_e64 s20, 0, v6
	v_not_b32_e32 v6, v7
	v_lshlrev_b32_e32 v11, 26, v4
	v_cmp_ne_u32_e32 vcc_lo, 0, v9
	v_ashrrev_i32_e32 v48, 31, v48
	v_lshlrev_b32_e32 v47, 25, v4
	v_ashrrev_i32_e32 v6, 31, v6
	v_lshlrev_b32_e32 v9, 24, v4
	s_wait_alu 0xfffd
	v_xor_b32_e32 v5, vcc_lo, v5
	v_cmp_gt_i32_e32 vcc_lo, 0, v7
	v_not_b32_e32 v7, v8
	s_wait_alu 0xf1ff
	v_xor_b32_e32 v48, s20, v48
	v_cmp_gt_i32_e64 s20, 0, v8
	v_and_b32_e32 v5, exec_lo, v5
	v_not_b32_e32 v8, v10
	v_ashrrev_i32_e32 v7, 31, v7
	s_wait_alu 0xfffd
	v_xor_b32_e32 v6, vcc_lo, v6
	v_cmp_gt_i32_e32 vcc_lo, 0, v10
	v_and_b32_e32 v5, v5, v48
	v_not_b32_e32 v10, v11
	v_ashrrev_i32_e32 v8, 31, v8
	s_wait_alu 0xf1ff
	v_xor_b32_e32 v7, s20, v7
	v_cmp_gt_i32_e64 s20, 0, v11
	v_and_b32_e32 v5, v5, v6
	v_not_b32_e32 v6, v47
	v_ashrrev_i32_e32 v10, 31, v10
	s_wait_alu 0xfffd
	v_xor_b32_e32 v8, vcc_lo, v8
	v_cmp_gt_i32_e32 vcc_lo, 0, v47
	v_and_b32_e32 v5, v5, v7
	v_not_b32_e32 v7, v9
	v_ashrrev_i32_e32 v6, 31, v6
	s_wait_alu 0xf1ff
	v_xor_b32_e32 v10, s20, v10
	v_lshlrev_b32_e32 v4, 4, v4
	v_and_b32_e32 v5, v5, v8
	v_cmp_gt_i32_e64 s20, 0, v9
	v_ashrrev_i32_e32 v7, 31, v7
	s_wait_alu 0xfffd
	v_xor_b32_e32 v6, vcc_lo, v6
	v_add_nc_u32_e32 v62, v50, v4
	v_and_b32_e32 v5, v5, v10
	s_wait_alu 0xf1ff
	v_xor_b32_e32 v4, s20, v7
	ds_load_b32 v47, v62 offset:16
	v_and_b32_e32 v5, v5, v6
	; wave barrier
	s_delay_alu instid0(VALU_DEP_1) | instskip(NEXT) | instid1(VALU_DEP_1)
	v_and_b32_e32 v4, v5, v4
	v_mbcnt_lo_u32_b32 v48, v4, 0
	v_cmp_ne_u32_e64 s20, 0, v4
	s_delay_alu instid0(VALU_DEP_2)
	v_cmp_eq_u32_e32 vcc_lo, 0, v48
	s_and_b32 s27, s20, vcc_lo
	s_wait_alu 0xfffe
	s_and_saveexec_b32 s20, s27
	s_cbranch_execz .LBB127_79
; %bb.78:                               ;   in Loop: Header=BB127_67 Depth=1
	s_wait_dscnt 0x0
	v_bcnt_u32_b32 v4, v4, v47
	ds_store_b32 v62, v4 offset:16
.LBB127_79:                             ;   in Loop: Header=BB127_67 Depth=1
	s_wait_alu 0xfffe
	s_or_b32 exec_lo, exec_lo, s20
	v_lshrrev_b32_e32 v4, v51, v56
	; wave barrier
	s_delay_alu instid0(VALU_DEP_1) | instskip(NEXT) | instid1(VALU_DEP_1)
	v_and_b32_e32 v4, s23, v4
	v_and_b32_e32 v5, 1, v4
	v_lshlrev_b32_e32 v6, 30, v4
	v_lshlrev_b32_e32 v7, 29, v4
	;; [unrolled: 1-line block ×4, first 2 shown]
	v_add_co_u32 v5, s20, v5, -1
	s_wait_alu 0xf1ff
	v_cndmask_b32_e64 v9, 0, 1, s20
	v_not_b32_e32 v64, v6
	v_cmp_gt_i32_e64 s20, 0, v6
	v_not_b32_e32 v6, v7
	v_lshlrev_b32_e32 v11, 26, v4
	v_cmp_ne_u32_e32 vcc_lo, 0, v9
	v_ashrrev_i32_e32 v64, 31, v64
	v_lshlrev_b32_e32 v63, 25, v4
	v_ashrrev_i32_e32 v6, 31, v6
	v_lshlrev_b32_e32 v9, 24, v4
	s_wait_alu 0xfffd
	v_xor_b32_e32 v5, vcc_lo, v5
	v_cmp_gt_i32_e32 vcc_lo, 0, v7
	v_not_b32_e32 v7, v8
	s_wait_alu 0xf1ff
	v_xor_b32_e32 v64, s20, v64
	v_cmp_gt_i32_e64 s20, 0, v8
	v_and_b32_e32 v5, exec_lo, v5
	v_not_b32_e32 v8, v10
	v_ashrrev_i32_e32 v7, 31, v7
	s_wait_alu 0xfffd
	v_xor_b32_e32 v6, vcc_lo, v6
	v_cmp_gt_i32_e32 vcc_lo, 0, v10
	v_and_b32_e32 v5, v5, v64
	v_not_b32_e32 v10, v11
	v_ashrrev_i32_e32 v8, 31, v8
	s_wait_alu 0xf1ff
	v_xor_b32_e32 v7, s20, v7
	v_cmp_gt_i32_e64 s20, 0, v11
	v_and_b32_e32 v5, v5, v6
	v_not_b32_e32 v6, v63
	v_ashrrev_i32_e32 v10, 31, v10
	s_wait_alu 0xfffd
	v_xor_b32_e32 v8, vcc_lo, v8
	v_cmp_gt_i32_e32 vcc_lo, 0, v63
	v_and_b32_e32 v5, v5, v7
	v_not_b32_e32 v7, v9
	v_ashrrev_i32_e32 v6, 31, v6
	s_wait_alu 0xf1ff
	v_xor_b32_e32 v10, s20, v10
	v_lshlrev_b32_e32 v4, 4, v4
	v_and_b32_e32 v5, v5, v8
	v_cmp_gt_i32_e64 s20, 0, v9
	v_ashrrev_i32_e32 v7, 31, v7
	s_wait_alu 0xfffd
	v_xor_b32_e32 v6, vcc_lo, v6
	v_add_nc_u32_e32 v65, v50, v4
	v_and_b32_e32 v5, v5, v10
	s_wait_alu 0xf1ff
	v_xor_b32_e32 v4, s20, v7
	ds_load_b32 v63, v65 offset:16
	v_and_b32_e32 v5, v5, v6
	; wave barrier
	s_delay_alu instid0(VALU_DEP_1) | instskip(NEXT) | instid1(VALU_DEP_1)
	v_and_b32_e32 v4, v5, v4
	v_mbcnt_lo_u32_b32 v64, v4, 0
	v_cmp_ne_u32_e64 s20, 0, v4
	s_delay_alu instid0(VALU_DEP_2)
	v_cmp_eq_u32_e32 vcc_lo, 0, v64
	s_and_b32 s27, s20, vcc_lo
	s_wait_alu 0xfffe
	s_and_saveexec_b32 s20, s27
	s_cbranch_execz .LBB127_81
; %bb.80:                               ;   in Loop: Header=BB127_67 Depth=1
	s_wait_dscnt 0x0
	v_bcnt_u32_b32 v4, v4, v63
	ds_store_b32 v65, v4 offset:16
.LBB127_81:                             ;   in Loop: Header=BB127_67 Depth=1
	s_wait_alu 0xfffe
	s_or_b32 exec_lo, exec_lo, s20
	v_lshrrev_b32_e32 v4, v51, v55
	; wave barrier
	s_delay_alu instid0(VALU_DEP_1) | instskip(NEXT) | instid1(VALU_DEP_1)
	v_and_b32_e32 v4, s23, v4
	v_and_b32_e32 v5, 1, v4
	v_lshlrev_b32_e32 v6, 30, v4
	v_lshlrev_b32_e32 v7, 29, v4
	;; [unrolled: 1-line block ×4, first 2 shown]
	v_add_co_u32 v5, s20, v5, -1
	s_wait_alu 0xf1ff
	v_cndmask_b32_e64 v9, 0, 1, s20
	v_not_b32_e32 v67, v6
	v_cmp_gt_i32_e64 s20, 0, v6
	v_not_b32_e32 v6, v7
	v_lshlrev_b32_e32 v11, 26, v4
	v_cmp_ne_u32_e32 vcc_lo, 0, v9
	v_ashrrev_i32_e32 v67, 31, v67
	v_lshlrev_b32_e32 v66, 25, v4
	v_ashrrev_i32_e32 v6, 31, v6
	v_lshlrev_b32_e32 v9, 24, v4
	s_wait_alu 0xfffd
	v_xor_b32_e32 v5, vcc_lo, v5
	v_cmp_gt_i32_e32 vcc_lo, 0, v7
	v_not_b32_e32 v7, v8
	s_wait_alu 0xf1ff
	v_xor_b32_e32 v67, s20, v67
	v_cmp_gt_i32_e64 s20, 0, v8
	v_and_b32_e32 v5, exec_lo, v5
	v_not_b32_e32 v8, v10
	v_ashrrev_i32_e32 v7, 31, v7
	s_wait_alu 0xfffd
	v_xor_b32_e32 v6, vcc_lo, v6
	v_cmp_gt_i32_e32 vcc_lo, 0, v10
	v_and_b32_e32 v5, v5, v67
	v_not_b32_e32 v10, v11
	v_ashrrev_i32_e32 v8, 31, v8
	s_wait_alu 0xf1ff
	v_xor_b32_e32 v7, s20, v7
	v_cmp_gt_i32_e64 s20, 0, v11
	v_and_b32_e32 v5, v5, v6
	v_not_b32_e32 v6, v66
	v_ashrrev_i32_e32 v10, 31, v10
	s_wait_alu 0xfffd
	v_xor_b32_e32 v8, vcc_lo, v8
	v_cmp_gt_i32_e32 vcc_lo, 0, v66
	v_and_b32_e32 v5, v5, v7
	v_not_b32_e32 v7, v9
	v_ashrrev_i32_e32 v6, 31, v6
	s_wait_alu 0xf1ff
	v_xor_b32_e32 v10, s20, v10
	v_lshlrev_b32_e32 v4, 4, v4
	v_and_b32_e32 v5, v5, v8
	v_cmp_gt_i32_e64 s20, 0, v9
	v_ashrrev_i32_e32 v7, 31, v7
	s_wait_alu 0xfffd
	v_xor_b32_e32 v6, vcc_lo, v6
	v_add_nc_u32_e32 v66, v50, v4
	v_and_b32_e32 v5, v5, v10
	s_wait_alu 0xf1ff
	v_xor_b32_e32 v4, s20, v7
	ds_load_b32 v71, v66 offset:16
	v_and_b32_e32 v5, v5, v6
	; wave barrier
	s_delay_alu instid0(VALU_DEP_1) | instskip(NEXT) | instid1(VALU_DEP_1)
	v_and_b32_e32 v4, v5, v4
	v_mbcnt_lo_u32_b32 v72, v4, 0
	v_cmp_ne_u32_e64 s20, 0, v4
	s_delay_alu instid0(VALU_DEP_2)
	v_cmp_eq_u32_e32 vcc_lo, 0, v72
	s_and_b32 s23, s20, vcc_lo
	s_wait_alu 0xfffe
	s_and_saveexec_b32 s20, s23
	s_cbranch_execz .LBB127_83
; %bb.82:                               ;   in Loop: Header=BB127_67 Depth=1
	s_wait_dscnt 0x0
	v_bcnt_u32_b32 v4, v4, v71
	ds_store_b32 v66, v4 offset:16
.LBB127_83:                             ;   in Loop: Header=BB127_67 Depth=1
	s_wait_alu 0xfffe
	s_or_b32 exec_lo, exec_lo, s20
	; wave barrier
	s_wait_loadcnt_dscnt 0x0
	s_barrier_signal -1
	s_barrier_wait -1
	global_inv scope:SCOPE_SE
	ds_load_b128 v[8:11], v90 offset:16
	ds_load_b128 v[4:7], v90 offset:32
	s_wait_dscnt 0x1
	v_add_nc_u32_e32 v67, v9, v8
	s_delay_alu instid0(VALU_DEP_1) | instskip(SKIP_1) | instid1(VALU_DEP_1)
	v_add3_u32 v67, v67, v10, v11
	s_wait_dscnt 0x0
	v_add3_u32 v67, v67, v4, v5
	s_delay_alu instid0(VALU_DEP_1) | instskip(NEXT) | instid1(VALU_DEP_1)
	v_add3_u32 v7, v67, v6, v7
	v_mov_b32_dpp v67, v7 row_shr:1 row_mask:0xf bank_mask:0xf
	s_delay_alu instid0(VALU_DEP_1) | instskip(NEXT) | instid1(VALU_DEP_1)
	v_cndmask_b32_e64 v67, v67, 0, s8
	v_add_nc_u32_e32 v7, v67, v7
	s_delay_alu instid0(VALU_DEP_1) | instskip(NEXT) | instid1(VALU_DEP_1)
	v_mov_b32_dpp v67, v7 row_shr:2 row_mask:0xf bank_mask:0xf
	v_cndmask_b32_e64 v67, 0, v67, s10
	s_delay_alu instid0(VALU_DEP_1) | instskip(NEXT) | instid1(VALU_DEP_1)
	v_add_nc_u32_e32 v7, v7, v67
	v_mov_b32_dpp v67, v7 row_shr:4 row_mask:0xf bank_mask:0xf
	s_delay_alu instid0(VALU_DEP_1) | instskip(NEXT) | instid1(VALU_DEP_1)
	v_cndmask_b32_e64 v67, 0, v67, s11
	v_add_nc_u32_e32 v7, v7, v67
	s_delay_alu instid0(VALU_DEP_1) | instskip(NEXT) | instid1(VALU_DEP_1)
	v_mov_b32_dpp v67, v7 row_shr:8 row_mask:0xf bank_mask:0xf
	v_cndmask_b32_e64 v67, 0, v67, s12
	s_delay_alu instid0(VALU_DEP_1) | instskip(SKIP_3) | instid1(VALU_DEP_1)
	v_add_nc_u32_e32 v7, v7, v67
	ds_swizzle_b32 v67, v7 offset:swizzle(BROADCAST,32,15)
	s_wait_dscnt 0x0
	v_cndmask_b32_e64 v67, v67, 0, s13
	v_add_nc_u32_e32 v7, v7, v67
	s_and_saveexec_b32 s20, s14
; %bb.84:                               ;   in Loop: Header=BB127_67 Depth=1
	ds_store_b32 v92, v7
; %bb.85:                               ;   in Loop: Header=BB127_67 Depth=1
	s_wait_alu 0xfffe
	s_or_b32 exec_lo, exec_lo, s20
	s_wait_loadcnt_dscnt 0x0
	s_barrier_signal -1
	s_barrier_wait -1
	global_inv scope:SCOPE_SE
	s_and_saveexec_b32 s20, s15
	s_cbranch_execz .LBB127_87
; %bb.86:                               ;   in Loop: Header=BB127_67 Depth=1
	ds_load_b32 v67, v52
	s_wait_dscnt 0x0
	v_mov_b32_dpp v68, v67 row_shr:1 row_mask:0xf bank_mask:0xf
	s_delay_alu instid0(VALU_DEP_1) | instskip(NEXT) | instid1(VALU_DEP_1)
	v_cndmask_b32_e64 v68, v68, 0, s18
	v_add_nc_u32_e32 v67, v68, v67
	s_delay_alu instid0(VALU_DEP_1) | instskip(NEXT) | instid1(VALU_DEP_1)
	v_mov_b32_dpp v68, v67 row_shr:2 row_mask:0xf bank_mask:0xf
	v_cndmask_b32_e64 v68, 0, v68, s19
	s_delay_alu instid0(VALU_DEP_1)
	v_add_nc_u32_e32 v67, v67, v68
	ds_store_b32 v52, v67
.LBB127_87:                             ;   in Loop: Header=BB127_67 Depth=1
	s_wait_alu 0xfffe
	s_or_b32 exec_lo, exec_lo, s20
	v_mov_b32_e32 v67, 0
	s_wait_loadcnt_dscnt 0x0
	s_barrier_signal -1
	s_barrier_wait -1
	global_inv scope:SCOPE_SE
	s_and_saveexec_b32 s20, s16
; %bb.88:                               ;   in Loop: Header=BB127_67 Depth=1
	ds_load_b32 v67, v49
; %bb.89:                               ;   in Loop: Header=BB127_67 Depth=1
	s_wait_alu 0xfffe
	s_or_b32 exec_lo, exec_lo, s20
	s_wait_dscnt 0x0
	v_add_nc_u32_e32 v7, v67, v7
	v_cmp_lt_u32_e32 vcc_lo, 23, v51
	v_readfirstlane_b32 s20, v0
	s_mov_b32 s23, -1
	ds_bpermute_b32 v7, v36, v7
	s_and_b32 vcc_lo, exec_lo, vcc_lo
	s_wait_dscnt 0x0
	v_cndmask_b32_e64 v7, v7, v67, s9
	s_delay_alu instid0(VALU_DEP_1) | instskip(NEXT) | instid1(VALU_DEP_1)
	v_cndmask_b32_e64 v7, v7, 0, s17
	v_add_nc_u32_e32 v8, v7, v8
	s_delay_alu instid0(VALU_DEP_1) | instskip(NEXT) | instid1(VALU_DEP_1)
	v_add_nc_u32_e32 v9, v8, v9
	v_add_nc_u32_e32 v10, v9, v10
	s_delay_alu instid0(VALU_DEP_1) | instskip(NEXT) | instid1(VALU_DEP_1)
	v_add_nc_u32_e32 v67, v10, v11
	;; [unrolled: 3-line block ×3, first 2 shown]
	v_add_nc_u32_e32 v70, v69, v6
	ds_store_b128 v90, v[7:10] offset:16
	ds_store_b128 v90, v[67:70] offset:32
	s_wait_loadcnt_dscnt 0x0
	s_barrier_signal -1
	s_barrier_wait -1
	global_inv scope:SCOPE_SE
	ds_load_b32 v4, v13 offset:16
	ds_load_b32 v5, v16 offset:16
	;; [unrolled: 1-line block ×8, first 2 shown]
	s_wait_dscnt 0x7
	v_add_nc_u32_e32 v70, v4, v12
	s_wait_dscnt 0x6
	v_add3_u32 v69, v15, v14, v5
	s_wait_dscnt 0x5
	v_add3_u32 v68, v18, v17, v6
	;; [unrolled: 2-line block ×7, first 2 shown]
                                        ; implicit-def: $vgpr48
                                        ; implicit-def: $vgpr46
                                        ; implicit-def: $vgpr44
                                        ; implicit-def: $vgpr39
                                        ; implicit-def: $vgpr18_vgpr19
                                        ; implicit-def: $vgpr14_vgpr15
                                        ; implicit-def: $vgpr10_vgpr11
                                        ; implicit-def: $vgpr6_vgpr7
	s_wait_alu 0xfffe
	s_cbranch_vccnz .LBB127_66
; %bb.90:                               ;   in Loop: Header=BB127_67 Depth=1
	v_lshlrev_b32_e32 v4, 2, v70
	v_lshlrev_b32_e32 v5, 2, v69
	;; [unrolled: 1-line block ×3, first 2 shown]
	s_wait_loadcnt 0x0
	s_barrier_signal -1
	s_barrier_wait -1
	global_inv scope:SCOPE_SE
	ds_store_b32 v4, v54
	ds_store_b32 v5, v61
	ds_store_b32 v6, v60
	v_lshlrev_b32_e32 v7, 2, v67
	v_add_nc_u32_e32 v4, v4, v4
	v_lshlrev_b32_e32 v8, 2, v66
	v_add_nc_u32_e32 v5, v5, v5
	;; [unrolled: 2-line block ×3, first 2 shown]
	v_lshlrev_b32_e32 v10, 2, v63
	v_lshlrev_b32_e32 v11, 2, v62
	ds_store_b32 v7, v59
	ds_store_b32 v8, v58
	;; [unrolled: 1-line block ×5, first 2 shown]
	s_wait_loadcnt_dscnt 0x0
	s_barrier_signal -1
	s_barrier_wait -1
	global_inv scope:SCOPE_SE
	ds_load_2addr_b32 v[38:39], v91 offset1:32
	ds_load_2addr_b32 v[43:44], v91 offset0:64 offset1:96
	ds_load_2addr_b32 v[45:46], v91 offset0:128 offset1:160
	;; [unrolled: 1-line block ×3, first 2 shown]
	s_wait_loadcnt_dscnt 0x0
	s_barrier_signal -1
	s_barrier_wait -1
	global_inv scope:SCOPE_SE
	ds_store_b64 v4, v[34:35]
	ds_store_b64 v5, v[32:33]
	;; [unrolled: 1-line block ×3, first 2 shown]
	v_add_nc_u32_e32 v4, v7, v7
	v_add_nc_u32_e32 v5, v8, v8
	;; [unrolled: 1-line block ×5, first 2 shown]
	ds_store_b64 v4, v[28:29]
	ds_store_b64 v5, v[26:27]
	;; [unrolled: 1-line block ×5, first 2 shown]
	s_wait_loadcnt_dscnt 0x0
	s_barrier_signal -1
	s_barrier_wait -1
	global_inv scope:SCOPE_SE
	ds_load_2addr_b64 v[4:7], v53 offset1:32
	ds_load_2addr_b64 v[8:11], v53 offset0:64 offset1:96
	ds_load_2addr_b64 v[12:15], v53 offset0:128 offset1:160
	;; [unrolled: 1-line block ×3, first 2 shown]
	v_add_nc_u32_e32 v51, 8, v51
	s_add_co_i32 s20, s22, -8
	s_mov_b32 s23, 0
	s_wait_loadcnt_dscnt 0x0
	s_barrier_signal -1
	s_barrier_wait -1
	global_inv scope:SCOPE_SE
	s_branch .LBB127_66
.LBB127_91:
	v_lshlrev_b32_e32 v8, 2, v70
	v_lshlrev_b32_e32 v9, 2, v69
	;; [unrolled: 1-line block ×3, first 2 shown]
	s_wait_loadcnt 0x0
	s_barrier_signal -1
	s_barrier_wait -1
	global_inv scope:SCOPE_SE
	ds_store_b32 v8, v54
	ds_store_b32 v9, v61
	;; [unrolled: 1-line block ×3, first 2 shown]
	v_lshlrev_b32_e32 v11, 2, v67
	v_add_nc_u32_e32 v8, v8, v8
	v_lshlrev_b32_e32 v12, 2, v66
	v_add_nc_u32_e32 v9, v9, v9
	;; [unrolled: 2-line block ×3, first 2 shown]
	v_lshlrev_b32_e32 v14, 2, v63
	v_lshlrev_b32_e32 v15, 2, v62
	ds_store_b32 v11, v59
	ds_store_b32 v12, v58
	;; [unrolled: 1-line block ×5, first 2 shown]
	s_wait_loadcnt_dscnt 0x0
	s_barrier_signal -1
	s_barrier_wait -1
	global_inv scope:SCOPE_SE
	ds_load_b128 v[0:3], v90
	ds_load_b128 v[4:7], v90 offset:16
	s_wait_loadcnt_dscnt 0x0
	s_barrier_signal -1
	s_barrier_wait -1
	global_inv scope:SCOPE_SE
	ds_store_b64 v8, v[34:35]
	ds_store_b64 v9, v[32:33]
	;; [unrolled: 1-line block ×3, first 2 shown]
	v_add_nc_u32_e32 v8, v11, v11
	v_add_nc_u32_e32 v9, v12, v12
	;; [unrolled: 1-line block ×5, first 2 shown]
	ds_store_b64 v8, v[28:29]
	ds_store_b64 v9, v[26:27]
	;; [unrolled: 1-line block ×5, first 2 shown]
	v_lshl_add_u32 v8, v42, 5, v90
	s_wait_loadcnt_dscnt 0x0
	s_barrier_signal -1
	s_barrier_wait -1
	global_inv scope:SCOPE_SE
	ds_load_b128 v[29:32], v8
	ds_load_b128 v[25:28], v8 offset:16
	ds_load_b128 v[21:24], v8 offset:32
	;; [unrolled: 1-line block ×3, first 2 shown]
	v_xor_b32_e32 v33, 0x7fffffff, v0
	v_xor_b32_e32 v35, 0x7fffffff, v1
	;; [unrolled: 1-line block ×8, first 2 shown]
.LBB127_92:
	s_wait_loadcnt_dscnt 0x0
	s_barrier_signal -1
	s_barrier_wait -1
	global_inv scope:SCOPE_SE
	ds_store_2addr_b32 v80, v33, v35 offset1:1
	ds_store_2addr_b32 v80, v34, v38 offset0:2 offset1:3
	ds_store_2addr_b32 v80, v36, v51 offset0:4 offset1:5
	;; [unrolled: 1-line block ×3, first 2 shown]
	s_wait_loadcnt_dscnt 0x0
	s_barrier_signal -1
	s_barrier_wait -1
	global_inv scope:SCOPE_SE
	ds_load_b32 v8, v41 offset:512
	ds_load_b32 v7, v74 offset:1024
	;; [unrolled: 1-line block ×7, first 2 shown]
	v_mov_b32_e32 v41, 0
	s_delay_alu instid0(VALU_DEP_1) | instskip(NEXT) | instid1(VALU_DEP_1)
	v_lshlrev_b64_e32 v[0:1], 2, v[40:41]
	v_add_co_u32 v0, vcc_lo, s30, v0
	s_wait_alu 0xfffd
	s_delay_alu instid0(VALU_DEP_2)
	v_add_co_ci_u32_e64 v1, null, s31, v1, vcc_lo
	s_and_saveexec_b32 s8, s0
	s_cbranch_execnz .LBB127_111
; %bb.93:
	s_wait_alu 0xfffe
	s_or_b32 exec_lo, exec_lo, s8
	s_and_saveexec_b32 s8, s1
	s_cbranch_execnz .LBB127_112
.LBB127_94:
	s_wait_alu 0xfffe
	s_or_b32 exec_lo, exec_lo, s8
	s_and_saveexec_b32 s8, s2
	s_cbranch_execnz .LBB127_113
.LBB127_95:
	s_wait_alu 0xfffe
	s_or_b32 exec_lo, exec_lo, s8
	s_and_saveexec_b32 s8, s3
	s_cbranch_execnz .LBB127_114
.LBB127_96:
	s_wait_alu 0xfffe
	s_or_b32 exec_lo, exec_lo, s8
	s_and_saveexec_b32 s8, s4
	s_cbranch_execnz .LBB127_115
.LBB127_97:
	s_wait_alu 0xfffe
	s_or_b32 exec_lo, exec_lo, s8
	s_and_saveexec_b32 s8, s5
	s_cbranch_execnz .LBB127_116
.LBB127_98:
	s_wait_alu 0xfffe
	s_or_b32 exec_lo, exec_lo, s8
	s_and_saveexec_b32 s8, s6
	s_cbranch_execnz .LBB127_117
.LBB127_99:
	s_wait_alu 0xfffe
	s_or_b32 exec_lo, exec_lo, s8
	s_and_saveexec_b32 s8, s7
	s_cbranch_execz .LBB127_101
.LBB127_100:
	s_mul_i32 s10, s26, 0x380
	s_mov_b32 s11, 0
	s_wait_alu 0xfffe
	s_lshl_b64 s[10:11], s[10:11], 2
	s_wait_alu 0xfffe
	v_add_co_u32 v0, vcc_lo, v0, s10
	s_wait_alu 0xfffd
	v_add_co_ci_u32_e64 v1, null, s11, v1, vcc_lo
	s_wait_dscnt 0x0
	global_store_b32 v[0:1], v2, off
.LBB127_101:
	s_wait_alu 0xfffe
	s_or_b32 exec_lo, exec_lo, s8
	s_wait_storecnt 0x0
	s_wait_loadcnt_dscnt 0x0
	s_barrier_signal -1
	s_barrier_wait -1
	global_inv scope:SCOPE_SE
	ds_store_2addr_b64 v89, v[29:30], v[31:32] offset1:1
	ds_store_2addr_b64 v89, v[25:26], v[27:28] offset0:2 offset1:3
	ds_store_2addr_b64 v89, v[21:22], v[23:24] offset0:4 offset1:5
	;; [unrolled: 1-line block ×3, first 2 shown]
	s_wait_loadcnt_dscnt 0x0
	s_barrier_signal -1
	s_barrier_wait -1
	global_inv scope:SCOPE_SE
	ds_load_b64 v[14:15], v82 offset:1024
	ds_load_b64 v[12:13], v83 offset:2048
	;; [unrolled: 1-line block ×7, first 2 shown]
	v_mov_b32_e32 v38, 0
	s_delay_alu instid0(VALU_DEP_1) | instskip(NEXT) | instid1(VALU_DEP_1)
	v_lshlrev_b64_e32 v[2:3], 3, v[37:38]
	v_add_co_u32 v2, vcc_lo, s24, v2
	s_wait_alu 0xfffd
	s_delay_alu instid0(VALU_DEP_2)
	v_add_co_ci_u32_e64 v3, null, s25, v3, vcc_lo
	s_and_saveexec_b32 s8, s0
	s_cbranch_execnz .LBB127_118
; %bb.102:
	s_wait_alu 0xfffe
	s_or_b32 exec_lo, exec_lo, s8
	s_and_saveexec_b32 s0, s1
	s_cbranch_execnz .LBB127_119
.LBB127_103:
	s_or_b32 exec_lo, exec_lo, s0
	s_and_saveexec_b32 s0, s2
	s_cbranch_execnz .LBB127_120
.LBB127_104:
	s_or_b32 exec_lo, exec_lo, s0
	s_and_saveexec_b32 s0, s3
	s_cbranch_execnz .LBB127_121
.LBB127_105:
	s_or_b32 exec_lo, exec_lo, s0
	s_and_saveexec_b32 s0, s4
	s_cbranch_execnz .LBB127_122
.LBB127_106:
	s_or_b32 exec_lo, exec_lo, s0
	s_and_saveexec_b32 s0, s5
	s_cbranch_execnz .LBB127_123
.LBB127_107:
	s_or_b32 exec_lo, exec_lo, s0
	s_and_saveexec_b32 s0, s6
	s_cbranch_execnz .LBB127_124
.LBB127_108:
	s_or_b32 exec_lo, exec_lo, s0
	s_and_saveexec_b32 s0, s7
	s_cbranch_execz .LBB127_110
.LBB127_109:
	s_mul_i32 s0, s28, 0x380
	s_mov_b32 s1, 0
	s_delay_alu instid0(SALU_CYCLE_1) | instskip(NEXT) | instid1(SALU_CYCLE_1)
	s_lshl_b64 s[0:1], s[0:1], 3
	v_add_co_u32 v2, vcc_lo, v2, s0
	s_wait_alu 0xfffd
	v_add_co_ci_u32_e64 v3, null, s1, v3, vcc_lo
	s_wait_dscnt 0x0
	global_store_b64 v[2:3], v[0:1], off
.LBB127_110:
	s_nop 0
	s_sendmsg sendmsg(MSG_DEALLOC_VGPRS)
	s_endpgm
.LBB127_111:
	ds_load_b32 v9, v73
	s_wait_dscnt 0x0
	global_store_b32 v[0:1], v9, off
	s_wait_alu 0xfffe
	s_or_b32 exec_lo, exec_lo, s8
	s_and_saveexec_b32 s8, s1
	s_cbranch_execz .LBB127_94
.LBB127_112:
	s_lshl_b32 s10, s26, 7
	s_mov_b32 s11, 0
	s_wait_alu 0xfffe
	s_lshl_b64 s[10:11], s[10:11], 2
	s_wait_alu 0xfffe
	v_add_co_u32 v9, vcc_lo, v0, s10
	s_wait_alu 0xfffd
	v_add_co_ci_u32_e64 v10, null, s11, v1, vcc_lo
	s_wait_dscnt 0x6
	global_store_b32 v[9:10], v8, off
	s_or_b32 exec_lo, exec_lo, s8
	s_and_saveexec_b32 s8, s2
	s_cbranch_execz .LBB127_95
.LBB127_113:
	s_lshl_b32 s10, s26, 8
	s_mov_b32 s11, 0
	s_wait_alu 0xfffe
	s_lshl_b64 s[10:11], s[10:11], 2
	s_wait_dscnt 0x6
	s_wait_alu 0xfffe
	v_add_co_u32 v8, vcc_lo, v0, s10
	s_wait_alu 0xfffd
	v_add_co_ci_u32_e64 v9, null, s11, v1, vcc_lo
	s_wait_dscnt 0x5
	global_store_b32 v[8:9], v7, off
	s_or_b32 exec_lo, exec_lo, s8
	s_and_saveexec_b32 s8, s3
	s_cbranch_execz .LBB127_96
.LBB127_114:
	s_mul_i32 s10, s26, 0x180
	s_mov_b32 s11, 0
	s_wait_alu 0xfffe
	s_lshl_b64 s[10:11], s[10:11], 2
	s_wait_dscnt 0x5
	s_wait_alu 0xfffe
	v_add_co_u32 v7, vcc_lo, v0, s10
	s_wait_alu 0xfffd
	v_add_co_ci_u32_e64 v8, null, s11, v1, vcc_lo
	s_wait_dscnt 0x4
	global_store_b32 v[7:8], v6, off
	s_or_b32 exec_lo, exec_lo, s8
	s_and_saveexec_b32 s8, s4
	s_cbranch_execz .LBB127_97
.LBB127_115:
	s_lshl_b32 s10, s26, 9
	s_mov_b32 s11, 0
	s_wait_alu 0xfffe
	s_lshl_b64 s[10:11], s[10:11], 2
	s_wait_dscnt 0x4
	s_wait_alu 0xfffe
	v_add_co_u32 v6, vcc_lo, v0, s10
	s_wait_alu 0xfffd
	v_add_co_ci_u32_e64 v7, null, s11, v1, vcc_lo
	s_wait_dscnt 0x3
	global_store_b32 v[6:7], v5, off
	s_or_b32 exec_lo, exec_lo, s8
	s_and_saveexec_b32 s8, s5
	s_cbranch_execz .LBB127_98
.LBB127_116:
	s_mul_i32 s10, s26, 0x280
	s_mov_b32 s11, 0
	s_wait_alu 0xfffe
	s_lshl_b64 s[10:11], s[10:11], 2
	s_wait_dscnt 0x3
	s_wait_alu 0xfffe
	v_add_co_u32 v5, vcc_lo, v0, s10
	s_wait_alu 0xfffd
	v_add_co_ci_u32_e64 v6, null, s11, v1, vcc_lo
	s_wait_dscnt 0x2
	global_store_b32 v[5:6], v4, off
	s_or_b32 exec_lo, exec_lo, s8
	s_and_saveexec_b32 s8, s6
	s_cbranch_execz .LBB127_99
.LBB127_117:
	s_mul_i32 s10, s26, 0x300
	s_mov_b32 s11, 0
	s_wait_alu 0xfffe
	s_lshl_b64 s[10:11], s[10:11], 2
	s_wait_dscnt 0x2
	s_wait_alu 0xfffe
	v_add_co_u32 v4, vcc_lo, v0, s10
	s_wait_alu 0xfffd
	v_add_co_ci_u32_e64 v5, null, s11, v1, vcc_lo
	s_wait_dscnt 0x1
	global_store_b32 v[4:5], v3, off
	s_or_b32 exec_lo, exec_lo, s8
	s_and_saveexec_b32 s8, s7
	s_cbranch_execnz .LBB127_100
	s_branch .LBB127_101
.LBB127_118:
	ds_load_b64 v[16:17], v81
	s_wait_dscnt 0x0
	global_store_b64 v[2:3], v[16:17], off
	s_wait_alu 0xfffe
	s_or_b32 exec_lo, exec_lo, s8
	s_and_saveexec_b32 s0, s1
	s_cbranch_execz .LBB127_103
.LBB127_119:
	s_lshl_b32 s8, s28, 7
	s_mov_b32 s9, 0
	s_wait_alu 0xfffe
	s_lshl_b64 s[8:9], s[8:9], 3
	s_wait_alu 0xfffe
	v_add_co_u32 v16, vcc_lo, v2, s8
	s_wait_alu 0xfffd
	v_add_co_ci_u32_e64 v17, null, s9, v3, vcc_lo
	s_wait_dscnt 0x6
	global_store_b64 v[16:17], v[14:15], off
	s_or_b32 exec_lo, exec_lo, s0
	s_and_saveexec_b32 s0, s2
	s_cbranch_execz .LBB127_104
.LBB127_120:
	s_lshl_b32 s8, s28, 8
	s_mov_b32 s9, 0
	s_wait_alu 0xfffe
	s_lshl_b64 s[8:9], s[8:9], 3
	s_wait_dscnt 0x6
	s_wait_alu 0xfffe
	v_add_co_u32 v14, vcc_lo, v2, s8
	s_wait_alu 0xfffd
	v_add_co_ci_u32_e64 v15, null, s9, v3, vcc_lo
	s_wait_dscnt 0x5
	global_store_b64 v[14:15], v[12:13], off
	s_or_b32 exec_lo, exec_lo, s0
	s_and_saveexec_b32 s0, s3
	s_cbranch_execz .LBB127_105
.LBB127_121:
	s_mul_i32 s2, s28, 0x180
	s_mov_b32 s3, 0
	s_wait_alu 0xfffe
	s_lshl_b64 s[2:3], s[2:3], 3
	s_wait_dscnt 0x5
	s_wait_alu 0xfffe
	v_add_co_u32 v12, vcc_lo, v2, s2
	s_wait_alu 0xfffd
	v_add_co_ci_u32_e64 v13, null, s3, v3, vcc_lo
	s_wait_dscnt 0x4
	global_store_b64 v[12:13], v[10:11], off
	s_or_b32 exec_lo, exec_lo, s0
	s_and_saveexec_b32 s0, s4
	s_cbranch_execz .LBB127_106
.LBB127_122:
	s_lshl_b32 s2, s28, 9
	s_mov_b32 s3, 0
	s_wait_alu 0xfffe
	s_lshl_b64 s[2:3], s[2:3], 3
	s_wait_dscnt 0x4
	s_wait_alu 0xfffe
	v_add_co_u32 v10, vcc_lo, v2, s2
	s_wait_alu 0xfffd
	v_add_co_ci_u32_e64 v11, null, s3, v3, vcc_lo
	s_wait_dscnt 0x3
	global_store_b64 v[10:11], v[8:9], off
	s_or_b32 exec_lo, exec_lo, s0
	s_and_saveexec_b32 s0, s5
	s_cbranch_execz .LBB127_107
.LBB127_123:
	s_mul_i32 s2, s28, 0x280
	s_mov_b32 s3, 0
	s_wait_alu 0xfffe
	s_lshl_b64 s[2:3], s[2:3], 3
	s_wait_dscnt 0x3
	s_wait_alu 0xfffe
	v_add_co_u32 v8, vcc_lo, v2, s2
	s_wait_alu 0xfffd
	v_add_co_ci_u32_e64 v9, null, s3, v3, vcc_lo
	s_wait_dscnt 0x2
	global_store_b64 v[8:9], v[6:7], off
	s_or_b32 exec_lo, exec_lo, s0
	s_and_saveexec_b32 s0, s6
	s_cbranch_execz .LBB127_108
.LBB127_124:
	s_mul_i32 s2, s28, 0x300
	s_mov_b32 s3, 0
	s_wait_alu 0xfffe
	s_lshl_b64 s[2:3], s[2:3], 3
	s_wait_dscnt 0x2
	s_wait_alu 0xfffe
	v_add_co_u32 v6, vcc_lo, v2, s2
	s_wait_alu 0xfffd
	v_add_co_ci_u32_e64 v7, null, s3, v3, vcc_lo
	s_wait_dscnt 0x1
	global_store_b64 v[6:7], v[4:5], off
	s_or_b32 exec_lo, exec_lo, s0
	s_and_saveexec_b32 s0, s7
	s_cbranch_execnz .LBB127_109
	s_branch .LBB127_110
	.section	.rodata,"a",@progbits
	.p2align	6, 0x0
	.amdhsa_kernel _ZN2at6native18radixSortKVInPlaceILi2ELin1ELi128ELi8EiljEEvNS_4cuda6detail10TensorInfoIT3_T5_EES6_S6_S6_NS4_IT4_S6_EES6_b
		.amdhsa_group_segment_fixed_size 8448
		.amdhsa_private_segment_fixed_size 0
		.amdhsa_kernarg_size 712
		.amdhsa_user_sgpr_count 2
		.amdhsa_user_sgpr_dispatch_ptr 0
		.amdhsa_user_sgpr_queue_ptr 0
		.amdhsa_user_sgpr_kernarg_segment_ptr 1
		.amdhsa_user_sgpr_dispatch_id 0
		.amdhsa_user_sgpr_private_segment_size 0
		.amdhsa_wavefront_size32 1
		.amdhsa_uses_dynamic_stack 0
		.amdhsa_enable_private_segment 0
		.amdhsa_system_sgpr_workgroup_id_x 1
		.amdhsa_system_sgpr_workgroup_id_y 1
		.amdhsa_system_sgpr_workgroup_id_z 1
		.amdhsa_system_sgpr_workgroup_info 0
		.amdhsa_system_vgpr_workitem_id 2
		.amdhsa_next_free_vgpr 128
		.amdhsa_next_free_sgpr 40
		.amdhsa_reserve_vcc 1
		.amdhsa_float_round_mode_32 0
		.amdhsa_float_round_mode_16_64 0
		.amdhsa_float_denorm_mode_32 3
		.amdhsa_float_denorm_mode_16_64 3
		.amdhsa_fp16_overflow 0
		.amdhsa_workgroup_processor_mode 1
		.amdhsa_memory_ordered 1
		.amdhsa_forward_progress 1
		.amdhsa_inst_pref_size 114
		.amdhsa_round_robin_scheduling 0
		.amdhsa_exception_fp_ieee_invalid_op 0
		.amdhsa_exception_fp_denorm_src 0
		.amdhsa_exception_fp_ieee_div_zero 0
		.amdhsa_exception_fp_ieee_overflow 0
		.amdhsa_exception_fp_ieee_underflow 0
		.amdhsa_exception_fp_ieee_inexact 0
		.amdhsa_exception_int_div_zero 0
	.end_amdhsa_kernel
	.section	.text._ZN2at6native18radixSortKVInPlaceILi2ELin1ELi128ELi8EiljEEvNS_4cuda6detail10TensorInfoIT3_T5_EES6_S6_S6_NS4_IT4_S6_EES6_b,"axG",@progbits,_ZN2at6native18radixSortKVInPlaceILi2ELin1ELi128ELi8EiljEEvNS_4cuda6detail10TensorInfoIT3_T5_EES6_S6_S6_NS4_IT4_S6_EES6_b,comdat
.Lfunc_end127:
	.size	_ZN2at6native18radixSortKVInPlaceILi2ELin1ELi128ELi8EiljEEvNS_4cuda6detail10TensorInfoIT3_T5_EES6_S6_S6_NS4_IT4_S6_EES6_b, .Lfunc_end127-_ZN2at6native18radixSortKVInPlaceILi2ELin1ELi128ELi8EiljEEvNS_4cuda6detail10TensorInfoIT3_T5_EES6_S6_S6_NS4_IT4_S6_EES6_b
                                        ; -- End function
	.set _ZN2at6native18radixSortKVInPlaceILi2ELin1ELi128ELi8EiljEEvNS_4cuda6detail10TensorInfoIT3_T5_EES6_S6_S6_NS4_IT4_S6_EES6_b.num_vgpr, 128
	.set _ZN2at6native18radixSortKVInPlaceILi2ELin1ELi128ELi8EiljEEvNS_4cuda6detail10TensorInfoIT3_T5_EES6_S6_S6_NS4_IT4_S6_EES6_b.num_agpr, 0
	.set _ZN2at6native18radixSortKVInPlaceILi2ELin1ELi128ELi8EiljEEvNS_4cuda6detail10TensorInfoIT3_T5_EES6_S6_S6_NS4_IT4_S6_EES6_b.numbered_sgpr, 40
	.set _ZN2at6native18radixSortKVInPlaceILi2ELin1ELi128ELi8EiljEEvNS_4cuda6detail10TensorInfoIT3_T5_EES6_S6_S6_NS4_IT4_S6_EES6_b.num_named_barrier, 0
	.set _ZN2at6native18radixSortKVInPlaceILi2ELin1ELi128ELi8EiljEEvNS_4cuda6detail10TensorInfoIT3_T5_EES6_S6_S6_NS4_IT4_S6_EES6_b.private_seg_size, 0
	.set _ZN2at6native18radixSortKVInPlaceILi2ELin1ELi128ELi8EiljEEvNS_4cuda6detail10TensorInfoIT3_T5_EES6_S6_S6_NS4_IT4_S6_EES6_b.uses_vcc, 1
	.set _ZN2at6native18radixSortKVInPlaceILi2ELin1ELi128ELi8EiljEEvNS_4cuda6detail10TensorInfoIT3_T5_EES6_S6_S6_NS4_IT4_S6_EES6_b.uses_flat_scratch, 0
	.set _ZN2at6native18radixSortKVInPlaceILi2ELin1ELi128ELi8EiljEEvNS_4cuda6detail10TensorInfoIT3_T5_EES6_S6_S6_NS4_IT4_S6_EES6_b.has_dyn_sized_stack, 0
	.set _ZN2at6native18radixSortKVInPlaceILi2ELin1ELi128ELi8EiljEEvNS_4cuda6detail10TensorInfoIT3_T5_EES6_S6_S6_NS4_IT4_S6_EES6_b.has_recursion, 0
	.set _ZN2at6native18radixSortKVInPlaceILi2ELin1ELi128ELi8EiljEEvNS_4cuda6detail10TensorInfoIT3_T5_EES6_S6_S6_NS4_IT4_S6_EES6_b.has_indirect_call, 0
	.section	.AMDGPU.csdata,"",@progbits
; Kernel info:
; codeLenInByte = 14500
; TotalNumSgprs: 42
; NumVgprs: 128
; ScratchSize: 0
; MemoryBound: 0
; FloatMode: 240
; IeeeMode: 1
; LDSByteSize: 8448 bytes/workgroup (compile time only)
; SGPRBlocks: 0
; VGPRBlocks: 15
; NumSGPRsForWavesPerEU: 42
; NumVGPRsForWavesPerEU: 128
; Occupancy: 10
; WaveLimiterHint : 1
; COMPUTE_PGM_RSRC2:SCRATCH_EN: 0
; COMPUTE_PGM_RSRC2:USER_SGPR: 2
; COMPUTE_PGM_RSRC2:TRAP_HANDLER: 0
; COMPUTE_PGM_RSRC2:TGID_X_EN: 1
; COMPUTE_PGM_RSRC2:TGID_Y_EN: 1
; COMPUTE_PGM_RSRC2:TGID_Z_EN: 1
; COMPUTE_PGM_RSRC2:TIDIG_COMP_CNT: 2
	.section	.text._ZN2at6native18radixSortKVInPlaceILi2ELin1ELi32ELi4EiljEEvNS_4cuda6detail10TensorInfoIT3_T5_EES6_S6_S6_NS4_IT4_S6_EES6_b,"axG",@progbits,_ZN2at6native18radixSortKVInPlaceILi2ELin1ELi32ELi4EiljEEvNS_4cuda6detail10TensorInfoIT3_T5_EES6_S6_S6_NS4_IT4_S6_EES6_b,comdat
	.protected	_ZN2at6native18radixSortKVInPlaceILi2ELin1ELi32ELi4EiljEEvNS_4cuda6detail10TensorInfoIT3_T5_EES6_S6_S6_NS4_IT4_S6_EES6_b ; -- Begin function _ZN2at6native18radixSortKVInPlaceILi2ELin1ELi32ELi4EiljEEvNS_4cuda6detail10TensorInfoIT3_T5_EES6_S6_S6_NS4_IT4_S6_EES6_b
	.globl	_ZN2at6native18radixSortKVInPlaceILi2ELin1ELi32ELi4EiljEEvNS_4cuda6detail10TensorInfoIT3_T5_EES6_S6_S6_NS4_IT4_S6_EES6_b
	.p2align	8
	.type	_ZN2at6native18radixSortKVInPlaceILi2ELin1ELi32ELi4EiljEEvNS_4cuda6detail10TensorInfoIT3_T5_EES6_S6_S6_NS4_IT4_S6_EES6_b,@function
_ZN2at6native18radixSortKVInPlaceILi2ELin1ELi32ELi4EiljEEvNS_4cuda6detail10TensorInfoIT3_T5_EES6_S6_S6_NS4_IT4_S6_EES6_b: ; @_ZN2at6native18radixSortKVInPlaceILi2ELin1ELi32ELi4EiljEEvNS_4cuda6detail10TensorInfoIT3_T5_EES6_S6_S6_NS4_IT4_S6_EES6_b
; %bb.0:
	s_clause 0x1
	s_load_b64 s[2:3], s[0:1], 0x1c8
	s_load_b96 s[16:18], s[0:1], 0xd8
	s_lshr_b32 s4, ttmp7, 16
	s_wait_kmcnt 0x0
	s_mul_i32 s3, s3, s4
	s_and_b32 s4, ttmp7, 0xffff
	s_delay_alu instid0(SALU_CYCLE_1) | instskip(NEXT) | instid1(SALU_CYCLE_1)
	s_add_co_i32 s3, s3, s4
	s_mul_i32 s2, s3, s2
	s_delay_alu instid0(SALU_CYCLE_1) | instskip(NEXT) | instid1(SALU_CYCLE_1)
	s_add_co_i32 s2, s2, ttmp9
	s_cmp_ge_u32 s2, s16
	s_cbranch_scc1 .LBB128_62
; %bb.1:
	s_clause 0x2
	s_load_b32 s14, s[0:1], 0xc
	s_load_b64 s[4:5], s[0:1], 0x6c
	s_load_b32 s12, s[0:1], 0x1b8
	s_add_nc_u64 s[10:11], s[0:1], 0xe8
	s_wait_kmcnt 0x0
	s_cvt_f32_u32 s3, s14
	s_delay_alu instid0(SALU_CYCLE_3) | instskip(NEXT) | instid1(TRANS32_DEP_1)
	v_rcp_iflag_f32_e32 v1, s3
	v_readfirstlane_b32 s3, v1
	s_mul_f32 s3, s3, 0x4f7ffffe
	s_wait_alu 0xfffe
	s_delay_alu instid0(SALU_CYCLE_2) | instskip(SKIP_2) | instid1(SALU_CYCLE_1)
	s_cvt_u32_f32 s6, s3
	s_sub_co_i32 s3, 0, s14
	s_wait_alu 0xfffe
	s_mul_i32 s7, s3, s6
	s_mov_b32 s3, 0
	s_mul_hi_u32 s8, s6, s7
	s_wait_alu 0xfffe
	s_mov_b32 s7, s3
	s_add_co_i32 s6, s6, s8
	s_cmp_lt_i32 s12, 2
	s_mov_b32 s8, s2
	s_mov_b32 s9, s3
	s_cbranch_scc1 .LBB128_4
; %bb.2:
	s_add_co_i32 s8, s12, -1
	s_mov_b32 s9, 0
	s_add_co_i32 s15, s12, 1
	s_lshl_b64 s[20:21], s[8:9], 2
	s_mov_b32 s8, s2
	s_add_nc_u64 s[20:21], s[10:11], s[20:21]
	s_delay_alu instid0(SALU_CYCLE_1)
	s_add_nc_u64 s[12:13], s[20:21], 8
.LBB128_3:                              ; =>This Inner Loop Header: Depth=1
	s_clause 0x1
	s_load_b32 s16, s[12:13], 0x0
	s_load_b32 s19, s[12:13], 0x64
	s_mov_b32 s22, s8
	s_add_nc_u64 s[12:13], s[12:13], -4
	s_wait_kmcnt 0x0
	s_cvt_f32_u32 s20, s16
	s_sub_co_i32 s21, 0, s16
	s_wait_alu 0xfffe
	s_delay_alu instid0(SALU_CYCLE_1) | instskip(NEXT) | instid1(TRANS32_DEP_1)
	v_rcp_iflag_f32_e32 v1, s20
	v_readfirstlane_b32 s20, v1
	s_mul_f32 s20, s20, 0x4f7ffffe
	s_wait_alu 0xfffe
	s_delay_alu instid0(SALU_CYCLE_2) | instskip(SKIP_1) | instid1(SALU_CYCLE_2)
	s_cvt_u32_f32 s20, s20
	s_wait_alu 0xfffe
	s_mul_i32 s21, s21, s20
	s_wait_alu 0xfffe
	s_mul_hi_u32 s21, s20, s21
	s_wait_alu 0xfffe
	s_add_co_i32 s20, s20, s21
	s_wait_alu 0xfffe
	s_mul_hi_u32 s8, s8, s20
	s_delay_alu instid0(SALU_CYCLE_1)
	s_mul_i32 s20, s8, s16
	s_add_co_i32 s21, s8, 1
	s_wait_alu 0xfffe
	s_sub_co_i32 s20, s22, s20
	s_wait_alu 0xfffe
	s_sub_co_i32 s23, s20, s16
	s_cmp_ge_u32 s20, s16
	s_cselect_b32 s8, s21, s8
	s_cselect_b32 s20, s23, s20
	s_add_co_i32 s21, s8, 1
	s_wait_alu 0xfffe
	s_cmp_ge_u32 s20, s16
	s_cselect_b32 s8, s21, s8
	s_add_co_i32 s15, s15, -1
	s_mul_i32 s16, s8, s16
	s_delay_alu instid0(SALU_CYCLE_1) | instskip(NEXT) | instid1(SALU_CYCLE_1)
	s_sub_co_i32 s16, s22, s16
	s_mul_i32 s16, s19, s16
	s_delay_alu instid0(SALU_CYCLE_1)
	s_add_co_i32 s9, s16, s9
	s_cmp_gt_u32 s15, 2
	s_cbranch_scc1 .LBB128_3
.LBB128_4:
	s_mul_u64 s[6:7], s[2:3], s[6:7]
	s_clause 0x1
	s_load_b64 s[12:13], s[0:1], 0x0
	s_load_b64 s[20:21], s[0:1], 0x1c0
	s_mul_i32 s3, s7, s14
	s_add_nc_u64 s[24:25], s[0:1], 0x1c8
	s_wait_alu 0xfffe
	s_sub_co_i32 s0, s2, s3
	s_add_co_i32 s1, s7, 1
	s_sub_co_i32 s3, s0, s14
	s_cmp_ge_u32 s0, s14
	s_cselect_b32 s1, s1, s7
	s_wait_alu 0xfffe
	s_cselect_b32 s0, s3, s0
	s_add_co_i32 s3, s1, 1
	s_cmp_ge_u32 s0, s14
	s_wait_alu 0xfffe
	s_cselect_b32 s0, s3, s1
	s_mov_b32 s3, 0
	s_mul_i32 s1, s0, s14
	s_mul_i32 s0, s0, s4
	s_sub_co_i32 s1, s2, s1
	s_brev_b32 s4, 1
	s_mul_i32 s1, s1, s5
	s_delay_alu instid0(SALU_CYCLE_1) | instskip(SKIP_3) | instid1(SALU_CYCLE_1)
	s_add_co_i32 s2, s0, s1
	s_wait_kmcnt 0x0
	s_bitcmp1_b32 s21, 0
	s_cselect_b32 s14, -1, 0
	s_and_b32 s0, s14, exec_lo
	s_cselect_b32 s4, s4, 0x7fffffff
	s_wait_alu 0xfffe
	s_lshl_b64 s[2:3], s[2:3], 2
	s_mov_b32 s5, s4
	s_mov_b32 s6, s4
	;; [unrolled: 1-line block ×3, first 2 shown]
	v_and_b32_e32 v21, 0x3ff, v0
	v_dual_mov_b32 v1, s4 :: v_dual_mov_b32 v4, s7
	v_dual_mov_b32 v2, s5 :: v_dual_mov_b32 v3, s6
	v_mov_b32_e32 v6, s4
	s_delay_alu instid0(VALU_DEP_4)
	v_mul_lo_u32 v17, s18, v21
	v_cmp_gt_u32_e64 s0, s17, v21
	s_wait_alu 0xfffe
	s_add_nc_u64 s[22:23], s[12:13], s[2:3]
	s_and_saveexec_b32 s1, s0
	s_cbranch_execz .LBB128_6
; %bb.5:
	v_mov_b32_e32 v18, 0
	s_delay_alu instid0(VALU_DEP_1) | instskip(NEXT) | instid1(VALU_DEP_1)
	v_lshlrev_b64_e32 v[1:2], 2, v[17:18]
	v_add_co_u32 v1, vcc_lo, s22, v1
	s_delay_alu instid0(VALU_DEP_1)
	v_add_co_ci_u32_e64 v2, null, s23, v2, vcc_lo
	global_load_b32 v6, v[1:2], off
	v_dual_mov_b32 v1, s4 :: v_dual_mov_b32 v2, s5
	v_dual_mov_b32 v3, s6 :: v_dual_mov_b32 v4, s7
.LBB128_6:
	s_or_b32 exec_lo, exec_lo, s1
	v_add_nc_u32_e32 v5, 32, v21
	s_delay_alu instid0(VALU_DEP_1)
	v_cmp_gt_u32_e64 s1, s17, v5
	s_and_saveexec_b32 s2, s1
	s_cbranch_execz .LBB128_8
; %bb.7:
	v_mul_lo_u32 v1, s18, v5
	v_mov_b32_e32 v2, 0
	s_delay_alu instid0(VALU_DEP_1) | instskip(NEXT) | instid1(VALU_DEP_1)
	v_lshlrev_b64_e32 v[1:2], 2, v[1:2]
	v_add_co_u32 v1, vcc_lo, s22, v1
	s_wait_alu 0xfffd
	s_delay_alu instid0(VALU_DEP_2)
	v_add_co_ci_u32_e64 v2, null, s23, v2, vcc_lo
	global_load_b32 v2, v[1:2], off
.LBB128_8:
	s_wait_alu 0xfffe
	s_or_b32 exec_lo, exec_lo, s2
	v_add_nc_u32_e32 v9, 64, v21
	s_delay_alu instid0(VALU_DEP_1)
	v_cmp_gt_u32_e64 s2, s17, v9
	s_and_saveexec_b32 s3, s2
	s_cbranch_execz .LBB128_10
; %bb.9:
	v_mul_lo_u32 v7, s18, v9
	v_mov_b32_e32 v8, 0
	s_delay_alu instid0(VALU_DEP_1) | instskip(NEXT) | instid1(VALU_DEP_1)
	v_lshlrev_b64_e32 v[7:8], 2, v[7:8]
	v_add_co_u32 v7, vcc_lo, s22, v7
	s_wait_alu 0xfffd
	s_delay_alu instid0(VALU_DEP_2)
	v_add_co_ci_u32_e64 v8, null, s23, v8, vcc_lo
	global_load_b32 v3, v[7:8], off
.LBB128_10:
	s_wait_alu 0xfffe
	s_or_b32 exec_lo, exec_lo, s3
	s_clause 0x1
	s_load_b32 s6, s[10:11], 0x6c
	s_load_b64 s[4:5], s[10:11], 0x0
	v_add_nc_u32_e32 v10, 0x60, v21
	s_delay_alu instid0(VALU_DEP_1)
	v_cmp_gt_u32_e64 s3, s17, v10
	s_and_saveexec_b32 s7, s3
	s_cbranch_execz .LBB128_12
; %bb.11:
	v_mul_lo_u32 v7, s18, v10
	v_mov_b32_e32 v8, 0
	s_delay_alu instid0(VALU_DEP_1) | instskip(NEXT) | instid1(VALU_DEP_1)
	v_lshlrev_b64_e32 v[7:8], 2, v[7:8]
	v_add_co_u32 v7, vcc_lo, s22, v7
	s_wait_alu 0xfffd
	s_delay_alu instid0(VALU_DEP_2)
	v_add_co_ci_u32_e64 v8, null, s23, v8, vcc_lo
	global_load_b32 v4, v[7:8], off
.LBB128_12:
	s_wait_alu 0xfffe
	s_or_b32 exec_lo, exec_lo, s7
	v_lshrrev_b32_e32 v1, 5, v21
	v_lshrrev_b32_e32 v7, 5, v5
	;; [unrolled: 1-line block ×3, first 2 shown]
	v_lshlrev_b32_e32 v41, 2, v21
	v_lshrrev_b32_e32 v11, 5, v10
	v_add_nc_u32_e32 v1, v1, v21
	v_add_nc_u32_e32 v12, v7, v21
	v_lshrrev_b32_e32 v7, 3, v21
	v_add_nc_u32_e32 v13, v8, v21
	v_add_nc_u32_e32 v11, v11, v21
	v_lshlrev_b32_e32 v38, 2, v1
	v_lshlrev_b32_e32 v18, 2, v12
	v_add_nc_u32_e32 v1, v7, v41
	v_lshlrev_b32_e32 v39, 2, v13
	v_lshlrev_b32_e32 v40, 2, v11
	s_wait_loadcnt 0x0
	ds_store_b32 v38, v6
	ds_store_b32 v18, v2 offset:128
	ds_store_b32 v39, v3 offset:256
	;; [unrolled: 1-line block ×3, first 2 shown]
	v_lshlrev_b32_e32 v42, 2, v1
	s_wait_dscnt 0x0
	; wave barrier
	global_inv scope:SCOPE_SE
	ds_load_2addr_b32 v[24:25], v42 offset1:1
	ds_load_2addr_b32 v[22:23], v42 offset0:2 offset1:3
	s_wait_kmcnt 0x0
	s_mul_i32 s6, s6, s8
	v_mul_lo_u32 v19, s20, v21
	s_wait_alu 0xfffe
	s_add_co_i32 s6, s6, s9
	s_mov_b32 s7, 0
	v_mov_b32_e32 v1, 0
	v_dual_mov_b32 v3, 0 :: v_dual_mov_b32 v2, 0
	v_mov_b32_e32 v4, 0
	s_wait_alu 0xfffe
	s_lshl_b64 s[6:7], s[6:7], 3
	s_wait_loadcnt_dscnt 0x0
	s_wait_alu 0xfffe
	s_add_nc_u64 s[16:17], s[4:5], s[6:7]
	; wave barrier
	global_inv scope:SCOPE_SE
	s_and_saveexec_b32 s4, s0
	s_cbranch_execz .LBB128_14
; %bb.13:
	v_mov_b32_e32 v20, 0
	s_delay_alu instid0(VALU_DEP_1) | instskip(SKIP_1) | instid1(VALU_DEP_1)
	v_lshlrev_b64_e32 v[3:4], 3, v[19:20]
	s_wait_alu 0xfffe
	v_add_co_u32 v3, vcc_lo, s16, v3
	s_wait_alu 0xfffd
	s_delay_alu instid0(VALU_DEP_2)
	v_add_co_ci_u32_e64 v4, null, s17, v4, vcc_lo
	global_load_b64 v[3:4], v[3:4], off
.LBB128_14:
	s_wait_alu 0xfffe
	s_or_b32 exec_lo, exec_lo, s4
	s_and_saveexec_b32 s4, s1
	s_cbranch_execz .LBB128_16
; %bb.15:
	v_mul_lo_u32 v1, s20, v5
	v_mov_b32_e32 v2, 0
	s_delay_alu instid0(VALU_DEP_1) | instskip(NEXT) | instid1(VALU_DEP_1)
	v_lshlrev_b64_e32 v[1:2], 3, v[1:2]
	v_add_co_u32 v1, vcc_lo, s16, v1
	s_wait_alu 0xfffd
	s_delay_alu instid0(VALU_DEP_2)
	v_add_co_ci_u32_e64 v2, null, s17, v2, vcc_lo
	global_load_b64 v[1:2], v[1:2], off
.LBB128_16:
	s_wait_alu 0xfffe
	s_or_b32 exec_lo, exec_lo, s4
	v_mov_b32_e32 v5, 0
	v_dual_mov_b32 v6, 0 :: v_dual_mov_b32 v7, 0
	v_mov_b32_e32 v8, 0
	s_and_saveexec_b32 s4, s2
	s_cbranch_execz .LBB128_18
; %bb.17:
	v_mul_lo_u32 v7, s20, v9
	v_mov_b32_e32 v8, 0
	s_delay_alu instid0(VALU_DEP_1) | instskip(NEXT) | instid1(VALU_DEP_1)
	v_lshlrev_b64_e32 v[7:8], 3, v[7:8]
	v_add_co_u32 v7, vcc_lo, s16, v7
	s_wait_alu 0xfffd
	s_delay_alu instid0(VALU_DEP_2)
	v_add_co_ci_u32_e64 v8, null, s17, v8, vcc_lo
	global_load_b64 v[7:8], v[7:8], off
.LBB128_18:
	s_wait_alu 0xfffe
	s_or_b32 exec_lo, exec_lo, s4
	s_xor_b32 s8, s14, -1
	s_and_saveexec_b32 s4, s3
	s_cbranch_execz .LBB128_20
; %bb.19:
	v_mul_lo_u32 v5, s20, v10
	v_mov_b32_e32 v6, 0
	s_delay_alu instid0(VALU_DEP_1) | instskip(NEXT) | instid1(VALU_DEP_1)
	v_lshlrev_b64_e32 v[5:6], 3, v[5:6]
	v_add_co_u32 v5, vcc_lo, s16, v5
	s_wait_alu 0xfffd
	s_delay_alu instid0(VALU_DEP_2)
	v_add_co_ci_u32_e64 v6, null, s17, v6, vcc_lo
	global_load_b64 v[5:6], v[5:6], off
.LBB128_20:
	s_wait_alu 0xfffe
	s_or_b32 exec_lo, exec_lo, s4
	v_add_nc_u32_e32 v43, v38, v38
	v_lshlrev_b32_e32 v45, 3, v11
	v_add_nc_u32_e32 v46, v42, v42
	v_lshlrev_b32_e32 v20, 3, v12
	v_lshlrev_b32_e32 v44, 3, v13
	s_wait_loadcnt 0x0
	ds_store_b64 v43, v[3:4]
	ds_store_b64 v20, v[1:2] offset:256
	ds_store_b64 v44, v[7:8] offset:512
	;; [unrolled: 1-line block ×3, first 2 shown]
	s_wait_dscnt 0x0
	; wave barrier
	global_inv scope:SCOPE_SE
	ds_load_2addr_b64 v[5:8], v46 offset1:1
	ds_load_2addr_b64 v[1:4], v46 offset0:2 offset1:3
	v_mbcnt_lo_u32_b32 v48, -1, 0
	s_and_b32 vcc_lo, exec_lo, s8
	v_bfe_u32 v52, v0, 10, 10
	v_bfe_u32 v53, v0, 20, 10
	v_lshlrev_b32_e32 v47, 5, v21
	v_and_b32_e32 v9, 3, v48
	v_and_b32_e32 v54, 28, v48
	;; [unrolled: 1-line block ×4, first 2 shown]
	v_cmp_eq_u32_e64 s8, 31, v21
	v_cmp_eq_u32_e64 s7, 0, v9
	;; [unrolled: 1-line block ×5, first 2 shown]
	v_or_b32_e32 v55, 32, v54
	v_cmp_eq_u32_e64 s14, 0, v21
	v_and_or_b32 v49, 0xf80, v41, v48
	s_mov_b32 s9, -1
	s_mov_b32 s15, 32
	; wave barrier
	s_wait_loadcnt_dscnt 0x0
	global_inv scope:SCOPE_SE
                                        ; implicit-def: $vgpr12
                                        ; implicit-def: $vgpr10
                                        ; implicit-def: $vgpr11
                                        ; implicit-def: $vgpr9
	s_wait_alu 0xfffe
	s_cbranch_vccz .LBB128_36
; %bb.21:
	v_xor_b32_e32 v0, 0x80000000, v24
	v_xor_b32_e32 v9, 0x80000000, v25
	;; [unrolled: 1-line block ×4, first 2 shown]
	ds_bpermute_b32 v12, v54, v5
	ds_bpermute_b32 v13, v54, v0
	;; [unrolled: 1-line block ×3, first 2 shown]
	ds_bpermute_b32 v30, v54, v0 offset:64
	ds_bpermute_b32 v32, v54, v10
	ds_bpermute_b32 v26, v55, v0
	ds_bpermute_b32 v34, v54, v9 offset:64
	ds_bpermute_b32 v36, v54, v11
	ds_bpermute_b32 v0, v54, v0 offset:96
	ds_bpermute_b32 v14, v54, v6
	ds_bpermute_b32 v31, v55, v9
	ds_bpermute_b32 v9, v54, v9 offset:96
	ds_bpermute_b32 v15, v54, v7
	ds_bpermute_b32 v16, v54, v8
	;; [unrolled: 1-line block ×4, first 2 shown]
	ds_bpermute_b32 v58, v54, v10 offset:64
	ds_bpermute_b32 v10, v54, v10 offset:96
	ds_bpermute_b32 v28, v54, v1
	ds_bpermute_b32 v29, v54, v2
	;; [unrolled: 1-line block ×3, first 2 shown]
	s_wait_dscnt 0x13
	s_wait_alu 0xf1ff
	v_cndmask_b32_e64 v13, 0, v13, s7
	ds_bpermute_b32 v60, v54, v11 offset:64
	s_wait_dscnt 0x12
	v_cndmask_b32_e64 v30, 0, v30, s7
	ds_bpermute_b32 v11, v54, v11 offset:96
	ds_bpermute_b32 v33, v54, v3
	v_cndmask_b32_e64 v13, v13, v27, s6
	ds_bpermute_b32 v27, v55, v7
	ds_bpermute_b32 v56, v54, v4
	;; [unrolled: 1-line block ×3, first 2 shown]
	s_wait_dscnt 0x15
	v_cndmask_b32_e64 v26, 0, v26, s7
	v_cndmask_b32_e64 v13, v13, v32, s5
	s_wait_dscnt 0x14
	v_cndmask_b32_e64 v30, v30, v34, s6
	s_wait_dscnt 0x12
	;; [unrolled: 2-line block ×4, first 2 shown]
	v_cndmask_b32_e64 v26, v26, v31, s6
	v_cndmask_b32_e64 v34, v13, v36, s4
	ds_bpermute_b32 v13, v55, v1
	ds_bpermute_b32 v31, v55, v8
	v_cndmask_b32_e64 v12, 0, v12, s7
	s_wait_dscnt 0x11
	v_cndmask_b32_e64 v0, v0, v9, s6
	s_wait_dscnt 0xf
	v_cndmask_b32_e64 v9, v14, v16, s6
	s_wait_dscnt 0xe
	v_cndmask_b32_e64 v26, v26, v35, s5
	ds_bpermute_b32 v16, v55, v4
	v_cndmask_b32_e64 v12, v12, v15, s6
	s_wait_dscnt 0xc
	v_cndmask_b32_e64 v0, v0, v10, s5
	v_cndmask_b32_e64 v10, 0, v37, s7
	s_wait_dscnt 0xa
	v_cndmask_b32_e64 v9, v9, v29, s5
	s_wait_dscnt 0x9
	v_cndmask_b32_e64 v35, v26, v59, s4
	v_cndmask_b32_e64 v12, v12, v28, s5
	s_wait_dscnt 0x7
	v_cndmask_b32_e64 v37, v0, v11, s4
	s_wait_dscnt 0x5
	;; [unrolled: 2-line block ×3, first 2 shown]
	v_cndmask_b32_e64 v14, 0, v57, s7
	v_cndmask_b32_e64 v10, v9, v56, s4
	;; [unrolled: 1-line block ×3, first 2 shown]
	ds_bpermute_b32 v12, v55, v2
	ds_bpermute_b32 v26, v54, v6 offset:96
	s_wait_dscnt 0x4
	v_cndmask_b32_e64 v0, v0, v13, s5
	ds_bpermute_b32 v13, v54, v6 offset:64
	s_wait_dscnt 0x4
	v_cndmask_b32_e64 v11, v14, v31, s6
	ds_bpermute_b32 v15, v54, v5 offset:64
	ds_bpermute_b32 v27, v54, v8 offset:64
	;; [unrolled: 1-line block ×4, first 2 shown]
	v_cndmask_b32_e64 v30, v30, v58, s5
	ds_bpermute_b32 v14, v55, v3
	ds_bpermute_b32 v29, v54, v7 offset:64
	ds_bpermute_b32 v33, v54, v7 offset:96
	ds_bpermute_b32 v58, v54, v2 offset:96
	; wave barrier
	s_wait_loadcnt_dscnt 0x0
	global_inv scope:SCOPE_SE
	s_load_b32 s9, s[24:25], 0xc
	v_cndmask_b32_e64 v36, v30, v60, s4
	ds_bpermute_b32 v30, v54, v1 offset:64
	ds_bpermute_b32 v32, v54, v2 offset:64
	;; [unrolled: 1-line block ×6, first 2 shown]
	v_cndmask_b32_e64 v13, 0, v13, s7
	ds_bpermute_b32 v61, v54, v3 offset:96
	v_cndmask_b32_e64 v11, v11, v12, s5
	v_cndmask_b32_e64 v26, 0, v26, s7
	;; [unrolled: 1-line block ×10, first 2 shown]
	s_wait_kmcnt 0x0
	s_lshr_b32 s10, s9, 16
	v_cndmask_b32_e64 v0, v16, v58, s5
	s_wait_dscnt 0x6
	v_cndmask_b32_e64 v15, v15, v30, s5
	s_wait_dscnt 0x5
	;; [unrolled: 2-line block ×3, first 2 shown]
	v_cndmask_b32_e64 v26, v26, v59, s5
	v_cmp_lt_u32_e64 s12, 7, v50
	s_wait_dscnt 0x3
	v_cndmask_b32_e64 v16, v0, v60, s4
	v_mad_u32_u24 v0, v53, s10, v52
	s_getpc_b64 s[10:11]
	s_wait_alu 0xfffe
	s_sext_i32_i16 s11, s11
	s_add_co_u32 s10, s10, _ZN7rocprim17ROCPRIM_400000_NS16block_radix_sortIiLj32ELj4ElLj1ELj1ELj0ELNS0_26block_radix_rank_algorithmE1ELNS0_18block_padding_hintE2ELNS0_4arch9wavefront6targetE0EE19radix_bits_per_passE@rel32@lo+12
	s_wait_alu 0xfffe
	s_add_co_ci_u32 s11, s11, _ZN7rocprim17ROCPRIM_400000_NS16block_radix_sortIiLj32ELj4ElLj1ELj1ELj0ELNS0_26block_radix_rank_algorithmE1ELNS0_18block_padding_hintE2ELNS0_4arch9wavefront6targetE0EE19radix_bits_per_passE@rel32@hi+24
	s_and_b32 s9, s9, 0xffff
	s_wait_dscnt 0x1
	v_cndmask_b32_e64 v14, v13, v57, s4
	v_cndmask_b32_e64 v13, v15, v56, s4
	s_wait_dscnt 0x0
	v_cndmask_b32_e64 v15, v26, v61, s4
	v_mad_co_u64_u32 v[26:27], null, v0, s9, v[21:22]
	v_sub_co_u32 v0, s21, v48, 1
	s_load_b32 s19, s[10:11], 0x0
	v_cmp_eq_u32_e64 s9, 0, v50
	v_cmp_lt_u32_e64 s10, 1, v50
	v_cmp_gt_i32_e32 vcc_lo, 0, v0
	v_lshrrev_b32_e32 v26, 3, v26
	v_cmp_lt_u32_e64 s11, 3, v50
	v_cmp_eq_u32_e64 s13, 0, v51
	s_wait_alu 0xfffd
	v_dual_mov_b32 v58, 0 :: v_dual_cndmask_b32 v27, v0, v48
	v_lshlrev_b32_e32 v0, 2, v49
	v_and_b32_e32 v57, 0x1ffffffc, v26
	v_dual_mov_b32 v59, 0 :: v_dual_mov_b32 v62, 0
	s_delay_alu instid0(VALU_DEP_4) | instskip(NEXT) | instid1(VALU_DEP_4)
	v_lshlrev_b32_e32 v56, 2, v27
	v_add_nc_u32_e32 v60, v0, v0
	s_or_b32 s21, s14, s21
	s_branch .LBB128_23
.LBB128_22:                             ;   in Loop: Header=BB128_23 Depth=1
	s_wait_alu 0xfffe
	s_and_not1_b32 vcc_lo, exec_lo, s26
	s_mov_b32 s15, s14
	s_wait_alu 0xfffe
	s_cbranch_vccz .LBB128_35
.LBB128_23:                             ; =>This Inner Loop Header: Depth=1
	s_wait_kmcnt 0x0
	s_min_u32 s14, s19, s15
	ds_store_2addr_b32 v47, v59, v59 offset0:1 offset1:2
	ds_store_2addr_b32 v47, v59, v59 offset0:3 offset1:4
	;; [unrolled: 1-line block ×4, first 2 shown]
	s_wait_alu 0xfffe
	s_lshl_b32 s14, -1, s14
	s_wait_loadcnt_dscnt 0x0
	s_wait_alu 0xfffe
	s_not_b32 s26, s14
	v_mov_b32_e32 v61, v34
	; wave barrier
	global_inv scope:SCOPE_SE
	; wave barrier
	v_mov_b32_e32 v63, v37
	v_lshrrev_b32_e32 v26, v62, v61
	v_dual_mov_b32 v64, v36 :: v_dual_mov_b32 v65, v35
	s_wait_alu 0xfffe
	s_delay_alu instid0(VALU_DEP_2) | instskip(NEXT) | instid1(VALU_DEP_1)
	v_and_b32_e32 v66, s26, v26
	v_and_b32_e32 v26, 1, v66
	v_lshlrev_b32_e32 v27, 30, v66
	v_lshlrev_b32_e32 v28, 29, v66
	;; [unrolled: 1-line block ×4, first 2 shown]
	v_add_co_u32 v26, s14, v26, -1
	s_wait_alu 0xf1ff
	v_cndmask_b32_e64 v30, 0, 1, s14
	v_not_b32_e32 v34, v27
	v_cmp_gt_i32_e64 s14, 0, v27
	v_not_b32_e32 v27, v28
	v_lshlrev_b32_e32 v32, 26, v66
	v_cmp_ne_u32_e32 vcc_lo, 0, v30
	v_ashrrev_i32_e32 v34, 31, v34
	v_lshlrev_b32_e32 v33, 25, v66
	v_ashrrev_i32_e32 v27, 31, v27
	v_lshlrev_b32_e32 v30, 24, v66
	s_wait_alu 0xfffd
	v_xor_b32_e32 v26, vcc_lo, v26
	v_cmp_gt_i32_e32 vcc_lo, 0, v28
	v_not_b32_e32 v28, v29
	s_wait_alu 0xf1ff
	v_xor_b32_e32 v34, s14, v34
	v_cmp_gt_i32_e64 s14, 0, v29
	v_and_b32_e32 v26, exec_lo, v26
	v_not_b32_e32 v29, v31
	v_ashrrev_i32_e32 v28, 31, v28
	s_wait_alu 0xfffd
	v_xor_b32_e32 v27, vcc_lo, v27
	v_cmp_gt_i32_e32 vcc_lo, 0, v31
	v_and_b32_e32 v26, v26, v34
	v_not_b32_e32 v31, v32
	v_ashrrev_i32_e32 v29, 31, v29
	s_wait_alu 0xf1ff
	v_xor_b32_e32 v28, s14, v28
	v_cmp_gt_i32_e64 s14, 0, v32
	v_and_b32_e32 v26, v26, v27
	v_not_b32_e32 v27, v33
	v_ashrrev_i32_e32 v31, 31, v31
	s_wait_alu 0xfffd
	v_xor_b32_e32 v29, vcc_lo, v29
	v_cmp_gt_i32_e32 vcc_lo, 0, v33
	v_and_b32_e32 v26, v26, v28
	v_ashrrev_i32_e32 v27, 31, v27
	s_wait_alu 0xf1ff
	v_xor_b32_e32 v31, s14, v31
	v_mov_b32_e32 v33, v10
	v_not_b32_e32 v28, v30
	v_and_b32_e32 v26, v26, v29
	v_cmp_gt_i32_e64 s14, 0, v30
	s_wait_alu 0xfffd
	v_xor_b32_e32 v27, vcc_lo, v27
	v_mov_b32_e32 v32, v9
	v_ashrrev_i32_e32 v28, 31, v28
	v_dual_mov_b32 v31, v12 :: v_dual_and_b32 v26, v26, v31
	v_mov_b32_e32 v30, v11
	v_lshl_add_u32 v35, v66, 2, v57
	s_wait_alu 0xf1ff
	v_xor_b32_e32 v28, s14, v28
	v_and_b32_e32 v26, v26, v27
	s_delay_alu instid0(VALU_DEP_1) | instskip(SKIP_2) | instid1(VALU_DEP_3)
	v_dual_mov_b32 v27, v16 :: v_dual_and_b32 v36, v26, v28
	v_dual_mov_b32 v29, v14 :: v_dual_mov_b32 v28, v13
	v_mov_b32_e32 v26, v15
	v_mbcnt_lo_u32_b32 v34, v36, 0
	v_cmp_ne_u32_e64 s14, 0, v36
	s_delay_alu instid0(VALU_DEP_2)
	v_cmp_eq_u32_e32 vcc_lo, 0, v34
	s_and_b32 s27, s14, vcc_lo
	s_wait_alu 0xfffe
	s_and_saveexec_b32 s14, s27
; %bb.24:                               ;   in Loop: Header=BB128_23 Depth=1
	v_bcnt_u32_b32 v9, v36, 0
	ds_store_b32 v35, v9 offset:4
; %bb.25:                               ;   in Loop: Header=BB128_23 Depth=1
	s_wait_alu 0xfffe
	s_or_b32 exec_lo, exec_lo, s14
	v_lshrrev_b32_e32 v9, v62, v65
	; wave barrier
	s_delay_alu instid0(VALU_DEP_1) | instskip(NEXT) | instid1(VALU_DEP_1)
	v_and_b32_e32 v9, s26, v9
	v_and_b32_e32 v10, 1, v9
	v_lshlrev_b32_e32 v11, 30, v9
	v_lshlrev_b32_e32 v12, 29, v9
	;; [unrolled: 1-line block ×4, first 2 shown]
	v_add_co_u32 v10, s14, v10, -1
	s_wait_alu 0xf1ff
	v_cndmask_b32_e64 v14, 0, 1, s14
	v_not_b32_e32 v37, v11
	v_cmp_gt_i32_e64 s14, 0, v11
	v_not_b32_e32 v11, v12
	v_lshlrev_b32_e32 v16, 26, v9
	v_cmp_ne_u32_e32 vcc_lo, 0, v14
	v_ashrrev_i32_e32 v37, 31, v37
	v_lshlrev_b32_e32 v36, 25, v9
	v_ashrrev_i32_e32 v11, 31, v11
	v_lshlrev_b32_e32 v14, 24, v9
	s_wait_alu 0xfffd
	v_xor_b32_e32 v10, vcc_lo, v10
	v_cmp_gt_i32_e32 vcc_lo, 0, v12
	v_not_b32_e32 v12, v13
	s_wait_alu 0xf1ff
	v_xor_b32_e32 v37, s14, v37
	v_cmp_gt_i32_e64 s14, 0, v13
	v_and_b32_e32 v10, exec_lo, v10
	v_not_b32_e32 v13, v15
	v_ashrrev_i32_e32 v12, 31, v12
	s_wait_alu 0xfffd
	v_xor_b32_e32 v11, vcc_lo, v11
	v_cmp_gt_i32_e32 vcc_lo, 0, v15
	v_and_b32_e32 v10, v10, v37
	v_not_b32_e32 v15, v16
	v_ashrrev_i32_e32 v13, 31, v13
	s_wait_alu 0xf1ff
	v_xor_b32_e32 v12, s14, v12
	v_cmp_gt_i32_e64 s14, 0, v16
	v_and_b32_e32 v10, v10, v11
	v_not_b32_e32 v11, v36
	v_ashrrev_i32_e32 v15, 31, v15
	s_wait_alu 0xfffd
	v_xor_b32_e32 v13, vcc_lo, v13
	v_cmp_gt_i32_e32 vcc_lo, 0, v36
	v_and_b32_e32 v10, v10, v12
	v_not_b32_e32 v12, v14
	v_ashrrev_i32_e32 v11, 31, v11
	s_wait_alu 0xf1ff
	v_xor_b32_e32 v15, s14, v15
	v_cmp_gt_i32_e64 s14, 0, v14
	v_and_b32_e32 v10, v10, v13
	v_ashrrev_i32_e32 v12, 31, v12
	s_wait_alu 0xfffd
	v_xor_b32_e32 v11, vcc_lo, v11
	v_lshl_add_u32 v37, v9, 2, v57
	v_and_b32_e32 v10, v10, v15
	s_wait_alu 0xf1ff
	v_xor_b32_e32 v9, s14, v12
	ds_load_b32 v36, v37 offset:4
	v_and_b32_e32 v10, v10, v11
	; wave barrier
	s_delay_alu instid0(VALU_DEP_1) | instskip(NEXT) | instid1(VALU_DEP_1)
	v_and_b32_e32 v9, v10, v9
	v_mbcnt_lo_u32_b32 v66, v9, 0
	v_cmp_ne_u32_e64 s14, 0, v9
	s_delay_alu instid0(VALU_DEP_2)
	v_cmp_eq_u32_e32 vcc_lo, 0, v66
	s_and_b32 s27, s14, vcc_lo
	s_wait_alu 0xfffe
	s_and_saveexec_b32 s14, s27
	s_cbranch_execz .LBB128_27
; %bb.26:                               ;   in Loop: Header=BB128_23 Depth=1
	s_wait_dscnt 0x0
	v_bcnt_u32_b32 v9, v9, v36
	ds_store_b32 v37, v9 offset:4
.LBB128_27:                             ;   in Loop: Header=BB128_23 Depth=1
	s_wait_alu 0xfffe
	s_or_b32 exec_lo, exec_lo, s14
	v_lshrrev_b32_e32 v9, v62, v64
	; wave barrier
	s_delay_alu instid0(VALU_DEP_1) | instskip(NEXT) | instid1(VALU_DEP_1)
	v_and_b32_e32 v9, s26, v9
	v_and_b32_e32 v10, 1, v9
	v_lshlrev_b32_e32 v11, 30, v9
	v_lshlrev_b32_e32 v12, 29, v9
	;; [unrolled: 1-line block ×4, first 2 shown]
	v_add_co_u32 v10, s14, v10, -1
	s_wait_alu 0xf1ff
	v_cndmask_b32_e64 v14, 0, 1, s14
	v_not_b32_e32 v68, v11
	v_cmp_gt_i32_e64 s14, 0, v11
	v_not_b32_e32 v11, v12
	v_lshlrev_b32_e32 v16, 26, v9
	v_cmp_ne_u32_e32 vcc_lo, 0, v14
	v_ashrrev_i32_e32 v68, 31, v68
	v_lshlrev_b32_e32 v67, 25, v9
	v_ashrrev_i32_e32 v11, 31, v11
	v_lshlrev_b32_e32 v14, 24, v9
	s_wait_alu 0xfffd
	v_xor_b32_e32 v10, vcc_lo, v10
	v_cmp_gt_i32_e32 vcc_lo, 0, v12
	v_not_b32_e32 v12, v13
	s_wait_alu 0xf1ff
	v_xor_b32_e32 v68, s14, v68
	v_cmp_gt_i32_e64 s14, 0, v13
	v_and_b32_e32 v10, exec_lo, v10
	v_not_b32_e32 v13, v15
	v_ashrrev_i32_e32 v12, 31, v12
	s_wait_alu 0xfffd
	v_xor_b32_e32 v11, vcc_lo, v11
	v_cmp_gt_i32_e32 vcc_lo, 0, v15
	v_and_b32_e32 v10, v10, v68
	v_not_b32_e32 v15, v16
	v_ashrrev_i32_e32 v13, 31, v13
	s_wait_alu 0xf1ff
	v_xor_b32_e32 v12, s14, v12
	v_cmp_gt_i32_e64 s14, 0, v16
	v_and_b32_e32 v10, v10, v11
	v_not_b32_e32 v11, v67
	v_ashrrev_i32_e32 v15, 31, v15
	s_wait_alu 0xfffd
	v_xor_b32_e32 v13, vcc_lo, v13
	v_cmp_gt_i32_e32 vcc_lo, 0, v67
	v_and_b32_e32 v10, v10, v12
	v_not_b32_e32 v12, v14
	v_ashrrev_i32_e32 v11, 31, v11
	s_wait_alu 0xf1ff
	v_xor_b32_e32 v15, s14, v15
	v_cmp_gt_i32_e64 s14, 0, v14
	v_and_b32_e32 v10, v10, v13
	v_ashrrev_i32_e32 v12, 31, v12
	s_wait_alu 0xfffd
	v_xor_b32_e32 v11, vcc_lo, v11
	v_lshl_add_u32 v68, v9, 2, v57
	v_and_b32_e32 v10, v10, v15
	s_wait_alu 0xf1ff
	v_xor_b32_e32 v9, s14, v12
	ds_load_b32 v67, v68 offset:4
	v_and_b32_e32 v10, v10, v11
	; wave barrier
	s_delay_alu instid0(VALU_DEP_1) | instskip(NEXT) | instid1(VALU_DEP_1)
	v_and_b32_e32 v9, v10, v9
	v_mbcnt_lo_u32_b32 v69, v9, 0
	v_cmp_ne_u32_e64 s14, 0, v9
	s_delay_alu instid0(VALU_DEP_2)
	v_cmp_eq_u32_e32 vcc_lo, 0, v69
	s_and_b32 s27, s14, vcc_lo
	s_wait_alu 0xfffe
	s_and_saveexec_b32 s14, s27
	s_cbranch_execz .LBB128_29
; %bb.28:                               ;   in Loop: Header=BB128_23 Depth=1
	s_wait_dscnt 0x0
	v_bcnt_u32_b32 v9, v9, v67
	ds_store_b32 v68, v9 offset:4
.LBB128_29:                             ;   in Loop: Header=BB128_23 Depth=1
	s_wait_alu 0xfffe
	s_or_b32 exec_lo, exec_lo, s14
	v_lshrrev_b32_e32 v9, v62, v63
	; wave barrier
	s_delay_alu instid0(VALU_DEP_1) | instskip(NEXT) | instid1(VALU_DEP_1)
	v_and_b32_e32 v9, s26, v9
	v_and_b32_e32 v10, 1, v9
	v_lshlrev_b32_e32 v11, 30, v9
	v_lshlrev_b32_e32 v12, 29, v9
	;; [unrolled: 1-line block ×4, first 2 shown]
	v_add_co_u32 v10, s14, v10, -1
	s_wait_alu 0xf1ff
	v_cndmask_b32_e64 v14, 0, 1, s14
	v_not_b32_e32 v71, v11
	v_cmp_gt_i32_e64 s14, 0, v11
	v_not_b32_e32 v11, v12
	v_lshlrev_b32_e32 v16, 26, v9
	v_cmp_ne_u32_e32 vcc_lo, 0, v14
	v_ashrrev_i32_e32 v71, 31, v71
	v_lshlrev_b32_e32 v70, 25, v9
	v_ashrrev_i32_e32 v11, 31, v11
	v_lshlrev_b32_e32 v14, 24, v9
	s_wait_alu 0xfffd
	v_xor_b32_e32 v10, vcc_lo, v10
	v_cmp_gt_i32_e32 vcc_lo, 0, v12
	v_not_b32_e32 v12, v13
	s_wait_alu 0xf1ff
	v_xor_b32_e32 v71, s14, v71
	v_cmp_gt_i32_e64 s14, 0, v13
	v_and_b32_e32 v10, exec_lo, v10
	v_not_b32_e32 v13, v15
	v_ashrrev_i32_e32 v12, 31, v12
	s_wait_alu 0xfffd
	v_xor_b32_e32 v11, vcc_lo, v11
	v_cmp_gt_i32_e32 vcc_lo, 0, v15
	v_and_b32_e32 v10, v10, v71
	v_not_b32_e32 v15, v16
	v_ashrrev_i32_e32 v13, 31, v13
	s_wait_alu 0xf1ff
	v_xor_b32_e32 v12, s14, v12
	v_cmp_gt_i32_e64 s14, 0, v16
	v_and_b32_e32 v10, v10, v11
	v_not_b32_e32 v11, v70
	v_ashrrev_i32_e32 v15, 31, v15
	s_wait_alu 0xfffd
	v_xor_b32_e32 v13, vcc_lo, v13
	v_cmp_gt_i32_e32 vcc_lo, 0, v70
	v_and_b32_e32 v10, v10, v12
	v_not_b32_e32 v12, v14
	v_ashrrev_i32_e32 v11, 31, v11
	s_wait_alu 0xf1ff
	v_xor_b32_e32 v15, s14, v15
	v_cmp_gt_i32_e64 s14, 0, v14
	v_and_b32_e32 v10, v10, v13
	v_ashrrev_i32_e32 v12, 31, v12
	s_wait_alu 0xfffd
	v_xor_b32_e32 v11, vcc_lo, v11
	v_lshl_add_u32 v70, v9, 2, v57
	v_and_b32_e32 v10, v10, v15
	s_wait_alu 0xf1ff
	v_xor_b32_e32 v9, s14, v12
	ds_load_b32 v71, v70 offset:4
	v_and_b32_e32 v10, v10, v11
	; wave barrier
	s_delay_alu instid0(VALU_DEP_1) | instskip(NEXT) | instid1(VALU_DEP_1)
	v_and_b32_e32 v9, v10, v9
	v_mbcnt_lo_u32_b32 v72, v9, 0
	v_cmp_ne_u32_e64 s14, 0, v9
	s_delay_alu instid0(VALU_DEP_2)
	v_cmp_eq_u32_e32 vcc_lo, 0, v72
	s_and_b32 s26, s14, vcc_lo
	s_wait_alu 0xfffe
	s_and_saveexec_b32 s14, s26
	s_cbranch_execz .LBB128_31
; %bb.30:                               ;   in Loop: Header=BB128_23 Depth=1
	s_wait_dscnt 0x0
	v_bcnt_u32_b32 v9, v9, v71
	ds_store_b32 v70, v9 offset:4
.LBB128_31:                             ;   in Loop: Header=BB128_23 Depth=1
	s_wait_alu 0xfffe
	s_or_b32 exec_lo, exec_lo, s14
	; wave barrier
	; wave barrier
	s_wait_loadcnt_dscnt 0x0
	global_inv scope:SCOPE_SE
	ds_load_2addr_b32 v[15:16], v47 offset0:1 offset1:2
	ds_load_2addr_b32 v[13:14], v47 offset0:3 offset1:4
	;; [unrolled: 1-line block ×4, first 2 shown]
	s_wait_dscnt 0x3
	v_add_nc_u32_e32 v73, v16, v15
	s_wait_dscnt 0x2
	s_delay_alu instid0(VALU_DEP_1) | instskip(SKIP_1) | instid1(VALU_DEP_1)
	v_add3_u32 v73, v73, v13, v14
	s_wait_dscnt 0x1
	v_add3_u32 v73, v73, v11, v12
	s_wait_dscnt 0x0
	s_delay_alu instid0(VALU_DEP_1) | instskip(NEXT) | instid1(VALU_DEP_1)
	v_add3_u32 v10, v73, v9, v10
	v_mov_b32_dpp v73, v10 row_shr:1 row_mask:0xf bank_mask:0xf
	s_delay_alu instid0(VALU_DEP_1) | instskip(NEXT) | instid1(VALU_DEP_1)
	v_cndmask_b32_e64 v73, v73, 0, s9
	v_add_nc_u32_e32 v10, v73, v10
	s_delay_alu instid0(VALU_DEP_1) | instskip(NEXT) | instid1(VALU_DEP_1)
	v_mov_b32_dpp v73, v10 row_shr:2 row_mask:0xf bank_mask:0xf
	v_cndmask_b32_e64 v73, 0, v73, s10
	s_delay_alu instid0(VALU_DEP_1) | instskip(NEXT) | instid1(VALU_DEP_1)
	v_add_nc_u32_e32 v10, v10, v73
	v_mov_b32_dpp v73, v10 row_shr:4 row_mask:0xf bank_mask:0xf
	s_delay_alu instid0(VALU_DEP_1) | instskip(NEXT) | instid1(VALU_DEP_1)
	v_cndmask_b32_e64 v73, 0, v73, s11
	v_add_nc_u32_e32 v10, v10, v73
	s_delay_alu instid0(VALU_DEP_1) | instskip(NEXT) | instid1(VALU_DEP_1)
	v_mov_b32_dpp v73, v10 row_shr:8 row_mask:0xf bank_mask:0xf
	v_cndmask_b32_e64 v73, 0, v73, s12
	s_delay_alu instid0(VALU_DEP_1) | instskip(SKIP_3) | instid1(VALU_DEP_1)
	v_add_nc_u32_e32 v10, v10, v73
	ds_swizzle_b32 v73, v10 offset:swizzle(BROADCAST,32,15)
	s_wait_dscnt 0x0
	v_cndmask_b32_e64 v73, v73, 0, s13
	v_add_nc_u32_e32 v10, v10, v73
	s_and_saveexec_b32 s14, s8
; %bb.32:                               ;   in Loop: Header=BB128_23 Depth=1
	ds_store_b32 v58, v10
; %bb.33:                               ;   in Loop: Header=BB128_23 Depth=1
	s_wait_alu 0xfffe
	s_or_b32 exec_lo, exec_lo, s14
	ds_bpermute_b32 v10, v56, v10
	; wave barrier
	s_wait_loadcnt_dscnt 0x0
	global_inv scope:SCOPE_SE
	v_cmp_lt_u32_e32 vcc_lo, 23, v62
	v_readfirstlane_b32 s14, v0
	s_mov_b32 s26, -1
	s_and_b32 vcc_lo, exec_lo, vcc_lo
	v_cndmask_b32_e64 v10, v10, 0, s21
	s_delay_alu instid0(VALU_DEP_1) | instskip(NEXT) | instid1(VALU_DEP_1)
	v_add_nc_u32_e32 v15, v10, v15
	v_add_nc_u32_e32 v16, v15, v16
	s_delay_alu instid0(VALU_DEP_1) | instskip(NEXT) | instid1(VALU_DEP_1)
	v_add_nc_u32_e32 v13, v16, v13
	v_add_nc_u32_e32 v14, v13, v14
	;; [unrolled: 3-line block ×3, first 2 shown]
	s_delay_alu instid0(VALU_DEP_1)
	v_add_nc_u32_e32 v9, v12, v9
	ds_store_2addr_b32 v47, v10, v15 offset0:1 offset1:2
	ds_store_2addr_b32 v47, v16, v13 offset0:3 offset1:4
	;; [unrolled: 1-line block ×4, first 2 shown]
	; wave barrier
	s_wait_loadcnt_dscnt 0x0
	global_inv scope:SCOPE_SE
	ds_load_b32 v9, v35 offset:4
	ds_load_b32 v10, v37 offset:4
	;; [unrolled: 1-line block ×4, first 2 shown]
                                        ; implicit-def: $vgpr13_vgpr14
	s_wait_dscnt 0x3
	v_add_nc_u32_e32 v70, v9, v34
	s_wait_dscnt 0x2
	v_add3_u32 v68, v66, v36, v10
	s_wait_dscnt 0x1
	v_add3_u32 v67, v69, v67, v11
	;; [unrolled: 2-line block ×3, first 2 shown]
                                        ; implicit-def: $vgpr37
                                        ; implicit-def: $vgpr35
                                        ; implicit-def: $vgpr9_vgpr10
	s_wait_alu 0xfffe
	s_cbranch_vccnz .LBB128_22
; %bb.34:                               ;   in Loop: Header=BB128_23 Depth=1
	v_lshlrev_b32_e32 v9, 2, v70
	v_lshlrev_b32_e32 v10, 2, v68
	;; [unrolled: 1-line block ×4, first 2 shown]
	s_wait_loadcnt 0x0
	; wave barrier
	global_inv scope:SCOPE_SE
	ds_store_b32 v9, v61
	ds_store_b32 v10, v65
	;; [unrolled: 1-line block ×4, first 2 shown]
	v_add_nc_u32_e32 v9, v9, v9
	v_add_nc_u32_e32 v10, v10, v10
	;; [unrolled: 1-line block ×4, first 2 shown]
	; wave barrier
	s_wait_loadcnt_dscnt 0x0
	global_inv scope:SCOPE_SE
	ds_load_2addr_b32 v[34:35], v0 offset1:32
	ds_load_2addr_b32 v[36:37], v0 offset0:64 offset1:96
	; wave barrier
	s_wait_loadcnt_dscnt 0x0
	global_inv scope:SCOPE_SE
	ds_store_b64 v9, v[32:33]
	ds_store_b64 v10, v[30:31]
	;; [unrolled: 1-line block ×4, first 2 shown]
	; wave barrier
	s_wait_loadcnt_dscnt 0x0
	global_inv scope:SCOPE_SE
	ds_load_2addr_b64 v[9:12], v60 offset1:32
	ds_load_2addr_b64 v[13:16], v60 offset0:64 offset1:96
	v_add_nc_u32_e32 v62, 8, v62
	s_add_co_i32 s14, s15, -8
	s_mov_b32 s26, 0
	; wave barrier
	s_wait_loadcnt_dscnt 0x0
	global_inv scope:SCOPE_SE
	s_branch .LBB128_22
.LBB128_35:
	v_lshlrev_b32_e32 v0, 2, v70
	v_lshlrev_b32_e32 v14, 2, v67
	;; [unrolled: 1-line block ×5, first 2 shown]
	s_wait_loadcnt 0x0
	; wave barrier
	global_inv scope:SCOPE_SE
	ds_store_b32 v0, v61
	ds_store_b32 v9, v65
	;; [unrolled: 1-line block ×4, first 2 shown]
	; wave barrier
	s_wait_loadcnt_dscnt 0x0
	global_inv scope:SCOPE_SE
	ds_load_b128 v[10:13], v10
	v_add_nc_u32_e32 v0, v0, v0
	v_add_nc_u32_e32 v9, v9, v9
	;; [unrolled: 1-line block ×3, first 2 shown]
	; wave barrier
	s_wait_loadcnt_dscnt 0x0
	global_inv scope:SCOPE_SE
	v_add_nc_u32_e32 v15, v15, v15
	ds_store_b64 v0, v[32:33]
	ds_store_b64 v9, v[30:31]
	;; [unrolled: 1-line block ×3, first 2 shown]
	s_mov_b32 s9, 0
	ds_store_b64 v15, v[26:27]
	; wave barrier
	s_wait_loadcnt_dscnt 0x0
	global_inv scope:SCOPE_SE
	v_xor_b32_e32 v9, 0x80000000, v10
	v_xor_b32_e32 v11, 0x80000000, v11
	;; [unrolled: 1-line block ×4, first 2 shown]
.LBB128_36:
	s_wait_alu 0xfffe
	s_and_b32 vcc_lo, exec_lo, s9
	s_wait_alu 0xfffe
	s_cbranch_vccz .LBB128_52
; %bb.37:
	v_xor_b32_e32 v0, 0x7fffffff, v24
	v_xor_b32_e32 v9, 0x7fffffff, v25
	;; [unrolled: 1-line block ×4, first 2 shown]
	ds_bpermute_b32 v12, v54, v5
	ds_bpermute_b32 v13, v54, v0
	;; [unrolled: 1-line block ×4, first 2 shown]
	ds_bpermute_b32 v24, v54, v0 offset:64
	ds_bpermute_b32 v27, v55, v9
	ds_bpermute_b32 v28, v54, v10
	;; [unrolled: 1-line block ×3, first 2 shown]
	ds_bpermute_b32 v0, v54, v0 offset:96
	ds_bpermute_b32 v30, v54, v9 offset:64
	ds_bpermute_b32 v31, v55, v10
	ds_bpermute_b32 v32, v54, v11
	;; [unrolled: 1-line block ×4, first 2 shown]
	ds_bpermute_b32 v9, v54, v9 offset:96
	ds_bpermute_b32 v25, v54, v1
	ds_bpermute_b32 v26, v54, v2
	;; [unrolled: 1-line block ×3, first 2 shown]
	ds_bpermute_b32 v37, v54, v10 offset:64
	ds_bpermute_b32 v10, v54, v10 offset:96
	ds_bpermute_b32 v29, v54, v3
	s_wait_dscnt 0x13
	v_cndmask_b32_e64 v13, 0, v13, s7
	s_wait_dscnt 0x12
	v_cndmask_b32_e64 v22, 0, v22, s7
	ds_bpermute_b32 v33, v54, v4
	ds_bpermute_b32 v35, v55, v6
	;; [unrolled: 1-line block ×3, first 2 shown]
	s_wait_dscnt 0x14
	v_cndmask_b32_e64 v13, v13, v23, s6
	ds_bpermute_b32 v56, v55, v7
	ds_bpermute_b32 v57, v54, v11 offset:64
	s_wait_dscnt 0x15
	v_cndmask_b32_e64 v23, 0, v24, s7
	s_wait_dscnt 0x14
	v_cndmask_b32_e64 v22, v22, v27, s6
	s_wait_dscnt 0x13
	v_cndmask_b32_e64 v13, v13, v28, s5
	ds_bpermute_b32 v11, v54, v11 offset:96
	s_wait_dscnt 0x12
	v_cndmask_b32_e64 v0, 0, v0, s7
	s_wait_dscnt 0x11
	v_cndmask_b32_e64 v24, v23, v30, s6
	;; [unrolled: 2-line block ×4, first 2 shown]
	ds_bpermute_b32 v13, v55, v8
	v_cndmask_b32_e64 v14, 0, v14, s7
	ds_bpermute_b32 v27, v55, v1
	v_cndmask_b32_e64 v12, 0, v12, s7
	s_wait_dscnt 0xe
	v_cndmask_b32_e64 v0, v0, v9, s6
	ds_bpermute_b32 v28, v54, v2 offset:64
	v_cndmask_b32_e64 v9, v14, v16, s6
	ds_bpermute_b32 v14, v54, v6 offset:64
	v_cndmask_b32_e64 v12, v12, v15, s6
	s_wait_dscnt 0xb
	v_cndmask_b32_e64 v0, v0, v10, s5
	v_cndmask_b32_e64 v10, 0, v34, s7
	;; [unrolled: 1-line block ×3, first 2 shown]
	s_wait_dscnt 0x8
	v_cndmask_b32_e64 v15, 0, v35, s7
	v_cndmask_b32_e64 v12, v12, v25, s5
	ds_bpermute_b32 v16, v54, v5 offset:64
	s_wait_dscnt 0x5
	v_cndmask_b32_e64 v25, v0, v11, s4
	v_cndmask_b32_e64 v0, v10, v56, s6
	;; [unrolled: 1-line block ×4, first 2 shown]
	ds_bpermute_b32 v12, v55, v2
	ds_bpermute_b32 v6, v54, v6 offset:96
	ds_bpermute_b32 v5, v54, v5 offset:96
	s_wait_dscnt 0x7
	v_cndmask_b32_e64 v11, v15, v13, s6
	s_wait_dscnt 0x6
	v_cndmask_b32_e64 v0, v0, v27, s5
	ds_bpermute_b32 v15, v55, v4
	ds_bpermute_b32 v26, v54, v8 offset:64
	ds_bpermute_b32 v27, v54, v7 offset:64
	;; [unrolled: 1-line block ×4, first 2 shown]
	ds_bpermute_b32 v13, v55, v3
	ds_bpermute_b32 v29, v54, v1 offset:64
	ds_bpermute_b32 v2, v54, v2 offset:96
	;; [unrolled: 1-line block ×7, first 2 shown]
	; wave barrier
	s_wait_loadcnt_dscnt 0x0
	global_inv scope:SCOPE_SE
	s_load_b32 s8, s[24:25], 0xc
	v_cndmask_b32_e64 v14, 0, v14, s7
	v_cndmask_b32_e64 v4, v11, v12, s5
	;; [unrolled: 1-line block ×16, first 2 shown]
	s_getpc_b64 s[6:7]
	s_wait_alu 0xfffe
	s_sext_i32_i16 s7, s7
	s_add_co_u32 s6, s6, _ZN7rocprim17ROCPRIM_400000_NS16block_radix_sortIiLj32ELj4ElLj1ELj1ELj0ELNS0_26block_radix_rank_algorithmE1ELNS0_18block_padding_hintE2ELNS0_4arch9wavefront6targetE0EE19radix_bits_per_passE@rel32@lo+12
	s_wait_alu 0xfffe
	s_add_co_ci_u32 s7, s7, _ZN7rocprim17ROCPRIM_400000_NS16block_radix_sortIiLj32ELj4ElLj1ELj1ELj0ELNS0_26block_radix_rank_algorithmE1ELNS0_18block_padding_hintE2ELNS0_4arch9wavefront6targetE0EE19radix_bits_per_passE@rel32@hi+24
	v_cndmask_b32_e64 v23, v23, v36, s4
	v_cndmask_b32_e64 v24, v24, v57, s4
	;; [unrolled: 1-line block ×6, first 2 shown]
	s_wait_kmcnt 0x0
	s_lshr_b32 s4, s8, 16
	s_load_b32 s11, s[6:7], 0x0
	v_mad_u32_u24 v4, v53, s4, v52
	s_and_b32 s4, s8, 0xffff
	v_sub_co_u32 v6, s10, v48, 1
	v_dual_mov_b32 v32, 0 :: v_dual_lshlrev_b32 v27, 2, v49
	s_wait_alu 0xfffe
	v_mad_co_u64_u32 v[4:5], null, v4, s4, v[21:22]
	s_delay_alu instid0(VALU_DEP_3)
	v_cmp_gt_i32_e32 vcc_lo, 0, v6
	v_cmp_eq_u32_e64 s4, 0, v50
	v_cmp_lt_u32_e64 s5, 1, v50
	v_cmp_lt_u32_e64 s6, 3, v50
	;; [unrolled: 1-line block ×3, first 2 shown]
	s_wait_alu 0xfffd
	v_dual_cndmask_b32 v5, v6, v48 :: v_dual_mov_b32 v28, 0
	v_lshrrev_b32_e32 v4, 3, v4
	v_cmp_eq_u32_e32 vcc_lo, 0, v21
	v_cmp_eq_u32_e64 s8, 0, v51
	v_cmp_eq_u32_e64 s9, 31, v21
	v_dual_mov_b32 v29, 0 :: v_dual_lshlrev_b32 v26, 2, v5
	v_and_b32_e32 v21, 0x1ffffffc, v4
	v_add_nc_u32_e32 v30, v27, v27
	s_or_b32 s12, vcc_lo, s10
	s_mov_b32 s13, 32
	s_branch .LBB128_39
.LBB128_38:                             ;   in Loop: Header=BB128_39 Depth=1
	s_wait_alu 0xfffe
	s_and_not1_b32 vcc_lo, exec_lo, s14
	s_mov_b32 s13, s10
	s_wait_alu 0xfffe
	s_cbranch_vccz .LBB128_51
.LBB128_39:                             ; =>This Inner Loop Header: Depth=1
	s_wait_kmcnt 0x0
	s_wait_alu 0xfffe
	s_min_u32 s10, s11, s13
	ds_store_2addr_b32 v47, v29, v29 offset0:1 offset1:2
	ds_store_2addr_b32 v47, v29, v29 offset0:3 offset1:4
	;; [unrolled: 1-line block ×4, first 2 shown]
	s_wait_alu 0xfffe
	s_lshl_b32 s10, -1, s10
	s_wait_loadcnt_dscnt 0x0
	s_wait_alu 0xfffe
	s_not_b32 s14, s10
	v_mov_b32_e32 v31, v22
	; wave barrier
	global_inv scope:SCOPE_SE
	; wave barrier
	v_mov_b32_e32 v33, v25
	v_lshrrev_b32_e32 v4, v32, v31
	v_dual_mov_b32 v34, v24 :: v_dual_mov_b32 v35, v23
	s_wait_alu 0xfffe
	s_delay_alu instid0(VALU_DEP_2) | instskip(NEXT) | instid1(VALU_DEP_1)
	v_and_b32_e32 v22, s14, v4
	v_and_b32_e32 v4, 1, v22
	v_lshlrev_b32_e32 v5, 30, v22
	v_lshlrev_b32_e32 v6, 29, v22
	;; [unrolled: 1-line block ×4, first 2 shown]
	v_add_co_u32 v4, s10, v4, -1
	s_wait_alu 0xf1ff
	v_cndmask_b32_e64 v8, 0, 1, s10
	v_not_b32_e32 v16, v5
	v_cmp_gt_i32_e64 s10, 0, v5
	v_not_b32_e32 v5, v6
	v_lshlrev_b32_e32 v15, 25, v22
	v_cmp_ne_u32_e32 vcc_lo, 0, v8
	v_ashrrev_i32_e32 v16, 31, v16
	v_lshlrev_b32_e32 v14, 26, v22
	v_ashrrev_i32_e32 v5, 31, v5
	v_lshlrev_b32_e32 v8, 24, v22
	s_wait_alu 0xfffd
	v_xor_b32_e32 v4, vcc_lo, v4
	v_cmp_gt_i32_e32 vcc_lo, 0, v6
	v_not_b32_e32 v6, v7
	s_wait_alu 0xf1ff
	v_xor_b32_e32 v16, s10, v16
	v_cmp_gt_i32_e64 s10, 0, v7
	v_and_b32_e32 v4, exec_lo, v4
	v_not_b32_e32 v7, v13
	s_wait_alu 0xfffd
	v_xor_b32_e32 v5, vcc_lo, v5
	v_cmp_gt_i32_e32 vcc_lo, 0, v13
	v_ashrrev_i32_e32 v6, 31, v6
	v_and_b32_e32 v4, v4, v16
	v_ashrrev_i32_e32 v7, 31, v7
	v_lshl_add_u32 v22, v22, 2, v21
	s_wait_alu 0xf1ff
	v_xor_b32_e32 v6, s10, v6
	v_and_b32_e32 v4, v4, v5
	v_not_b32_e32 v5, v15
	s_wait_alu 0xfffd
	v_xor_b32_e32 v7, vcc_lo, v7
	v_cmp_gt_i32_e32 vcc_lo, 0, v15
	v_dual_mov_b32 v16, v10 :: v_dual_mov_b32 v15, v9
	v_not_b32_e32 v13, v14
	v_cmp_gt_i32_e64 s10, 0, v14
	v_and_b32_e32 v4, v4, v6
	v_ashrrev_i32_e32 v5, 31, v5
	s_delay_alu instid0(VALU_DEP_4) | instskip(NEXT) | instid1(VALU_DEP_3)
	v_ashrrev_i32_e32 v13, 31, v13
	v_and_b32_e32 v4, v4, v7
	s_wait_alu 0xfffd
	s_delay_alu instid0(VALU_DEP_3) | instskip(SKIP_2) | instid1(VALU_DEP_1)
	v_xor_b32_e32 v5, vcc_lo, v5
	s_wait_alu 0xf1ff
	v_xor_b32_e32 v13, s10, v13
	v_and_b32_e32 v4, v4, v13
	v_dual_mov_b32 v14, v12 :: v_dual_mov_b32 v13, v11
	v_not_b32_e32 v6, v8
	v_cmp_gt_i32_e64 s10, 0, v8
	s_delay_alu instid0(VALU_DEP_4) | instskip(NEXT) | instid1(VALU_DEP_3)
	v_and_b32_e32 v4, v4, v5
	v_ashrrev_i32_e32 v6, 31, v6
	s_wait_alu 0xf1ff
	s_delay_alu instid0(VALU_DEP_1) | instskip(NEXT) | instid1(VALU_DEP_1)
	v_xor_b32_e32 v6, s10, v6
	v_dual_mov_b32 v5, v3 :: v_dual_and_b32 v8, v4, v6
	v_dual_mov_b32 v7, v1 :: v_dual_mov_b32 v6, v0
	v_mov_b32_e32 v4, v2
	s_delay_alu instid0(VALU_DEP_3) | instskip(SKIP_1) | instid1(VALU_DEP_2)
	v_mbcnt_lo_u32_b32 v12, v8, 0
	v_cmp_ne_u32_e64 s10, 0, v8
	v_cmp_eq_u32_e32 vcc_lo, 0, v12
	s_and_b32 s15, s10, vcc_lo
	s_wait_alu 0xfffe
	s_and_saveexec_b32 s10, s15
; %bb.40:                               ;   in Loop: Header=BB128_39 Depth=1
	v_bcnt_u32_b32 v0, v8, 0
	ds_store_b32 v22, v0 offset:4
; %bb.41:                               ;   in Loop: Header=BB128_39 Depth=1
	s_wait_alu 0xfffe
	s_or_b32 exec_lo, exec_lo, s10
	v_lshrrev_b32_e32 v0, v32, v35
	; wave barrier
	s_delay_alu instid0(VALU_DEP_1) | instskip(NEXT) | instid1(VALU_DEP_1)
	v_and_b32_e32 v0, s14, v0
	v_and_b32_e32 v1, 1, v0
	v_lshlrev_b32_e32 v2, 30, v0
	v_lshlrev_b32_e32 v3, 29, v0
	;; [unrolled: 1-line block ×4, first 2 shown]
	v_add_co_u32 v1, s10, v1, -1
	s_wait_alu 0xf1ff
	v_cndmask_b32_e64 v9, 0, 1, s10
	v_not_b32_e32 v24, v2
	v_cmp_gt_i32_e64 s10, 0, v2
	v_not_b32_e32 v2, v3
	v_lshlrev_b32_e32 v11, 26, v0
	v_cmp_ne_u32_e32 vcc_lo, 0, v9
	v_ashrrev_i32_e32 v24, 31, v24
	v_lshlrev_b32_e32 v23, 25, v0
	v_ashrrev_i32_e32 v2, 31, v2
	v_lshlrev_b32_e32 v9, 24, v0
	s_wait_alu 0xfffd
	v_xor_b32_e32 v1, vcc_lo, v1
	v_cmp_gt_i32_e32 vcc_lo, 0, v3
	v_not_b32_e32 v3, v8
	s_wait_alu 0xf1ff
	v_xor_b32_e32 v24, s10, v24
	v_cmp_gt_i32_e64 s10, 0, v8
	v_and_b32_e32 v1, exec_lo, v1
	v_not_b32_e32 v8, v10
	v_ashrrev_i32_e32 v3, 31, v3
	s_wait_alu 0xfffd
	v_xor_b32_e32 v2, vcc_lo, v2
	v_cmp_gt_i32_e32 vcc_lo, 0, v10
	v_and_b32_e32 v1, v1, v24
	v_not_b32_e32 v10, v11
	v_ashrrev_i32_e32 v8, 31, v8
	s_wait_alu 0xf1ff
	v_xor_b32_e32 v3, s10, v3
	v_cmp_gt_i32_e64 s10, 0, v11
	v_and_b32_e32 v1, v1, v2
	v_not_b32_e32 v2, v23
	v_ashrrev_i32_e32 v10, 31, v10
	s_wait_alu 0xfffd
	v_xor_b32_e32 v8, vcc_lo, v8
	v_cmp_gt_i32_e32 vcc_lo, 0, v23
	v_and_b32_e32 v1, v1, v3
	v_not_b32_e32 v3, v9
	v_ashrrev_i32_e32 v2, 31, v2
	s_wait_alu 0xf1ff
	v_xor_b32_e32 v10, s10, v10
	v_cmp_gt_i32_e64 s10, 0, v9
	v_and_b32_e32 v1, v1, v8
	v_ashrrev_i32_e32 v3, 31, v3
	s_wait_alu 0xfffd
	v_xor_b32_e32 v2, vcc_lo, v2
	v_lshl_add_u32 v24, v0, 2, v21
	v_and_b32_e32 v1, v1, v10
	s_wait_alu 0xf1ff
	v_xor_b32_e32 v0, s10, v3
	ds_load_b32 v23, v24 offset:4
	v_and_b32_e32 v1, v1, v2
	; wave barrier
	s_delay_alu instid0(VALU_DEP_1) | instskip(NEXT) | instid1(VALU_DEP_1)
	v_and_b32_e32 v0, v1, v0
	v_mbcnt_lo_u32_b32 v25, v0, 0
	v_cmp_ne_u32_e64 s10, 0, v0
	s_delay_alu instid0(VALU_DEP_2)
	v_cmp_eq_u32_e32 vcc_lo, 0, v25
	s_and_b32 s15, s10, vcc_lo
	s_wait_alu 0xfffe
	s_and_saveexec_b32 s10, s15
	s_cbranch_execz .LBB128_43
; %bb.42:                               ;   in Loop: Header=BB128_39 Depth=1
	s_wait_dscnt 0x0
	v_bcnt_u32_b32 v0, v0, v23
	ds_store_b32 v24, v0 offset:4
.LBB128_43:                             ;   in Loop: Header=BB128_39 Depth=1
	s_wait_alu 0xfffe
	s_or_b32 exec_lo, exec_lo, s10
	v_lshrrev_b32_e32 v0, v32, v34
	; wave barrier
	s_delay_alu instid0(VALU_DEP_1) | instskip(NEXT) | instid1(VALU_DEP_1)
	v_and_b32_e32 v0, s14, v0
	v_and_b32_e32 v1, 1, v0
	v_lshlrev_b32_e32 v2, 30, v0
	v_lshlrev_b32_e32 v3, 29, v0
	;; [unrolled: 1-line block ×4, first 2 shown]
	v_add_co_u32 v1, s10, v1, -1
	s_wait_alu 0xf1ff
	v_cndmask_b32_e64 v9, 0, 1, s10
	v_not_b32_e32 v37, v2
	v_cmp_gt_i32_e64 s10, 0, v2
	v_not_b32_e32 v2, v3
	v_lshlrev_b32_e32 v11, 26, v0
	v_cmp_ne_u32_e32 vcc_lo, 0, v9
	v_ashrrev_i32_e32 v37, 31, v37
	v_lshlrev_b32_e32 v36, 25, v0
	v_ashrrev_i32_e32 v2, 31, v2
	v_lshlrev_b32_e32 v9, 24, v0
	s_wait_alu 0xfffd
	v_xor_b32_e32 v1, vcc_lo, v1
	v_cmp_gt_i32_e32 vcc_lo, 0, v3
	v_not_b32_e32 v3, v8
	s_wait_alu 0xf1ff
	v_xor_b32_e32 v37, s10, v37
	v_cmp_gt_i32_e64 s10, 0, v8
	v_and_b32_e32 v1, exec_lo, v1
	v_not_b32_e32 v8, v10
	v_ashrrev_i32_e32 v3, 31, v3
	s_wait_alu 0xfffd
	v_xor_b32_e32 v2, vcc_lo, v2
	v_cmp_gt_i32_e32 vcc_lo, 0, v10
	v_and_b32_e32 v1, v1, v37
	v_not_b32_e32 v10, v11
	v_ashrrev_i32_e32 v8, 31, v8
	s_wait_alu 0xf1ff
	v_xor_b32_e32 v3, s10, v3
	v_cmp_gt_i32_e64 s10, 0, v11
	v_and_b32_e32 v1, v1, v2
	v_not_b32_e32 v2, v36
	v_ashrrev_i32_e32 v10, 31, v10
	s_wait_alu 0xfffd
	v_xor_b32_e32 v8, vcc_lo, v8
	v_cmp_gt_i32_e32 vcc_lo, 0, v36
	v_and_b32_e32 v1, v1, v3
	v_not_b32_e32 v3, v9
	v_ashrrev_i32_e32 v2, 31, v2
	s_wait_alu 0xf1ff
	v_xor_b32_e32 v10, s10, v10
	v_cmp_gt_i32_e64 s10, 0, v9
	v_and_b32_e32 v1, v1, v8
	v_ashrrev_i32_e32 v3, 31, v3
	s_wait_alu 0xfffd
	v_xor_b32_e32 v2, vcc_lo, v2
	v_lshl_add_u32 v37, v0, 2, v21
	v_and_b32_e32 v1, v1, v10
	s_wait_alu 0xf1ff
	v_xor_b32_e32 v0, s10, v3
	ds_load_b32 v36, v37 offset:4
	v_and_b32_e32 v1, v1, v2
	; wave barrier
	s_delay_alu instid0(VALU_DEP_1) | instskip(NEXT) | instid1(VALU_DEP_1)
	v_and_b32_e32 v0, v1, v0
	v_mbcnt_lo_u32_b32 v48, v0, 0
	v_cmp_ne_u32_e64 s10, 0, v0
	s_delay_alu instid0(VALU_DEP_2)
	v_cmp_eq_u32_e32 vcc_lo, 0, v48
	s_and_b32 s15, s10, vcc_lo
	s_wait_alu 0xfffe
	s_and_saveexec_b32 s10, s15
	s_cbranch_execz .LBB128_45
; %bb.44:                               ;   in Loop: Header=BB128_39 Depth=1
	s_wait_dscnt 0x0
	v_bcnt_u32_b32 v0, v0, v36
	ds_store_b32 v37, v0 offset:4
.LBB128_45:                             ;   in Loop: Header=BB128_39 Depth=1
	s_wait_alu 0xfffe
	s_or_b32 exec_lo, exec_lo, s10
	v_lshrrev_b32_e32 v0, v32, v33
	; wave barrier
	s_delay_alu instid0(VALU_DEP_1) | instskip(NEXT) | instid1(VALU_DEP_1)
	v_and_b32_e32 v0, s14, v0
	v_and_b32_e32 v1, 1, v0
	v_lshlrev_b32_e32 v2, 30, v0
	v_lshlrev_b32_e32 v3, 29, v0
	v_lshlrev_b32_e32 v8, 28, v0
	v_lshlrev_b32_e32 v10, 27, v0
	v_add_co_u32 v1, s10, v1, -1
	s_wait_alu 0xf1ff
	v_cndmask_b32_e64 v9, 0, 1, s10
	v_not_b32_e32 v50, v2
	v_cmp_gt_i32_e64 s10, 0, v2
	v_not_b32_e32 v2, v3
	v_lshlrev_b32_e32 v11, 26, v0
	v_cmp_ne_u32_e32 vcc_lo, 0, v9
	v_ashrrev_i32_e32 v50, 31, v50
	v_lshlrev_b32_e32 v49, 25, v0
	v_ashrrev_i32_e32 v2, 31, v2
	v_lshlrev_b32_e32 v9, 24, v0
	s_wait_alu 0xfffd
	v_xor_b32_e32 v1, vcc_lo, v1
	v_cmp_gt_i32_e32 vcc_lo, 0, v3
	v_not_b32_e32 v3, v8
	s_wait_alu 0xf1ff
	v_xor_b32_e32 v50, s10, v50
	v_cmp_gt_i32_e64 s10, 0, v8
	v_and_b32_e32 v1, exec_lo, v1
	v_not_b32_e32 v8, v10
	v_ashrrev_i32_e32 v3, 31, v3
	s_wait_alu 0xfffd
	v_xor_b32_e32 v2, vcc_lo, v2
	v_cmp_gt_i32_e32 vcc_lo, 0, v10
	v_and_b32_e32 v1, v1, v50
	v_not_b32_e32 v10, v11
	v_ashrrev_i32_e32 v8, 31, v8
	s_wait_alu 0xf1ff
	v_xor_b32_e32 v3, s10, v3
	v_cmp_gt_i32_e64 s10, 0, v11
	v_and_b32_e32 v1, v1, v2
	v_not_b32_e32 v2, v49
	v_ashrrev_i32_e32 v10, 31, v10
	s_wait_alu 0xfffd
	v_xor_b32_e32 v8, vcc_lo, v8
	v_cmp_gt_i32_e32 vcc_lo, 0, v49
	v_and_b32_e32 v1, v1, v3
	v_not_b32_e32 v3, v9
	v_ashrrev_i32_e32 v2, 31, v2
	s_wait_alu 0xf1ff
	v_xor_b32_e32 v10, s10, v10
	v_cmp_gt_i32_e64 s10, 0, v9
	v_and_b32_e32 v1, v1, v8
	v_ashrrev_i32_e32 v3, 31, v3
	s_wait_alu 0xfffd
	v_xor_b32_e32 v2, vcc_lo, v2
	v_lshl_add_u32 v49, v0, 2, v21
	v_and_b32_e32 v1, v1, v10
	s_wait_alu 0xf1ff
	v_xor_b32_e32 v0, s10, v3
	ds_load_b32 v50, v49 offset:4
	v_and_b32_e32 v1, v1, v2
	; wave barrier
	s_delay_alu instid0(VALU_DEP_1) | instskip(NEXT) | instid1(VALU_DEP_1)
	v_and_b32_e32 v0, v1, v0
	v_mbcnt_lo_u32_b32 v51, v0, 0
	v_cmp_ne_u32_e64 s10, 0, v0
	s_delay_alu instid0(VALU_DEP_2)
	v_cmp_eq_u32_e32 vcc_lo, 0, v51
	s_and_b32 s14, s10, vcc_lo
	s_wait_alu 0xfffe
	s_and_saveexec_b32 s10, s14
	s_cbranch_execz .LBB128_47
; %bb.46:                               ;   in Loop: Header=BB128_39 Depth=1
	s_wait_dscnt 0x0
	v_bcnt_u32_b32 v0, v0, v50
	ds_store_b32 v49, v0 offset:4
.LBB128_47:                             ;   in Loop: Header=BB128_39 Depth=1
	s_wait_alu 0xfffe
	s_or_b32 exec_lo, exec_lo, s10
	; wave barrier
	; wave barrier
	s_wait_loadcnt_dscnt 0x0
	global_inv scope:SCOPE_SE
	ds_load_2addr_b32 v[10:11], v47 offset0:1 offset1:2
	ds_load_2addr_b32 v[8:9], v47 offset0:3 offset1:4
	;; [unrolled: 1-line block ×4, first 2 shown]
	s_wait_dscnt 0x3
	v_add_nc_u32_e32 v52, v11, v10
	s_wait_dscnt 0x2
	s_delay_alu instid0(VALU_DEP_1) | instskip(SKIP_1) | instid1(VALU_DEP_1)
	v_add3_u32 v52, v52, v8, v9
	s_wait_dscnt 0x1
	v_add3_u32 v52, v52, v2, v3
	s_wait_dscnt 0x0
	s_delay_alu instid0(VALU_DEP_1) | instskip(NEXT) | instid1(VALU_DEP_1)
	v_add3_u32 v1, v52, v0, v1
	v_mov_b32_dpp v52, v1 row_shr:1 row_mask:0xf bank_mask:0xf
	s_delay_alu instid0(VALU_DEP_1) | instskip(NEXT) | instid1(VALU_DEP_1)
	v_cndmask_b32_e64 v52, v52, 0, s4
	v_add_nc_u32_e32 v1, v52, v1
	s_delay_alu instid0(VALU_DEP_1) | instskip(NEXT) | instid1(VALU_DEP_1)
	v_mov_b32_dpp v52, v1 row_shr:2 row_mask:0xf bank_mask:0xf
	v_cndmask_b32_e64 v52, 0, v52, s5
	s_delay_alu instid0(VALU_DEP_1) | instskip(NEXT) | instid1(VALU_DEP_1)
	v_add_nc_u32_e32 v1, v1, v52
	v_mov_b32_dpp v52, v1 row_shr:4 row_mask:0xf bank_mask:0xf
	s_delay_alu instid0(VALU_DEP_1) | instskip(NEXT) | instid1(VALU_DEP_1)
	v_cndmask_b32_e64 v52, 0, v52, s6
	v_add_nc_u32_e32 v1, v1, v52
	s_delay_alu instid0(VALU_DEP_1) | instskip(NEXT) | instid1(VALU_DEP_1)
	v_mov_b32_dpp v52, v1 row_shr:8 row_mask:0xf bank_mask:0xf
	v_cndmask_b32_e64 v52, 0, v52, s7
	s_delay_alu instid0(VALU_DEP_1) | instskip(SKIP_3) | instid1(VALU_DEP_1)
	v_add_nc_u32_e32 v1, v1, v52
	ds_swizzle_b32 v52, v1 offset:swizzle(BROADCAST,32,15)
	s_wait_dscnt 0x0
	v_cndmask_b32_e64 v52, v52, 0, s8
	v_add_nc_u32_e32 v1, v1, v52
	s_and_saveexec_b32 s10, s9
; %bb.48:                               ;   in Loop: Header=BB128_39 Depth=1
	ds_store_b32 v28, v1
; %bb.49:                               ;   in Loop: Header=BB128_39 Depth=1
	s_wait_alu 0xfffe
	s_or_b32 exec_lo, exec_lo, s10
	ds_bpermute_b32 v1, v26, v1
	; wave barrier
	s_wait_loadcnt_dscnt 0x0
	global_inv scope:SCOPE_SE
	v_cmp_lt_u32_e32 vcc_lo, 23, v32
	s_mov_b32 s14, -1
	s_and_b32 vcc_lo, exec_lo, vcc_lo
	v_cndmask_b32_e64 v1, v1, 0, s12
	s_delay_alu instid0(VALU_DEP_1) | instskip(NEXT) | instid1(VALU_DEP_1)
	v_add_nc_u32_e32 v10, v1, v10
	v_add_nc_u32_e32 v11, v10, v11
	s_delay_alu instid0(VALU_DEP_1) | instskip(NEXT) | instid1(VALU_DEP_1)
	v_add_nc_u32_e32 v8, v11, v8
	v_add_nc_u32_e32 v9, v8, v9
	;; [unrolled: 3-line block ×3, first 2 shown]
	s_delay_alu instid0(VALU_DEP_1)
	v_add_nc_u32_e32 v0, v3, v0
	ds_store_2addr_b32 v47, v1, v10 offset0:1 offset1:2
	ds_store_2addr_b32 v47, v11, v8 offset0:3 offset1:4
	;; [unrolled: 1-line block ×4, first 2 shown]
	; wave barrier
	s_wait_loadcnt_dscnt 0x0
	global_inv scope:SCOPE_SE
	ds_load_b32 v0, v22 offset:4
	ds_load_b32 v1, v24 offset:4
	;; [unrolled: 1-line block ×4, first 2 shown]
	s_wait_dscnt 0x3
	v_add_nc_u32_e32 v49, v0, v12
	s_wait_dscnt 0x2
	v_add3_u32 v37, v25, v23, v1
	s_wait_dscnt 0x1
	v_add3_u32 v36, v48, v36, v2
	;; [unrolled: 2-line block ×3, first 2 shown]
	v_readfirstlane_b32 s10, v0
                                        ; implicit-def: $vgpr25
                                        ; implicit-def: $vgpr23
                                        ; implicit-def: $vgpr9_vgpr10
                                        ; implicit-def: $vgpr0_vgpr1
	s_wait_alu 0xfffe
	s_cbranch_vccnz .LBB128_38
; %bb.50:                               ;   in Loop: Header=BB128_39 Depth=1
	v_lshlrev_b32_e32 v0, 2, v49
	v_lshlrev_b32_e32 v1, 2, v37
	;; [unrolled: 1-line block ×4, first 2 shown]
	s_wait_loadcnt 0x0
	; wave barrier
	global_inv scope:SCOPE_SE
	ds_store_b32 v0, v31
	ds_store_b32 v1, v35
	;; [unrolled: 1-line block ×4, first 2 shown]
	v_add_nc_u32_e32 v0, v0, v0
	v_add_nc_u32_e32 v1, v1, v1
	;; [unrolled: 1-line block ×4, first 2 shown]
	; wave barrier
	s_wait_loadcnt_dscnt 0x0
	global_inv scope:SCOPE_SE
	ds_load_2addr_b32 v[22:23], v27 offset1:32
	ds_load_2addr_b32 v[24:25], v27 offset0:64 offset1:96
	; wave barrier
	s_wait_loadcnt_dscnt 0x0
	global_inv scope:SCOPE_SE
	ds_store_b64 v0, v[15:16]
	ds_store_b64 v1, v[13:14]
	;; [unrolled: 1-line block ×4, first 2 shown]
	; wave barrier
	s_wait_loadcnt_dscnt 0x0
	global_inv scope:SCOPE_SE
	ds_load_2addr_b64 v[9:12], v30 offset1:32
	ds_load_2addr_b64 v[0:3], v30 offset0:64 offset1:96
	v_add_nc_u32_e32 v32, 8, v32
	s_add_co_i32 s10, s13, -8
	s_mov_b32 s14, 0
	; wave barrier
	s_wait_loadcnt_dscnt 0x0
	global_inv scope:SCOPE_SE
	s_branch .LBB128_38
.LBB128_51:
	v_lshlrev_b32_e32 v9, 2, v49
	v_lshlrev_b32_e32 v11, 2, v36
	;; [unrolled: 1-line block ×5, first 2 shown]
	s_wait_loadcnt 0x0
	; wave barrier
	global_inv scope:SCOPE_SE
	ds_store_b32 v9, v31
	ds_store_b32 v10, v35
	;; [unrolled: 1-line block ×4, first 2 shown]
	; wave barrier
	s_wait_loadcnt_dscnt 0x0
	global_inv scope:SCOPE_SE
	ds_load_b128 v[0:3], v0
	v_add_nc_u32_e32 v9, v9, v9
	v_add_nc_u32_e32 v10, v10, v10
	; wave barrier
	s_wait_loadcnt_dscnt 0x0
	global_inv scope:SCOPE_SE
	v_add_nc_u32_e32 v21, v11, v11
	ds_store_b64 v9, v[15:16]
	ds_store_b64 v10, v[13:14]
	v_add_nc_u32_e32 v8, v8, v8
	ds_store_b64 v21, v[6:7]
	ds_store_b64 v8, v[4:5]
	; wave barrier
	s_wait_loadcnt_dscnt 0x0
	global_inv scope:SCOPE_SE
	v_xor_b32_e32 v9, 0x7fffffff, v0
	v_xor_b32_e32 v11, 0x7fffffff, v1
	;; [unrolled: 1-line block ×4, first 2 shown]
.LBB128_52:
	v_lshlrev_b32_e32 v4, 3, v41
	ds_load_b128 v[0:3], v4
	ds_load_b128 v[4:7], v4 offset:16
	; wave barrier
	s_wait_loadcnt_dscnt 0x0
	global_inv scope:SCOPE_SE
	ds_store_2addr_b32 v42, v9, v11 offset1:1
	ds_store_2addr_b32 v42, v10, v12 offset0:2 offset1:3
	; wave barrier
	s_wait_loadcnt_dscnt 0x0
	global_inv scope:SCOPE_SE
	ds_load_b32 v12, v18 offset:128
	ds_load_b32 v11, v39 offset:256
	;; [unrolled: 1-line block ×3, first 2 shown]
	v_mov_b32_e32 v18, 0
	s_delay_alu instid0(VALU_DEP_1) | instskip(NEXT) | instid1(VALU_DEP_1)
	v_lshlrev_b64_e32 v[8:9], 2, v[17:18]
	v_add_co_u32 v8, vcc_lo, s22, v8
	s_wait_alu 0xfffd
	s_delay_alu instid0(VALU_DEP_2)
	v_add_co_ci_u32_e64 v9, null, s23, v9, vcc_lo
	s_and_saveexec_b32 s4, s0
	s_cbranch_execnz .LBB128_63
; %bb.53:
	s_wait_alu 0xfffe
	s_or_b32 exec_lo, exec_lo, s4
	s_and_saveexec_b32 s4, s1
	s_cbranch_execnz .LBB128_64
.LBB128_54:
	s_wait_alu 0xfffe
	s_or_b32 exec_lo, exec_lo, s4
	s_and_saveexec_b32 s4, s2
	s_cbranch_execnz .LBB128_65
.LBB128_55:
	s_wait_alu 0xfffe
	s_or_b32 exec_lo, exec_lo, s4
	s_and_saveexec_b32 s4, s3
	s_cbranch_execz .LBB128_57
.LBB128_56:
	s_mul_i32 s6, s18, 0x60
	s_mov_b32 s7, 0
	s_wait_alu 0xfffe
	s_lshl_b64 s[6:7], s[6:7], 2
	s_wait_alu 0xfffe
	v_add_co_u32 v8, vcc_lo, v8, s6
	s_wait_alu 0xfffd
	v_add_co_ci_u32_e64 v9, null, s7, v9, vcc_lo
	s_wait_dscnt 0x0
	global_store_b32 v[8:9], v10, off
.LBB128_57:
	s_wait_alu 0xfffe
	s_or_b32 exec_lo, exec_lo, s4
	s_wait_storecnt 0x0
	; wave barrier
	s_wait_loadcnt_dscnt 0x0
	global_inv scope:SCOPE_SE
	ds_store_2addr_b64 v46, v[0:1], v[2:3] offset1:1
	ds_store_2addr_b64 v46, v[4:5], v[6:7] offset0:2 offset1:3
	; wave barrier
	s_wait_loadcnt_dscnt 0x0
	global_inv scope:SCOPE_SE
	ds_load_b64 v[6:7], v20 offset:256
	ds_load_b64 v[4:5], v44 offset:512
	;; [unrolled: 1-line block ×3, first 2 shown]
	v_mov_b32_e32 v20, 0
	s_delay_alu instid0(VALU_DEP_1) | instskip(NEXT) | instid1(VALU_DEP_1)
	v_lshlrev_b64_e32 v[2:3], 3, v[19:20]
	v_add_co_u32 v2, vcc_lo, s16, v2
	s_wait_alu 0xfffd
	s_delay_alu instid0(VALU_DEP_2)
	v_add_co_ci_u32_e64 v3, null, s17, v3, vcc_lo
	s_and_saveexec_b32 s4, s0
	s_cbranch_execnz .LBB128_66
; %bb.58:
	s_wait_alu 0xfffe
	s_or_b32 exec_lo, exec_lo, s4
	s_and_saveexec_b32 s0, s1
	s_cbranch_execnz .LBB128_67
.LBB128_59:
	s_or_b32 exec_lo, exec_lo, s0
	s_and_saveexec_b32 s0, s2
	s_cbranch_execnz .LBB128_68
.LBB128_60:
	s_or_b32 exec_lo, exec_lo, s0
	s_and_saveexec_b32 s0, s3
	s_cbranch_execz .LBB128_62
.LBB128_61:
	s_mul_i32 s0, s20, 0x60
	s_mov_b32 s1, 0
	s_delay_alu instid0(SALU_CYCLE_1) | instskip(NEXT) | instid1(SALU_CYCLE_1)
	s_lshl_b64 s[0:1], s[0:1], 3
	v_add_co_u32 v2, vcc_lo, v2, s0
	s_wait_alu 0xfffd
	v_add_co_ci_u32_e64 v3, null, s1, v3, vcc_lo
	s_wait_dscnt 0x0
	global_store_b64 v[2:3], v[0:1], off
.LBB128_62:
	s_endpgm
.LBB128_63:
	ds_load_b32 v13, v38
	s_wait_dscnt 0x0
	global_store_b32 v[8:9], v13, off
	s_wait_alu 0xfffe
	s_or_b32 exec_lo, exec_lo, s4
	s_and_saveexec_b32 s4, s1
	s_cbranch_execz .LBB128_54
.LBB128_64:
	s_lshl_b32 s6, s18, 5
	s_mov_b32 s7, 0
	s_wait_alu 0xfffe
	s_lshl_b64 s[6:7], s[6:7], 2
	s_wait_alu 0xfffe
	v_add_co_u32 v13, vcc_lo, v8, s6
	s_wait_alu 0xfffd
	v_add_co_ci_u32_e64 v14, null, s7, v9, vcc_lo
	s_wait_dscnt 0x2
	global_store_b32 v[13:14], v12, off
	s_or_b32 exec_lo, exec_lo, s4
	s_and_saveexec_b32 s4, s2
	s_cbranch_execz .LBB128_55
.LBB128_65:
	s_lshl_b32 s6, s18, 6
	s_mov_b32 s7, 0
	s_wait_alu 0xfffe
	s_lshl_b64 s[6:7], s[6:7], 2
	s_wait_dscnt 0x2
	s_wait_alu 0xfffe
	v_add_co_u32 v12, vcc_lo, v8, s6
	s_wait_alu 0xfffd
	v_add_co_ci_u32_e64 v13, null, s7, v9, vcc_lo
	s_wait_dscnt 0x1
	global_store_b32 v[12:13], v11, off
	s_or_b32 exec_lo, exec_lo, s4
	s_and_saveexec_b32 s4, s3
	s_cbranch_execnz .LBB128_56
	s_branch .LBB128_57
.LBB128_66:
	ds_load_b64 v[8:9], v43
	s_wait_dscnt 0x0
	global_store_b64 v[2:3], v[8:9], off
	s_wait_alu 0xfffe
	s_or_b32 exec_lo, exec_lo, s4
	s_and_saveexec_b32 s0, s1
	s_cbranch_execz .LBB128_59
.LBB128_67:
	s_lshl_b32 s4, s20, 5
	s_mov_b32 s5, 0
	s_wait_alu 0xfffe
	s_lshl_b64 s[4:5], s[4:5], 3
	s_wait_alu 0xfffe
	v_add_co_u32 v8, vcc_lo, v2, s4
	s_wait_alu 0xfffd
	v_add_co_ci_u32_e64 v9, null, s5, v3, vcc_lo
	s_wait_dscnt 0x2
	global_store_b64 v[8:9], v[6:7], off
	s_or_b32 exec_lo, exec_lo, s0
	s_and_saveexec_b32 s0, s2
	s_cbranch_execz .LBB128_60
.LBB128_68:
	s_lshl_b32 s4, s20, 6
	s_mov_b32 s5, 0
	s_wait_alu 0xfffe
	s_lshl_b64 s[4:5], s[4:5], 3
	s_wait_dscnt 0x2
	s_wait_alu 0xfffe
	v_add_co_u32 v6, vcc_lo, v2, s4
	s_wait_alu 0xfffd
	v_add_co_ci_u32_e64 v7, null, s5, v3, vcc_lo
	s_wait_dscnt 0x1
	global_store_b64 v[6:7], v[4:5], off
	s_or_b32 exec_lo, exec_lo, s0
	s_and_saveexec_b32 s0, s3
	s_cbranch_execnz .LBB128_61
	s_branch .LBB128_62
	.section	.rodata,"a",@progbits
	.p2align	6, 0x0
	.amdhsa_kernel _ZN2at6native18radixSortKVInPlaceILi2ELin1ELi32ELi4EiljEEvNS_4cuda6detail10TensorInfoIT3_T5_EES6_S6_S6_NS4_IT4_S6_EES6_b
		.amdhsa_group_segment_fixed_size 1056
		.amdhsa_private_segment_fixed_size 0
		.amdhsa_kernarg_size 712
		.amdhsa_user_sgpr_count 2
		.amdhsa_user_sgpr_dispatch_ptr 0
		.amdhsa_user_sgpr_queue_ptr 0
		.amdhsa_user_sgpr_kernarg_segment_ptr 1
		.amdhsa_user_sgpr_dispatch_id 0
		.amdhsa_user_sgpr_private_segment_size 0
		.amdhsa_wavefront_size32 1
		.amdhsa_uses_dynamic_stack 0
		.amdhsa_enable_private_segment 0
		.amdhsa_system_sgpr_workgroup_id_x 1
		.amdhsa_system_sgpr_workgroup_id_y 1
		.amdhsa_system_sgpr_workgroup_id_z 1
		.amdhsa_system_sgpr_workgroup_info 0
		.amdhsa_system_vgpr_workitem_id 2
		.amdhsa_next_free_vgpr 74
		.amdhsa_next_free_sgpr 28
		.amdhsa_reserve_vcc 1
		.amdhsa_float_round_mode_32 0
		.amdhsa_float_round_mode_16_64 0
		.amdhsa_float_denorm_mode_32 3
		.amdhsa_float_denorm_mode_16_64 3
		.amdhsa_fp16_overflow 0
		.amdhsa_workgroup_processor_mode 1
		.amdhsa_memory_ordered 1
		.amdhsa_forward_progress 1
		.amdhsa_inst_pref_size 76
		.amdhsa_round_robin_scheduling 0
		.amdhsa_exception_fp_ieee_invalid_op 0
		.amdhsa_exception_fp_denorm_src 0
		.amdhsa_exception_fp_ieee_div_zero 0
		.amdhsa_exception_fp_ieee_overflow 0
		.amdhsa_exception_fp_ieee_underflow 0
		.amdhsa_exception_fp_ieee_inexact 0
		.amdhsa_exception_int_div_zero 0
	.end_amdhsa_kernel
	.section	.text._ZN2at6native18radixSortKVInPlaceILi2ELin1ELi32ELi4EiljEEvNS_4cuda6detail10TensorInfoIT3_T5_EES6_S6_S6_NS4_IT4_S6_EES6_b,"axG",@progbits,_ZN2at6native18radixSortKVInPlaceILi2ELin1ELi32ELi4EiljEEvNS_4cuda6detail10TensorInfoIT3_T5_EES6_S6_S6_NS4_IT4_S6_EES6_b,comdat
.Lfunc_end128:
	.size	_ZN2at6native18radixSortKVInPlaceILi2ELin1ELi32ELi4EiljEEvNS_4cuda6detail10TensorInfoIT3_T5_EES6_S6_S6_NS4_IT4_S6_EES6_b, .Lfunc_end128-_ZN2at6native18radixSortKVInPlaceILi2ELin1ELi32ELi4EiljEEvNS_4cuda6detail10TensorInfoIT3_T5_EES6_S6_S6_NS4_IT4_S6_EES6_b
                                        ; -- End function
	.set _ZN2at6native18radixSortKVInPlaceILi2ELin1ELi32ELi4EiljEEvNS_4cuda6detail10TensorInfoIT3_T5_EES6_S6_S6_NS4_IT4_S6_EES6_b.num_vgpr, 74
	.set _ZN2at6native18radixSortKVInPlaceILi2ELin1ELi32ELi4EiljEEvNS_4cuda6detail10TensorInfoIT3_T5_EES6_S6_S6_NS4_IT4_S6_EES6_b.num_agpr, 0
	.set _ZN2at6native18radixSortKVInPlaceILi2ELin1ELi32ELi4EiljEEvNS_4cuda6detail10TensorInfoIT3_T5_EES6_S6_S6_NS4_IT4_S6_EES6_b.numbered_sgpr, 28
	.set _ZN2at6native18radixSortKVInPlaceILi2ELin1ELi32ELi4EiljEEvNS_4cuda6detail10TensorInfoIT3_T5_EES6_S6_S6_NS4_IT4_S6_EES6_b.num_named_barrier, 0
	.set _ZN2at6native18radixSortKVInPlaceILi2ELin1ELi32ELi4EiljEEvNS_4cuda6detail10TensorInfoIT3_T5_EES6_S6_S6_NS4_IT4_S6_EES6_b.private_seg_size, 0
	.set _ZN2at6native18radixSortKVInPlaceILi2ELin1ELi32ELi4EiljEEvNS_4cuda6detail10TensorInfoIT3_T5_EES6_S6_S6_NS4_IT4_S6_EES6_b.uses_vcc, 1
	.set _ZN2at6native18radixSortKVInPlaceILi2ELin1ELi32ELi4EiljEEvNS_4cuda6detail10TensorInfoIT3_T5_EES6_S6_S6_NS4_IT4_S6_EES6_b.uses_flat_scratch, 0
	.set _ZN2at6native18radixSortKVInPlaceILi2ELin1ELi32ELi4EiljEEvNS_4cuda6detail10TensorInfoIT3_T5_EES6_S6_S6_NS4_IT4_S6_EES6_b.has_dyn_sized_stack, 0
	.set _ZN2at6native18radixSortKVInPlaceILi2ELin1ELi32ELi4EiljEEvNS_4cuda6detail10TensorInfoIT3_T5_EES6_S6_S6_NS4_IT4_S6_EES6_b.has_recursion, 0
	.set _ZN2at6native18radixSortKVInPlaceILi2ELin1ELi32ELi4EiljEEvNS_4cuda6detail10TensorInfoIT3_T5_EES6_S6_S6_NS4_IT4_S6_EES6_b.has_indirect_call, 0
	.section	.AMDGPU.csdata,"",@progbits
; Kernel info:
; codeLenInByte = 9684
; TotalNumSgprs: 30
; NumVgprs: 74
; ScratchSize: 0
; MemoryBound: 0
; FloatMode: 240
; IeeeMode: 1
; LDSByteSize: 1056 bytes/workgroup (compile time only)
; SGPRBlocks: 0
; VGPRBlocks: 9
; NumSGPRsForWavesPerEU: 30
; NumVGPRsForWavesPerEU: 74
; Occupancy: 16
; WaveLimiterHint : 1
; COMPUTE_PGM_RSRC2:SCRATCH_EN: 0
; COMPUTE_PGM_RSRC2:USER_SGPR: 2
; COMPUTE_PGM_RSRC2:TRAP_HANDLER: 0
; COMPUTE_PGM_RSRC2:TGID_X_EN: 1
; COMPUTE_PGM_RSRC2:TGID_Y_EN: 1
; COMPUTE_PGM_RSRC2:TGID_Z_EN: 1
; COMPUTE_PGM_RSRC2:TIDIG_COMP_CNT: 2
	.section	.text._ZN2at6native18radixSortKVInPlaceILi2ELin1ELi16ELi2EiljEEvNS_4cuda6detail10TensorInfoIT3_T5_EES6_S6_S6_NS4_IT4_S6_EES6_b,"axG",@progbits,_ZN2at6native18radixSortKVInPlaceILi2ELin1ELi16ELi2EiljEEvNS_4cuda6detail10TensorInfoIT3_T5_EES6_S6_S6_NS4_IT4_S6_EES6_b,comdat
	.protected	_ZN2at6native18radixSortKVInPlaceILi2ELin1ELi16ELi2EiljEEvNS_4cuda6detail10TensorInfoIT3_T5_EES6_S6_S6_NS4_IT4_S6_EES6_b ; -- Begin function _ZN2at6native18radixSortKVInPlaceILi2ELin1ELi16ELi2EiljEEvNS_4cuda6detail10TensorInfoIT3_T5_EES6_S6_S6_NS4_IT4_S6_EES6_b
	.globl	_ZN2at6native18radixSortKVInPlaceILi2ELin1ELi16ELi2EiljEEvNS_4cuda6detail10TensorInfoIT3_T5_EES6_S6_S6_NS4_IT4_S6_EES6_b
	.p2align	8
	.type	_ZN2at6native18radixSortKVInPlaceILi2ELin1ELi16ELi2EiljEEvNS_4cuda6detail10TensorInfoIT3_T5_EES6_S6_S6_NS4_IT4_S6_EES6_b,@function
_ZN2at6native18radixSortKVInPlaceILi2ELin1ELi16ELi2EiljEEvNS_4cuda6detail10TensorInfoIT3_T5_EES6_S6_S6_NS4_IT4_S6_EES6_b: ; @_ZN2at6native18radixSortKVInPlaceILi2ELin1ELi16ELi2EiljEEvNS_4cuda6detail10TensorInfoIT3_T5_EES6_S6_S6_NS4_IT4_S6_EES6_b
; %bb.0:
	s_clause 0x1
	s_load_b64 s[2:3], s[0:1], 0x1c8
	s_load_b96 s[16:18], s[0:1], 0xd8
	s_lshr_b32 s4, ttmp7, 16
	s_wait_kmcnt 0x0
	s_mul_i32 s3, s3, s4
	s_and_b32 s4, ttmp7, 0xffff
	s_delay_alu instid0(SALU_CYCLE_1) | instskip(NEXT) | instid1(SALU_CYCLE_1)
	s_add_co_i32 s3, s3, s4
	s_mul_i32 s2, s3, s2
	s_delay_alu instid0(SALU_CYCLE_1) | instskip(NEXT) | instid1(SALU_CYCLE_1)
	s_add_co_i32 s6, s2, ttmp9
	s_cmp_ge_u32 s6, s16
	s_cbranch_scc1 .LBB129_54
; %bb.1:
	s_clause 0x2
	s_load_b32 s14, s[0:1], 0xc
	s_load_b64 s[8:9], s[0:1], 0x6c
	s_load_b32 s12, s[0:1], 0x1b8
	s_mov_b32 s7, 0
	s_add_nc_u64 s[4:5], s[0:1], 0xe8
	s_mov_b32 s11, s7
	s_wait_kmcnt 0x0
	s_cvt_f32_u32 s2, s14
	s_sub_co_i32 s3, 0, s14
	s_delay_alu instid0(SALU_CYCLE_2) | instskip(NEXT) | instid1(TRANS32_DEP_1)
	v_rcp_iflag_f32_e32 v1, s2
	v_readfirstlane_b32 s2, v1
	s_mul_f32 s2, s2, 0x4f7ffffe
	s_wait_alu 0xfffe
	s_delay_alu instid0(SALU_CYCLE_2) | instskip(SKIP_1) | instid1(SALU_CYCLE_2)
	s_cvt_u32_f32 s2, s2
	s_wait_alu 0xfffe
	s_mul_i32 s3, s3, s2
	s_wait_alu 0xfffe
	s_mul_hi_u32 s3, s2, s3
	s_wait_alu 0xfffe
	s_add_co_i32 s10, s2, s3
	s_cmp_lt_i32 s12, 2
	s_mov_b32 s2, s6
	s_mov_b32 s3, s7
	s_cbranch_scc1 .LBB129_4
; %bb.2:
	s_add_co_i32 s2, s12, -1
	s_mov_b32 s3, 0
	s_add_co_i32 s15, s12, 1
	s_wait_alu 0xfffe
	s_lshl_b64 s[20:21], s[2:3], 2
	s_mov_b32 s2, s6
	s_add_nc_u64 s[20:21], s[4:5], s[20:21]
	s_delay_alu instid0(SALU_CYCLE_1)
	s_add_nc_u64 s[12:13], s[20:21], 8
.LBB129_3:                              ; =>This Inner Loop Header: Depth=1
	s_clause 0x1
	s_load_b32 s16, s[12:13], 0x0
	s_load_b32 s19, s[12:13], 0x64
	s_mov_b32 s22, s2
	s_add_nc_u64 s[12:13], s[12:13], -4
	s_wait_kmcnt 0x0
	s_cvt_f32_u32 s20, s16
	s_sub_co_i32 s21, 0, s16
	s_wait_alu 0xfffe
	s_delay_alu instid0(SALU_CYCLE_1) | instskip(NEXT) | instid1(TRANS32_DEP_1)
	v_rcp_iflag_f32_e32 v1, s20
	v_readfirstlane_b32 s20, v1
	s_mul_f32 s20, s20, 0x4f7ffffe
	s_wait_alu 0xfffe
	s_delay_alu instid0(SALU_CYCLE_2) | instskip(SKIP_1) | instid1(SALU_CYCLE_2)
	s_cvt_u32_f32 s20, s20
	s_wait_alu 0xfffe
	s_mul_i32 s21, s21, s20
	s_wait_alu 0xfffe
	s_mul_hi_u32 s21, s20, s21
	s_wait_alu 0xfffe
	s_add_co_i32 s20, s20, s21
	s_wait_alu 0xfffe
	s_mul_hi_u32 s2, s2, s20
	s_wait_alu 0xfffe
	s_mul_i32 s20, s2, s16
	s_add_co_i32 s21, s2, 1
	s_wait_alu 0xfffe
	s_sub_co_i32 s20, s22, s20
	s_wait_alu 0xfffe
	s_sub_co_i32 s23, s20, s16
	s_cmp_ge_u32 s20, s16
	s_cselect_b32 s2, s21, s2
	s_cselect_b32 s20, s23, s20
	s_wait_alu 0xfffe
	s_add_co_i32 s21, s2, 1
	s_cmp_ge_u32 s20, s16
	s_wait_alu 0xfffe
	s_cselect_b32 s2, s21, s2
	s_add_co_i32 s15, s15, -1
	s_wait_alu 0xfffe
	s_mul_i32 s16, s2, s16
	s_delay_alu instid0(SALU_CYCLE_1) | instskip(NEXT) | instid1(SALU_CYCLE_1)
	s_sub_co_i32 s16, s22, s16
	s_mul_i32 s16, s19, s16
	s_delay_alu instid0(SALU_CYCLE_1)
	s_add_co_i32 s3, s16, s3
	s_cmp_gt_u32 s15, 2
	s_cbranch_scc1 .LBB129_3
.LBB129_4:
	s_mul_u64 s[10:11], s[6:7], s[10:11]
	s_clause 0x1
	s_load_b64 s[12:13], s[0:1], 0x0
	s_load_b64 s[20:21], s[0:1], 0x1c0
	s_mul_i32 s7, s11, s14
	s_add_co_i32 s1, s11, 1
	s_sub_co_i32 s0, s6, s7
	v_mul_lo_u32 v16, s18, v0
	s_sub_co_i32 s7, s0, s14
	s_cmp_ge_u32 s0, s14
	s_cselect_b32 s1, s1, s11
	s_cselect_b32 s0, s7, s0
	s_add_co_i32 s7, s1, 1
	s_cmp_ge_u32 s0, s14
	s_mov_b32 s11, 0
	s_cselect_b32 s0, s7, s1
	s_delay_alu instid0(SALU_CYCLE_1) | instskip(SKIP_2) | instid1(SALU_CYCLE_1)
	s_mul_i32 s1, s0, s14
	s_mul_i32 s0, s0, s8
	s_sub_co_i32 s1, s6, s1
	s_mul_i32 s1, s1, s9
	s_delay_alu instid0(SALU_CYCLE_1) | instskip(SKIP_4) | instid1(SALU_CYCLE_1)
	s_add_co_i32 s10, s0, s1
	s_wait_kmcnt 0x0
	s_bitcmp1_b32 s21, 0
	s_brev_b32 s0, 1
	s_cselect_b32 s8, -1, 0
	s_and_b32 s1, s8, exec_lo
	s_cselect_b32 s6, s0, 0x7fffffff
	v_cmp_gt_u32_e64 s0, s17, v0
	s_mov_b32 s7, s6
	s_delay_alu instid0(SALU_CYCLE_1) | instskip(SKIP_1) | instid1(SALU_CYCLE_1)
	v_dual_mov_b32 v1, s6 :: v_dual_mov_b32 v2, s7
	s_lshl_b64 s[10:11], s[10:11], 2
	s_add_nc_u64 s[22:23], s[12:13], s[10:11]
	s_and_saveexec_b32 s1, s0
	s_cbranch_execz .LBB129_6
; %bb.5:
	v_mov_b32_e32 v17, 0
	s_delay_alu instid0(VALU_DEP_1) | instskip(NEXT) | instid1(VALU_DEP_1)
	v_lshlrev_b64_e32 v[1:2], 2, v[16:17]
	v_add_co_u32 v1, vcc_lo, s22, v1
	s_delay_alu instid0(VALU_DEP_1)
	v_add_co_ci_u32_e64 v2, null, s23, v2, vcc_lo
	global_load_b32 v1, v[1:2], off
	v_mov_b32_e32 v2, s6
.LBB129_6:
	s_or_b32 exec_lo, exec_lo, s1
	s_clause 0x1
	s_load_b32 s6, s[4:5], 0x6c
	s_load_b64 s[4:5], s[4:5], 0x0
	v_or_b32_e32 v3, 16, v0
	s_delay_alu instid0(VALU_DEP_1)
	v_cmp_gt_u32_e64 s1, s17, v3
	s_and_saveexec_b32 s7, s1
	s_cbranch_execz .LBB129_8
; %bb.7:
	v_mul_lo_u32 v4, s18, v3
	v_mov_b32_e32 v5, 0
	s_delay_alu instid0(VALU_DEP_1) | instskip(NEXT) | instid1(VALU_DEP_1)
	v_lshlrev_b64_e32 v[4:5], 2, v[4:5]
	v_add_co_u32 v4, vcc_lo, s22, v4
	s_wait_alu 0xfffd
	s_delay_alu instid0(VALU_DEP_2)
	v_add_co_ci_u32_e64 v5, null, s23, v5, vcc_lo
	global_load_b32 v2, v[4:5], off
.LBB129_8:
	s_wait_alu 0xfffe
	s_or_b32 exec_lo, exec_lo, s7
	v_lshlrev_b32_e32 v22, 2, v0
	v_dual_mov_b32 v14, 0 :: v_dual_lshlrev_b32 v21, 3, v0
	s_wait_kmcnt 0x0
	s_mul_i32 s2, s6, s2
	v_mul_lo_u32 v13, s20, v0
	s_wait_loadcnt 0x0
	ds_store_2addr_b32 v22, v1, v2 offset1:16
	s_wait_dscnt 0x0
	; wave barrier
	global_inv scope:SCOPE_SE
	ds_load_2addr_b32 v[17:18], v21 offset1:1
	s_wait_alu 0xfffe
	s_add_co_i32 s2, s2, s3
	s_mov_b32 s3, 0
	v_mov_b32_e32 v1, 0
	v_dual_mov_b32 v2, 0 :: v_dual_mov_b32 v15, v14
	s_wait_alu 0xfffe
	s_lshl_b64 s[2:3], s[2:3], 3
	s_wait_loadcnt_dscnt 0x0
	s_wait_alu 0xfffe
	s_add_nc_u64 s[16:17], s[4:5], s[2:3]
	; wave barrier
	global_inv scope:SCOPE_SE
	s_and_saveexec_b32 s2, s0
	s_cbranch_execz .LBB129_10
; %bb.9:
	v_lshlrev_b64_e32 v[1:2], 3, v[13:14]
	v_mov_b32_e32 v15, v14
	s_wait_alu 0xfffe
	s_delay_alu instid0(VALU_DEP_2) | instskip(SKIP_1) | instid1(VALU_DEP_3)
	v_add_co_u32 v1, vcc_lo, s16, v1
	s_wait_alu 0xfffd
	v_add_co_ci_u32_e64 v2, null, s17, v2, vcc_lo
	global_load_b64 v[1:2], v[1:2], off
.LBB129_10:
	s_wait_alu 0xfffe
	s_or_b32 exec_lo, exec_lo, s2
	v_lshlrev_b32_e32 v4, 1, v0
	s_xor_b32 s8, s8, -1
	s_and_saveexec_b32 s2, s1
	s_cbranch_execz .LBB129_12
; %bb.11:
	v_mul_lo_u32 v5, s20, v3
	v_mov_b32_e32 v6, 0
	s_delay_alu instid0(VALU_DEP_1) | instskip(NEXT) | instid1(VALU_DEP_1)
	v_lshlrev_b64_e32 v[5:6], 3, v[5:6]
	v_add_co_u32 v5, vcc_lo, s16, v5
	s_wait_alu 0xfffd
	s_delay_alu instid0(VALU_DEP_2)
	v_add_co_ci_u32_e64 v6, null, s17, v6, vcc_lo
	global_load_b64 v[14:15], v[5:6], off
.LBB129_12:
	s_wait_alu 0xfffe
	s_or_b32 exec_lo, exec_lo, s2
	v_mbcnt_lo_u32_b32 v5, -1, 0
	v_lshlrev_b32_e32 v3, 2, v4
	v_add_nc_u32_e32 v23, v22, v22
	s_getpc_b64 s[2:3]
	s_wait_alu 0xfffe
	s_sext_i32_i16 s3, s3
	s_add_co_u32 s2, s2, _ZN7rocprim17ROCPRIM_400000_NS16block_radix_sortIiLj16ELj2ElLj1ELj1ELj0ELNS0_26block_radix_rank_algorithmE1ELNS0_18block_padding_hintE2ELNS0_4arch9wavefront6targetE0EE19radix_bits_per_passE@rel32@lo+12
	s_wait_alu 0xfffe
	s_add_co_ci_u32 s3, s3, _ZN7rocprim17ROCPRIM_400000_NS16block_radix_sortIiLj16ELj2ElLj1ELj1ELj0ELNS0_26block_radix_rank_algorithmE1ELNS0_18block_padding_hintE2ELNS0_4arch9wavefront6targetE0EE19radix_bits_per_passE@rel32@hi+24
	v_lshlrev_b32_e32 v27, 5, v0
	v_sub_co_u32 v7, s19, v5, 1
	v_and_b32_e32 v8, 16, v5
	s_wait_loadcnt 0x0
	ds_store_b64 v23, v[1:2]
	ds_store_b64 v21, v[14:15] offset:128
	s_wait_dscnt 0x0
	; wave barrier
	global_inv scope:SCOPE_SE
	s_load_b32 s15, s[2:3], 0x0
	v_cmp_lt_i32_e32 vcc_lo, v7, v8
	v_add_nc_u32_e32 v24, v21, v3
	v_and_b32_e32 v6, 15, v5
	v_mad_i32_i24 v26, 0xffffffe8, v0, v27
	v_cmp_gt_u32_e64 s2, 0x80, v0
	s_wait_alu 0xfffd
	v_cndmask_b32_e32 v5, v7, v5, vcc_lo
	ds_load_2addr_b64 v[1:4], v24 offset1:1
	v_cmp_eq_u32_e64 s3, 0, v6
	v_cmp_lt_u32_e64 s4, 1, v6
	v_cmp_lt_u32_e64 s5, 3, v6
	;; [unrolled: 1-line block ×3, first 2 shown]
	v_cmp_eq_u32_e64 s7, 15, v0
	v_lshlrev_b32_e32 v28, 2, v5
	v_lshl_add_u32 v25, v0, 3, v26
	s_and_b32 vcc_lo, exec_lo, s8
	v_cmp_gt_u32_e64 s8, 0x70, v0
	v_cmp_gt_u32_e64 s9, 0x60, v0
	;; [unrolled: 1-line block ×7, first 2 shown]
	s_mov_b32 s21, -1
	; wave barrier
	s_wait_loadcnt_dscnt 0x0
	global_inv scope:SCOPE_SE
	s_wait_alu 0xfffe
	s_cbranch_vccz .LBB129_28
; %bb.13:
	v_mov_b32_e32 v6, v2
	v_mov_b32_e32 v8, v4
	v_xor_b32_e32 v9, 0x80000000, v17
	v_xor_b32_e32 v10, 0x80000000, v18
	v_dual_mov_b32 v30, 0 :: v_dual_mov_b32 v5, v1
	v_dual_mov_b32 v32, 0 :: v_dual_mov_b32 v7, v3
	s_mov_b32 s21, 32
	s_branch .LBB129_15
.LBB129_14:                             ;   in Loop: Header=BB129_15 Depth=1
	s_wait_alu 0xfffe
	s_and_not1_b32 vcc_lo, exec_lo, s25
	s_mov_b32 s21, s24
	s_wait_alu 0xfffe
	s_cbranch_vccz .LBB129_29
.LBB129_15:                             ; =>This Inner Loop Header: Depth=1
	v_dual_mov_b32 v31, v9 :: v_dual_mov_b32 v20, v6
	v_mov_b32_e32 v15, v8
	v_dual_mov_b32 v29, v10 :: v_dual_mov_b32 v14, v7
	v_mov_b32_e32 v19, v5
	s_and_saveexec_b32 s24, s2
	s_cbranch_execz .LBB129_24
; %bb.16:                               ;   in Loop: Header=BB129_15 Depth=1
	ds_store_b32 v22, v30
	s_and_b32 exec_lo, exec_lo, s8
	s_cbranch_execz .LBB129_24
; %bb.17:                               ;   in Loop: Header=BB129_15 Depth=1
	ds_store_b32 v22, v30 offset:64
	s_and_b32 exec_lo, exec_lo, s9
	s_cbranch_execz .LBB129_24
; %bb.18:                               ;   in Loop: Header=BB129_15 Depth=1
	ds_store_b32 v22, v30 offset:128
	;; [unrolled: 4-line block ×6, first 2 shown]
	s_and_b32 exec_lo, exec_lo, s14
; %bb.23:                               ;   in Loop: Header=BB129_15 Depth=1
	ds_store_b32 v22, v30 offset:448
.LBB129_24:                             ;   in Loop: Header=BB129_15 Depth=1
	s_wait_alu 0xfffe
	s_or_b32 exec_lo, exec_lo, s24
	s_wait_kmcnt 0x0
	s_min_u32 s24, s15, s21
	v_lshrrev_b32_e32 v5, v32, v31
	s_wait_alu 0xfffe
	s_lshl_b32 s24, -1, s24
	s_wait_alu 0xfffe
	s_not_b32 s24, s24
	s_wait_alu 0xfffe
	v_and_b32_e32 v5, s24, v5
	s_delay_alu instid0(VALU_DEP_1) | instskip(SKIP_1) | instid1(VALU_DEP_2)
	v_lshlrev_b32_e32 v6, 4, v5
	v_lshrrev_b32_e32 v5, 2, v5
	v_and_or_b32 v6, 0x70, v6, v0
	s_delay_alu instid0(VALU_DEP_2) | instskip(NEXT) | instid1(VALU_DEP_1)
	v_and_b32_e32 v5, 0x1ffffffe, v5
	v_lshl_add_u32 v34, v6, 2, v5
	v_lshrrev_b32_e32 v5, v32, v29
	ds_load_u16 v33, v34
	v_and_b32_e32 v5, s24, v5
	s_delay_alu instid0(VALU_DEP_1) | instskip(SKIP_1) | instid1(VALU_DEP_2)
	v_lshlrev_b32_e32 v6, 4, v5
	v_lshrrev_b32_e32 v5, 2, v5
	v_and_or_b32 v6, 0x70, v6, v0
	s_delay_alu instid0(VALU_DEP_2) | instskip(NEXT) | instid1(VALU_DEP_1)
	v_and_b32_e32 v5, 0x1ffffffe, v5
	v_lshl_add_u32 v35, v6, 2, v5
	s_wait_dscnt 0x0
	v_add_nc_u16 v7, v33, 1
	ds_store_b16 v34, v7
	ds_load_u16 v36, v35
	s_wait_dscnt 0x0
	v_add_nc_u16 v5, v36, 1
	ds_store_b16 v35, v5
	; wave barrier
	s_wait_loadcnt_dscnt 0x0
	global_inv scope:SCOPE_SE
	ds_load_b128 v[9:12], v27
	ds_load_b128 v[5:8], v27 offset:16
	s_wait_dscnt 0x1
	v_add_nc_u32_e32 v37, v10, v9
	s_delay_alu instid0(VALU_DEP_1) | instskip(SKIP_1) | instid1(VALU_DEP_1)
	v_add3_u32 v37, v37, v11, v12
	s_wait_dscnt 0x0
	v_add3_u32 v37, v37, v5, v6
	s_delay_alu instid0(VALU_DEP_1) | instskip(NEXT) | instid1(VALU_DEP_1)
	v_add3_u32 v8, v37, v7, v8
	v_mov_b32_dpp v37, v8 row_shr:1 row_mask:0xf bank_mask:0xf
	s_delay_alu instid0(VALU_DEP_1) | instskip(NEXT) | instid1(VALU_DEP_1)
	v_cndmask_b32_e64 v37, v37, 0, s3
	v_add_nc_u32_e32 v8, v37, v8
	s_delay_alu instid0(VALU_DEP_1) | instskip(NEXT) | instid1(VALU_DEP_1)
	v_mov_b32_dpp v37, v8 row_shr:2 row_mask:0xf bank_mask:0xf
	v_cndmask_b32_e64 v37, 0, v37, s4
	s_delay_alu instid0(VALU_DEP_1) | instskip(NEXT) | instid1(VALU_DEP_1)
	v_add_nc_u32_e32 v8, v8, v37
	v_mov_b32_dpp v37, v8 row_shr:4 row_mask:0xf bank_mask:0xf
	s_delay_alu instid0(VALU_DEP_1) | instskip(NEXT) | instid1(VALU_DEP_1)
	v_cndmask_b32_e64 v37, 0, v37, s5
	v_add_nc_u32_e32 v8, v8, v37
	s_delay_alu instid0(VALU_DEP_1) | instskip(NEXT) | instid1(VALU_DEP_1)
	v_mov_b32_dpp v37, v8 row_shr:8 row_mask:0xf bank_mask:0xf
	v_cndmask_b32_e64 v37, 0, v37, s6
	s_delay_alu instid0(VALU_DEP_1)
	v_add_nc_u32_e32 v8, v8, v37
	s_and_saveexec_b32 s24, s7
; %bb.25:                               ;   in Loop: Header=BB129_15 Depth=1
	ds_store_b32 v30, v8 offset:512
; %bb.26:                               ;   in Loop: Header=BB129_15 Depth=1
	s_wait_alu 0xfffe
	s_or_b32 exec_lo, exec_lo, s24
	ds_bpermute_b32 v8, v28, v8
	; wave barrier
	s_wait_loadcnt_dscnt 0x0
	global_inv scope:SCOPE_SE
	ds_load_b32 v37, v30 offset:512
	v_cmp_lt_u32_e32 vcc_lo, 27, v32
	v_readfirstlane_b32 s24, v0
	s_mov_b32 s25, -1
	s_and_b32 vcc_lo, exec_lo, vcc_lo
	v_cndmask_b32_e64 v8, v8, 0, s19
	s_wait_dscnt 0x0
	s_delay_alu instid0(VALU_DEP_1) | instskip(NEXT) | instid1(VALU_DEP_1)
	v_lshl_add_u32 v8, v37, 16, v8
	v_add_nc_u32_e32 v9, v8, v9
	s_delay_alu instid0(VALU_DEP_1) | instskip(NEXT) | instid1(VALU_DEP_1)
	v_add_nc_u32_e32 v10, v9, v10
	v_add_nc_u32_e32 v11, v10, v11
	s_delay_alu instid0(VALU_DEP_1) | instskip(NEXT) | instid1(VALU_DEP_1)
	v_add_nc_u32_e32 v37, v11, v12
	;; [unrolled: 3-line block ×3, first 2 shown]
	v_add_nc_u32_e32 v40, v39, v7
	v_and_b32_e32 v7, 0xffff, v33
	ds_store_b128 v27, v[8:11]
	ds_store_b128 v27, v[37:40] offset:16
	; wave barrier
	s_wait_loadcnt_dscnt 0x0
	global_inv scope:SCOPE_SE
	ds_load_u16 v5, v34
	ds_load_u16 v6, v35
	v_and_b32_e32 v8, 0xffff, v36
                                        ; implicit-def: $vgpr10
	s_wait_dscnt 0x1
	v_add_nc_u32_e32 v12, v5, v7
	s_wait_dscnt 0x0
	s_delay_alu instid0(VALU_DEP_2)
	v_add_nc_u32_e32 v11, v6, v8
                                        ; implicit-def: $vgpr7_vgpr8
	s_wait_alu 0xfffe
	s_cbranch_vccnz .LBB129_14
; %bb.27:                               ;   in Loop: Header=BB129_15 Depth=1
	v_lshlrev_b32_e32 v5, 2, v12
	s_delay_alu instid0(VALU_DEP_2)
	v_lshlrev_b32_e32 v6, 2, v11
	s_wait_loadcnt 0x0
	; wave barrier
	global_inv scope:SCOPE_SE
	v_add_nc_u32_e32 v32, 4, v32
	ds_store_b32 v5, v31
	ds_store_b32 v6, v29
	v_add_nc_u32_e32 v5, v5, v5
	v_add_nc_u32_e32 v6, v6, v6
	; wave barrier
	s_wait_loadcnt_dscnt 0x0
	global_inv scope:SCOPE_SE
	ds_load_b64 v[9:10], v26
	; wave barrier
	s_wait_loadcnt_dscnt 0x0
	global_inv scope:SCOPE_SE
	ds_store_b64 v5, v[19:20]
	ds_store_b64 v6, v[14:15]
	; wave barrier
	s_wait_loadcnt_dscnt 0x0
	global_inv scope:SCOPE_SE
	ds_load_b128 v[5:8], v25
	s_add_co_i32 s24, s21, -4
	s_mov_b32 s25, 0
	; wave barrier
	s_wait_loadcnt_dscnt 0x0
	global_inv scope:SCOPE_SE
	s_branch .LBB129_14
.LBB129_28:
                                        ; implicit-def: $vgpr10
                                        ; implicit-def: $vgpr9
                                        ; implicit-def: $vgpr7_vgpr8
	s_and_b32 vcc_lo, exec_lo, s21
	s_wait_alu 0xfffe
	s_cbranch_vccnz .LBB129_30
	s_branch .LBB129_46
.LBB129_29:
	v_lshlrev_b32_e32 v5, 2, v12
	v_lshlrev_b32_e32 v6, 2, v11
	s_wait_loadcnt 0x0
	; wave barrier
	global_inv scope:SCOPE_SE
	ds_store_b32 v5, v31
	ds_store_b32 v6, v29
	v_add_nc_u32_e32 v5, v5, v5
	v_add_nc_u32_e32 v6, v6, v6
	; wave barrier
	s_wait_loadcnt_dscnt 0x0
	global_inv scope:SCOPE_SE
	ds_load_b64 v[9:10], v26
	; wave barrier
	s_wait_loadcnt_dscnt 0x0
	global_inv scope:SCOPE_SE
	ds_store_b64 v5, v[19:20]
	ds_store_b64 v6, v[14:15]
	; wave barrier
	s_wait_loadcnt_dscnt 0x0
	global_inv scope:SCOPE_SE
	ds_load_b128 v[5:8], v25
	v_xor_b32_e32 v9, 0x80000000, v9
	v_xor_b32_e32 v10, 0x80000000, v10
	s_branch .LBB129_46
.LBB129_30:
	s_wait_dscnt 0x0
	v_mul_i32_i24_e32 v7, -12, v0
	v_xor_b32_e32 v5, 0x7fffffff, v17
	v_xor_b32_e32 v6, 0x7fffffff, v18
	v_cmp_gt_u32_e64 s8, 0x70, v0
	v_cmp_gt_u32_e64 s9, 0x60, v0
	;; [unrolled: 1-line block ×7, first 2 shown]
	v_mov_b32_e32 v15, 0
	v_add_nc_u32_e32 v17, v25, v7
	v_mov_b32_e32 v19, 0
	s_mov_b32 s21, 32
	s_branch .LBB129_32
.LBB129_31:                             ;   in Loop: Header=BB129_32 Depth=1
	s_wait_alu 0xfffe
	s_and_not1_b32 vcc_lo, exec_lo, s25
	s_mov_b32 s21, s24
	s_wait_alu 0xfffe
	s_cbranch_vccz .LBB129_45
.LBB129_32:                             ; =>This Inner Loop Header: Depth=1
	v_mov_b32_e32 v10, v4
	v_mov_b32_e32 v12, v2
	v_dual_mov_b32 v14, v6 :: v_dual_mov_b32 v9, v3
	v_dual_mov_b32 v18, v5 :: v_dual_mov_b32 v11, v1
	s_and_saveexec_b32 s24, s2
	s_cbranch_execz .LBB129_41
; %bb.33:                               ;   in Loop: Header=BB129_32 Depth=1
	ds_store_b32 v17, v15
	s_and_b32 exec_lo, exec_lo, s8
	s_cbranch_execz .LBB129_41
; %bb.34:                               ;   in Loop: Header=BB129_32 Depth=1
	ds_store_b32 v17, v15 offset:64
	s_and_b32 exec_lo, exec_lo, s9
	s_cbranch_execz .LBB129_41
; %bb.35:                               ;   in Loop: Header=BB129_32 Depth=1
	ds_store_b32 v17, v15 offset:128
	;; [unrolled: 4-line block ×6, first 2 shown]
	s_and_b32 exec_lo, exec_lo, s14
; %bb.40:                               ;   in Loop: Header=BB129_32 Depth=1
	ds_store_b32 v17, v15 offset:448
.LBB129_41:                             ;   in Loop: Header=BB129_32 Depth=1
	s_wait_alu 0xfffe
	s_or_b32 exec_lo, exec_lo, s24
	s_wait_kmcnt 0x0
	s_min_u32 s24, s15, s21
	v_lshrrev_b32_e32 v1, v19, v18
	s_wait_alu 0xfffe
	s_lshl_b32 s24, -1, s24
	s_wait_alu 0xfffe
	s_not_b32 s24, s24
	s_wait_alu 0xfffe
	v_and_b32_e32 v1, s24, v1
	s_delay_alu instid0(VALU_DEP_1) | instskip(SKIP_1) | instid1(VALU_DEP_2)
	v_lshlrev_b32_e32 v2, 4, v1
	v_lshrrev_b32_e32 v1, 2, v1
	v_and_or_b32 v2, 0x70, v2, v0
	s_delay_alu instid0(VALU_DEP_2) | instskip(NEXT) | instid1(VALU_DEP_1)
	v_and_b32_e32 v1, 0x1ffffffe, v1
	v_lshl_add_u32 v29, v2, 2, v1
	v_lshrrev_b32_e32 v1, v19, v14
	ds_load_u16 v20, v29
	v_and_b32_e32 v1, s24, v1
	s_delay_alu instid0(VALU_DEP_1) | instskip(SKIP_1) | instid1(VALU_DEP_2)
	v_lshlrev_b32_e32 v2, 4, v1
	v_lshrrev_b32_e32 v1, 2, v1
	v_and_or_b32 v2, 0x70, v2, v0
	s_delay_alu instid0(VALU_DEP_2) | instskip(NEXT) | instid1(VALU_DEP_1)
	v_and_b32_e32 v1, 0x1ffffffe, v1
	v_lshl_add_u32 v30, v2, 2, v1
	s_wait_dscnt 0x0
	v_add_nc_u16 v3, v20, 1
	ds_store_b16 v29, v3
	ds_load_u16 v31, v30
	s_wait_dscnt 0x0
	v_add_nc_u16 v1, v31, 1
	ds_store_b16 v30, v1
	; wave barrier
	s_wait_loadcnt_dscnt 0x0
	global_inv scope:SCOPE_SE
	ds_load_b128 v[5:8], v27
	ds_load_b128 v[1:4], v27 offset:16
	s_wait_dscnt 0x1
	v_add_nc_u32_e32 v32, v6, v5
	s_delay_alu instid0(VALU_DEP_1) | instskip(SKIP_1) | instid1(VALU_DEP_1)
	v_add3_u32 v32, v32, v7, v8
	s_wait_dscnt 0x0
	v_add3_u32 v32, v32, v1, v2
	s_delay_alu instid0(VALU_DEP_1) | instskip(NEXT) | instid1(VALU_DEP_1)
	v_add3_u32 v4, v32, v3, v4
	v_mov_b32_dpp v32, v4 row_shr:1 row_mask:0xf bank_mask:0xf
	s_delay_alu instid0(VALU_DEP_1) | instskip(NEXT) | instid1(VALU_DEP_1)
	v_cndmask_b32_e64 v32, v32, 0, s3
	v_add_nc_u32_e32 v4, v32, v4
	s_delay_alu instid0(VALU_DEP_1) | instskip(NEXT) | instid1(VALU_DEP_1)
	v_mov_b32_dpp v32, v4 row_shr:2 row_mask:0xf bank_mask:0xf
	v_cndmask_b32_e64 v32, 0, v32, s4
	s_delay_alu instid0(VALU_DEP_1) | instskip(NEXT) | instid1(VALU_DEP_1)
	v_add_nc_u32_e32 v4, v4, v32
	v_mov_b32_dpp v32, v4 row_shr:4 row_mask:0xf bank_mask:0xf
	s_delay_alu instid0(VALU_DEP_1) | instskip(NEXT) | instid1(VALU_DEP_1)
	v_cndmask_b32_e64 v32, 0, v32, s5
	v_add_nc_u32_e32 v4, v4, v32
	s_delay_alu instid0(VALU_DEP_1) | instskip(NEXT) | instid1(VALU_DEP_1)
	v_mov_b32_dpp v32, v4 row_shr:8 row_mask:0xf bank_mask:0xf
	v_cndmask_b32_e64 v32, 0, v32, s6
	s_delay_alu instid0(VALU_DEP_1)
	v_add_nc_u32_e32 v4, v4, v32
	s_and_saveexec_b32 s24, s7
; %bb.42:                               ;   in Loop: Header=BB129_32 Depth=1
	ds_store_b32 v15, v4 offset:512
; %bb.43:                               ;   in Loop: Header=BB129_32 Depth=1
	s_wait_alu 0xfffe
	s_or_b32 exec_lo, exec_lo, s24
	ds_bpermute_b32 v4, v28, v4
	; wave barrier
	s_wait_loadcnt_dscnt 0x0
	global_inv scope:SCOPE_SE
	ds_load_b32 v32, v15 offset:512
	v_cmp_lt_u32_e32 vcc_lo, 27, v19
	v_readfirstlane_b32 s24, v0
	s_mov_b32 s25, -1
	s_and_b32 vcc_lo, exec_lo, vcc_lo
	v_cndmask_b32_e64 v4, v4, 0, s19
	s_wait_dscnt 0x0
	s_delay_alu instid0(VALU_DEP_1) | instskip(NEXT) | instid1(VALU_DEP_1)
	v_lshl_add_u32 v4, v32, 16, v4
	v_add_nc_u32_e32 v5, v4, v5
	s_delay_alu instid0(VALU_DEP_1) | instskip(NEXT) | instid1(VALU_DEP_1)
	v_add_nc_u32_e32 v6, v5, v6
	v_add_nc_u32_e32 v7, v6, v7
	s_delay_alu instid0(VALU_DEP_1) | instskip(NEXT) | instid1(VALU_DEP_1)
	v_add_nc_u32_e32 v32, v7, v8
	;; [unrolled: 3-line block ×3, first 2 shown]
	v_add_nc_u32_e32 v35, v34, v3
	v_and_b32_e32 v3, 0xffff, v20
	ds_store_b128 v27, v[4:7]
	ds_store_b128 v27, v[32:35] offset:16
	; wave barrier
	s_wait_loadcnt_dscnt 0x0
	global_inv scope:SCOPE_SE
	ds_load_u16 v1, v29
	ds_load_u16 v2, v30
	v_and_b32_e32 v4, 0xffff, v31
                                        ; implicit-def: $vgpr6
	s_wait_dscnt 0x1
	v_add_nc_u32_e32 v8, v1, v3
	s_wait_dscnt 0x0
	s_delay_alu instid0(VALU_DEP_2)
	v_add_nc_u32_e32 v7, v2, v4
                                        ; implicit-def: $vgpr3_vgpr4
	s_wait_alu 0xfffe
	s_cbranch_vccnz .LBB129_31
; %bb.44:                               ;   in Loop: Header=BB129_32 Depth=1
	v_lshlrev_b32_e32 v1, 2, v8
	s_delay_alu instid0(VALU_DEP_2)
	v_lshlrev_b32_e32 v2, 2, v7
	s_wait_loadcnt 0x0
	; wave barrier
	global_inv scope:SCOPE_SE
	v_add_nc_u32_e32 v19, 4, v19
	ds_store_b32 v1, v18
	ds_store_b32 v2, v14
	v_add_nc_u32_e32 v1, v1, v1
	v_add_nc_u32_e32 v2, v2, v2
	; wave barrier
	s_wait_loadcnt_dscnt 0x0
	global_inv scope:SCOPE_SE
	ds_load_b64 v[5:6], v26
	; wave barrier
	s_wait_loadcnt_dscnt 0x0
	global_inv scope:SCOPE_SE
	ds_store_b64 v1, v[11:12]
	ds_store_b64 v2, v[9:10]
	; wave barrier
	s_wait_loadcnt_dscnt 0x0
	global_inv scope:SCOPE_SE
	ds_load_b128 v[1:4], v25
	s_add_co_i32 s24, s21, -4
	s_mov_b32 s25, 0
	; wave barrier
	s_wait_loadcnt_dscnt 0x0
	global_inv scope:SCOPE_SE
	s_branch .LBB129_31
.LBB129_45:
	v_lshlrev_b32_e32 v0, 2, v8
	v_lshlrev_b32_e32 v1, 2, v7
	s_wait_loadcnt 0x0
	; wave barrier
	global_inv scope:SCOPE_SE
	ds_store_b32 v0, v18
	ds_store_b32 v1, v14
	; wave barrier
	s_wait_loadcnt_dscnt 0x0
	global_inv scope:SCOPE_SE
	v_add_nc_u32_e32 v2, v0, v0
	v_add_nc_u32_e32 v3, v1, v1
	ds_load_b64 v[0:1], v26
	; wave barrier
	s_wait_loadcnt_dscnt 0x0
	global_inv scope:SCOPE_SE
	ds_store_b64 v2, v[11:12]
	ds_store_b64 v3, v[9:10]
	; wave barrier
	s_wait_loadcnt_dscnt 0x0
	global_inv scope:SCOPE_SE
	ds_load_b128 v[5:8], v25
	v_xor_b32_e32 v9, 0x7fffffff, v0
	v_xor_b32_e32 v10, 0x7fffffff, v1
.LBB129_46:
	; wave barrier
	s_wait_loadcnt_dscnt 0x0
	global_inv scope:SCOPE_SE
	ds_store_2addr_b32 v21, v9, v10 offset1:1
	; wave barrier
	s_wait_loadcnt_dscnt 0x0
	global_inv scope:SCOPE_SE
	ds_load_b32 v2, v22 offset:64
	v_mov_b32_e32 v17, 0
	s_delay_alu instid0(VALU_DEP_1) | instskip(NEXT) | instid1(VALU_DEP_1)
	v_lshlrev_b64_e32 v[0:1], 2, v[16:17]
	v_add_co_u32 v0, vcc_lo, s22, v0
	s_wait_alu 0xfffd
	s_delay_alu instid0(VALU_DEP_2)
	v_add_co_ci_u32_e64 v1, null, s23, v1, vcc_lo
	s_and_saveexec_b32 s2, s0
	s_cbranch_execz .LBB129_48
; %bb.47:
	ds_load_b32 v3, v22
	s_wait_dscnt 0x0
	global_store_b32 v[0:1], v3, off
.LBB129_48:
	s_wait_alu 0xfffe
	s_or_b32 exec_lo, exec_lo, s2
	s_and_saveexec_b32 s2, s1
	s_cbranch_execz .LBB129_50
; %bb.49:
	s_lshl_b32 s4, s18, 4
	s_mov_b32 s5, 0
	s_wait_alu 0xfffe
	s_lshl_b64 s[4:5], s[4:5], 2
	s_wait_alu 0xfffe
	v_add_co_u32 v0, vcc_lo, v0, s4
	s_wait_alu 0xfffd
	v_add_co_ci_u32_e64 v1, null, s5, v1, vcc_lo
	s_wait_dscnt 0x0
	global_store_b32 v[0:1], v2, off
.LBB129_50:
	s_wait_alu 0xfffe
	s_or_b32 exec_lo, exec_lo, s2
	s_wait_storecnt 0x0
	; wave barrier
	s_wait_loadcnt_dscnt 0x0
	global_inv scope:SCOPE_SE
	ds_store_2addr_b64 v24, v[5:6], v[7:8] offset1:1
	; wave barrier
	s_wait_loadcnt_dscnt 0x0
	global_inv scope:SCOPE_SE
	ds_load_b64 v[0:1], v21 offset:128
	v_mov_b32_e32 v14, 0
	s_delay_alu instid0(VALU_DEP_1) | instskip(NEXT) | instid1(VALU_DEP_1)
	v_lshlrev_b64_e32 v[2:3], 3, v[13:14]
	v_add_co_u32 v2, vcc_lo, s16, v2
	s_wait_alu 0xfffd
	s_delay_alu instid0(VALU_DEP_2)
	v_add_co_ci_u32_e64 v3, null, s17, v3, vcc_lo
	s_and_saveexec_b32 s2, s0
	s_cbranch_execz .LBB129_52
; %bb.51:
	ds_load_b64 v[4:5], v23
	s_wait_dscnt 0x0
	global_store_b64 v[2:3], v[4:5], off
.LBB129_52:
	s_wait_alu 0xfffe
	s_or_b32 exec_lo, exec_lo, s2
	s_and_saveexec_b32 s0, s1
	s_cbranch_execz .LBB129_54
; %bb.53:
	s_lshl_b32 s0, s20, 4
	s_mov_b32 s1, 0
	s_delay_alu instid0(SALU_CYCLE_1) | instskip(NEXT) | instid1(SALU_CYCLE_1)
	s_lshl_b64 s[0:1], s[0:1], 3
	v_add_co_u32 v2, vcc_lo, v2, s0
	s_wait_alu 0xfffd
	v_add_co_ci_u32_e64 v3, null, s1, v3, vcc_lo
	s_wait_dscnt 0x0
	global_store_b64 v[2:3], v[0:1], off
.LBB129_54:
	s_endpgm
	.section	.rodata,"a",@progbits
	.p2align	6, 0x0
	.amdhsa_kernel _ZN2at6native18radixSortKVInPlaceILi2ELin1ELi16ELi2EiljEEvNS_4cuda6detail10TensorInfoIT3_T5_EES6_S6_S6_NS4_IT4_S6_EES6_b
		.amdhsa_group_segment_fixed_size 528
		.amdhsa_private_segment_fixed_size 0
		.amdhsa_kernarg_size 712
		.amdhsa_user_sgpr_count 2
		.amdhsa_user_sgpr_dispatch_ptr 0
		.amdhsa_user_sgpr_queue_ptr 0
		.amdhsa_user_sgpr_kernarg_segment_ptr 1
		.amdhsa_user_sgpr_dispatch_id 0
		.amdhsa_user_sgpr_private_segment_size 0
		.amdhsa_wavefront_size32 1
		.amdhsa_uses_dynamic_stack 0
		.amdhsa_enable_private_segment 0
		.amdhsa_system_sgpr_workgroup_id_x 1
		.amdhsa_system_sgpr_workgroup_id_y 1
		.amdhsa_system_sgpr_workgroup_id_z 1
		.amdhsa_system_sgpr_workgroup_info 0
		.amdhsa_system_vgpr_workitem_id 0
		.amdhsa_next_free_vgpr 41
		.amdhsa_next_free_sgpr 26
		.amdhsa_reserve_vcc 1
		.amdhsa_float_round_mode_32 0
		.amdhsa_float_round_mode_16_64 0
		.amdhsa_float_denorm_mode_32 3
		.amdhsa_float_denorm_mode_16_64 3
		.amdhsa_fp16_overflow 0
		.amdhsa_workgroup_processor_mode 1
		.amdhsa_memory_ordered 1
		.amdhsa_forward_progress 1
		.amdhsa_inst_pref_size 32
		.amdhsa_round_robin_scheduling 0
		.amdhsa_exception_fp_ieee_invalid_op 0
		.amdhsa_exception_fp_denorm_src 0
		.amdhsa_exception_fp_ieee_div_zero 0
		.amdhsa_exception_fp_ieee_overflow 0
		.amdhsa_exception_fp_ieee_underflow 0
		.amdhsa_exception_fp_ieee_inexact 0
		.amdhsa_exception_int_div_zero 0
	.end_amdhsa_kernel
	.section	.text._ZN2at6native18radixSortKVInPlaceILi2ELin1ELi16ELi2EiljEEvNS_4cuda6detail10TensorInfoIT3_T5_EES6_S6_S6_NS4_IT4_S6_EES6_b,"axG",@progbits,_ZN2at6native18radixSortKVInPlaceILi2ELin1ELi16ELi2EiljEEvNS_4cuda6detail10TensorInfoIT3_T5_EES6_S6_S6_NS4_IT4_S6_EES6_b,comdat
.Lfunc_end129:
	.size	_ZN2at6native18radixSortKVInPlaceILi2ELin1ELi16ELi2EiljEEvNS_4cuda6detail10TensorInfoIT3_T5_EES6_S6_S6_NS4_IT4_S6_EES6_b, .Lfunc_end129-_ZN2at6native18radixSortKVInPlaceILi2ELin1ELi16ELi2EiljEEvNS_4cuda6detail10TensorInfoIT3_T5_EES6_S6_S6_NS4_IT4_S6_EES6_b
                                        ; -- End function
	.set _ZN2at6native18radixSortKVInPlaceILi2ELin1ELi16ELi2EiljEEvNS_4cuda6detail10TensorInfoIT3_T5_EES6_S6_S6_NS4_IT4_S6_EES6_b.num_vgpr, 41
	.set _ZN2at6native18radixSortKVInPlaceILi2ELin1ELi16ELi2EiljEEvNS_4cuda6detail10TensorInfoIT3_T5_EES6_S6_S6_NS4_IT4_S6_EES6_b.num_agpr, 0
	.set _ZN2at6native18radixSortKVInPlaceILi2ELin1ELi16ELi2EiljEEvNS_4cuda6detail10TensorInfoIT3_T5_EES6_S6_S6_NS4_IT4_S6_EES6_b.numbered_sgpr, 26
	.set _ZN2at6native18radixSortKVInPlaceILi2ELin1ELi16ELi2EiljEEvNS_4cuda6detail10TensorInfoIT3_T5_EES6_S6_S6_NS4_IT4_S6_EES6_b.num_named_barrier, 0
	.set _ZN2at6native18radixSortKVInPlaceILi2ELin1ELi16ELi2EiljEEvNS_4cuda6detail10TensorInfoIT3_T5_EES6_S6_S6_NS4_IT4_S6_EES6_b.private_seg_size, 0
	.set _ZN2at6native18radixSortKVInPlaceILi2ELin1ELi16ELi2EiljEEvNS_4cuda6detail10TensorInfoIT3_T5_EES6_S6_S6_NS4_IT4_S6_EES6_b.uses_vcc, 1
	.set _ZN2at6native18radixSortKVInPlaceILi2ELin1ELi16ELi2EiljEEvNS_4cuda6detail10TensorInfoIT3_T5_EES6_S6_S6_NS4_IT4_S6_EES6_b.uses_flat_scratch, 0
	.set _ZN2at6native18radixSortKVInPlaceILi2ELin1ELi16ELi2EiljEEvNS_4cuda6detail10TensorInfoIT3_T5_EES6_S6_S6_NS4_IT4_S6_EES6_b.has_dyn_sized_stack, 0
	.set _ZN2at6native18radixSortKVInPlaceILi2ELin1ELi16ELi2EiljEEvNS_4cuda6detail10TensorInfoIT3_T5_EES6_S6_S6_NS4_IT4_S6_EES6_b.has_recursion, 0
	.set _ZN2at6native18radixSortKVInPlaceILi2ELin1ELi16ELi2EiljEEvNS_4cuda6detail10TensorInfoIT3_T5_EES6_S6_S6_NS4_IT4_S6_EES6_b.has_indirect_call, 0
	.section	.AMDGPU.csdata,"",@progbits
; Kernel info:
; codeLenInByte = 4068
; TotalNumSgprs: 28
; NumVgprs: 41
; ScratchSize: 0
; MemoryBound: 0
; FloatMode: 240
; IeeeMode: 1
; LDSByteSize: 528 bytes/workgroup (compile time only)
; SGPRBlocks: 0
; VGPRBlocks: 5
; NumSGPRsForWavesPerEU: 28
; NumVGPRsForWavesPerEU: 41
; Occupancy: 16
; WaveLimiterHint : 1
; COMPUTE_PGM_RSRC2:SCRATCH_EN: 0
; COMPUTE_PGM_RSRC2:USER_SGPR: 2
; COMPUTE_PGM_RSRC2:TRAP_HANDLER: 0
; COMPUTE_PGM_RSRC2:TGID_X_EN: 1
; COMPUTE_PGM_RSRC2:TGID_Y_EN: 1
; COMPUTE_PGM_RSRC2:TGID_Z_EN: 1
; COMPUTE_PGM_RSRC2:TIDIG_COMP_CNT: 0
	.section	.text._ZN2at6native18radixSortKVInPlaceILin1ELin1ELi512ELi8EiljEEvNS_4cuda6detail10TensorInfoIT3_T5_EES6_S6_S6_NS4_IT4_S6_EES6_b,"axG",@progbits,_ZN2at6native18radixSortKVInPlaceILin1ELin1ELi512ELi8EiljEEvNS_4cuda6detail10TensorInfoIT3_T5_EES6_S6_S6_NS4_IT4_S6_EES6_b,comdat
	.protected	_ZN2at6native18radixSortKVInPlaceILin1ELin1ELi512ELi8EiljEEvNS_4cuda6detail10TensorInfoIT3_T5_EES6_S6_S6_NS4_IT4_S6_EES6_b ; -- Begin function _ZN2at6native18radixSortKVInPlaceILin1ELin1ELi512ELi8EiljEEvNS_4cuda6detail10TensorInfoIT3_T5_EES6_S6_S6_NS4_IT4_S6_EES6_b
	.globl	_ZN2at6native18radixSortKVInPlaceILin1ELin1ELi512ELi8EiljEEvNS_4cuda6detail10TensorInfoIT3_T5_EES6_S6_S6_NS4_IT4_S6_EES6_b
	.p2align	8
	.type	_ZN2at6native18radixSortKVInPlaceILin1ELin1ELi512ELi8EiljEEvNS_4cuda6detail10TensorInfoIT3_T5_EES6_S6_S6_NS4_IT4_S6_EES6_b,@function
_ZN2at6native18radixSortKVInPlaceILin1ELin1ELi512ELi8EiljEEvNS_4cuda6detail10TensorInfoIT3_T5_EES6_S6_S6_NS4_IT4_S6_EES6_b: ; @_ZN2at6native18radixSortKVInPlaceILin1ELin1ELi512ELi8EiljEEvNS_4cuda6detail10TensorInfoIT3_T5_EES6_S6_S6_NS4_IT4_S6_EES6_b
; %bb.0:
	s_clause 0x1
	s_load_b64 s[2:3], s[0:1], 0x1c8
	s_load_b96 s[24:26], s[0:1], 0xd8
	s_lshr_b32 s4, ttmp7, 16
	s_wait_kmcnt 0x0
	s_mul_i32 s3, s3, s4
	s_and_b32 s4, ttmp7, 0xffff
	s_delay_alu instid0(SALU_CYCLE_1) | instskip(NEXT) | instid1(SALU_CYCLE_1)
	s_add_co_i32 s3, s3, s4
	s_mul_i32 s2, s3, s2
	s_delay_alu instid0(SALU_CYCLE_1) | instskip(NEXT) | instid1(SALU_CYCLE_1)
	s_add_co_i32 s14, s2, ttmp9
	s_cmp_ge_u32 s14, s24
	s_cbranch_scc1 .LBB130_113
; %bb.1:
	s_load_b32 s4, s[0:1], 0xd0
	s_mov_b32 s3, 0
	s_mov_b32 s2, s14
	s_wait_kmcnt 0x0
	s_cmp_lt_i32 s4, 2
	s_cbranch_scc1 .LBB130_4
; %bb.2:
	s_add_co_i32 s2, s4, -1
	s_delay_alu instid0(SALU_CYCLE_1)
	s_lshl_b64 s[6:7], s[2:3], 2
	s_mov_b32 s2, s14
	s_add_nc_u64 s[8:9], s[0:1], s[6:7]
	s_add_co_i32 s6, s4, 1
	s_add_nc_u64 s[4:5], s[8:9], 8
.LBB130_3:                              ; =>This Inner Loop Header: Depth=1
	s_clause 0x1
	s_load_b32 s7, s[4:5], 0x0
	s_load_b32 s8, s[4:5], 0x64
	s_mov_b32 s11, s2
	s_add_nc_u64 s[4:5], s[4:5], -4
	s_wait_kmcnt 0x0
	s_cvt_f32_u32 s9, s7
	s_sub_co_i32 s10, 0, s7
	s_wait_alu 0xfffe
	s_delay_alu instid0(SALU_CYCLE_1) | instskip(NEXT) | instid1(TRANS32_DEP_1)
	v_rcp_iflag_f32_e32 v1, s9
	v_readfirstlane_b32 s9, v1
	s_mul_f32 s9, s9, 0x4f7ffffe
	s_wait_alu 0xfffe
	s_delay_alu instid0(SALU_CYCLE_2) | instskip(SKIP_1) | instid1(SALU_CYCLE_2)
	s_cvt_u32_f32 s9, s9
	s_wait_alu 0xfffe
	s_mul_i32 s10, s10, s9
	s_delay_alu instid0(SALU_CYCLE_1) | instskip(NEXT) | instid1(SALU_CYCLE_1)
	s_mul_hi_u32 s10, s9, s10
	s_add_co_i32 s9, s9, s10
	s_wait_alu 0xfffe
	s_mul_hi_u32 s2, s2, s9
	s_delay_alu instid0(SALU_CYCLE_1)
	s_mul_i32 s9, s2, s7
	s_add_co_i32 s10, s2, 1
	s_wait_alu 0xfffe
	s_sub_co_i32 s9, s11, s9
	s_wait_alu 0xfffe
	s_sub_co_i32 s12, s9, s7
	s_cmp_ge_u32 s9, s7
	s_cselect_b32 s2, s10, s2
	s_cselect_b32 s9, s12, s9
	s_add_co_i32 s10, s2, 1
	s_wait_alu 0xfffe
	s_cmp_ge_u32 s9, s7
	s_cselect_b32 s2, s10, s2
	s_add_co_i32 s6, s6, -1
	s_mul_i32 s7, s2, s7
	s_delay_alu instid0(SALU_CYCLE_1) | instskip(NEXT) | instid1(SALU_CYCLE_1)
	s_sub_co_i32 s7, s11, s7
	s_mul_i32 s7, s8, s7
	s_delay_alu instid0(SALU_CYCLE_1)
	s_add_co_i32 s3, s7, s3
	s_cmp_gt_u32 s6, 2
	s_cbranch_scc1 .LBB130_3
.LBB130_4:
	s_load_b32 s4, s[0:1], 0x1b8
	s_add_nc_u64 s[34:35], s[0:1], 0x1c8
	s_mov_b32 s13, 0
	s_wait_kmcnt 0x0
	s_cmp_lt_i32 s4, 2
	s_cbranch_scc1 .LBB130_7
; %bb.5:
	s_add_co_i32 s12, s4, -1
	s_delay_alu instid0(SALU_CYCLE_1) | instskip(NEXT) | instid1(SALU_CYCLE_1)
	s_lshl_b64 s[6:7], s[12:13], 2
	s_add_nc_u64 s[8:9], s[0:1], s[6:7]
	s_add_co_i32 s6, s4, 1
	s_wait_alu 0xfffe
	s_add_nc_u64 s[4:5], s[8:9], 0xf0
.LBB130_6:                              ; =>This Inner Loop Header: Depth=1
	s_clause 0x1
	s_load_b32 s7, s[4:5], 0x0
	s_load_b32 s8, s[4:5], 0x64
	s_mov_b32 s11, s14
	s_add_nc_u64 s[4:5], s[4:5], -4
	s_wait_kmcnt 0x0
	s_cvt_f32_u32 s9, s7
	s_sub_co_i32 s10, 0, s7
	s_wait_alu 0xfffe
	s_delay_alu instid0(SALU_CYCLE_1) | instskip(NEXT) | instid1(TRANS32_DEP_1)
	v_rcp_iflag_f32_e32 v1, s9
	v_readfirstlane_b32 s9, v1
	s_mul_f32 s9, s9, 0x4f7ffffe
	s_wait_alu 0xfffe
	s_delay_alu instid0(SALU_CYCLE_2) | instskip(SKIP_1) | instid1(SALU_CYCLE_2)
	s_cvt_u32_f32 s9, s9
	s_wait_alu 0xfffe
	s_mul_i32 s10, s10, s9
	s_delay_alu instid0(SALU_CYCLE_1) | instskip(NEXT) | instid1(SALU_CYCLE_1)
	s_mul_hi_u32 s10, s9, s10
	s_add_co_i32 s9, s9, s10
	s_wait_alu 0xfffe
	s_mul_hi_u32 s9, s14, s9
	s_wait_alu 0xfffe
	s_mul_i32 s10, s9, s7
	s_add_co_i32 s12, s9, 1
	s_sub_co_i32 s10, s14, s10
	s_delay_alu instid0(SALU_CYCLE_1)
	s_sub_co_i32 s14, s10, s7
	s_cmp_ge_u32 s10, s7
	s_cselect_b32 s9, s12, s9
	s_cselect_b32 s10, s14, s10
	s_wait_alu 0xfffe
	s_add_co_i32 s12, s9, 1
	s_cmp_ge_u32 s10, s7
	s_cselect_b32 s14, s12, s9
	s_add_co_i32 s6, s6, -1
	s_mul_i32 s7, s14, s7
	s_delay_alu instid0(SALU_CYCLE_1) | instskip(NEXT) | instid1(SALU_CYCLE_1)
	s_sub_co_i32 s7, s11, s7
	s_mul_i32 s7, s8, s7
	s_delay_alu instid0(SALU_CYCLE_1)
	s_add_co_i32 s13, s7, s13
	s_cmp_gt_u32 s6, 2
	s_cbranch_scc1 .LBB130_6
.LBB130_7:
	s_clause 0x2
	s_load_b32 s4, s[0:1], 0x6c
	s_load_b64 s[28:29], s[0:1], 0x1c0
	s_load_b64 s[16:17], s[0:1], 0x0
	s_mov_b32 s19, 0
	s_wait_kmcnt 0x0
	s_mul_i32 s2, s4, s2
	s_brev_b32 s4, 1
	s_add_co_i32 s18, s2, s3
	s_bitcmp1_b32 s29, 0
	s_cselect_b32 s12, -1, 0
	s_delay_alu instid0(SALU_CYCLE_1)
	s_and_b32 s2, s12, exec_lo
	s_cselect_b32 s4, s4, 0x7fffffff
	s_lshl_b64 s[18:19], s[18:19], 2
	s_mov_b32 s5, s4
	s_mov_b32 s6, s4
	;; [unrolled: 1-line block ×7, first 2 shown]
	v_dual_mov_b32 v1, s4 :: v_dual_and_b32 v42, 0x3ff, v0
	v_dual_mov_b32 v2, s5 :: v_dual_mov_b32 v3, s6
	s_wait_alu 0xfffe
	v_dual_mov_b32 v4, s7 :: v_dual_mov_b32 v5, s8
	s_delay_alu instid0(VALU_DEP_3)
	v_mul_lo_u32 v40, s26, v42
	v_cmp_gt_u32_e64 s2, s25, v42
	v_dual_mov_b32 v6, s9 :: v_dual_mov_b32 v7, s10
	v_dual_mov_b32 v8, s11 :: v_dual_mov_b32 v9, s4
	s_add_nc_u64 s[30:31], s[16:17], s[18:19]
	s_and_saveexec_b32 s3, s2
	s_cbranch_execz .LBB130_9
; %bb.8:
	v_mov_b32_e32 v41, 0
	s_delay_alu instid0(VALU_DEP_1) | instskip(NEXT) | instid1(VALU_DEP_1)
	v_lshlrev_b64_e32 v[1:2], 2, v[40:41]
	v_add_co_u32 v1, vcc_lo, s30, v1
	s_delay_alu instid0(VALU_DEP_1)
	v_add_co_ci_u32_e64 v2, null, s31, v2, vcc_lo
	global_load_b32 v9, v[1:2], off
	v_dual_mov_b32 v1, s4 :: v_dual_mov_b32 v4, s7
	v_dual_mov_b32 v2, s5 :: v_dual_mov_b32 v3, s6
	;; [unrolled: 1-line block ×4, first 2 shown]
.LBB130_9:
	s_or_b32 exec_lo, exec_lo, s3
	v_add_nc_u32_e32 v15, 0x200, v42
	s_delay_alu instid0(VALU_DEP_1)
	v_cmp_gt_u32_e64 s3, s25, v15
	s_and_saveexec_b32 s4, s3
	s_cbranch_execz .LBB130_11
; %bb.10:
	v_mul_lo_u32 v1, s26, v15
	v_mov_b32_e32 v2, 0
	s_delay_alu instid0(VALU_DEP_1) | instskip(NEXT) | instid1(VALU_DEP_1)
	v_lshlrev_b64_e32 v[1:2], 2, v[1:2]
	v_add_co_u32 v1, vcc_lo, s30, v1
	s_wait_alu 0xfffd
	s_delay_alu instid0(VALU_DEP_2)
	v_add_co_ci_u32_e64 v2, null, s31, v2, vcc_lo
	global_load_b32 v2, v[1:2], off
.LBB130_11:
	s_wait_alu 0xfffe
	s_or_b32 exec_lo, exec_lo, s4
	v_or_b32_e32 v16, 0x400, v42
	s_delay_alu instid0(VALU_DEP_1)
	v_cmp_gt_u32_e64 s4, s25, v16
	s_and_saveexec_b32 s5, s4
	s_cbranch_execz .LBB130_13
; %bb.12:
	v_mul_lo_u32 v10, s26, v16
	v_mov_b32_e32 v11, 0
	s_delay_alu instid0(VALU_DEP_1) | instskip(NEXT) | instid1(VALU_DEP_1)
	v_lshlrev_b64_e32 v[10:11], 2, v[10:11]
	v_add_co_u32 v10, vcc_lo, s30, v10
	s_wait_alu 0xfffd
	s_delay_alu instid0(VALU_DEP_2)
	v_add_co_ci_u32_e64 v11, null, s31, v11, vcc_lo
	global_load_b32 v3, v[10:11], off
.LBB130_13:
	s_wait_alu 0xfffe
	s_or_b32 exec_lo, exec_lo, s5
	v_add_nc_u32_e32 v19, 0x600, v42
	s_delay_alu instid0(VALU_DEP_1)
	v_cmp_gt_u32_e64 s5, s25, v19
	s_and_saveexec_b32 s6, s5
	s_cbranch_execz .LBB130_15
; %bb.14:
	v_mul_lo_u32 v10, s26, v19
	v_mov_b32_e32 v11, 0
	s_delay_alu instid0(VALU_DEP_1) | instskip(NEXT) | instid1(VALU_DEP_1)
	v_lshlrev_b64_e32 v[10:11], 2, v[10:11]
	v_add_co_u32 v10, vcc_lo, s30, v10
	s_wait_alu 0xfffd
	s_delay_alu instid0(VALU_DEP_2)
	v_add_co_ci_u32_e64 v11, null, s31, v11, vcc_lo
	global_load_b32 v4, v[10:11], off
.LBB130_15:
	s_wait_alu 0xfffe
	s_or_b32 exec_lo, exec_lo, s6
	v_or_b32_e32 v20, 0x800, v42
	s_delay_alu instid0(VALU_DEP_1)
	v_cmp_gt_u32_e64 s6, s25, v20
	s_and_saveexec_b32 s7, s6
	s_cbranch_execz .LBB130_17
; %bb.16:
	v_mul_lo_u32 v10, s26, v20
	v_mov_b32_e32 v11, 0
	s_delay_alu instid0(VALU_DEP_1) | instskip(NEXT) | instid1(VALU_DEP_1)
	v_lshlrev_b64_e32 v[10:11], 2, v[10:11]
	v_add_co_u32 v10, vcc_lo, s30, v10
	s_wait_alu 0xfffd
	s_delay_alu instid0(VALU_DEP_2)
	v_add_co_ci_u32_e64 v11, null, s31, v11, vcc_lo
	global_load_b32 v5, v[10:11], off
.LBB130_17:
	s_wait_alu 0xfffe
	s_or_b32 exec_lo, exec_lo, s7
	v_add_nc_u32_e32 v21, 0xa00, v42
	s_delay_alu instid0(VALU_DEP_1)
	v_cmp_gt_u32_e64 s7, s25, v21
	s_and_saveexec_b32 s8, s7
	s_cbranch_execz .LBB130_19
; %bb.18:
	v_mul_lo_u32 v10, s26, v21
	v_mov_b32_e32 v11, 0
	s_delay_alu instid0(VALU_DEP_1) | instskip(NEXT) | instid1(VALU_DEP_1)
	v_lshlrev_b64_e32 v[10:11], 2, v[10:11]
	v_add_co_u32 v10, vcc_lo, s30, v10
	s_wait_alu 0xfffd
	s_delay_alu instid0(VALU_DEP_2)
	v_add_co_ci_u32_e64 v11, null, s31, v11, vcc_lo
	global_load_b32 v6, v[10:11], off
.LBB130_19:
	s_wait_alu 0xfffe
	s_or_b32 exec_lo, exec_lo, s8
	v_or_b32_e32 v22, 0xc00, v42
	s_delay_alu instid0(VALU_DEP_1)
	v_cmp_gt_u32_e64 s8, s25, v22
	s_and_saveexec_b32 s9, s8
	s_cbranch_execz .LBB130_21
; %bb.20:
	v_mul_lo_u32 v10, s26, v22
	v_mov_b32_e32 v11, 0
	s_delay_alu instid0(VALU_DEP_1) | instskip(NEXT) | instid1(VALU_DEP_1)
	v_lshlrev_b64_e32 v[10:11], 2, v[10:11]
	v_add_co_u32 v10, vcc_lo, s30, v10
	s_wait_alu 0xfffd
	s_delay_alu instid0(VALU_DEP_2)
	v_add_co_ci_u32_e64 v11, null, s31, v11, vcc_lo
	global_load_b32 v7, v[10:11], off
.LBB130_21:
	s_wait_alu 0xfffe
	s_or_b32 exec_lo, exec_lo, s9
	s_clause 0x1
	s_load_b32 s9, s[0:1], 0x154
	s_load_b64 s[10:11], s[0:1], 0xe8
	v_add_nc_u32_e32 v23, 0xe00, v42
	s_delay_alu instid0(VALU_DEP_1)
	v_cmp_gt_u32_e64 s0, s25, v23
	s_and_saveexec_b32 s1, s0
	s_cbranch_execz .LBB130_23
; %bb.22:
	v_mul_lo_u32 v10, s26, v23
	v_mov_b32_e32 v11, 0
	s_delay_alu instid0(VALU_DEP_1) | instskip(NEXT) | instid1(VALU_DEP_1)
	v_lshlrev_b64_e32 v[10:11], 2, v[10:11]
	v_add_co_u32 v10, vcc_lo, s30, v10
	s_wait_alu 0xfffd
	s_delay_alu instid0(VALU_DEP_2)
	v_add_co_ci_u32_e64 v11, null, s31, v11, vcc_lo
	global_load_b32 v8, v[10:11], off
.LBB130_23:
	s_or_b32 exec_lo, exec_lo, s1
	v_lshrrev_b32_e32 v17, 5, v42
	v_lshrrev_b32_e32 v1, 5, v15
	;; [unrolled: 1-line block ×3, first 2 shown]
	s_wait_kmcnt 0x0
	s_mul_i32 s1, s9, s14
	v_mul_lo_u32 v37, s28, v42
	v_dual_mov_b32 v38, 0 :: v_dual_add_nc_u32 v27, v17, v42
	v_add_nc_u32_e32 v26, v1, v42
	v_lshrrev_b32_e32 v1, 5, v19
	v_dual_mov_b32 v13, 0 :: v_dual_add_nc_u32 v24, v10, v42
	s_delay_alu instid0(VALU_DEP_4) | instskip(NEXT) | instid1(VALU_DEP_3)
	v_dual_mov_b32 v10, v38 :: v_dual_lshlrev_b32 v73, 2, v27
	v_add_nc_u32_e32 v25, v1, v42
	v_lshrrev_b32_e32 v1, 5, v20
	v_mov_b32_e32 v39, v38
	v_lshlrev_b32_e32 v41, 2, v26
	v_lshlrev_b32_e32 v74, 2, v24
	;; [unrolled: 1-line block ×3, first 2 shown]
	v_add_nc_u32_e32 v28, v1, v42
	v_lshrrev_b32_e32 v1, 5, v21
	s_wait_loadcnt 0x0
	ds_store_b32 v73, v9
	ds_store_b32 v41, v2 offset:2048
	ds_store_b32 v74, v3 offset:4096
	v_lshrrev_b32_e32 v2, 5, v22
	v_lshrrev_b32_e32 v3, 5, v23
	v_lshlrev_b32_e32 v75, 2, v25
	v_add_nc_u32_e32 v32, v1, v42
	v_lshrrev_b32_e32 v1, 2, v42
	v_add_nc_u32_e32 v30, v2, v42
	v_add_nc_u32_e32 v29, v3, v42
	ds_store_b32 v75, v4 offset:6144
	v_mov_b32_e32 v3, v38
	v_add_nc_u32_e32 v31, v1, v18
	v_dual_mov_b32 v1, v38 :: v_dual_lshlrev_b32 v76, 2, v28
	v_dual_mov_b32 v11, v38 :: v_dual_lshlrev_b32 v78, 2, v30
	s_delay_alu instid0(VALU_DEP_3)
	v_lshlrev_b32_e32 v80, 2, v31
	v_dual_mov_b32 v12, v38 :: v_dual_lshlrev_b32 v79, 2, v29
	ds_store_b32 v76, v5 offset:8192
	v_mov_b32_e32 v5, v38
	v_dual_mov_b32 v14, 0 :: v_dual_lshlrev_b32 v77, 2, v32
	ds_store_b32 v77, v6 offset:10240
	ds_store_b32 v78, v7 offset:12288
	;; [unrolled: 1-line block ×3, first 2 shown]
	s_wait_dscnt 0x0
	s_barrier_signal -1
	s_barrier_wait -1
	global_inv scope:SCOPE_SE
	ds_load_2addr_b32 v[49:50], v80 offset1:1
	ds_load_2addr_b32 v[47:48], v80 offset0:2 offset1:3
	ds_load_2addr_b32 v[45:46], v80 offset0:4 offset1:5
	;; [unrolled: 1-line block ×3, first 2 shown]
	s_mov_b32 s15, 0
	s_add_co_i32 s14, s1, s13
	v_dual_mov_b32 v9, v38 :: v_dual_mov_b32 v2, v38
	v_mov_b32_e32 v4, v38
	v_dual_mov_b32 v6, v38 :: v_dual_mov_b32 v7, v38
	v_mov_b32_e32 v8, v38
	s_lshl_b64 s[14:15], s[14:15], 3
	s_wait_loadcnt_dscnt 0x0
	s_add_nc_u64 s[24:25], s[10:11], s[14:15]
	s_barrier_signal -1
	s_barrier_wait -1
	global_inv scope:SCOPE_SE
	s_and_saveexec_b32 s1, s2
	s_cbranch_execnz .LBB130_59
; %bb.24:
	s_or_b32 exec_lo, exec_lo, s1
	s_and_saveexec_b32 s1, s3
	s_cbranch_execnz .LBB130_60
.LBB130_25:
	s_or_b32 exec_lo, exec_lo, s1
	s_and_saveexec_b32 s1, s4
	s_cbranch_execnz .LBB130_61
.LBB130_26:
	s_or_b32 exec_lo, exec_lo, s1
	s_and_saveexec_b32 s1, s5
	s_cbranch_execnz .LBB130_62
.LBB130_27:
	s_or_b32 exec_lo, exec_lo, s1
	s_and_saveexec_b32 s1, s6
	s_cbranch_execnz .LBB130_63
.LBB130_28:
	s_or_b32 exec_lo, exec_lo, s1
	s_and_saveexec_b32 s1, s7
	s_cbranch_execnz .LBB130_64
.LBB130_29:
	s_or_b32 exec_lo, exec_lo, s1
	s_and_saveexec_b32 s1, s8
	s_cbranch_execnz .LBB130_65
.LBB130_30:
	s_or_b32 exec_lo, exec_lo, s1
	s_xor_b32 s1, s12, -1
	s_and_saveexec_b32 s9, s0
	s_cbranch_execz .LBB130_32
.LBB130_31:
	v_mul_lo_u32 v11, s28, v23
	v_mov_b32_e32 v12, 0
	s_delay_alu instid0(VALU_DEP_1) | instskip(SKIP_1) | instid1(VALU_DEP_1)
	v_lshlrev_b64_e32 v[11:12], 3, v[11:12]
	s_wait_alu 0xfffe
	v_add_co_u32 v11, vcc_lo, s24, v11
	s_wait_alu 0xfffd
	s_delay_alu instid0(VALU_DEP_2)
	v_add_co_ci_u32_e64 v12, null, s25, v12, vcc_lo
	global_load_b64 v[11:12], v[11:12], off
.LBB130_32:
	s_wait_alu 0xfffe
	s_or_b32 exec_lo, exec_lo, s9
	v_lshlrev_b32_e32 v81, 3, v27
	v_lshlrev_b32_e32 v84, 3, v25
	;; [unrolled: 1-line block ×9, first 2 shown]
	s_wait_loadcnt 0x0
	ds_store_b64 v81, v[13:14]
	ds_store_b64 v82, v[38:39] offset:4096
	ds_store_b64 v83, v[9:10] offset:8192
	;; [unrolled: 1-line block ×7, first 2 shown]
	s_wait_dscnt 0x0
	s_barrier_signal -1
	s_barrier_wait -1
	global_inv scope:SCOPE_SE
	ds_load_2addr_b64 v[5:8], v89 offset1:1
	ds_load_2addr_b64 v[1:4], v89 offset0:2 offset1:3
	v_mbcnt_lo_u32_b32 v93, -1, 0
	v_and_b32_e32 v20, 0x1f00, v18
	ds_load_2addr_b64 v[13:16], v89 offset0:4 offset1:5
	ds_load_2addr_b64 v[9:12], v89 offset0:6 offset1:7
	v_and_b32_e32 v19, 0x3e0, v42
	s_and_b32 vcc_lo, exec_lo, s1
	v_bfe_u32 v97, v0, 10, 10
	v_or_b32_e32 v20, v93, v20
	v_bfe_u32 v98, v0, 20, 10
	v_or_b32_e32 v21, v93, v19
	v_lshlrev_b32_e32 v90, 2, v18
	v_and_b32_e32 v0, 15, v93
	v_lshlrev_b32_e32 v91, 2, v20
	v_and_b32_e32 v95, 16, v93
	v_lshlrev_b32_e32 v100, 3, v21
	v_lshlrev_b32_e32 v101, 5, v21
	v_min_u32_e32 v96, 0x1e0, v19
	v_lshl_add_u32 v99, v20, 2, v91
	v_cmp_gt_u32_e64 s1, 16, v42
	v_cmp_lt_u32_e64 s9, 31, v42
	v_cmp_eq_u32_e64 s10, 0, v42
	v_lshlrev_b32_e32 v92, 2, v17
	v_mul_i32_i24_e32 v94, 0xffffffe4, v42
	s_mov_b32 s20, 0
	s_mov_b32 s11, -1
	s_wait_loadcnt_dscnt 0x0
	s_barrier_signal -1
	s_barrier_wait -1
	global_inv scope:SCOPE_SE
	s_wait_alu 0xfffe
	s_cbranch_vccz .LBB130_66
; %bb.33:
	v_xor_b32_e32 v17, 0x80000000, v49
	v_xor_b32_e32 v18, 0x80000000, v50
	;; [unrolled: 1-line block ×8, first 2 shown]
	ds_store_b128 v101, v[17:20]
	ds_store_b128 v101, v[21:24] offset:16
	v_lshlrev_b32_e32 v17, 3, v100
	; wave barrier
	ds_load_2addr_b32 v[65:66], v91 offset1:32
	ds_load_2addr_b32 v[67:68], v91 offset0:64 offset1:96
	ds_load_2addr_b32 v[69:70], v91 offset0:128 offset1:160
	;; [unrolled: 1-line block ×3, first 2 shown]
	s_wait_loadcnt_dscnt 0x0
	s_barrier_signal -1
	s_barrier_wait -1
	global_inv scope:SCOPE_SE
	ds_store_b128 v17, v[5:8]
	ds_store_b128 v17, v[1:4] offset:16
	ds_store_b128 v17, v[13:16] offset:32
	ds_store_b128 v17, v[9:12] offset:48
	; wave barrier
	ds_load_2addr_b64 v[21:24], v99 offset1:32
	ds_load_2addr_b64 v[25:28], v99 offset0:64 offset1:96
	ds_load_2addr_b64 v[29:32], v99 offset0:128 offset1:160
	;; [unrolled: 1-line block ×3, first 2 shown]
	s_wait_loadcnt_dscnt 0x0
	s_barrier_signal -1
	s_barrier_wait -1
	global_inv scope:SCOPE_SE
	s_load_b32 s11, s[34:35], 0xc
	s_getpc_b64 s[12:13]
	s_sext_i32_i16 s13, s13
	s_add_co_u32 s12, s12, _ZN7rocprim17ROCPRIM_400000_NS16block_radix_sortIiLj512ELj8ElLj1ELj1ELj0ELNS0_26block_radix_rank_algorithmE1ELNS0_18block_padding_hintE2ELNS0_4arch9wavefront6targetE0EE19radix_bits_per_passE@rel32@lo+8
	s_add_co_ci_u32 s13, s13, _ZN7rocprim17ROCPRIM_400000_NS16block_radix_sortIiLj512ELj8ElLj1ELj1ELj0ELNS0_26block_radix_rank_algorithmE1ELNS0_18block_padding_hintE2ELNS0_4arch9wavefront6targetE0EE19radix_bits_per_passE@rel32@hi+16
	v_or_b32_e32 v19, 31, v96
	s_load_b32 s19, s[12:13], 0x0
	s_mov_b32 s21, s20
	s_mov_b32 s22, s20
	;; [unrolled: 1-line block ×3, first 2 shown]
	v_cmp_eq_u32_e64 s17, v42, v19
	v_cmp_eq_u32_e64 s12, 0, v0
	v_cmp_lt_u32_e64 s13, 1, v0
	v_cmp_lt_u32_e64 s15, 7, v0
	v_cmp_eq_u32_e64 s16, 0, v95
	v_add_nc_u32_e32 v103, -4, v92
	v_add_nc_u32_e32 v106, v90, v94
	v_add_nc_u32_e32 v107, v91, v91
	v_mov_b32_e32 v105, 0
	s_wait_kmcnt 0x0
	s_lshr_b32 s14, s11, 16
	s_and_b32 s11, s11, 0xffff
	v_mad_u32_u24 v17, v98, s14, v97
	v_cmp_lt_u32_e64 s14, 3, v0
	s_wait_alu 0xfffe
	s_delay_alu instid0(VALU_DEP_2) | instskip(SKIP_1) | instid1(VALU_DEP_1)
	v_mad_co_u64_u32 v[17:18], null, v17, s11, v[42:43]
	v_sub_co_u32 v18, s11, v93, 1
	v_cmp_gt_i32_e32 vcc_lo, 0, v18
	s_delay_alu instid0(VALU_DEP_3) | instskip(SKIP_2) | instid1(VALU_DEP_2)
	v_lshrrev_b32_e32 v17, 3, v17
	s_wait_alu 0xfffd
	v_cndmask_b32_e32 v18, v18, v93, vcc_lo
	v_and_b32_e32 v104, 0x1ffffffc, v17
	s_delay_alu instid0(VALU_DEP_2)
	v_dual_mov_b32 v17, s20 :: v_dual_lshlrev_b32 v102, 2, v18
	v_dual_mov_b32 v18, s21 :: v_dual_mov_b32 v19, s22
	v_mov_b32_e32 v20, s23
	s_mov_b32 s20, 32
	s_branch .LBB130_35
.LBB130_34:                             ;   in Loop: Header=BB130_35 Depth=1
	s_wait_alu 0xfffe
	s_and_not1_b32 vcc_lo, exec_lo, s21
	s_mov_b32 s20, s18
	s_wait_alu 0xfffe
	s_cbranch_vccz .LBB130_67
.LBB130_35:                             ; =>This Inner Loop Header: Depth=1
	s_wait_alu 0xfffe
	s_min_u32 s18, s19, s20
	v_mov_b32_e32 v60, v26
	s_wait_alu 0xfffe
	s_lshl_b32 s18, -1, s18
	v_mov_b32_e32 v62, v24
	s_wait_alu 0xfffe
	s_not_b32 s21, s18
	v_mov_b32_e32 v108, v65
	v_dual_mov_b32 v64, v22 :: v_dual_mov_b32 v109, v72
	v_mov_b32_e32 v110, v71
	ds_store_b128 v90, v[17:20] offset:64
	ds_store_b128 v90, v[17:20] offset:80
	v_lshrrev_b32_e32 v38, v105, v108
	s_wait_loadcnt_dscnt 0x0
	s_barrier_signal -1
	s_barrier_wait -1
	global_inv scope:SCOPE_SE
	s_wait_alu 0xfffe
	v_and_b32_e32 v65, s21, v38
	v_mov_b32_e32 v111, v70
	; wave barrier
	s_delay_alu instid0(VALU_DEP_2) | instskip(SKIP_3) | instid1(VALU_DEP_3)
	v_dual_mov_b32 v112, v69 :: v_dual_lshlrev_b32 v39, 30, v65
	v_and_b32_e32 v38, 1, v65
	v_dual_mov_b32 v114, v67 :: v_dual_lshlrev_b32 v51, 29, v65
	v_dual_mov_b32 v113, v68 :: v_dual_lshlrev_b32 v52, 28, v65
	v_add_co_u32 v38, s18, v38, -1
	s_wait_alu 0xf1ff
	v_cndmask_b32_e64 v53, 0, 1, s18
	v_not_b32_e32 v57, v39
	v_cmp_gt_i32_e64 s18, 0, v39
	v_not_b32_e32 v39, v51
	v_dual_mov_b32 v115, v66 :: v_dual_lshlrev_b32 v54, 27, v65
	v_cmp_ne_u32_e32 vcc_lo, 0, v53
	v_ashrrev_i32_e32 v57, 31, v57
	s_delay_alu instid0(VALU_DEP_4)
	v_ashrrev_i32_e32 v39, 31, v39
	v_lshlrev_b32_e32 v55, 26, v65
	v_lshlrev_b32_e32 v56, 25, v65
	s_wait_alu 0xfffd
	v_xor_b32_e32 v38, vcc_lo, v38
	v_cmp_gt_i32_e32 vcc_lo, 0, v51
	v_not_b32_e32 v51, v52
	s_wait_alu 0xf1ff
	v_xor_b32_e32 v57, s18, v57
	v_cmp_gt_i32_e64 s18, 0, v52
	v_and_b32_e32 v38, exec_lo, v38
	v_not_b32_e32 v52, v54
	v_ashrrev_i32_e32 v51, 31, v51
	s_wait_alu 0xfffd
	v_xor_b32_e32 v39, vcc_lo, v39
	v_cmp_gt_i32_e32 vcc_lo, 0, v54
	v_and_b32_e32 v38, v38, v57
	v_ashrrev_i32_e32 v52, 31, v52
	v_not_b32_e32 v54, v55
	s_wait_alu 0xf1ff
	v_xor_b32_e32 v51, s18, v51
	v_cmp_gt_i32_e64 s18, 0, v55
	v_and_b32_e32 v38, v38, v39
	v_not_b32_e32 v39, v56
	s_wait_alu 0xfffd
	v_xor_b32_e32 v52, vcc_lo, v52
	v_cmp_gt_i32_e32 vcc_lo, 0, v56
	v_dual_mov_b32 v56, v30 :: v_dual_lshlrev_b32 v53, 24, v65
	v_ashrrev_i32_e32 v54, 31, v54
	v_dual_mov_b32 v55, v29 :: v_dual_and_b32 v38, v38, v51
	v_ashrrev_i32_e32 v39, 31, v39
	s_delay_alu instid0(VALU_DEP_4)
	v_not_b32_e32 v51, v53
	s_wait_alu 0xf1ff
	v_xor_b32_e32 v54, s18, v54
	v_cmp_gt_i32_e64 s18, 0, v53
	v_dual_mov_b32 v59, v25 :: v_dual_and_b32 v38, v38, v52
	v_ashrrev_i32_e32 v51, 31, v51
	s_wait_alu 0xfffd
	v_xor_b32_e32 v39, vcc_lo, v39
	s_delay_alu instid0(VALU_DEP_3)
	v_dual_mov_b32 v61, v23 :: v_dual_and_b32 v38, v38, v54
	v_mov_b32_e32 v63, v21
	s_wait_alu 0xf1ff
	v_xor_b32_e32 v57, s18, v51
	v_dual_mov_b32 v52, v34 :: v_dual_lshlrev_b32 v21, 6, v65
	v_and_b32_e32 v58, v38, v39
	v_dual_mov_b32 v54, v32 :: v_dual_mov_b32 v53, v31
	v_dual_mov_b32 v39, v36 :: v_dual_mov_b32 v38, v35
	s_delay_alu instid0(VALU_DEP_3) | instskip(SKIP_2) | instid1(VALU_DEP_3)
	v_dual_mov_b32 v58, v28 :: v_dual_and_b32 v31, v58, v57
	v_mov_b32_e32 v51, v33
	v_dual_mov_b32 v57, v27 :: v_dual_add_nc_u32 v30, v104, v21
	v_mbcnt_lo_u32_b32 v29, v31, 0
	v_cmp_ne_u32_e64 s18, 0, v31
	s_delay_alu instid0(VALU_DEP_2)
	v_cmp_eq_u32_e32 vcc_lo, 0, v29
	s_and_b32 s22, s18, vcc_lo
	s_wait_alu 0xfffe
	s_and_saveexec_b32 s18, s22
; %bb.36:                               ;   in Loop: Header=BB130_35 Depth=1
	v_bcnt_u32_b32 v21, v31, 0
	ds_store_b32 v30, v21 offset:64
; %bb.37:                               ;   in Loop: Header=BB130_35 Depth=1
	s_wait_alu 0xfffe
	s_or_b32 exec_lo, exec_lo, s18
	v_lshrrev_b32_e32 v21, v105, v115
	; wave barrier
	s_delay_alu instid0(VALU_DEP_1) | instskip(NEXT) | instid1(VALU_DEP_1)
	v_and_b32_e32 v21, s21, v21
	v_and_b32_e32 v22, 1, v21
	v_lshlrev_b32_e32 v23, 30, v21
	v_lshlrev_b32_e32 v24, 29, v21
	;; [unrolled: 1-line block ×4, first 2 shown]
	v_add_co_u32 v22, s18, v22, -1
	s_wait_alu 0xf1ff
	v_cndmask_b32_e64 v26, 0, 1, s18
	v_not_b32_e32 v32, v23
	v_cmp_gt_i32_e64 s18, 0, v23
	v_not_b32_e32 v23, v24
	v_lshlrev_b32_e32 v28, 26, v21
	v_cmp_ne_u32_e32 vcc_lo, 0, v26
	v_ashrrev_i32_e32 v32, 31, v32
	v_lshlrev_b32_e32 v31, 25, v21
	v_ashrrev_i32_e32 v23, 31, v23
	v_lshlrev_b32_e32 v26, 24, v21
	s_wait_alu 0xfffd
	v_xor_b32_e32 v22, vcc_lo, v22
	v_cmp_gt_i32_e32 vcc_lo, 0, v24
	v_not_b32_e32 v24, v25
	s_wait_alu 0xf1ff
	v_xor_b32_e32 v32, s18, v32
	v_cmp_gt_i32_e64 s18, 0, v25
	v_and_b32_e32 v22, exec_lo, v22
	v_not_b32_e32 v25, v27
	v_ashrrev_i32_e32 v24, 31, v24
	s_wait_alu 0xfffd
	v_xor_b32_e32 v23, vcc_lo, v23
	v_cmp_gt_i32_e32 vcc_lo, 0, v27
	v_and_b32_e32 v22, v22, v32
	v_not_b32_e32 v27, v28
	v_ashrrev_i32_e32 v25, 31, v25
	s_wait_alu 0xf1ff
	v_xor_b32_e32 v24, s18, v24
	v_cmp_gt_i32_e64 s18, 0, v28
	v_and_b32_e32 v22, v22, v23
	v_not_b32_e32 v23, v31
	v_ashrrev_i32_e32 v27, 31, v27
	s_wait_alu 0xfffd
	v_xor_b32_e32 v25, vcc_lo, v25
	v_cmp_gt_i32_e32 vcc_lo, 0, v31
	v_and_b32_e32 v22, v22, v24
	v_not_b32_e32 v24, v26
	v_ashrrev_i32_e32 v23, 31, v23
	s_wait_alu 0xf1ff
	v_xor_b32_e32 v27, s18, v27
	v_lshlrev_b32_e32 v21, 6, v21
	v_and_b32_e32 v22, v22, v25
	v_cmp_gt_i32_e64 s18, 0, v26
	v_ashrrev_i32_e32 v24, 31, v24
	s_wait_alu 0xfffd
	v_xor_b32_e32 v23, vcc_lo, v23
	v_add_nc_u32_e32 v33, v104, v21
	v_and_b32_e32 v22, v22, v27
	s_wait_alu 0xf1ff
	v_xor_b32_e32 v21, s18, v24
	ds_load_b32 v31, v33 offset:64
	v_and_b32_e32 v22, v22, v23
	; wave barrier
	s_delay_alu instid0(VALU_DEP_1) | instskip(NEXT) | instid1(VALU_DEP_1)
	v_and_b32_e32 v21, v22, v21
	v_mbcnt_lo_u32_b32 v32, v21, 0
	v_cmp_ne_u32_e64 s18, 0, v21
	s_delay_alu instid0(VALU_DEP_2)
	v_cmp_eq_u32_e32 vcc_lo, 0, v32
	s_and_b32 s22, s18, vcc_lo
	s_wait_alu 0xfffe
	s_and_saveexec_b32 s18, s22
	s_cbranch_execz .LBB130_39
; %bb.38:                               ;   in Loop: Header=BB130_35 Depth=1
	s_wait_dscnt 0x0
	v_bcnt_u32_b32 v21, v21, v31
	ds_store_b32 v33, v21 offset:64
.LBB130_39:                             ;   in Loop: Header=BB130_35 Depth=1
	s_wait_alu 0xfffe
	s_or_b32 exec_lo, exec_lo, s18
	v_lshrrev_b32_e32 v21, v105, v114
	; wave barrier
	s_delay_alu instid0(VALU_DEP_1) | instskip(NEXT) | instid1(VALU_DEP_1)
	v_and_b32_e32 v21, s21, v21
	v_and_b32_e32 v22, 1, v21
	v_lshlrev_b32_e32 v23, 30, v21
	v_lshlrev_b32_e32 v24, 29, v21
	;; [unrolled: 1-line block ×4, first 2 shown]
	v_add_co_u32 v22, s18, v22, -1
	s_wait_alu 0xf1ff
	v_cndmask_b32_e64 v26, 0, 1, s18
	v_not_b32_e32 v35, v23
	v_cmp_gt_i32_e64 s18, 0, v23
	v_not_b32_e32 v23, v24
	v_lshlrev_b32_e32 v28, 26, v21
	v_cmp_ne_u32_e32 vcc_lo, 0, v26
	v_ashrrev_i32_e32 v35, 31, v35
	v_lshlrev_b32_e32 v34, 25, v21
	v_ashrrev_i32_e32 v23, 31, v23
	v_lshlrev_b32_e32 v26, 24, v21
	s_wait_alu 0xfffd
	v_xor_b32_e32 v22, vcc_lo, v22
	v_cmp_gt_i32_e32 vcc_lo, 0, v24
	v_not_b32_e32 v24, v25
	s_wait_alu 0xf1ff
	v_xor_b32_e32 v35, s18, v35
	v_cmp_gt_i32_e64 s18, 0, v25
	v_and_b32_e32 v22, exec_lo, v22
	v_not_b32_e32 v25, v27
	v_ashrrev_i32_e32 v24, 31, v24
	s_wait_alu 0xfffd
	v_xor_b32_e32 v23, vcc_lo, v23
	v_cmp_gt_i32_e32 vcc_lo, 0, v27
	v_and_b32_e32 v22, v22, v35
	v_not_b32_e32 v27, v28
	v_ashrrev_i32_e32 v25, 31, v25
	s_wait_alu 0xf1ff
	v_xor_b32_e32 v24, s18, v24
	v_cmp_gt_i32_e64 s18, 0, v28
	v_and_b32_e32 v22, v22, v23
	v_not_b32_e32 v23, v34
	v_ashrrev_i32_e32 v27, 31, v27
	s_wait_alu 0xfffd
	v_xor_b32_e32 v25, vcc_lo, v25
	v_cmp_gt_i32_e32 vcc_lo, 0, v34
	v_and_b32_e32 v22, v22, v24
	v_not_b32_e32 v24, v26
	v_ashrrev_i32_e32 v23, 31, v23
	s_wait_alu 0xf1ff
	v_xor_b32_e32 v27, s18, v27
	v_lshlrev_b32_e32 v21, 6, v21
	v_and_b32_e32 v22, v22, v25
	v_cmp_gt_i32_e64 s18, 0, v26
	v_ashrrev_i32_e32 v24, 31, v24
	s_wait_alu 0xfffd
	v_xor_b32_e32 v23, vcc_lo, v23
	v_add_nc_u32_e32 v36, v104, v21
	v_and_b32_e32 v22, v22, v27
	s_wait_alu 0xf1ff
	v_xor_b32_e32 v21, s18, v24
	ds_load_b32 v34, v36 offset:64
	v_and_b32_e32 v22, v22, v23
	; wave barrier
	s_delay_alu instid0(VALU_DEP_1) | instskip(NEXT) | instid1(VALU_DEP_1)
	v_and_b32_e32 v21, v22, v21
	v_mbcnt_lo_u32_b32 v35, v21, 0
	v_cmp_ne_u32_e64 s18, 0, v21
	s_delay_alu instid0(VALU_DEP_2)
	v_cmp_eq_u32_e32 vcc_lo, 0, v35
	s_and_b32 s22, s18, vcc_lo
	s_wait_alu 0xfffe
	s_and_saveexec_b32 s18, s22
	s_cbranch_execz .LBB130_41
; %bb.40:                               ;   in Loop: Header=BB130_35 Depth=1
	s_wait_dscnt 0x0
	v_bcnt_u32_b32 v21, v21, v34
	ds_store_b32 v36, v21 offset:64
.LBB130_41:                             ;   in Loop: Header=BB130_35 Depth=1
	s_wait_alu 0xfffe
	s_or_b32 exec_lo, exec_lo, s18
	v_lshrrev_b32_e32 v21, v105, v113
	; wave barrier
	s_delay_alu instid0(VALU_DEP_1) | instskip(NEXT) | instid1(VALU_DEP_1)
	v_and_b32_e32 v21, s21, v21
	v_and_b32_e32 v22, 1, v21
	v_lshlrev_b32_e32 v23, 30, v21
	v_lshlrev_b32_e32 v24, 29, v21
	;; [unrolled: 1-line block ×4, first 2 shown]
	v_add_co_u32 v22, s18, v22, -1
	s_wait_alu 0xf1ff
	v_cndmask_b32_e64 v26, 0, 1, s18
	v_not_b32_e32 v66, v23
	v_cmp_gt_i32_e64 s18, 0, v23
	v_not_b32_e32 v23, v24
	v_lshlrev_b32_e32 v28, 26, v21
	v_cmp_ne_u32_e32 vcc_lo, 0, v26
	v_ashrrev_i32_e32 v66, 31, v66
	v_lshlrev_b32_e32 v65, 25, v21
	v_ashrrev_i32_e32 v23, 31, v23
	v_lshlrev_b32_e32 v26, 24, v21
	s_wait_alu 0xfffd
	v_xor_b32_e32 v22, vcc_lo, v22
	v_cmp_gt_i32_e32 vcc_lo, 0, v24
	v_not_b32_e32 v24, v25
	s_wait_alu 0xf1ff
	v_xor_b32_e32 v66, s18, v66
	v_cmp_gt_i32_e64 s18, 0, v25
	v_and_b32_e32 v22, exec_lo, v22
	v_not_b32_e32 v25, v27
	v_ashrrev_i32_e32 v24, 31, v24
	s_wait_alu 0xfffd
	v_xor_b32_e32 v23, vcc_lo, v23
	v_cmp_gt_i32_e32 vcc_lo, 0, v27
	v_and_b32_e32 v22, v22, v66
	v_not_b32_e32 v27, v28
	v_ashrrev_i32_e32 v25, 31, v25
	s_wait_alu 0xf1ff
	v_xor_b32_e32 v24, s18, v24
	v_cmp_gt_i32_e64 s18, 0, v28
	v_and_b32_e32 v22, v22, v23
	v_not_b32_e32 v23, v65
	v_ashrrev_i32_e32 v27, 31, v27
	s_wait_alu 0xfffd
	v_xor_b32_e32 v25, vcc_lo, v25
	v_cmp_gt_i32_e32 vcc_lo, 0, v65
	v_and_b32_e32 v22, v22, v24
	v_not_b32_e32 v24, v26
	v_ashrrev_i32_e32 v23, 31, v23
	s_wait_alu 0xf1ff
	v_xor_b32_e32 v27, s18, v27
	v_lshlrev_b32_e32 v21, 6, v21
	v_and_b32_e32 v22, v22, v25
	v_cmp_gt_i32_e64 s18, 0, v26
	v_ashrrev_i32_e32 v24, 31, v24
	s_wait_alu 0xfffd
	v_xor_b32_e32 v23, vcc_lo, v23
	v_add_nc_u32_e32 v67, v104, v21
	v_and_b32_e32 v22, v22, v27
	s_wait_alu 0xf1ff
	v_xor_b32_e32 v21, s18, v24
	ds_load_b32 v65, v67 offset:64
	v_and_b32_e32 v22, v22, v23
	; wave barrier
	s_delay_alu instid0(VALU_DEP_1) | instskip(NEXT) | instid1(VALU_DEP_1)
	v_and_b32_e32 v21, v22, v21
	v_mbcnt_lo_u32_b32 v66, v21, 0
	v_cmp_ne_u32_e64 s18, 0, v21
	s_delay_alu instid0(VALU_DEP_2)
	v_cmp_eq_u32_e32 vcc_lo, 0, v66
	s_and_b32 s22, s18, vcc_lo
	s_wait_alu 0xfffe
	s_and_saveexec_b32 s18, s22
	s_cbranch_execz .LBB130_43
; %bb.42:                               ;   in Loop: Header=BB130_35 Depth=1
	s_wait_dscnt 0x0
	v_bcnt_u32_b32 v21, v21, v65
	ds_store_b32 v67, v21 offset:64
.LBB130_43:                             ;   in Loop: Header=BB130_35 Depth=1
	s_wait_alu 0xfffe
	s_or_b32 exec_lo, exec_lo, s18
	v_lshrrev_b32_e32 v21, v105, v112
	; wave barrier
	s_delay_alu instid0(VALU_DEP_1) | instskip(NEXT) | instid1(VALU_DEP_1)
	v_and_b32_e32 v21, s21, v21
	v_and_b32_e32 v22, 1, v21
	v_lshlrev_b32_e32 v23, 30, v21
	v_lshlrev_b32_e32 v24, 29, v21
	;; [unrolled: 1-line block ×4, first 2 shown]
	v_add_co_u32 v22, s18, v22, -1
	s_wait_alu 0xf1ff
	v_cndmask_b32_e64 v26, 0, 1, s18
	v_not_b32_e32 v69, v23
	v_cmp_gt_i32_e64 s18, 0, v23
	v_not_b32_e32 v23, v24
	v_lshlrev_b32_e32 v28, 26, v21
	v_cmp_ne_u32_e32 vcc_lo, 0, v26
	v_ashrrev_i32_e32 v69, 31, v69
	v_lshlrev_b32_e32 v68, 25, v21
	v_ashrrev_i32_e32 v23, 31, v23
	v_lshlrev_b32_e32 v26, 24, v21
	s_wait_alu 0xfffd
	v_xor_b32_e32 v22, vcc_lo, v22
	v_cmp_gt_i32_e32 vcc_lo, 0, v24
	v_not_b32_e32 v24, v25
	s_wait_alu 0xf1ff
	v_xor_b32_e32 v69, s18, v69
	v_cmp_gt_i32_e64 s18, 0, v25
	v_and_b32_e32 v22, exec_lo, v22
	v_not_b32_e32 v25, v27
	v_ashrrev_i32_e32 v24, 31, v24
	s_wait_alu 0xfffd
	v_xor_b32_e32 v23, vcc_lo, v23
	v_cmp_gt_i32_e32 vcc_lo, 0, v27
	v_and_b32_e32 v22, v22, v69
	v_not_b32_e32 v27, v28
	v_ashrrev_i32_e32 v25, 31, v25
	s_wait_alu 0xf1ff
	v_xor_b32_e32 v24, s18, v24
	v_cmp_gt_i32_e64 s18, 0, v28
	v_and_b32_e32 v22, v22, v23
	v_not_b32_e32 v23, v68
	v_ashrrev_i32_e32 v27, 31, v27
	s_wait_alu 0xfffd
	v_xor_b32_e32 v25, vcc_lo, v25
	v_cmp_gt_i32_e32 vcc_lo, 0, v68
	v_and_b32_e32 v22, v22, v24
	v_not_b32_e32 v24, v26
	v_ashrrev_i32_e32 v23, 31, v23
	s_wait_alu 0xf1ff
	v_xor_b32_e32 v27, s18, v27
	v_lshlrev_b32_e32 v21, 6, v21
	v_and_b32_e32 v22, v22, v25
	v_cmp_gt_i32_e64 s18, 0, v26
	v_ashrrev_i32_e32 v24, 31, v24
	s_wait_alu 0xfffd
	v_xor_b32_e32 v23, vcc_lo, v23
	v_add_nc_u32_e32 v70, v104, v21
	v_and_b32_e32 v22, v22, v27
	s_wait_alu 0xf1ff
	v_xor_b32_e32 v21, s18, v24
	ds_load_b32 v68, v70 offset:64
	v_and_b32_e32 v22, v22, v23
	; wave barrier
	s_delay_alu instid0(VALU_DEP_1) | instskip(NEXT) | instid1(VALU_DEP_1)
	v_and_b32_e32 v21, v22, v21
	v_mbcnt_lo_u32_b32 v69, v21, 0
	v_cmp_ne_u32_e64 s18, 0, v21
	s_delay_alu instid0(VALU_DEP_2)
	v_cmp_eq_u32_e32 vcc_lo, 0, v69
	s_and_b32 s22, s18, vcc_lo
	s_wait_alu 0xfffe
	s_and_saveexec_b32 s18, s22
	s_cbranch_execz .LBB130_45
; %bb.44:                               ;   in Loop: Header=BB130_35 Depth=1
	s_wait_dscnt 0x0
	v_bcnt_u32_b32 v21, v21, v68
	ds_store_b32 v70, v21 offset:64
.LBB130_45:                             ;   in Loop: Header=BB130_35 Depth=1
	s_wait_alu 0xfffe
	s_or_b32 exec_lo, exec_lo, s18
	v_lshrrev_b32_e32 v21, v105, v111
	; wave barrier
	s_delay_alu instid0(VALU_DEP_1) | instskip(NEXT) | instid1(VALU_DEP_1)
	v_and_b32_e32 v21, s21, v21
	v_and_b32_e32 v22, 1, v21
	v_lshlrev_b32_e32 v23, 30, v21
	v_lshlrev_b32_e32 v24, 29, v21
	;; [unrolled: 1-line block ×4, first 2 shown]
	v_add_co_u32 v22, s18, v22, -1
	s_wait_alu 0xf1ff
	v_cndmask_b32_e64 v26, 0, 1, s18
	v_not_b32_e32 v72, v23
	v_cmp_gt_i32_e64 s18, 0, v23
	v_not_b32_e32 v23, v24
	v_lshlrev_b32_e32 v28, 26, v21
	v_cmp_ne_u32_e32 vcc_lo, 0, v26
	v_ashrrev_i32_e32 v72, 31, v72
	v_lshlrev_b32_e32 v71, 25, v21
	v_ashrrev_i32_e32 v23, 31, v23
	v_lshlrev_b32_e32 v26, 24, v21
	s_wait_alu 0xfffd
	v_xor_b32_e32 v22, vcc_lo, v22
	v_cmp_gt_i32_e32 vcc_lo, 0, v24
	v_not_b32_e32 v24, v25
	s_wait_alu 0xf1ff
	v_xor_b32_e32 v72, s18, v72
	v_cmp_gt_i32_e64 s18, 0, v25
	v_and_b32_e32 v22, exec_lo, v22
	v_not_b32_e32 v25, v27
	v_ashrrev_i32_e32 v24, 31, v24
	s_wait_alu 0xfffd
	v_xor_b32_e32 v23, vcc_lo, v23
	v_cmp_gt_i32_e32 vcc_lo, 0, v27
	v_and_b32_e32 v22, v22, v72
	v_not_b32_e32 v27, v28
	v_ashrrev_i32_e32 v25, 31, v25
	s_wait_alu 0xf1ff
	v_xor_b32_e32 v24, s18, v24
	v_cmp_gt_i32_e64 s18, 0, v28
	v_and_b32_e32 v22, v22, v23
	v_not_b32_e32 v23, v71
	v_ashrrev_i32_e32 v27, 31, v27
	s_wait_alu 0xfffd
	v_xor_b32_e32 v25, vcc_lo, v25
	v_cmp_gt_i32_e32 vcc_lo, 0, v71
	v_and_b32_e32 v22, v22, v24
	v_not_b32_e32 v24, v26
	v_ashrrev_i32_e32 v23, 31, v23
	s_wait_alu 0xf1ff
	v_xor_b32_e32 v27, s18, v27
	v_lshlrev_b32_e32 v21, 6, v21
	v_and_b32_e32 v22, v22, v25
	v_cmp_gt_i32_e64 s18, 0, v26
	v_ashrrev_i32_e32 v24, 31, v24
	s_wait_alu 0xfffd
	v_xor_b32_e32 v23, vcc_lo, v23
	v_add_nc_u32_e32 v116, v104, v21
	v_and_b32_e32 v22, v22, v27
	s_wait_alu 0xf1ff
	v_xor_b32_e32 v21, s18, v24
	ds_load_b32 v71, v116 offset:64
	v_and_b32_e32 v22, v22, v23
	; wave barrier
	s_delay_alu instid0(VALU_DEP_1) | instskip(NEXT) | instid1(VALU_DEP_1)
	v_and_b32_e32 v21, v22, v21
	v_mbcnt_lo_u32_b32 v72, v21, 0
	v_cmp_ne_u32_e64 s18, 0, v21
	s_delay_alu instid0(VALU_DEP_2)
	v_cmp_eq_u32_e32 vcc_lo, 0, v72
	s_and_b32 s22, s18, vcc_lo
	s_wait_alu 0xfffe
	s_and_saveexec_b32 s18, s22
	s_cbranch_execz .LBB130_47
; %bb.46:                               ;   in Loop: Header=BB130_35 Depth=1
	s_wait_dscnt 0x0
	v_bcnt_u32_b32 v21, v21, v71
	ds_store_b32 v116, v21 offset:64
.LBB130_47:                             ;   in Loop: Header=BB130_35 Depth=1
	s_wait_alu 0xfffe
	s_or_b32 exec_lo, exec_lo, s18
	v_lshrrev_b32_e32 v21, v105, v110
	; wave barrier
	s_delay_alu instid0(VALU_DEP_1) | instskip(NEXT) | instid1(VALU_DEP_1)
	v_and_b32_e32 v21, s21, v21
	v_and_b32_e32 v22, 1, v21
	v_lshlrev_b32_e32 v23, 30, v21
	v_lshlrev_b32_e32 v24, 29, v21
	;; [unrolled: 1-line block ×4, first 2 shown]
	v_add_co_u32 v22, s18, v22, -1
	s_wait_alu 0xf1ff
	v_cndmask_b32_e64 v26, 0, 1, s18
	v_not_b32_e32 v118, v23
	v_cmp_gt_i32_e64 s18, 0, v23
	v_not_b32_e32 v23, v24
	v_lshlrev_b32_e32 v28, 26, v21
	v_cmp_ne_u32_e32 vcc_lo, 0, v26
	v_ashrrev_i32_e32 v118, 31, v118
	v_lshlrev_b32_e32 v117, 25, v21
	v_ashrrev_i32_e32 v23, 31, v23
	v_lshlrev_b32_e32 v26, 24, v21
	s_wait_alu 0xfffd
	v_xor_b32_e32 v22, vcc_lo, v22
	v_cmp_gt_i32_e32 vcc_lo, 0, v24
	v_not_b32_e32 v24, v25
	s_wait_alu 0xf1ff
	v_xor_b32_e32 v118, s18, v118
	v_cmp_gt_i32_e64 s18, 0, v25
	v_and_b32_e32 v22, exec_lo, v22
	v_not_b32_e32 v25, v27
	v_ashrrev_i32_e32 v24, 31, v24
	s_wait_alu 0xfffd
	v_xor_b32_e32 v23, vcc_lo, v23
	v_cmp_gt_i32_e32 vcc_lo, 0, v27
	v_and_b32_e32 v22, v22, v118
	v_not_b32_e32 v27, v28
	v_ashrrev_i32_e32 v25, 31, v25
	s_wait_alu 0xf1ff
	v_xor_b32_e32 v24, s18, v24
	v_cmp_gt_i32_e64 s18, 0, v28
	v_and_b32_e32 v22, v22, v23
	v_not_b32_e32 v23, v117
	v_ashrrev_i32_e32 v27, 31, v27
	s_wait_alu 0xfffd
	v_xor_b32_e32 v25, vcc_lo, v25
	v_cmp_gt_i32_e32 vcc_lo, 0, v117
	v_and_b32_e32 v22, v22, v24
	v_not_b32_e32 v24, v26
	v_ashrrev_i32_e32 v23, 31, v23
	s_wait_alu 0xf1ff
	v_xor_b32_e32 v27, s18, v27
	v_lshlrev_b32_e32 v21, 6, v21
	v_and_b32_e32 v22, v22, v25
	v_cmp_gt_i32_e64 s18, 0, v26
	v_ashrrev_i32_e32 v24, 31, v24
	s_wait_alu 0xfffd
	v_xor_b32_e32 v23, vcc_lo, v23
	v_add_nc_u32_e32 v119, v104, v21
	v_and_b32_e32 v22, v22, v27
	s_wait_alu 0xf1ff
	v_xor_b32_e32 v21, s18, v24
	ds_load_b32 v117, v119 offset:64
	v_and_b32_e32 v22, v22, v23
	; wave barrier
	s_delay_alu instid0(VALU_DEP_1) | instskip(NEXT) | instid1(VALU_DEP_1)
	v_and_b32_e32 v21, v22, v21
	v_mbcnt_lo_u32_b32 v118, v21, 0
	v_cmp_ne_u32_e64 s18, 0, v21
	s_delay_alu instid0(VALU_DEP_2)
	v_cmp_eq_u32_e32 vcc_lo, 0, v118
	s_and_b32 s22, s18, vcc_lo
	s_wait_alu 0xfffe
	s_and_saveexec_b32 s18, s22
	s_cbranch_execz .LBB130_49
; %bb.48:                               ;   in Loop: Header=BB130_35 Depth=1
	s_wait_dscnt 0x0
	v_bcnt_u32_b32 v21, v21, v117
	ds_store_b32 v119, v21 offset:64
.LBB130_49:                             ;   in Loop: Header=BB130_35 Depth=1
	s_wait_alu 0xfffe
	s_or_b32 exec_lo, exec_lo, s18
	v_lshrrev_b32_e32 v21, v105, v109
	; wave barrier
	s_delay_alu instid0(VALU_DEP_1) | instskip(NEXT) | instid1(VALU_DEP_1)
	v_and_b32_e32 v21, s21, v21
	v_and_b32_e32 v22, 1, v21
	v_lshlrev_b32_e32 v23, 30, v21
	v_lshlrev_b32_e32 v24, 29, v21
	;; [unrolled: 1-line block ×4, first 2 shown]
	v_add_co_u32 v22, s18, v22, -1
	s_wait_alu 0xf1ff
	v_cndmask_b32_e64 v26, 0, 1, s18
	v_not_b32_e32 v121, v23
	v_cmp_gt_i32_e64 s18, 0, v23
	v_not_b32_e32 v23, v24
	v_lshlrev_b32_e32 v28, 26, v21
	v_cmp_ne_u32_e32 vcc_lo, 0, v26
	v_ashrrev_i32_e32 v121, 31, v121
	v_lshlrev_b32_e32 v120, 25, v21
	v_ashrrev_i32_e32 v23, 31, v23
	v_lshlrev_b32_e32 v26, 24, v21
	s_wait_alu 0xfffd
	v_xor_b32_e32 v22, vcc_lo, v22
	v_cmp_gt_i32_e32 vcc_lo, 0, v24
	v_not_b32_e32 v24, v25
	s_wait_alu 0xf1ff
	v_xor_b32_e32 v121, s18, v121
	v_cmp_gt_i32_e64 s18, 0, v25
	v_and_b32_e32 v22, exec_lo, v22
	v_not_b32_e32 v25, v27
	v_ashrrev_i32_e32 v24, 31, v24
	s_wait_alu 0xfffd
	v_xor_b32_e32 v23, vcc_lo, v23
	v_cmp_gt_i32_e32 vcc_lo, 0, v27
	v_and_b32_e32 v22, v22, v121
	v_not_b32_e32 v27, v28
	v_ashrrev_i32_e32 v25, 31, v25
	s_wait_alu 0xf1ff
	v_xor_b32_e32 v24, s18, v24
	v_cmp_gt_i32_e64 s18, 0, v28
	v_and_b32_e32 v22, v22, v23
	v_not_b32_e32 v23, v120
	v_ashrrev_i32_e32 v27, 31, v27
	s_wait_alu 0xfffd
	v_xor_b32_e32 v25, vcc_lo, v25
	v_cmp_gt_i32_e32 vcc_lo, 0, v120
	v_and_b32_e32 v22, v22, v24
	v_not_b32_e32 v24, v26
	v_ashrrev_i32_e32 v23, 31, v23
	s_wait_alu 0xf1ff
	v_xor_b32_e32 v27, s18, v27
	v_lshlrev_b32_e32 v21, 6, v21
	v_and_b32_e32 v22, v22, v25
	v_cmp_gt_i32_e64 s18, 0, v26
	v_ashrrev_i32_e32 v24, 31, v24
	s_wait_alu 0xfffd
	v_xor_b32_e32 v23, vcc_lo, v23
	v_add_nc_u32_e32 v120, v104, v21
	v_and_b32_e32 v22, v22, v27
	s_wait_alu 0xf1ff
	v_xor_b32_e32 v21, s18, v24
	ds_load_b32 v125, v120 offset:64
	v_and_b32_e32 v22, v22, v23
	; wave barrier
	s_delay_alu instid0(VALU_DEP_1) | instskip(NEXT) | instid1(VALU_DEP_1)
	v_and_b32_e32 v21, v22, v21
	v_mbcnt_lo_u32_b32 v126, v21, 0
	v_cmp_ne_u32_e64 s18, 0, v21
	s_delay_alu instid0(VALU_DEP_2)
	v_cmp_eq_u32_e32 vcc_lo, 0, v126
	s_and_b32 s21, s18, vcc_lo
	s_wait_alu 0xfffe
	s_and_saveexec_b32 s18, s21
	s_cbranch_execz .LBB130_51
; %bb.50:                               ;   in Loop: Header=BB130_35 Depth=1
	s_wait_dscnt 0x0
	v_bcnt_u32_b32 v21, v21, v125
	ds_store_b32 v120, v21 offset:64
.LBB130_51:                             ;   in Loop: Header=BB130_35 Depth=1
	s_wait_alu 0xfffe
	s_or_b32 exec_lo, exec_lo, s18
	; wave barrier
	s_wait_loadcnt_dscnt 0x0
	s_barrier_signal -1
	s_barrier_wait -1
	global_inv scope:SCOPE_SE
	ds_load_b128 v[25:28], v90 offset:64
	ds_load_b128 v[21:24], v90 offset:80
	s_wait_dscnt 0x1
	v_add_nc_u32_e32 v121, v26, v25
	s_delay_alu instid0(VALU_DEP_1) | instskip(SKIP_1) | instid1(VALU_DEP_1)
	v_add3_u32 v121, v121, v27, v28
	s_wait_dscnt 0x0
	v_add3_u32 v121, v121, v21, v22
	s_delay_alu instid0(VALU_DEP_1) | instskip(NEXT) | instid1(VALU_DEP_1)
	v_add3_u32 v24, v121, v23, v24
	v_mov_b32_dpp v121, v24 row_shr:1 row_mask:0xf bank_mask:0xf
	s_delay_alu instid0(VALU_DEP_1) | instskip(NEXT) | instid1(VALU_DEP_1)
	v_cndmask_b32_e64 v121, v121, 0, s12
	v_add_nc_u32_e32 v24, v121, v24
	s_delay_alu instid0(VALU_DEP_1) | instskip(NEXT) | instid1(VALU_DEP_1)
	v_mov_b32_dpp v121, v24 row_shr:2 row_mask:0xf bank_mask:0xf
	v_cndmask_b32_e64 v121, 0, v121, s13
	s_delay_alu instid0(VALU_DEP_1) | instskip(NEXT) | instid1(VALU_DEP_1)
	v_add_nc_u32_e32 v24, v24, v121
	v_mov_b32_dpp v121, v24 row_shr:4 row_mask:0xf bank_mask:0xf
	s_delay_alu instid0(VALU_DEP_1) | instskip(NEXT) | instid1(VALU_DEP_1)
	v_cndmask_b32_e64 v121, 0, v121, s14
	v_add_nc_u32_e32 v24, v24, v121
	s_delay_alu instid0(VALU_DEP_1) | instskip(NEXT) | instid1(VALU_DEP_1)
	v_mov_b32_dpp v121, v24 row_shr:8 row_mask:0xf bank_mask:0xf
	v_cndmask_b32_e64 v121, 0, v121, s15
	s_delay_alu instid0(VALU_DEP_1) | instskip(SKIP_3) | instid1(VALU_DEP_1)
	v_add_nc_u32_e32 v24, v24, v121
	ds_swizzle_b32 v121, v24 offset:swizzle(BROADCAST,32,15)
	s_wait_dscnt 0x0
	v_cndmask_b32_e64 v121, v121, 0, s16
	v_add_nc_u32_e32 v24, v24, v121
	s_and_saveexec_b32 s18, s17
; %bb.52:                               ;   in Loop: Header=BB130_35 Depth=1
	ds_store_b32 v92, v24
; %bb.53:                               ;   in Loop: Header=BB130_35 Depth=1
	s_wait_alu 0xfffe
	s_or_b32 exec_lo, exec_lo, s18
	s_wait_loadcnt_dscnt 0x0
	s_barrier_signal -1
	s_barrier_wait -1
	global_inv scope:SCOPE_SE
	s_and_saveexec_b32 s18, s1
	s_cbranch_execz .LBB130_55
; %bb.54:                               ;   in Loop: Header=BB130_35 Depth=1
	ds_load_b32 v121, v106
	s_wait_dscnt 0x0
	v_mov_b32_dpp v122, v121 row_shr:1 row_mask:0xf bank_mask:0xf
	s_delay_alu instid0(VALU_DEP_1) | instskip(NEXT) | instid1(VALU_DEP_1)
	v_cndmask_b32_e64 v122, v122, 0, s12
	v_add_nc_u32_e32 v121, v122, v121
	s_delay_alu instid0(VALU_DEP_1) | instskip(NEXT) | instid1(VALU_DEP_1)
	v_mov_b32_dpp v122, v121 row_shr:2 row_mask:0xf bank_mask:0xf
	v_cndmask_b32_e64 v122, 0, v122, s13
	s_delay_alu instid0(VALU_DEP_1) | instskip(NEXT) | instid1(VALU_DEP_1)
	v_add_nc_u32_e32 v121, v121, v122
	v_mov_b32_dpp v122, v121 row_shr:4 row_mask:0xf bank_mask:0xf
	s_delay_alu instid0(VALU_DEP_1) | instskip(NEXT) | instid1(VALU_DEP_1)
	v_cndmask_b32_e64 v122, 0, v122, s14
	v_add_nc_u32_e32 v121, v121, v122
	s_delay_alu instid0(VALU_DEP_1) | instskip(NEXT) | instid1(VALU_DEP_1)
	v_mov_b32_dpp v122, v121 row_shr:8 row_mask:0xf bank_mask:0xf
	v_cndmask_b32_e64 v122, 0, v122, s15
	s_delay_alu instid0(VALU_DEP_1)
	v_add_nc_u32_e32 v121, v121, v122
	ds_store_b32 v106, v121
.LBB130_55:                             ;   in Loop: Header=BB130_35 Depth=1
	s_wait_alu 0xfffe
	s_or_b32 exec_lo, exec_lo, s18
	v_mov_b32_e32 v121, 0
	s_wait_loadcnt_dscnt 0x0
	s_barrier_signal -1
	s_barrier_wait -1
	global_inv scope:SCOPE_SE
	s_and_saveexec_b32 s18, s9
; %bb.56:                               ;   in Loop: Header=BB130_35 Depth=1
	ds_load_b32 v121, v103
; %bb.57:                               ;   in Loop: Header=BB130_35 Depth=1
	s_wait_alu 0xfffe
	s_or_b32 exec_lo, exec_lo, s18
	s_wait_dscnt 0x0
	v_add_nc_u32_e32 v24, v121, v24
	v_cmp_lt_u32_e32 vcc_lo, 23, v105
	v_readfirstlane_b32 s18, v0
	s_mov_b32 s21, -1
	ds_bpermute_b32 v24, v102, v24
	s_and_b32 vcc_lo, exec_lo, vcc_lo
	s_wait_dscnt 0x0
	v_cndmask_b32_e64 v24, v24, v121, s11
	s_delay_alu instid0(VALU_DEP_1) | instskip(NEXT) | instid1(VALU_DEP_1)
	v_cndmask_b32_e64 v24, v24, 0, s10
	v_add_nc_u32_e32 v25, v24, v25
	s_delay_alu instid0(VALU_DEP_1) | instskip(NEXT) | instid1(VALU_DEP_1)
	v_add_nc_u32_e32 v26, v25, v26
	v_add_nc_u32_e32 v27, v26, v27
	s_delay_alu instid0(VALU_DEP_1) | instskip(NEXT) | instid1(VALU_DEP_1)
	v_add_nc_u32_e32 v121, v27, v28
	v_add_nc_u32_e32 v122, v121, v21
	s_delay_alu instid0(VALU_DEP_1) | instskip(NEXT) | instid1(VALU_DEP_1)
	v_add_nc_u32_e32 v123, v122, v22
	v_add_nc_u32_e32 v124, v123, v23
	ds_store_b128 v90, v[24:27] offset:64
	ds_store_b128 v90, v[121:124] offset:80
	s_wait_loadcnt_dscnt 0x0
	s_barrier_signal -1
	s_barrier_wait -1
	global_inv scope:SCOPE_SE
	ds_load_b32 v21, v30 offset:64
	ds_load_b32 v22, v33 offset:64
	;; [unrolled: 1-line block ×8, first 2 shown]
	s_wait_dscnt 0x7
	v_add_nc_u32_e32 v124, v21, v29
	s_wait_dscnt 0x6
	v_add3_u32 v123, v32, v31, v22
	s_wait_dscnt 0x5
	v_add3_u32 v122, v35, v34, v23
	s_wait_dscnt 0x4
	v_add3_u32 v121, v66, v65, v24
	s_wait_dscnt 0x3
	v_add3_u32 v120, v69, v68, v25
	s_wait_dscnt 0x2
	v_add3_u32 v119, v72, v71, v26
	s_wait_dscnt 0x1
	v_add3_u32 v117, v118, v117, v27
	s_wait_dscnt 0x0
	v_add3_u32 v116, v126, v125, v28
                                        ; implicit-def: $vgpr72
                                        ; implicit-def: $vgpr70
                                        ; implicit-def: $vgpr68
                                        ; implicit-def: $vgpr66
                                        ; implicit-def: $vgpr35_vgpr36
                                        ; implicit-def: $vgpr31_vgpr32
                                        ; implicit-def: $vgpr27_vgpr28
                                        ; implicit-def: $vgpr23_vgpr24
	s_wait_alu 0xfffe
	s_cbranch_vccnz .LBB130_34
; %bb.58:                               ;   in Loop: Header=BB130_35 Depth=1
	v_lshlrev_b32_e32 v21, 2, v124
	v_lshlrev_b32_e32 v22, 2, v123
	;; [unrolled: 1-line block ×3, first 2 shown]
	s_wait_loadcnt 0x0
	s_barrier_signal -1
	s_barrier_wait -1
	global_inv scope:SCOPE_SE
	ds_store_b32 v21, v108
	ds_store_b32 v22, v115
	;; [unrolled: 1-line block ×3, first 2 shown]
	v_lshlrev_b32_e32 v24, 2, v121
	v_add_nc_u32_e32 v21, v21, v21
	v_lshlrev_b32_e32 v25, 2, v120
	v_add_nc_u32_e32 v22, v22, v22
	;; [unrolled: 2-line block ×3, first 2 shown]
	v_lshlrev_b32_e32 v27, 2, v117
	v_lshlrev_b32_e32 v28, 2, v116
	ds_store_b32 v24, v113
	ds_store_b32 v25, v112
	;; [unrolled: 1-line block ×5, first 2 shown]
	s_wait_loadcnt_dscnt 0x0
	s_barrier_signal -1
	s_barrier_wait -1
	global_inv scope:SCOPE_SE
	ds_load_2addr_b32 v[65:66], v91 offset1:32
	ds_load_2addr_b32 v[67:68], v91 offset0:64 offset1:96
	ds_load_2addr_b32 v[69:70], v91 offset0:128 offset1:160
	;; [unrolled: 1-line block ×3, first 2 shown]
	s_wait_loadcnt_dscnt 0x0
	s_barrier_signal -1
	s_barrier_wait -1
	global_inv scope:SCOPE_SE
	ds_store_b64 v21, v[63:64]
	ds_store_b64 v22, v[61:62]
	;; [unrolled: 1-line block ×3, first 2 shown]
	v_add_nc_u32_e32 v21, v24, v24
	v_add_nc_u32_e32 v22, v25, v25
	;; [unrolled: 1-line block ×5, first 2 shown]
	ds_store_b64 v21, v[57:58]
	ds_store_b64 v22, v[55:56]
	;; [unrolled: 1-line block ×5, first 2 shown]
	s_wait_loadcnt_dscnt 0x0
	s_barrier_signal -1
	s_barrier_wait -1
	global_inv scope:SCOPE_SE
	ds_load_2addr_b64 v[21:24], v107 offset1:32
	ds_load_2addr_b64 v[25:28], v107 offset0:64 offset1:96
	ds_load_2addr_b64 v[29:32], v107 offset0:128 offset1:160
	;; [unrolled: 1-line block ×3, first 2 shown]
	v_add_nc_u32_e32 v105, 8, v105
	s_add_co_i32 s18, s20, -8
	s_mov_b32 s21, 0
	s_wait_loadcnt_dscnt 0x0
	s_barrier_signal -1
	s_barrier_wait -1
	global_inv scope:SCOPE_SE
	s_branch .LBB130_34
.LBB130_59:
	v_lshlrev_b64_e32 v[1:2], 3, v[37:38]
	v_dual_mov_b32 v39, v38 :: v_dual_mov_b32 v10, v38
	v_mov_b32_e32 v9, v38
	v_dual_mov_b32 v3, v38 :: v_dual_mov_b32 v6, v38
	s_wait_alu 0xfffe
	s_delay_alu instid0(VALU_DEP_4)
	v_add_co_u32 v1, vcc_lo, s24, v1
	s_wait_alu 0xfffd
	v_add_co_ci_u32_e64 v2, null, s25, v2, vcc_lo
	v_dual_mov_b32 v5, v38 :: v_dual_mov_b32 v8, v38
	v_dual_mov_b32 v7, v38 :: v_dual_mov_b32 v12, v38
	global_load_b64 v[13:14], v[1:2], off
	v_dual_mov_b32 v1, v38 :: v_dual_mov_b32 v4, v38
	v_dual_mov_b32 v2, v38 :: v_dual_mov_b32 v11, v38
	s_or_b32 exec_lo, exec_lo, s1
	s_and_saveexec_b32 s1, s3
	s_cbranch_execz .LBB130_25
.LBB130_60:
	v_mul_lo_u32 v33, s28, v15
	v_mov_b32_e32 v34, 0
	s_delay_alu instid0(VALU_DEP_1) | instskip(SKIP_1) | instid1(VALU_DEP_1)
	v_lshlrev_b64_e32 v[33:34], 3, v[33:34]
	s_wait_alu 0xfffe
	v_add_co_u32 v33, vcc_lo, s24, v33
	s_wait_alu 0xfffd
	s_delay_alu instid0(VALU_DEP_2)
	v_add_co_ci_u32_e64 v34, null, s25, v34, vcc_lo
	global_load_b64 v[38:39], v[33:34], off
	s_or_b32 exec_lo, exec_lo, s1
	s_and_saveexec_b32 s1, s4
	s_cbranch_execz .LBB130_26
.LBB130_61:
	v_mul_lo_u32 v9, s28, v16
	v_mov_b32_e32 v10, 0
	s_delay_alu instid0(VALU_DEP_1) | instskip(SKIP_1) | instid1(VALU_DEP_1)
	v_lshlrev_b64_e32 v[9:10], 3, v[9:10]
	s_wait_alu 0xfffe
	v_add_co_u32 v9, vcc_lo, s24, v9
	s_wait_alu 0xfffd
	s_delay_alu instid0(VALU_DEP_2)
	v_add_co_ci_u32_e64 v10, null, s25, v10, vcc_lo
	global_load_b64 v[9:10], v[9:10], off
	s_or_b32 exec_lo, exec_lo, s1
	s_and_saveexec_b32 s1, s5
	s_cbranch_execz .LBB130_27
.LBB130_62:
	v_mul_lo_u32 v1, s28, v19
	v_mov_b32_e32 v2, 0
	s_delay_alu instid0(VALU_DEP_1) | instskip(SKIP_1) | instid1(VALU_DEP_1)
	v_lshlrev_b64_e32 v[1:2], 3, v[1:2]
	s_wait_alu 0xfffe
	v_add_co_u32 v1, vcc_lo, s24, v1
	s_wait_alu 0xfffd
	s_delay_alu instid0(VALU_DEP_2)
	v_add_co_ci_u32_e64 v2, null, s25, v2, vcc_lo
	global_load_b64 v[1:2], v[1:2], off
	s_or_b32 exec_lo, exec_lo, s1
	s_and_saveexec_b32 s1, s6
	s_cbranch_execz .LBB130_28
.LBB130_63:
	v_mul_lo_u32 v3, s28, v20
	v_mov_b32_e32 v4, 0
	s_delay_alu instid0(VALU_DEP_1) | instskip(SKIP_1) | instid1(VALU_DEP_1)
	v_lshlrev_b64_e32 v[3:4], 3, v[3:4]
	s_wait_alu 0xfffe
	v_add_co_u32 v3, vcc_lo, s24, v3
	s_wait_alu 0xfffd
	s_delay_alu instid0(VALU_DEP_2)
	v_add_co_ci_u32_e64 v4, null, s25, v4, vcc_lo
	global_load_b64 v[3:4], v[3:4], off
	s_or_b32 exec_lo, exec_lo, s1
	s_and_saveexec_b32 s1, s7
	s_cbranch_execz .LBB130_29
.LBB130_64:
	v_mul_lo_u32 v5, s28, v21
	v_mov_b32_e32 v6, 0
	s_delay_alu instid0(VALU_DEP_1) | instskip(SKIP_1) | instid1(VALU_DEP_1)
	v_lshlrev_b64_e32 v[5:6], 3, v[5:6]
	s_wait_alu 0xfffe
	v_add_co_u32 v5, vcc_lo, s24, v5
	s_wait_alu 0xfffd
	s_delay_alu instid0(VALU_DEP_2)
	v_add_co_ci_u32_e64 v6, null, s25, v6, vcc_lo
	global_load_b64 v[5:6], v[5:6], off
	s_or_b32 exec_lo, exec_lo, s1
	s_and_saveexec_b32 s1, s8
	s_cbranch_execz .LBB130_30
.LBB130_65:
	v_mul_lo_u32 v7, s28, v22
	v_mov_b32_e32 v8, 0
	s_delay_alu instid0(VALU_DEP_1) | instskip(SKIP_1) | instid1(VALU_DEP_1)
	v_lshlrev_b64_e32 v[7:8], 3, v[7:8]
	s_wait_alu 0xfffe
	v_add_co_u32 v7, vcc_lo, s24, v7
	s_wait_alu 0xfffd
	s_delay_alu instid0(VALU_DEP_2)
	v_add_co_ci_u32_e64 v8, null, s25, v8, vcc_lo
	global_load_b64 v[7:8], v[7:8], off
	s_or_b32 exec_lo, exec_lo, s1
	s_xor_b32 s1, s12, -1
	s_and_saveexec_b32 s9, s0
	s_cbranch_execnz .LBB130_31
	s_branch .LBB130_32
.LBB130_66:
                                        ; implicit-def: $vgpr52
                                        ; implicit-def: $vgpr39
                                        ; implicit-def: $vgpr51
                                        ; implicit-def: $vgpr36
                                        ; implicit-def: $vgpr38
                                        ; implicit-def: $vgpr34
                                        ; implicit-def: $vgpr35
                                        ; implicit-def: $vgpr33
                                        ; implicit-def: $vgpr19_vgpr20
                                        ; implicit-def: $vgpr23_vgpr24
                                        ; implicit-def: $vgpr27_vgpr28
                                        ; implicit-def: $vgpr31_vgpr32
	s_and_b32 vcc_lo, exec_lo, s11
	s_wait_alu 0xfffe
	s_cbranch_vccnz .LBB130_68
	s_branch .LBB130_95
.LBB130_67:
	v_lshlrev_b32_e32 v17, 2, v124
	v_lshlrev_b32_e32 v18, 2, v123
	v_lshlrev_b32_e32 v19, 2, v122
	s_wait_loadcnt 0x0
	s_barrier_signal -1
	s_barrier_wait -1
	global_inv scope:SCOPE_SE
	ds_store_b32 v17, v108
	ds_store_b32 v18, v115
	;; [unrolled: 1-line block ×3, first 2 shown]
	v_lshlrev_b32_e32 v20, 2, v121
	v_add_nc_u32_e32 v17, v17, v17
	v_lshlrev_b32_e32 v21, 2, v120
	v_add_nc_u32_e32 v18, v18, v18
	;; [unrolled: 2-line block ×3, first 2 shown]
	v_lshlrev_b32_e32 v23, 2, v117
	v_lshlrev_b32_e32 v24, 2, v116
	ds_store_b32 v20, v113
	ds_store_b32 v21, v112
	;; [unrolled: 1-line block ×5, first 2 shown]
	s_wait_loadcnt_dscnt 0x0
	s_barrier_signal -1
	s_barrier_wait -1
	global_inv scope:SCOPE_SE
	ds_load_b128 v[65:68], v90
	ds_load_b128 v[69:72], v90 offset:16
	s_wait_loadcnt_dscnt 0x0
	s_barrier_signal -1
	s_barrier_wait -1
	global_inv scope:SCOPE_SE
	ds_store_b64 v17, v[63:64]
	ds_store_b64 v18, v[61:62]
	;; [unrolled: 1-line block ×3, first 2 shown]
	v_add_nc_u32_e32 v17, v20, v20
	v_add_nc_u32_e32 v18, v21, v21
	;; [unrolled: 1-line block ×5, first 2 shown]
	ds_store_b64 v17, v[57:58]
	ds_store_b64 v18, v[55:56]
	;; [unrolled: 1-line block ×5, first 2 shown]
	v_lshl_add_u32 v17, v42, 5, v90
	s_wait_loadcnt_dscnt 0x0
	s_barrier_signal -1
	s_barrier_wait -1
	global_inv scope:SCOPE_SE
	ds_load_b128 v[29:32], v17
	ds_load_b128 v[25:28], v17 offset:16
	ds_load_b128 v[21:24], v17 offset:32
	;; [unrolled: 1-line block ×3, first 2 shown]
	v_xor_b32_e32 v33, 0x80000000, v65
	v_xor_b32_e32 v35, 0x80000000, v66
	;; [unrolled: 1-line block ×8, first 2 shown]
	s_branch .LBB130_95
.LBB130_68:
	s_wait_dscnt 0x0
	v_xor_b32_e32 v17, 0x7fffffff, v49
	v_xor_b32_e32 v18, 0x7fffffff, v50
	;; [unrolled: 1-line block ×8, first 2 shown]
	ds_store_b128 v101, v[17:20]
	ds_store_b128 v101, v[21:24] offset:16
	v_lshl_add_u32 v17, v100, 2, v101
	; wave barrier
	ds_load_2addr_b32 v[38:39], v91 offset1:32
	ds_load_2addr_b32 v[43:44], v91 offset0:64 offset1:96
	ds_load_2addr_b32 v[45:46], v91 offset0:128 offset1:160
	;; [unrolled: 1-line block ×3, first 2 shown]
	s_wait_loadcnt_dscnt 0x0
	s_barrier_signal -1
	s_barrier_wait -1
	global_inv scope:SCOPE_SE
	ds_store_b128 v17, v[5:8]
	ds_store_b128 v17, v[1:4] offset:16
	ds_store_b128 v17, v[13:16] offset:32
	;; [unrolled: 1-line block ×3, first 2 shown]
	; wave barrier
	ds_load_2addr_b64 v[4:7], v99 offset1:32
	ds_load_2addr_b64 v[8:11], v99 offset0:64 offset1:96
	ds_load_2addr_b64 v[12:15], v99 offset0:128 offset1:160
	;; [unrolled: 1-line block ×3, first 2 shown]
	s_wait_loadcnt_dscnt 0x0
	s_barrier_signal -1
	s_barrier_wait -1
	global_inv scope:SCOPE_SE
	s_load_b32 s1, s[34:35], 0xc
	s_getpc_b64 s[10:11]
	s_wait_alu 0xfffe
	s_sext_i32_i16 s11, s11
	s_add_co_u32 s10, s10, _ZN7rocprim17ROCPRIM_400000_NS16block_radix_sortIiLj512ELj8ElLj1ELj1ELj0ELNS0_26block_radix_rank_algorithmE1ELNS0_18block_padding_hintE2ELNS0_4arch9wavefront6targetE0EE19radix_bits_per_passE@rel32@lo+12
	s_wait_alu 0xfffe
	s_add_co_ci_u32 s11, s11, _ZN7rocprim17ROCPRIM_400000_NS16block_radix_sortIiLj512ELj8ElLj1ELj1ELj0ELNS0_26block_radix_rank_algorithmE1ELNS0_18block_padding_hintE2ELNS0_4arch9wavefront6targetE0EE19radix_bits_per_passE@rel32@hi+24
	v_or_b32_e32 v3, 31, v96
	s_load_b32 s19, s[10:11], 0x0
	v_cmp_lt_u32_e64 s11, 3, v0
	v_cmp_lt_u32_e64 s12, 7, v0
	s_mov_b32 s20, 0
	v_cmp_eq_u32_e64 s14, v42, v3
	s_mov_b32 s21, s20
	s_mov_b32 s22, s20
	;; [unrolled: 1-line block ×3, first 2 shown]
	v_cmp_eq_u32_e64 s13, 0, v95
	v_cmp_gt_u32_e64 s15, 16, v42
	v_cmp_lt_u32_e64 s16, 31, v42
	v_cmp_eq_u32_e64 s17, 0, v42
	v_add_nc_u32_e32 v52, v90, v94
	v_add_nc_u32_e32 v49, -4, v92
	v_mov_b32_e32 v51, 0
	v_add_nc_u32_e32 v53, v91, v91
	s_wait_kmcnt 0x0
	s_lshr_b32 s9, s1, 16
	s_and_b32 s1, s1, 0xffff
	s_wait_alu 0xfffe
	v_mad_u32_u24 v1, v98, s9, v97
	v_cmp_lt_u32_e64 s9, 1, v0
	s_delay_alu instid0(VALU_DEP_2) | instskip(SKIP_2) | instid1(VALU_DEP_2)
	v_mad_co_u64_u32 v[1:2], null, v1, s1, v[42:43]
	v_sub_co_u32 v2, s10, v93, 1
	v_cmp_eq_u32_e64 s1, 0, v0
	v_cmp_gt_i32_e32 vcc_lo, 0, v2
	s_delay_alu instid0(VALU_DEP_4) | instskip(SKIP_2) | instid1(VALU_DEP_2)
	v_lshrrev_b32_e32 v1, 3, v1
	s_wait_alu 0xfffd
	v_cndmask_b32_e32 v0, v2, v93, vcc_lo
	v_and_b32_e32 v50, 0x1ffffffc, v1
	s_delay_alu instid0(VALU_DEP_2)
	v_lshlrev_b32_e32 v36, 2, v0
	v_dual_mov_b32 v0, s20 :: v_dual_mov_b32 v3, s23
	v_dual_mov_b32 v1, s21 :: v_dual_mov_b32 v2, s22
	s_mov_b32 s20, 32
	s_branch .LBB130_70
.LBB130_69:                             ;   in Loop: Header=BB130_70 Depth=1
	s_wait_alu 0xfffe
	s_and_not1_b32 vcc_lo, exec_lo, s21
	s_mov_b32 s20, s18
	s_wait_alu 0xfffe
	s_cbranch_vccz .LBB130_94
.LBB130_70:                             ; =>This Inner Loop Header: Depth=1
	v_dual_mov_b32 v54, v38 :: v_dual_mov_b32 v55, v48
	s_wait_alu 0xfffe
	s_min_u32 s18, s19, s20
	ds_store_b128 v90, v[0:3] offset:64
	ds_store_b128 v90, v[0:3] offset:80
	s_wait_alu 0xfffe
	s_lshl_b32 s18, -1, s18
	v_lshrrev_b32_e32 v20, v51, v54
	s_wait_alu 0xfffe
	s_not_b32 s21, s18
	s_wait_loadcnt_dscnt 0x0
	s_barrier_signal -1
	s_barrier_wait -1
	s_wait_alu 0xfffe
	v_dual_mov_b32 v57, v46 :: v_dual_and_b32 v38, s21, v20
	v_mov_b32_e32 v56, v47
	global_inv scope:SCOPE_SE
	v_dual_mov_b32 v59, v44 :: v_dual_and_b32 v20, 1, v38
	v_lshlrev_b32_e32 v21, 30, v38
	v_dual_mov_b32 v61, v39 :: v_dual_lshlrev_b32 v22, 29, v38
	s_delay_alu instid0(VALU_DEP_3)
	v_add_co_u32 v20, s18, v20, -1
	s_wait_alu 0xf1ff
	v_cndmask_b32_e64 v24, 0, 1, s18
	v_not_b32_e32 v28, v21
	v_dual_mov_b32 v58, v45 :: v_dual_lshlrev_b32 v23, 28, v38
	v_cmp_gt_i32_e64 s18, 0, v21
	s_delay_alu instid0(VALU_DEP_4)
	v_cmp_ne_u32_e32 vcc_lo, 0, v24
	v_not_b32_e32 v21, v22
	v_ashrrev_i32_e32 v28, 31, v28
	v_dual_mov_b32 v60, v43 :: v_dual_lshlrev_b32 v25, 27, v38
	s_wait_alu 0xfffd
	v_xor_b32_e32 v20, vcc_lo, v20
	v_cmp_gt_i32_e32 vcc_lo, 0, v22
	v_not_b32_e32 v22, v23
	v_ashrrev_i32_e32 v21, 31, v21
	s_wait_alu 0xf1ff
	v_xor_b32_e32 v28, s18, v28
	v_and_b32_e32 v20, exec_lo, v20
	v_lshlrev_b32_e32 v26, 26, v38
	v_cmp_gt_i32_e64 s18, 0, v23
	v_not_b32_e32 v23, v25
	v_ashrrev_i32_e32 v22, 31, v22
	s_wait_alu 0xfffd
	v_xor_b32_e32 v21, vcc_lo, v21
	v_and_b32_e32 v20, v20, v28
	v_lshlrev_b32_e32 v27, 25, v38
	v_cmp_gt_i32_e32 vcc_lo, 0, v25
	v_not_b32_e32 v25, v26
	v_ashrrev_i32_e32 v23, 31, v23
	s_wait_alu 0xf1ff
	v_xor_b32_e32 v22, s18, v22
	v_and_b32_e32 v20, v20, v21
	v_lshlrev_b32_e32 v24, 24, v38
	v_cmp_gt_i32_e64 s18, 0, v26
	v_not_b32_e32 v21, v27
	v_ashrrev_i32_e32 v25, 31, v25
	s_wait_alu 0xfffd
	v_xor_b32_e32 v23, vcc_lo, v23
	v_dual_mov_b32 v31, v9 :: v_dual_and_b32 v20, v20, v22
	v_cmp_gt_i32_e32 vcc_lo, 0, v27
	v_not_b32_e32 v22, v24
	v_ashrrev_i32_e32 v21, 31, v21
	s_wait_alu 0xf1ff
	v_xor_b32_e32 v25, s18, v25
	v_dual_mov_b32 v33, v7 :: v_dual_and_b32 v20, v20, v23
	v_cmp_gt_i32_e64 s18, 0, v24
	v_ashrrev_i32_e32 v22, 31, v22
	s_wait_alu 0xfffd
	v_xor_b32_e32 v21, vcc_lo, v21
	v_dual_mov_b32 v35, v5 :: v_dual_and_b32 v20, v20, v25
	v_mov_b32_e32 v25, v15
	s_wait_alu 0xf1ff
	v_xor_b32_e32 v28, s18, v22
	s_delay_alu instid0(VALU_DEP_3) | instskip(SKIP_3) | instid1(VALU_DEP_4)
	v_dual_mov_b32 v24, v14 :: v_dual_and_b32 v29, v20, v21
	v_dual_mov_b32 v27, v13 :: v_dual_mov_b32 v26, v12
	v_mov_b32_e32 v34, v4
	v_lshlrev_b32_e32 v4, 6, v38
	v_dual_mov_b32 v21, v19 :: v_dual_and_b32 v14, v29, v28
	v_mov_b32_e32 v23, v17
	v_dual_mov_b32 v29, v11 :: v_dual_mov_b32 v20, v18
	s_delay_alu instid0(VALU_DEP_3) | instskip(SKIP_3) | instid1(VALU_DEP_4)
	v_mbcnt_lo_u32_b32 v12, v14, 0
	v_cmp_ne_u32_e64 s18, 0, v14
	v_dual_mov_b32 v22, v16 :: v_dual_add_nc_u32 v13, v50, v4
	v_mov_b32_e32 v28, v10
	v_cmp_eq_u32_e32 vcc_lo, 0, v12
	v_mov_b32_e32 v30, v8
	v_mov_b32_e32 v32, v6
	; wave barrier
	s_and_b32 s22, s18, vcc_lo
	s_wait_alu 0xfffe
	s_and_saveexec_b32 s18, s22
; %bb.71:                               ;   in Loop: Header=BB130_70 Depth=1
	v_bcnt_u32_b32 v4, v14, 0
	ds_store_b32 v13, v4 offset:64
; %bb.72:                               ;   in Loop: Header=BB130_70 Depth=1
	s_wait_alu 0xfffe
	s_or_b32 exec_lo, exec_lo, s18
	v_lshrrev_b32_e32 v4, v51, v61
	; wave barrier
	s_delay_alu instid0(VALU_DEP_1) | instskip(NEXT) | instid1(VALU_DEP_1)
	v_and_b32_e32 v4, s21, v4
	v_and_b32_e32 v5, 1, v4
	v_lshlrev_b32_e32 v6, 30, v4
	v_lshlrev_b32_e32 v7, 29, v4
	;; [unrolled: 1-line block ×4, first 2 shown]
	v_add_co_u32 v5, s18, v5, -1
	s_wait_alu 0xf1ff
	v_cndmask_b32_e64 v9, 0, 1, s18
	v_not_b32_e32 v15, v6
	v_cmp_gt_i32_e64 s18, 0, v6
	v_not_b32_e32 v6, v7
	v_lshlrev_b32_e32 v11, 26, v4
	v_cmp_ne_u32_e32 vcc_lo, 0, v9
	v_ashrrev_i32_e32 v15, 31, v15
	v_lshlrev_b32_e32 v14, 25, v4
	v_ashrrev_i32_e32 v6, 31, v6
	v_lshlrev_b32_e32 v9, 24, v4
	s_wait_alu 0xfffd
	v_xor_b32_e32 v5, vcc_lo, v5
	v_cmp_gt_i32_e32 vcc_lo, 0, v7
	v_not_b32_e32 v7, v8
	s_wait_alu 0xf1ff
	v_xor_b32_e32 v15, s18, v15
	v_cmp_gt_i32_e64 s18, 0, v8
	v_and_b32_e32 v5, exec_lo, v5
	v_not_b32_e32 v8, v10
	v_ashrrev_i32_e32 v7, 31, v7
	s_wait_alu 0xfffd
	v_xor_b32_e32 v6, vcc_lo, v6
	v_cmp_gt_i32_e32 vcc_lo, 0, v10
	v_and_b32_e32 v5, v5, v15
	v_not_b32_e32 v10, v11
	v_ashrrev_i32_e32 v8, 31, v8
	s_wait_alu 0xf1ff
	v_xor_b32_e32 v7, s18, v7
	v_cmp_gt_i32_e64 s18, 0, v11
	v_and_b32_e32 v5, v5, v6
	v_not_b32_e32 v6, v14
	v_ashrrev_i32_e32 v10, 31, v10
	s_wait_alu 0xfffd
	v_xor_b32_e32 v8, vcc_lo, v8
	v_cmp_gt_i32_e32 vcc_lo, 0, v14
	v_and_b32_e32 v5, v5, v7
	v_not_b32_e32 v7, v9
	v_ashrrev_i32_e32 v6, 31, v6
	s_wait_alu 0xf1ff
	v_xor_b32_e32 v10, s18, v10
	v_lshlrev_b32_e32 v4, 6, v4
	v_and_b32_e32 v5, v5, v8
	v_cmp_gt_i32_e64 s18, 0, v9
	v_ashrrev_i32_e32 v7, 31, v7
	s_wait_alu 0xfffd
	v_xor_b32_e32 v6, vcc_lo, v6
	v_add_nc_u32_e32 v16, v50, v4
	v_and_b32_e32 v5, v5, v10
	s_wait_alu 0xf1ff
	v_xor_b32_e32 v4, s18, v7
	ds_load_b32 v14, v16 offset:64
	v_and_b32_e32 v5, v5, v6
	; wave barrier
	s_delay_alu instid0(VALU_DEP_1) | instskip(NEXT) | instid1(VALU_DEP_1)
	v_and_b32_e32 v4, v5, v4
	v_mbcnt_lo_u32_b32 v15, v4, 0
	v_cmp_ne_u32_e64 s18, 0, v4
	s_delay_alu instid0(VALU_DEP_2)
	v_cmp_eq_u32_e32 vcc_lo, 0, v15
	s_and_b32 s22, s18, vcc_lo
	s_wait_alu 0xfffe
	s_and_saveexec_b32 s18, s22
	s_cbranch_execz .LBB130_74
; %bb.73:                               ;   in Loop: Header=BB130_70 Depth=1
	s_wait_dscnt 0x0
	v_bcnt_u32_b32 v4, v4, v14
	ds_store_b32 v16, v4 offset:64
.LBB130_74:                             ;   in Loop: Header=BB130_70 Depth=1
	s_wait_alu 0xfffe
	s_or_b32 exec_lo, exec_lo, s18
	v_lshrrev_b32_e32 v4, v51, v60
	; wave barrier
	s_delay_alu instid0(VALU_DEP_1) | instskip(NEXT) | instid1(VALU_DEP_1)
	v_and_b32_e32 v4, s21, v4
	v_and_b32_e32 v5, 1, v4
	v_lshlrev_b32_e32 v6, 30, v4
	v_lshlrev_b32_e32 v7, 29, v4
	;; [unrolled: 1-line block ×4, first 2 shown]
	v_add_co_u32 v5, s18, v5, -1
	s_wait_alu 0xf1ff
	v_cndmask_b32_e64 v9, 0, 1, s18
	v_not_b32_e32 v18, v6
	v_cmp_gt_i32_e64 s18, 0, v6
	v_not_b32_e32 v6, v7
	v_lshlrev_b32_e32 v11, 26, v4
	v_cmp_ne_u32_e32 vcc_lo, 0, v9
	v_ashrrev_i32_e32 v18, 31, v18
	v_lshlrev_b32_e32 v17, 25, v4
	v_ashrrev_i32_e32 v6, 31, v6
	v_lshlrev_b32_e32 v9, 24, v4
	s_wait_alu 0xfffd
	v_xor_b32_e32 v5, vcc_lo, v5
	v_cmp_gt_i32_e32 vcc_lo, 0, v7
	v_not_b32_e32 v7, v8
	s_wait_alu 0xf1ff
	v_xor_b32_e32 v18, s18, v18
	v_cmp_gt_i32_e64 s18, 0, v8
	v_and_b32_e32 v5, exec_lo, v5
	v_not_b32_e32 v8, v10
	v_ashrrev_i32_e32 v7, 31, v7
	s_wait_alu 0xfffd
	v_xor_b32_e32 v6, vcc_lo, v6
	v_cmp_gt_i32_e32 vcc_lo, 0, v10
	v_and_b32_e32 v5, v5, v18
	v_not_b32_e32 v10, v11
	v_ashrrev_i32_e32 v8, 31, v8
	s_wait_alu 0xf1ff
	v_xor_b32_e32 v7, s18, v7
	v_cmp_gt_i32_e64 s18, 0, v11
	v_and_b32_e32 v5, v5, v6
	v_not_b32_e32 v6, v17
	v_ashrrev_i32_e32 v10, 31, v10
	s_wait_alu 0xfffd
	v_xor_b32_e32 v8, vcc_lo, v8
	v_cmp_gt_i32_e32 vcc_lo, 0, v17
	v_and_b32_e32 v5, v5, v7
	v_not_b32_e32 v7, v9
	v_ashrrev_i32_e32 v6, 31, v6
	s_wait_alu 0xf1ff
	v_xor_b32_e32 v10, s18, v10
	v_lshlrev_b32_e32 v4, 6, v4
	v_and_b32_e32 v5, v5, v8
	v_cmp_gt_i32_e64 s18, 0, v9
	v_ashrrev_i32_e32 v7, 31, v7
	s_wait_alu 0xfffd
	v_xor_b32_e32 v6, vcc_lo, v6
	v_add_nc_u32_e32 v19, v50, v4
	v_and_b32_e32 v5, v5, v10
	s_wait_alu 0xf1ff
	v_xor_b32_e32 v4, s18, v7
	ds_load_b32 v17, v19 offset:64
	v_and_b32_e32 v5, v5, v6
	; wave barrier
	s_delay_alu instid0(VALU_DEP_1) | instskip(NEXT) | instid1(VALU_DEP_1)
	v_and_b32_e32 v4, v5, v4
	v_mbcnt_lo_u32_b32 v18, v4, 0
	v_cmp_ne_u32_e64 s18, 0, v4
	s_delay_alu instid0(VALU_DEP_2)
	v_cmp_eq_u32_e32 vcc_lo, 0, v18
	s_and_b32 s22, s18, vcc_lo
	s_wait_alu 0xfffe
	s_and_saveexec_b32 s18, s22
	s_cbranch_execz .LBB130_76
; %bb.75:                               ;   in Loop: Header=BB130_70 Depth=1
	s_wait_dscnt 0x0
	v_bcnt_u32_b32 v4, v4, v17
	ds_store_b32 v19, v4 offset:64
.LBB130_76:                             ;   in Loop: Header=BB130_70 Depth=1
	s_wait_alu 0xfffe
	s_or_b32 exec_lo, exec_lo, s18
	v_lshrrev_b32_e32 v4, v51, v59
	; wave barrier
	s_delay_alu instid0(VALU_DEP_1) | instskip(NEXT) | instid1(VALU_DEP_1)
	v_and_b32_e32 v4, s21, v4
	v_and_b32_e32 v5, 1, v4
	v_lshlrev_b32_e32 v6, 30, v4
	v_lshlrev_b32_e32 v7, 29, v4
	;; [unrolled: 1-line block ×4, first 2 shown]
	v_add_co_u32 v5, s18, v5, -1
	s_wait_alu 0xf1ff
	v_cndmask_b32_e64 v9, 0, 1, s18
	v_not_b32_e32 v39, v6
	v_cmp_gt_i32_e64 s18, 0, v6
	v_not_b32_e32 v6, v7
	v_lshlrev_b32_e32 v11, 26, v4
	v_cmp_ne_u32_e32 vcc_lo, 0, v9
	v_ashrrev_i32_e32 v39, 31, v39
	v_lshlrev_b32_e32 v38, 25, v4
	v_ashrrev_i32_e32 v6, 31, v6
	v_lshlrev_b32_e32 v9, 24, v4
	s_wait_alu 0xfffd
	v_xor_b32_e32 v5, vcc_lo, v5
	v_cmp_gt_i32_e32 vcc_lo, 0, v7
	v_not_b32_e32 v7, v8
	s_wait_alu 0xf1ff
	v_xor_b32_e32 v39, s18, v39
	v_cmp_gt_i32_e64 s18, 0, v8
	v_and_b32_e32 v5, exec_lo, v5
	v_not_b32_e32 v8, v10
	v_ashrrev_i32_e32 v7, 31, v7
	s_wait_alu 0xfffd
	v_xor_b32_e32 v6, vcc_lo, v6
	v_cmp_gt_i32_e32 vcc_lo, 0, v10
	v_and_b32_e32 v5, v5, v39
	v_not_b32_e32 v10, v11
	v_ashrrev_i32_e32 v8, 31, v8
	s_wait_alu 0xf1ff
	v_xor_b32_e32 v7, s18, v7
	v_cmp_gt_i32_e64 s18, 0, v11
	v_and_b32_e32 v5, v5, v6
	v_not_b32_e32 v6, v38
	v_ashrrev_i32_e32 v10, 31, v10
	s_wait_alu 0xfffd
	v_xor_b32_e32 v8, vcc_lo, v8
	v_cmp_gt_i32_e32 vcc_lo, 0, v38
	v_and_b32_e32 v5, v5, v7
	v_not_b32_e32 v7, v9
	v_ashrrev_i32_e32 v6, 31, v6
	s_wait_alu 0xf1ff
	v_xor_b32_e32 v10, s18, v10
	v_lshlrev_b32_e32 v4, 6, v4
	v_and_b32_e32 v5, v5, v8
	v_cmp_gt_i32_e64 s18, 0, v9
	v_ashrrev_i32_e32 v7, 31, v7
	s_wait_alu 0xfffd
	v_xor_b32_e32 v6, vcc_lo, v6
	v_add_nc_u32_e32 v43, v50, v4
	v_and_b32_e32 v5, v5, v10
	s_wait_alu 0xf1ff
	v_xor_b32_e32 v4, s18, v7
	ds_load_b32 v38, v43 offset:64
	v_and_b32_e32 v5, v5, v6
	; wave barrier
	s_delay_alu instid0(VALU_DEP_1) | instskip(NEXT) | instid1(VALU_DEP_1)
	v_and_b32_e32 v4, v5, v4
	v_mbcnt_lo_u32_b32 v39, v4, 0
	v_cmp_ne_u32_e64 s18, 0, v4
	s_delay_alu instid0(VALU_DEP_2)
	v_cmp_eq_u32_e32 vcc_lo, 0, v39
	s_and_b32 s22, s18, vcc_lo
	s_wait_alu 0xfffe
	s_and_saveexec_b32 s18, s22
	s_cbranch_execz .LBB130_78
; %bb.77:                               ;   in Loop: Header=BB130_70 Depth=1
	s_wait_dscnt 0x0
	v_bcnt_u32_b32 v4, v4, v38
	ds_store_b32 v43, v4 offset:64
.LBB130_78:                             ;   in Loop: Header=BB130_70 Depth=1
	s_wait_alu 0xfffe
	s_or_b32 exec_lo, exec_lo, s18
	v_lshrrev_b32_e32 v4, v51, v58
	; wave barrier
	s_delay_alu instid0(VALU_DEP_1) | instskip(NEXT) | instid1(VALU_DEP_1)
	v_and_b32_e32 v4, s21, v4
	v_and_b32_e32 v5, 1, v4
	v_lshlrev_b32_e32 v6, 30, v4
	v_lshlrev_b32_e32 v7, 29, v4
	;; [unrolled: 1-line block ×4, first 2 shown]
	v_add_co_u32 v5, s18, v5, -1
	s_wait_alu 0xf1ff
	v_cndmask_b32_e64 v9, 0, 1, s18
	v_not_b32_e32 v45, v6
	v_cmp_gt_i32_e64 s18, 0, v6
	v_not_b32_e32 v6, v7
	v_lshlrev_b32_e32 v11, 26, v4
	v_cmp_ne_u32_e32 vcc_lo, 0, v9
	v_ashrrev_i32_e32 v45, 31, v45
	v_lshlrev_b32_e32 v44, 25, v4
	v_ashrrev_i32_e32 v6, 31, v6
	v_lshlrev_b32_e32 v9, 24, v4
	s_wait_alu 0xfffd
	v_xor_b32_e32 v5, vcc_lo, v5
	v_cmp_gt_i32_e32 vcc_lo, 0, v7
	v_not_b32_e32 v7, v8
	s_wait_alu 0xf1ff
	v_xor_b32_e32 v45, s18, v45
	v_cmp_gt_i32_e64 s18, 0, v8
	v_and_b32_e32 v5, exec_lo, v5
	v_not_b32_e32 v8, v10
	v_ashrrev_i32_e32 v7, 31, v7
	s_wait_alu 0xfffd
	v_xor_b32_e32 v6, vcc_lo, v6
	v_cmp_gt_i32_e32 vcc_lo, 0, v10
	v_and_b32_e32 v5, v5, v45
	v_not_b32_e32 v10, v11
	v_ashrrev_i32_e32 v8, 31, v8
	s_wait_alu 0xf1ff
	v_xor_b32_e32 v7, s18, v7
	v_cmp_gt_i32_e64 s18, 0, v11
	v_and_b32_e32 v5, v5, v6
	v_not_b32_e32 v6, v44
	v_ashrrev_i32_e32 v10, 31, v10
	s_wait_alu 0xfffd
	v_xor_b32_e32 v8, vcc_lo, v8
	v_cmp_gt_i32_e32 vcc_lo, 0, v44
	v_and_b32_e32 v5, v5, v7
	v_not_b32_e32 v7, v9
	v_ashrrev_i32_e32 v6, 31, v6
	s_wait_alu 0xf1ff
	v_xor_b32_e32 v10, s18, v10
	v_lshlrev_b32_e32 v4, 6, v4
	v_and_b32_e32 v5, v5, v8
	v_cmp_gt_i32_e64 s18, 0, v9
	v_ashrrev_i32_e32 v7, 31, v7
	s_wait_alu 0xfffd
	v_xor_b32_e32 v6, vcc_lo, v6
	v_add_nc_u32_e32 v46, v50, v4
	v_and_b32_e32 v5, v5, v10
	s_wait_alu 0xf1ff
	v_xor_b32_e32 v4, s18, v7
	ds_load_b32 v44, v46 offset:64
	v_and_b32_e32 v5, v5, v6
	; wave barrier
	s_delay_alu instid0(VALU_DEP_1) | instskip(NEXT) | instid1(VALU_DEP_1)
	v_and_b32_e32 v4, v5, v4
	v_mbcnt_lo_u32_b32 v45, v4, 0
	v_cmp_ne_u32_e64 s18, 0, v4
	s_delay_alu instid0(VALU_DEP_2)
	v_cmp_eq_u32_e32 vcc_lo, 0, v45
	s_and_b32 s22, s18, vcc_lo
	s_wait_alu 0xfffe
	s_and_saveexec_b32 s18, s22
	s_cbranch_execz .LBB130_80
; %bb.79:                               ;   in Loop: Header=BB130_70 Depth=1
	s_wait_dscnt 0x0
	v_bcnt_u32_b32 v4, v4, v44
	ds_store_b32 v46, v4 offset:64
.LBB130_80:                             ;   in Loop: Header=BB130_70 Depth=1
	s_wait_alu 0xfffe
	s_or_b32 exec_lo, exec_lo, s18
	v_lshrrev_b32_e32 v4, v51, v57
	; wave barrier
	s_delay_alu instid0(VALU_DEP_1) | instskip(NEXT) | instid1(VALU_DEP_1)
	v_and_b32_e32 v4, s21, v4
	v_and_b32_e32 v5, 1, v4
	v_lshlrev_b32_e32 v6, 30, v4
	v_lshlrev_b32_e32 v7, 29, v4
	;; [unrolled: 1-line block ×4, first 2 shown]
	v_add_co_u32 v5, s18, v5, -1
	s_wait_alu 0xf1ff
	v_cndmask_b32_e64 v9, 0, 1, s18
	v_not_b32_e32 v48, v6
	v_cmp_gt_i32_e64 s18, 0, v6
	v_not_b32_e32 v6, v7
	v_lshlrev_b32_e32 v11, 26, v4
	v_cmp_ne_u32_e32 vcc_lo, 0, v9
	v_ashrrev_i32_e32 v48, 31, v48
	v_lshlrev_b32_e32 v47, 25, v4
	v_ashrrev_i32_e32 v6, 31, v6
	v_lshlrev_b32_e32 v9, 24, v4
	s_wait_alu 0xfffd
	v_xor_b32_e32 v5, vcc_lo, v5
	v_cmp_gt_i32_e32 vcc_lo, 0, v7
	v_not_b32_e32 v7, v8
	s_wait_alu 0xf1ff
	v_xor_b32_e32 v48, s18, v48
	v_cmp_gt_i32_e64 s18, 0, v8
	v_and_b32_e32 v5, exec_lo, v5
	v_not_b32_e32 v8, v10
	v_ashrrev_i32_e32 v7, 31, v7
	s_wait_alu 0xfffd
	v_xor_b32_e32 v6, vcc_lo, v6
	v_cmp_gt_i32_e32 vcc_lo, 0, v10
	v_and_b32_e32 v5, v5, v48
	v_not_b32_e32 v10, v11
	v_ashrrev_i32_e32 v8, 31, v8
	s_wait_alu 0xf1ff
	v_xor_b32_e32 v7, s18, v7
	v_cmp_gt_i32_e64 s18, 0, v11
	v_and_b32_e32 v5, v5, v6
	v_not_b32_e32 v6, v47
	v_ashrrev_i32_e32 v10, 31, v10
	s_wait_alu 0xfffd
	v_xor_b32_e32 v8, vcc_lo, v8
	v_cmp_gt_i32_e32 vcc_lo, 0, v47
	v_and_b32_e32 v5, v5, v7
	v_not_b32_e32 v7, v9
	v_ashrrev_i32_e32 v6, 31, v6
	s_wait_alu 0xf1ff
	v_xor_b32_e32 v10, s18, v10
	v_lshlrev_b32_e32 v4, 6, v4
	v_and_b32_e32 v5, v5, v8
	v_cmp_gt_i32_e64 s18, 0, v9
	v_ashrrev_i32_e32 v7, 31, v7
	s_wait_alu 0xfffd
	v_xor_b32_e32 v6, vcc_lo, v6
	v_add_nc_u32_e32 v62, v50, v4
	v_and_b32_e32 v5, v5, v10
	s_wait_alu 0xf1ff
	v_xor_b32_e32 v4, s18, v7
	ds_load_b32 v47, v62 offset:64
	v_and_b32_e32 v5, v5, v6
	; wave barrier
	s_delay_alu instid0(VALU_DEP_1) | instskip(NEXT) | instid1(VALU_DEP_1)
	v_and_b32_e32 v4, v5, v4
	v_mbcnt_lo_u32_b32 v48, v4, 0
	v_cmp_ne_u32_e64 s18, 0, v4
	s_delay_alu instid0(VALU_DEP_2)
	v_cmp_eq_u32_e32 vcc_lo, 0, v48
	s_and_b32 s22, s18, vcc_lo
	s_wait_alu 0xfffe
	s_and_saveexec_b32 s18, s22
	s_cbranch_execz .LBB130_82
; %bb.81:                               ;   in Loop: Header=BB130_70 Depth=1
	s_wait_dscnt 0x0
	v_bcnt_u32_b32 v4, v4, v47
	ds_store_b32 v62, v4 offset:64
.LBB130_82:                             ;   in Loop: Header=BB130_70 Depth=1
	s_wait_alu 0xfffe
	s_or_b32 exec_lo, exec_lo, s18
	v_lshrrev_b32_e32 v4, v51, v56
	; wave barrier
	s_delay_alu instid0(VALU_DEP_1) | instskip(NEXT) | instid1(VALU_DEP_1)
	v_and_b32_e32 v4, s21, v4
	v_and_b32_e32 v5, 1, v4
	v_lshlrev_b32_e32 v6, 30, v4
	v_lshlrev_b32_e32 v7, 29, v4
	;; [unrolled: 1-line block ×4, first 2 shown]
	v_add_co_u32 v5, s18, v5, -1
	s_wait_alu 0xf1ff
	v_cndmask_b32_e64 v9, 0, 1, s18
	v_not_b32_e32 v64, v6
	v_cmp_gt_i32_e64 s18, 0, v6
	v_not_b32_e32 v6, v7
	v_lshlrev_b32_e32 v11, 26, v4
	v_cmp_ne_u32_e32 vcc_lo, 0, v9
	v_ashrrev_i32_e32 v64, 31, v64
	v_lshlrev_b32_e32 v63, 25, v4
	v_ashrrev_i32_e32 v6, 31, v6
	v_lshlrev_b32_e32 v9, 24, v4
	s_wait_alu 0xfffd
	v_xor_b32_e32 v5, vcc_lo, v5
	v_cmp_gt_i32_e32 vcc_lo, 0, v7
	v_not_b32_e32 v7, v8
	s_wait_alu 0xf1ff
	v_xor_b32_e32 v64, s18, v64
	v_cmp_gt_i32_e64 s18, 0, v8
	v_and_b32_e32 v5, exec_lo, v5
	v_not_b32_e32 v8, v10
	v_ashrrev_i32_e32 v7, 31, v7
	s_wait_alu 0xfffd
	v_xor_b32_e32 v6, vcc_lo, v6
	v_cmp_gt_i32_e32 vcc_lo, 0, v10
	v_and_b32_e32 v5, v5, v64
	v_not_b32_e32 v10, v11
	v_ashrrev_i32_e32 v8, 31, v8
	s_wait_alu 0xf1ff
	v_xor_b32_e32 v7, s18, v7
	v_cmp_gt_i32_e64 s18, 0, v11
	v_and_b32_e32 v5, v5, v6
	v_not_b32_e32 v6, v63
	v_ashrrev_i32_e32 v10, 31, v10
	s_wait_alu 0xfffd
	v_xor_b32_e32 v8, vcc_lo, v8
	v_cmp_gt_i32_e32 vcc_lo, 0, v63
	v_and_b32_e32 v5, v5, v7
	v_not_b32_e32 v7, v9
	v_ashrrev_i32_e32 v6, 31, v6
	s_wait_alu 0xf1ff
	v_xor_b32_e32 v10, s18, v10
	v_lshlrev_b32_e32 v4, 6, v4
	v_and_b32_e32 v5, v5, v8
	v_cmp_gt_i32_e64 s18, 0, v9
	v_ashrrev_i32_e32 v7, 31, v7
	s_wait_alu 0xfffd
	v_xor_b32_e32 v6, vcc_lo, v6
	v_add_nc_u32_e32 v65, v50, v4
	v_and_b32_e32 v5, v5, v10
	s_wait_alu 0xf1ff
	v_xor_b32_e32 v4, s18, v7
	ds_load_b32 v63, v65 offset:64
	v_and_b32_e32 v5, v5, v6
	; wave barrier
	s_delay_alu instid0(VALU_DEP_1) | instskip(NEXT) | instid1(VALU_DEP_1)
	v_and_b32_e32 v4, v5, v4
	v_mbcnt_lo_u32_b32 v64, v4, 0
	v_cmp_ne_u32_e64 s18, 0, v4
	s_delay_alu instid0(VALU_DEP_2)
	v_cmp_eq_u32_e32 vcc_lo, 0, v64
	s_and_b32 s22, s18, vcc_lo
	s_wait_alu 0xfffe
	s_and_saveexec_b32 s18, s22
	s_cbranch_execz .LBB130_84
; %bb.83:                               ;   in Loop: Header=BB130_70 Depth=1
	s_wait_dscnt 0x0
	v_bcnt_u32_b32 v4, v4, v63
	ds_store_b32 v65, v4 offset:64
.LBB130_84:                             ;   in Loop: Header=BB130_70 Depth=1
	s_wait_alu 0xfffe
	s_or_b32 exec_lo, exec_lo, s18
	v_lshrrev_b32_e32 v4, v51, v55
	; wave barrier
	s_delay_alu instid0(VALU_DEP_1) | instskip(NEXT) | instid1(VALU_DEP_1)
	v_and_b32_e32 v4, s21, v4
	v_and_b32_e32 v5, 1, v4
	v_lshlrev_b32_e32 v6, 30, v4
	v_lshlrev_b32_e32 v7, 29, v4
	;; [unrolled: 1-line block ×4, first 2 shown]
	v_add_co_u32 v5, s18, v5, -1
	s_wait_alu 0xf1ff
	v_cndmask_b32_e64 v9, 0, 1, s18
	v_not_b32_e32 v67, v6
	v_cmp_gt_i32_e64 s18, 0, v6
	v_not_b32_e32 v6, v7
	v_lshlrev_b32_e32 v11, 26, v4
	v_cmp_ne_u32_e32 vcc_lo, 0, v9
	v_ashrrev_i32_e32 v67, 31, v67
	v_lshlrev_b32_e32 v66, 25, v4
	v_ashrrev_i32_e32 v6, 31, v6
	v_lshlrev_b32_e32 v9, 24, v4
	s_wait_alu 0xfffd
	v_xor_b32_e32 v5, vcc_lo, v5
	v_cmp_gt_i32_e32 vcc_lo, 0, v7
	v_not_b32_e32 v7, v8
	s_wait_alu 0xf1ff
	v_xor_b32_e32 v67, s18, v67
	v_cmp_gt_i32_e64 s18, 0, v8
	v_and_b32_e32 v5, exec_lo, v5
	v_not_b32_e32 v8, v10
	v_ashrrev_i32_e32 v7, 31, v7
	s_wait_alu 0xfffd
	v_xor_b32_e32 v6, vcc_lo, v6
	v_cmp_gt_i32_e32 vcc_lo, 0, v10
	v_and_b32_e32 v5, v5, v67
	v_not_b32_e32 v10, v11
	v_ashrrev_i32_e32 v8, 31, v8
	s_wait_alu 0xf1ff
	v_xor_b32_e32 v7, s18, v7
	v_cmp_gt_i32_e64 s18, 0, v11
	v_and_b32_e32 v5, v5, v6
	v_not_b32_e32 v6, v66
	v_ashrrev_i32_e32 v10, 31, v10
	s_wait_alu 0xfffd
	v_xor_b32_e32 v8, vcc_lo, v8
	v_cmp_gt_i32_e32 vcc_lo, 0, v66
	v_and_b32_e32 v5, v5, v7
	v_not_b32_e32 v7, v9
	v_ashrrev_i32_e32 v6, 31, v6
	s_wait_alu 0xf1ff
	v_xor_b32_e32 v10, s18, v10
	v_lshlrev_b32_e32 v4, 6, v4
	v_and_b32_e32 v5, v5, v8
	v_cmp_gt_i32_e64 s18, 0, v9
	v_ashrrev_i32_e32 v7, 31, v7
	s_wait_alu 0xfffd
	v_xor_b32_e32 v6, vcc_lo, v6
	v_add_nc_u32_e32 v66, v50, v4
	v_and_b32_e32 v5, v5, v10
	s_wait_alu 0xf1ff
	v_xor_b32_e32 v4, s18, v7
	ds_load_b32 v71, v66 offset:64
	v_and_b32_e32 v5, v5, v6
	; wave barrier
	s_delay_alu instid0(VALU_DEP_1) | instskip(NEXT) | instid1(VALU_DEP_1)
	v_and_b32_e32 v4, v5, v4
	v_mbcnt_lo_u32_b32 v72, v4, 0
	v_cmp_ne_u32_e64 s18, 0, v4
	s_delay_alu instid0(VALU_DEP_2)
	v_cmp_eq_u32_e32 vcc_lo, 0, v72
	s_and_b32 s21, s18, vcc_lo
	s_wait_alu 0xfffe
	s_and_saveexec_b32 s18, s21
	s_cbranch_execz .LBB130_86
; %bb.85:                               ;   in Loop: Header=BB130_70 Depth=1
	s_wait_dscnt 0x0
	v_bcnt_u32_b32 v4, v4, v71
	ds_store_b32 v66, v4 offset:64
.LBB130_86:                             ;   in Loop: Header=BB130_70 Depth=1
	s_wait_alu 0xfffe
	s_or_b32 exec_lo, exec_lo, s18
	; wave barrier
	s_wait_loadcnt_dscnt 0x0
	s_barrier_signal -1
	s_barrier_wait -1
	global_inv scope:SCOPE_SE
	ds_load_b128 v[8:11], v90 offset:64
	ds_load_b128 v[4:7], v90 offset:80
	s_wait_dscnt 0x1
	v_add_nc_u32_e32 v67, v9, v8
	s_delay_alu instid0(VALU_DEP_1) | instskip(SKIP_1) | instid1(VALU_DEP_1)
	v_add3_u32 v67, v67, v10, v11
	s_wait_dscnt 0x0
	v_add3_u32 v67, v67, v4, v5
	s_delay_alu instid0(VALU_DEP_1) | instskip(NEXT) | instid1(VALU_DEP_1)
	v_add3_u32 v7, v67, v6, v7
	v_mov_b32_dpp v67, v7 row_shr:1 row_mask:0xf bank_mask:0xf
	s_delay_alu instid0(VALU_DEP_1) | instskip(NEXT) | instid1(VALU_DEP_1)
	v_cndmask_b32_e64 v67, v67, 0, s1
	v_add_nc_u32_e32 v7, v67, v7
	s_delay_alu instid0(VALU_DEP_1) | instskip(NEXT) | instid1(VALU_DEP_1)
	v_mov_b32_dpp v67, v7 row_shr:2 row_mask:0xf bank_mask:0xf
	v_cndmask_b32_e64 v67, 0, v67, s9
	s_delay_alu instid0(VALU_DEP_1) | instskip(NEXT) | instid1(VALU_DEP_1)
	v_add_nc_u32_e32 v7, v7, v67
	v_mov_b32_dpp v67, v7 row_shr:4 row_mask:0xf bank_mask:0xf
	s_delay_alu instid0(VALU_DEP_1) | instskip(NEXT) | instid1(VALU_DEP_1)
	v_cndmask_b32_e64 v67, 0, v67, s11
	v_add_nc_u32_e32 v7, v7, v67
	s_delay_alu instid0(VALU_DEP_1) | instskip(NEXT) | instid1(VALU_DEP_1)
	v_mov_b32_dpp v67, v7 row_shr:8 row_mask:0xf bank_mask:0xf
	v_cndmask_b32_e64 v67, 0, v67, s12
	s_delay_alu instid0(VALU_DEP_1) | instskip(SKIP_3) | instid1(VALU_DEP_1)
	v_add_nc_u32_e32 v7, v7, v67
	ds_swizzle_b32 v67, v7 offset:swizzle(BROADCAST,32,15)
	s_wait_dscnt 0x0
	v_cndmask_b32_e64 v67, v67, 0, s13
	v_add_nc_u32_e32 v7, v7, v67
	s_and_saveexec_b32 s18, s14
; %bb.87:                               ;   in Loop: Header=BB130_70 Depth=1
	ds_store_b32 v92, v7
; %bb.88:                               ;   in Loop: Header=BB130_70 Depth=1
	s_wait_alu 0xfffe
	s_or_b32 exec_lo, exec_lo, s18
	s_wait_loadcnt_dscnt 0x0
	s_barrier_signal -1
	s_barrier_wait -1
	global_inv scope:SCOPE_SE
	s_and_saveexec_b32 s18, s15
	s_cbranch_execz .LBB130_90
; %bb.89:                               ;   in Loop: Header=BB130_70 Depth=1
	ds_load_b32 v67, v52
	s_wait_dscnt 0x0
	v_mov_b32_dpp v68, v67 row_shr:1 row_mask:0xf bank_mask:0xf
	s_delay_alu instid0(VALU_DEP_1) | instskip(NEXT) | instid1(VALU_DEP_1)
	v_cndmask_b32_e64 v68, v68, 0, s1
	v_add_nc_u32_e32 v67, v68, v67
	s_delay_alu instid0(VALU_DEP_1) | instskip(NEXT) | instid1(VALU_DEP_1)
	v_mov_b32_dpp v68, v67 row_shr:2 row_mask:0xf bank_mask:0xf
	v_cndmask_b32_e64 v68, 0, v68, s9
	s_delay_alu instid0(VALU_DEP_1) | instskip(NEXT) | instid1(VALU_DEP_1)
	v_add_nc_u32_e32 v67, v67, v68
	v_mov_b32_dpp v68, v67 row_shr:4 row_mask:0xf bank_mask:0xf
	s_delay_alu instid0(VALU_DEP_1) | instskip(NEXT) | instid1(VALU_DEP_1)
	v_cndmask_b32_e64 v68, 0, v68, s11
	v_add_nc_u32_e32 v67, v67, v68
	s_delay_alu instid0(VALU_DEP_1) | instskip(NEXT) | instid1(VALU_DEP_1)
	v_mov_b32_dpp v68, v67 row_shr:8 row_mask:0xf bank_mask:0xf
	v_cndmask_b32_e64 v68, 0, v68, s12
	s_delay_alu instid0(VALU_DEP_1)
	v_add_nc_u32_e32 v67, v67, v68
	ds_store_b32 v52, v67
.LBB130_90:                             ;   in Loop: Header=BB130_70 Depth=1
	s_wait_alu 0xfffe
	s_or_b32 exec_lo, exec_lo, s18
	v_mov_b32_e32 v67, 0
	s_wait_loadcnt_dscnt 0x0
	s_barrier_signal -1
	s_barrier_wait -1
	global_inv scope:SCOPE_SE
	s_and_saveexec_b32 s18, s16
; %bb.91:                               ;   in Loop: Header=BB130_70 Depth=1
	ds_load_b32 v67, v49
; %bb.92:                               ;   in Loop: Header=BB130_70 Depth=1
	s_wait_alu 0xfffe
	s_or_b32 exec_lo, exec_lo, s18
	s_wait_dscnt 0x0
	v_add_nc_u32_e32 v7, v67, v7
	v_cmp_lt_u32_e32 vcc_lo, 23, v51
	v_readfirstlane_b32 s18, v0
	s_mov_b32 s21, -1
	ds_bpermute_b32 v7, v36, v7
	s_and_b32 vcc_lo, exec_lo, vcc_lo
	s_wait_dscnt 0x0
	v_cndmask_b32_e64 v7, v7, v67, s10
	s_delay_alu instid0(VALU_DEP_1) | instskip(NEXT) | instid1(VALU_DEP_1)
	v_cndmask_b32_e64 v7, v7, 0, s17
	v_add_nc_u32_e32 v8, v7, v8
	s_delay_alu instid0(VALU_DEP_1) | instskip(NEXT) | instid1(VALU_DEP_1)
	v_add_nc_u32_e32 v9, v8, v9
	v_add_nc_u32_e32 v10, v9, v10
	s_delay_alu instid0(VALU_DEP_1) | instskip(NEXT) | instid1(VALU_DEP_1)
	v_add_nc_u32_e32 v67, v10, v11
	;; [unrolled: 3-line block ×3, first 2 shown]
	v_add_nc_u32_e32 v70, v69, v6
	ds_store_b128 v90, v[7:10] offset:64
	ds_store_b128 v90, v[67:70] offset:80
	s_wait_loadcnt_dscnt 0x0
	s_barrier_signal -1
	s_barrier_wait -1
	global_inv scope:SCOPE_SE
	ds_load_b32 v4, v13 offset:64
	ds_load_b32 v5, v16 offset:64
	;; [unrolled: 1-line block ×8, first 2 shown]
	s_wait_dscnt 0x7
	v_add_nc_u32_e32 v70, v4, v12
	s_wait_dscnt 0x6
	v_add3_u32 v69, v15, v14, v5
	s_wait_dscnt 0x5
	v_add3_u32 v68, v18, v17, v6
	;; [unrolled: 2-line block ×7, first 2 shown]
                                        ; implicit-def: $vgpr48
                                        ; implicit-def: $vgpr46
                                        ; implicit-def: $vgpr44
                                        ; implicit-def: $vgpr39
                                        ; implicit-def: $vgpr18_vgpr19
                                        ; implicit-def: $vgpr14_vgpr15
                                        ; implicit-def: $vgpr10_vgpr11
                                        ; implicit-def: $vgpr6_vgpr7
	s_wait_alu 0xfffe
	s_cbranch_vccnz .LBB130_69
; %bb.93:                               ;   in Loop: Header=BB130_70 Depth=1
	v_lshlrev_b32_e32 v4, 2, v70
	v_lshlrev_b32_e32 v5, 2, v69
	;; [unrolled: 1-line block ×3, first 2 shown]
	s_wait_loadcnt 0x0
	s_barrier_signal -1
	s_barrier_wait -1
	global_inv scope:SCOPE_SE
	ds_store_b32 v4, v54
	ds_store_b32 v5, v61
	;; [unrolled: 1-line block ×3, first 2 shown]
	v_lshlrev_b32_e32 v7, 2, v67
	v_add_nc_u32_e32 v4, v4, v4
	v_lshlrev_b32_e32 v8, 2, v66
	v_add_nc_u32_e32 v5, v5, v5
	;; [unrolled: 2-line block ×3, first 2 shown]
	v_lshlrev_b32_e32 v10, 2, v63
	v_lshlrev_b32_e32 v11, 2, v62
	ds_store_b32 v7, v59
	ds_store_b32 v8, v58
	;; [unrolled: 1-line block ×5, first 2 shown]
	s_wait_loadcnt_dscnt 0x0
	s_barrier_signal -1
	s_barrier_wait -1
	global_inv scope:SCOPE_SE
	ds_load_2addr_b32 v[38:39], v91 offset1:32
	ds_load_2addr_b32 v[43:44], v91 offset0:64 offset1:96
	ds_load_2addr_b32 v[45:46], v91 offset0:128 offset1:160
	;; [unrolled: 1-line block ×3, first 2 shown]
	s_wait_loadcnt_dscnt 0x0
	s_barrier_signal -1
	s_barrier_wait -1
	global_inv scope:SCOPE_SE
	ds_store_b64 v4, v[34:35]
	ds_store_b64 v5, v[32:33]
	;; [unrolled: 1-line block ×3, first 2 shown]
	v_add_nc_u32_e32 v4, v7, v7
	v_add_nc_u32_e32 v5, v8, v8
	;; [unrolled: 1-line block ×5, first 2 shown]
	ds_store_b64 v4, v[28:29]
	ds_store_b64 v5, v[26:27]
	;; [unrolled: 1-line block ×5, first 2 shown]
	s_wait_loadcnt_dscnt 0x0
	s_barrier_signal -1
	s_barrier_wait -1
	global_inv scope:SCOPE_SE
	ds_load_2addr_b64 v[4:7], v53 offset1:32
	ds_load_2addr_b64 v[8:11], v53 offset0:64 offset1:96
	ds_load_2addr_b64 v[12:15], v53 offset0:128 offset1:160
	;; [unrolled: 1-line block ×3, first 2 shown]
	v_add_nc_u32_e32 v51, 8, v51
	s_add_co_i32 s18, s20, -8
	s_mov_b32 s21, 0
	s_wait_loadcnt_dscnt 0x0
	s_barrier_signal -1
	s_barrier_wait -1
	global_inv scope:SCOPE_SE
	s_branch .LBB130_69
.LBB130_94:
	v_lshlrev_b32_e32 v8, 2, v70
	v_lshlrev_b32_e32 v9, 2, v69
	v_lshlrev_b32_e32 v10, 2, v68
	s_wait_loadcnt 0x0
	s_barrier_signal -1
	s_barrier_wait -1
	global_inv scope:SCOPE_SE
	ds_store_b32 v8, v54
	ds_store_b32 v9, v61
	;; [unrolled: 1-line block ×3, first 2 shown]
	v_lshlrev_b32_e32 v11, 2, v67
	v_add_nc_u32_e32 v8, v8, v8
	v_lshlrev_b32_e32 v12, 2, v66
	v_add_nc_u32_e32 v9, v9, v9
	;; [unrolled: 2-line block ×3, first 2 shown]
	v_lshlrev_b32_e32 v14, 2, v63
	v_lshlrev_b32_e32 v15, 2, v62
	ds_store_b32 v11, v59
	ds_store_b32 v12, v58
	;; [unrolled: 1-line block ×5, first 2 shown]
	s_wait_loadcnt_dscnt 0x0
	s_barrier_signal -1
	s_barrier_wait -1
	global_inv scope:SCOPE_SE
	ds_load_b128 v[0:3], v90
	ds_load_b128 v[4:7], v90 offset:16
	s_wait_loadcnt_dscnt 0x0
	s_barrier_signal -1
	s_barrier_wait -1
	global_inv scope:SCOPE_SE
	ds_store_b64 v8, v[34:35]
	ds_store_b64 v9, v[32:33]
	;; [unrolled: 1-line block ×3, first 2 shown]
	v_add_nc_u32_e32 v8, v11, v11
	v_add_nc_u32_e32 v9, v12, v12
	;; [unrolled: 1-line block ×5, first 2 shown]
	ds_store_b64 v8, v[28:29]
	ds_store_b64 v9, v[26:27]
	ds_store_b64 v10, v[24:25]
	ds_store_b64 v11, v[22:23]
	ds_store_b64 v12, v[20:21]
	v_lshl_add_u32 v8, v42, 5, v90
	s_wait_loadcnt_dscnt 0x0
	s_barrier_signal -1
	s_barrier_wait -1
	global_inv scope:SCOPE_SE
	ds_load_b128 v[29:32], v8
	ds_load_b128 v[25:28], v8 offset:16
	ds_load_b128 v[21:24], v8 offset:32
	ds_load_b128 v[17:20], v8 offset:48
	v_xor_b32_e32 v33, 0x7fffffff, v0
	v_xor_b32_e32 v35, 0x7fffffff, v1
	;; [unrolled: 1-line block ×8, first 2 shown]
.LBB130_95:
	s_wait_loadcnt_dscnt 0x0
	s_barrier_signal -1
	s_barrier_wait -1
	global_inv scope:SCOPE_SE
	ds_store_2addr_b32 v80, v33, v35 offset1:1
	ds_store_2addr_b32 v80, v34, v38 offset0:2 offset1:3
	ds_store_2addr_b32 v80, v36, v51 offset0:4 offset1:5
	;; [unrolled: 1-line block ×3, first 2 shown]
	s_wait_loadcnt_dscnt 0x0
	s_barrier_signal -1
	s_barrier_wait -1
	global_inv scope:SCOPE_SE
	ds_load_b32 v8, v41 offset:2048
	ds_load_b32 v7, v74 offset:4096
	ds_load_b32 v6, v75 offset:6144
	ds_load_b32 v5, v76 offset:8192
	ds_load_b32 v4, v77 offset:10240
	ds_load_b32 v3, v78 offset:12288
	ds_load_b32 v2, v79 offset:14336
	v_mov_b32_e32 v41, 0
	s_delay_alu instid0(VALU_DEP_1) | instskip(NEXT) | instid1(VALU_DEP_1)
	v_lshlrev_b64_e32 v[0:1], 2, v[40:41]
	v_add_co_u32 v0, vcc_lo, s30, v0
	s_wait_alu 0xfffd
	s_delay_alu instid0(VALU_DEP_2)
	v_add_co_ci_u32_e64 v1, null, s31, v1, vcc_lo
	s_and_saveexec_b32 s1, s2
	s_cbranch_execnz .LBB130_114
; %bb.96:
	s_wait_alu 0xfffe
	s_or_b32 exec_lo, exec_lo, s1
	s_and_saveexec_b32 s1, s3
	s_cbranch_execnz .LBB130_115
.LBB130_97:
	s_wait_alu 0xfffe
	s_or_b32 exec_lo, exec_lo, s1
	s_and_saveexec_b32 s1, s4
	s_cbranch_execnz .LBB130_116
.LBB130_98:
	s_wait_alu 0xfffe
	s_or_b32 exec_lo, exec_lo, s1
	s_and_saveexec_b32 s1, s5
	s_cbranch_execnz .LBB130_117
.LBB130_99:
	s_wait_alu 0xfffe
	s_or_b32 exec_lo, exec_lo, s1
	s_and_saveexec_b32 s1, s6
	s_cbranch_execnz .LBB130_118
.LBB130_100:
	s_wait_alu 0xfffe
	s_or_b32 exec_lo, exec_lo, s1
	s_and_saveexec_b32 s1, s7
	s_cbranch_execnz .LBB130_119
.LBB130_101:
	s_wait_alu 0xfffe
	s_or_b32 exec_lo, exec_lo, s1
	s_and_saveexec_b32 s1, s8
	s_cbranch_execnz .LBB130_120
.LBB130_102:
	s_wait_alu 0xfffe
	s_or_b32 exec_lo, exec_lo, s1
	s_and_saveexec_b32 s1, s0
	s_cbranch_execz .LBB130_104
.LBB130_103:
	s_mul_i32 s10, s26, 0xe00
	s_mov_b32 s11, 0
	s_wait_alu 0xfffe
	s_lshl_b64 s[10:11], s[10:11], 2
	s_wait_alu 0xfffe
	v_add_co_u32 v0, vcc_lo, v0, s10
	s_wait_alu 0xfffd
	v_add_co_ci_u32_e64 v1, null, s11, v1, vcc_lo
	s_wait_dscnt 0x0
	global_store_b32 v[0:1], v2, off
.LBB130_104:
	s_wait_alu 0xfffe
	s_or_b32 exec_lo, exec_lo, s1
	s_wait_storecnt 0x0
	s_wait_loadcnt_dscnt 0x0
	s_barrier_signal -1
	s_barrier_wait -1
	global_inv scope:SCOPE_SE
	ds_store_2addr_b64 v89, v[29:30], v[31:32] offset1:1
	ds_store_2addr_b64 v89, v[25:26], v[27:28] offset0:2 offset1:3
	ds_store_2addr_b64 v89, v[21:22], v[23:24] offset0:4 offset1:5
	;; [unrolled: 1-line block ×3, first 2 shown]
	s_wait_loadcnt_dscnt 0x0
	s_barrier_signal -1
	s_barrier_wait -1
	global_inv scope:SCOPE_SE
	ds_load_b64 v[14:15], v82 offset:4096
	ds_load_b64 v[12:13], v83 offset:8192
	;; [unrolled: 1-line block ×7, first 2 shown]
	v_mov_b32_e32 v38, 0
	s_delay_alu instid0(VALU_DEP_1) | instskip(NEXT) | instid1(VALU_DEP_1)
	v_lshlrev_b64_e32 v[2:3], 3, v[37:38]
	v_add_co_u32 v2, vcc_lo, s24, v2
	s_wait_alu 0xfffd
	s_delay_alu instid0(VALU_DEP_2)
	v_add_co_ci_u32_e64 v3, null, s25, v3, vcc_lo
	s_and_saveexec_b32 s1, s2
	s_cbranch_execnz .LBB130_121
; %bb.105:
	s_wait_alu 0xfffe
	s_or_b32 exec_lo, exec_lo, s1
	s_and_saveexec_b32 s1, s3
	s_cbranch_execnz .LBB130_122
.LBB130_106:
	s_wait_alu 0xfffe
	s_or_b32 exec_lo, exec_lo, s1
	s_and_saveexec_b32 s1, s4
	s_cbranch_execnz .LBB130_123
.LBB130_107:
	s_wait_alu 0xfffe
	s_or_b32 exec_lo, exec_lo, s1
	s_and_saveexec_b32 s1, s5
	s_cbranch_execnz .LBB130_124
.LBB130_108:
	s_wait_alu 0xfffe
	s_or_b32 exec_lo, exec_lo, s1
	s_and_saveexec_b32 s1, s6
	s_cbranch_execnz .LBB130_125
.LBB130_109:
	s_wait_alu 0xfffe
	s_or_b32 exec_lo, exec_lo, s1
	s_and_saveexec_b32 s1, s7
	s_cbranch_execnz .LBB130_126
.LBB130_110:
	s_wait_alu 0xfffe
	s_or_b32 exec_lo, exec_lo, s1
	s_and_saveexec_b32 s1, s8
	s_cbranch_execnz .LBB130_127
.LBB130_111:
	s_wait_alu 0xfffe
	s_or_b32 exec_lo, exec_lo, s1
	s_and_saveexec_b32 s1, s0
	s_cbranch_execz .LBB130_113
.LBB130_112:
	s_mul_i32 s0, s28, 0xe00
	s_mov_b32 s1, 0
	s_wait_alu 0xfffe
	s_lshl_b64 s[0:1], s[0:1], 3
	s_wait_alu 0xfffe
	v_add_co_u32 v2, vcc_lo, v2, s0
	s_wait_alu 0xfffd
	v_add_co_ci_u32_e64 v3, null, s1, v3, vcc_lo
	s_wait_dscnt 0x0
	global_store_b64 v[2:3], v[0:1], off
.LBB130_113:
	s_nop 0
	s_sendmsg sendmsg(MSG_DEALLOC_VGPRS)
	s_endpgm
.LBB130_114:
	ds_load_b32 v9, v73
	s_wait_dscnt 0x0
	global_store_b32 v[0:1], v9, off
	s_wait_alu 0xfffe
	s_or_b32 exec_lo, exec_lo, s1
	s_and_saveexec_b32 s1, s3
	s_cbranch_execz .LBB130_97
.LBB130_115:
	s_lshl_b32 s10, s26, 9
	s_mov_b32 s11, 0
	s_wait_alu 0xfffe
	s_lshl_b64 s[10:11], s[10:11], 2
	s_wait_alu 0xfffe
	v_add_co_u32 v9, vcc_lo, v0, s10
	s_wait_alu 0xfffd
	v_add_co_ci_u32_e64 v10, null, s11, v1, vcc_lo
	s_wait_dscnt 0x6
	global_store_b32 v[9:10], v8, off
	s_or_b32 exec_lo, exec_lo, s1
	s_and_saveexec_b32 s1, s4
	s_cbranch_execz .LBB130_98
.LBB130_116:
	s_lshl_b32 s10, s26, 10
	s_mov_b32 s11, 0
	s_wait_alu 0xfffe
	s_lshl_b64 s[10:11], s[10:11], 2
	s_wait_dscnt 0x6
	s_wait_alu 0xfffe
	v_add_co_u32 v8, vcc_lo, v0, s10
	s_wait_alu 0xfffd
	v_add_co_ci_u32_e64 v9, null, s11, v1, vcc_lo
	s_wait_dscnt 0x5
	global_store_b32 v[8:9], v7, off
	s_or_b32 exec_lo, exec_lo, s1
	s_and_saveexec_b32 s1, s5
	s_cbranch_execz .LBB130_99
.LBB130_117:
	s_mul_i32 s10, s26, 0x600
	s_mov_b32 s11, 0
	s_wait_alu 0xfffe
	s_lshl_b64 s[10:11], s[10:11], 2
	s_wait_dscnt 0x5
	s_wait_alu 0xfffe
	v_add_co_u32 v7, vcc_lo, v0, s10
	s_wait_alu 0xfffd
	v_add_co_ci_u32_e64 v8, null, s11, v1, vcc_lo
	s_wait_dscnt 0x4
	global_store_b32 v[7:8], v6, off
	s_or_b32 exec_lo, exec_lo, s1
	s_and_saveexec_b32 s1, s6
	s_cbranch_execz .LBB130_100
.LBB130_118:
	s_lshl_b32 s10, s26, 11
	s_mov_b32 s11, 0
	s_wait_alu 0xfffe
	s_lshl_b64 s[10:11], s[10:11], 2
	s_wait_dscnt 0x4
	s_wait_alu 0xfffe
	v_add_co_u32 v6, vcc_lo, v0, s10
	s_wait_alu 0xfffd
	v_add_co_ci_u32_e64 v7, null, s11, v1, vcc_lo
	s_wait_dscnt 0x3
	global_store_b32 v[6:7], v5, off
	s_or_b32 exec_lo, exec_lo, s1
	s_and_saveexec_b32 s1, s7
	s_cbranch_execz .LBB130_101
.LBB130_119:
	s_mul_i32 s10, s26, 0xa00
	s_mov_b32 s11, 0
	s_wait_alu 0xfffe
	s_lshl_b64 s[10:11], s[10:11], 2
	s_wait_dscnt 0x3
	s_wait_alu 0xfffe
	v_add_co_u32 v5, vcc_lo, v0, s10
	s_wait_alu 0xfffd
	v_add_co_ci_u32_e64 v6, null, s11, v1, vcc_lo
	s_wait_dscnt 0x2
	global_store_b32 v[5:6], v4, off
	s_or_b32 exec_lo, exec_lo, s1
	s_and_saveexec_b32 s1, s8
	s_cbranch_execz .LBB130_102
.LBB130_120:
	s_mul_i32 s10, s26, 0xc00
	s_mov_b32 s11, 0
	s_wait_alu 0xfffe
	s_lshl_b64 s[10:11], s[10:11], 2
	s_wait_dscnt 0x2
	s_wait_alu 0xfffe
	v_add_co_u32 v4, vcc_lo, v0, s10
	s_wait_alu 0xfffd
	v_add_co_ci_u32_e64 v5, null, s11, v1, vcc_lo
	s_wait_dscnt 0x1
	global_store_b32 v[4:5], v3, off
	s_or_b32 exec_lo, exec_lo, s1
	s_and_saveexec_b32 s1, s0
	s_cbranch_execnz .LBB130_103
	s_branch .LBB130_104
.LBB130_121:
	ds_load_b64 v[16:17], v81
	s_wait_dscnt 0x0
	global_store_b64 v[2:3], v[16:17], off
	s_wait_alu 0xfffe
	s_or_b32 exec_lo, exec_lo, s1
	s_and_saveexec_b32 s1, s3
	s_cbranch_execz .LBB130_106
.LBB130_122:
	s_lshl_b32 s2, s28, 9
	s_mov_b32 s3, 0
	s_delay_alu instid0(SALU_CYCLE_1) | instskip(NEXT) | instid1(SALU_CYCLE_1)
	s_lshl_b64 s[2:3], s[2:3], 3
	v_add_co_u32 v16, vcc_lo, v2, s2
	s_wait_alu 0xfffd
	v_add_co_ci_u32_e64 v17, null, s3, v3, vcc_lo
	s_wait_dscnt 0x6
	global_store_b64 v[16:17], v[14:15], off
	s_wait_alu 0xfffe
	s_or_b32 exec_lo, exec_lo, s1
	s_and_saveexec_b32 s1, s4
	s_cbranch_execz .LBB130_107
.LBB130_123:
	s_lshl_b32 s2, s28, 10
	s_mov_b32 s3, 0
	s_wait_alu 0xfffe
	s_lshl_b64 s[2:3], s[2:3], 3
	s_wait_dscnt 0x6
	s_wait_alu 0xfffe
	v_add_co_u32 v14, vcc_lo, v2, s2
	s_wait_alu 0xfffd
	v_add_co_ci_u32_e64 v15, null, s3, v3, vcc_lo
	s_wait_dscnt 0x5
	global_store_b64 v[14:15], v[12:13], off
	s_or_b32 exec_lo, exec_lo, s1
	s_and_saveexec_b32 s1, s5
	s_cbranch_execz .LBB130_108
.LBB130_124:
	s_mul_i32 s2, s28, 0x600
	s_mov_b32 s3, 0
	s_wait_alu 0xfffe
	s_lshl_b64 s[2:3], s[2:3], 3
	s_wait_dscnt 0x5
	s_wait_alu 0xfffe
	v_add_co_u32 v12, vcc_lo, v2, s2
	s_wait_alu 0xfffd
	v_add_co_ci_u32_e64 v13, null, s3, v3, vcc_lo
	s_wait_dscnt 0x4
	global_store_b64 v[12:13], v[10:11], off
	s_or_b32 exec_lo, exec_lo, s1
	s_and_saveexec_b32 s1, s6
	s_cbranch_execz .LBB130_109
.LBB130_125:
	s_lshl_b32 s2, s28, 11
	s_mov_b32 s3, 0
	s_wait_alu 0xfffe
	s_lshl_b64 s[2:3], s[2:3], 3
	s_wait_dscnt 0x4
	s_wait_alu 0xfffe
	v_add_co_u32 v10, vcc_lo, v2, s2
	s_wait_alu 0xfffd
	v_add_co_ci_u32_e64 v11, null, s3, v3, vcc_lo
	s_wait_dscnt 0x3
	global_store_b64 v[10:11], v[8:9], off
	s_or_b32 exec_lo, exec_lo, s1
	s_and_saveexec_b32 s1, s7
	s_cbranch_execz .LBB130_110
.LBB130_126:
	s_mul_i32 s2, s28, 0xa00
	s_mov_b32 s3, 0
	s_wait_alu 0xfffe
	s_lshl_b64 s[2:3], s[2:3], 3
	s_wait_dscnt 0x3
	s_wait_alu 0xfffe
	v_add_co_u32 v8, vcc_lo, v2, s2
	s_wait_alu 0xfffd
	v_add_co_ci_u32_e64 v9, null, s3, v3, vcc_lo
	s_wait_dscnt 0x2
	global_store_b64 v[8:9], v[6:7], off
	s_or_b32 exec_lo, exec_lo, s1
	s_and_saveexec_b32 s1, s8
	s_cbranch_execz .LBB130_111
.LBB130_127:
	s_mul_i32 s2, s28, 0xc00
	s_mov_b32 s3, 0
	s_wait_alu 0xfffe
	s_lshl_b64 s[2:3], s[2:3], 3
	s_wait_dscnt 0x2
	s_wait_alu 0xfffe
	v_add_co_u32 v6, vcc_lo, v2, s2
	s_wait_alu 0xfffd
	v_add_co_ci_u32_e64 v7, null, s3, v3, vcc_lo
	s_wait_dscnt 0x1
	global_store_b64 v[6:7], v[4:5], off
	s_or_b32 exec_lo, exec_lo, s1
	s_and_saveexec_b32 s1, s0
	s_cbranch_execnz .LBB130_112
	s_branch .LBB130_113
	.section	.rodata,"a",@progbits
	.p2align	6, 0x0
	.amdhsa_kernel _ZN2at6native18radixSortKVInPlaceILin1ELin1ELi512ELi8EiljEEvNS_4cuda6detail10TensorInfoIT3_T5_EES6_S6_S6_NS4_IT4_S6_EES6_b
		.amdhsa_group_segment_fixed_size 33792
		.amdhsa_private_segment_fixed_size 0
		.amdhsa_kernarg_size 712
		.amdhsa_user_sgpr_count 2
		.amdhsa_user_sgpr_dispatch_ptr 0
		.amdhsa_user_sgpr_queue_ptr 0
		.amdhsa_user_sgpr_kernarg_segment_ptr 1
		.amdhsa_user_sgpr_dispatch_id 0
		.amdhsa_user_sgpr_private_segment_size 0
		.amdhsa_wavefront_size32 1
		.amdhsa_uses_dynamic_stack 0
		.amdhsa_enable_private_segment 0
		.amdhsa_system_sgpr_workgroup_id_x 1
		.amdhsa_system_sgpr_workgroup_id_y 1
		.amdhsa_system_sgpr_workgroup_id_z 1
		.amdhsa_system_sgpr_workgroup_info 0
		.amdhsa_system_vgpr_workitem_id 2
		.amdhsa_next_free_vgpr 127
		.amdhsa_next_free_sgpr 36
		.amdhsa_reserve_vcc 1
		.amdhsa_float_round_mode_32 0
		.amdhsa_float_round_mode_16_64 0
		.amdhsa_float_denorm_mode_32 3
		.amdhsa_float_denorm_mode_16_64 3
		.amdhsa_fp16_overflow 0
		.amdhsa_workgroup_processor_mode 1
		.amdhsa_memory_ordered 1
		.amdhsa_forward_progress 1
		.amdhsa_inst_pref_size 115
		.amdhsa_round_robin_scheduling 0
		.amdhsa_exception_fp_ieee_invalid_op 0
		.amdhsa_exception_fp_denorm_src 0
		.amdhsa_exception_fp_ieee_div_zero 0
		.amdhsa_exception_fp_ieee_overflow 0
		.amdhsa_exception_fp_ieee_underflow 0
		.amdhsa_exception_fp_ieee_inexact 0
		.amdhsa_exception_int_div_zero 0
	.end_amdhsa_kernel
	.section	.text._ZN2at6native18radixSortKVInPlaceILin1ELin1ELi512ELi8EiljEEvNS_4cuda6detail10TensorInfoIT3_T5_EES6_S6_S6_NS4_IT4_S6_EES6_b,"axG",@progbits,_ZN2at6native18radixSortKVInPlaceILin1ELin1ELi512ELi8EiljEEvNS_4cuda6detail10TensorInfoIT3_T5_EES6_S6_S6_NS4_IT4_S6_EES6_b,comdat
.Lfunc_end130:
	.size	_ZN2at6native18radixSortKVInPlaceILin1ELin1ELi512ELi8EiljEEvNS_4cuda6detail10TensorInfoIT3_T5_EES6_S6_S6_NS4_IT4_S6_EES6_b, .Lfunc_end130-_ZN2at6native18radixSortKVInPlaceILin1ELin1ELi512ELi8EiljEEvNS_4cuda6detail10TensorInfoIT3_T5_EES6_S6_S6_NS4_IT4_S6_EES6_b
                                        ; -- End function
	.set _ZN2at6native18radixSortKVInPlaceILin1ELin1ELi512ELi8EiljEEvNS_4cuda6detail10TensorInfoIT3_T5_EES6_S6_S6_NS4_IT4_S6_EES6_b.num_vgpr, 127
	.set _ZN2at6native18radixSortKVInPlaceILin1ELin1ELi512ELi8EiljEEvNS_4cuda6detail10TensorInfoIT3_T5_EES6_S6_S6_NS4_IT4_S6_EES6_b.num_agpr, 0
	.set _ZN2at6native18radixSortKVInPlaceILin1ELin1ELi512ELi8EiljEEvNS_4cuda6detail10TensorInfoIT3_T5_EES6_S6_S6_NS4_IT4_S6_EES6_b.numbered_sgpr, 36
	.set _ZN2at6native18radixSortKVInPlaceILin1ELin1ELi512ELi8EiljEEvNS_4cuda6detail10TensorInfoIT3_T5_EES6_S6_S6_NS4_IT4_S6_EES6_b.num_named_barrier, 0
	.set _ZN2at6native18radixSortKVInPlaceILin1ELin1ELi512ELi8EiljEEvNS_4cuda6detail10TensorInfoIT3_T5_EES6_S6_S6_NS4_IT4_S6_EES6_b.private_seg_size, 0
	.set _ZN2at6native18radixSortKVInPlaceILin1ELin1ELi512ELi8EiljEEvNS_4cuda6detail10TensorInfoIT3_T5_EES6_S6_S6_NS4_IT4_S6_EES6_b.uses_vcc, 1
	.set _ZN2at6native18radixSortKVInPlaceILin1ELin1ELi512ELi8EiljEEvNS_4cuda6detail10TensorInfoIT3_T5_EES6_S6_S6_NS4_IT4_S6_EES6_b.uses_flat_scratch, 0
	.set _ZN2at6native18radixSortKVInPlaceILin1ELin1ELi512ELi8EiljEEvNS_4cuda6detail10TensorInfoIT3_T5_EES6_S6_S6_NS4_IT4_S6_EES6_b.has_dyn_sized_stack, 0
	.set _ZN2at6native18radixSortKVInPlaceILin1ELin1ELi512ELi8EiljEEvNS_4cuda6detail10TensorInfoIT3_T5_EES6_S6_S6_NS4_IT4_S6_EES6_b.has_recursion, 0
	.set _ZN2at6native18radixSortKVInPlaceILin1ELin1ELi512ELi8EiljEEvNS_4cuda6detail10TensorInfoIT3_T5_EES6_S6_S6_NS4_IT4_S6_EES6_b.has_indirect_call, 0
	.section	.AMDGPU.csdata,"",@progbits
; Kernel info:
; codeLenInByte = 14648
; TotalNumSgprs: 38
; NumVgprs: 127
; ScratchSize: 0
; MemoryBound: 0
; FloatMode: 240
; IeeeMode: 1
; LDSByteSize: 33792 bytes/workgroup (compile time only)
; SGPRBlocks: 0
; VGPRBlocks: 15
; NumSGPRsForWavesPerEU: 38
; NumVGPRsForWavesPerEU: 127
; Occupancy: 10
; WaveLimiterHint : 1
; COMPUTE_PGM_RSRC2:SCRATCH_EN: 0
; COMPUTE_PGM_RSRC2:USER_SGPR: 2
; COMPUTE_PGM_RSRC2:TRAP_HANDLER: 0
; COMPUTE_PGM_RSRC2:TGID_X_EN: 1
; COMPUTE_PGM_RSRC2:TGID_Y_EN: 1
; COMPUTE_PGM_RSRC2:TGID_Z_EN: 1
; COMPUTE_PGM_RSRC2:TIDIG_COMP_CNT: 2
	.section	.text._ZN2at6native18radixSortKVInPlaceILin1ELin1ELi256ELi8EiljEEvNS_4cuda6detail10TensorInfoIT3_T5_EES6_S6_S6_NS4_IT4_S6_EES6_b,"axG",@progbits,_ZN2at6native18radixSortKVInPlaceILin1ELin1ELi256ELi8EiljEEvNS_4cuda6detail10TensorInfoIT3_T5_EES6_S6_S6_NS4_IT4_S6_EES6_b,comdat
	.protected	_ZN2at6native18radixSortKVInPlaceILin1ELin1ELi256ELi8EiljEEvNS_4cuda6detail10TensorInfoIT3_T5_EES6_S6_S6_NS4_IT4_S6_EES6_b ; -- Begin function _ZN2at6native18radixSortKVInPlaceILin1ELin1ELi256ELi8EiljEEvNS_4cuda6detail10TensorInfoIT3_T5_EES6_S6_S6_NS4_IT4_S6_EES6_b
	.globl	_ZN2at6native18radixSortKVInPlaceILin1ELin1ELi256ELi8EiljEEvNS_4cuda6detail10TensorInfoIT3_T5_EES6_S6_S6_NS4_IT4_S6_EES6_b
	.p2align	8
	.type	_ZN2at6native18radixSortKVInPlaceILin1ELin1ELi256ELi8EiljEEvNS_4cuda6detail10TensorInfoIT3_T5_EES6_S6_S6_NS4_IT4_S6_EES6_b,@function
_ZN2at6native18radixSortKVInPlaceILin1ELin1ELi256ELi8EiljEEvNS_4cuda6detail10TensorInfoIT3_T5_EES6_S6_S6_NS4_IT4_S6_EES6_b: ; @_ZN2at6native18radixSortKVInPlaceILin1ELin1ELi256ELi8EiljEEvNS_4cuda6detail10TensorInfoIT3_T5_EES6_S6_S6_NS4_IT4_S6_EES6_b
; %bb.0:
	s_clause 0x1
	s_load_b64 s[2:3], s[0:1], 0x1c8
	s_load_b96 s[20:22], s[0:1], 0xd8
	s_lshr_b32 s4, ttmp7, 16
	s_wait_kmcnt 0x0
	s_mul_i32 s3, s3, s4
	s_and_b32 s4, ttmp7, 0xffff
	s_delay_alu instid0(SALU_CYCLE_1) | instskip(NEXT) | instid1(SALU_CYCLE_1)
	s_add_co_i32 s3, s3, s4
	s_mul_i32 s2, s3, s2
	s_delay_alu instid0(SALU_CYCLE_1) | instskip(NEXT) | instid1(SALU_CYCLE_1)
	s_add_co_i32 s14, s2, ttmp9
	s_cmp_ge_u32 s14, s20
	s_cbranch_scc1 .LBB131_113
; %bb.1:
	s_load_b32 s4, s[0:1], 0xd0
	s_mov_b32 s3, 0
	s_mov_b32 s2, s14
	s_wait_kmcnt 0x0
	s_cmp_lt_i32 s4, 2
	s_cbranch_scc1 .LBB131_4
; %bb.2:
	s_add_co_i32 s2, s4, -1
	s_delay_alu instid0(SALU_CYCLE_1)
	s_lshl_b64 s[6:7], s[2:3], 2
	s_mov_b32 s2, s14
	s_add_nc_u64 s[8:9], s[0:1], s[6:7]
	s_add_co_i32 s6, s4, 1
	s_add_nc_u64 s[4:5], s[8:9], 8
.LBB131_3:                              ; =>This Inner Loop Header: Depth=1
	s_clause 0x1
	s_load_b32 s7, s[4:5], 0x0
	s_load_b32 s8, s[4:5], 0x64
	s_mov_b32 s11, s2
	s_add_nc_u64 s[4:5], s[4:5], -4
	s_wait_kmcnt 0x0
	s_cvt_f32_u32 s9, s7
	s_sub_co_i32 s10, 0, s7
	s_wait_alu 0xfffe
	s_delay_alu instid0(SALU_CYCLE_1) | instskip(NEXT) | instid1(TRANS32_DEP_1)
	v_rcp_iflag_f32_e32 v1, s9
	v_readfirstlane_b32 s9, v1
	s_mul_f32 s9, s9, 0x4f7ffffe
	s_wait_alu 0xfffe
	s_delay_alu instid0(SALU_CYCLE_2) | instskip(SKIP_1) | instid1(SALU_CYCLE_2)
	s_cvt_u32_f32 s9, s9
	s_wait_alu 0xfffe
	s_mul_i32 s10, s10, s9
	s_delay_alu instid0(SALU_CYCLE_1) | instskip(NEXT) | instid1(SALU_CYCLE_1)
	s_mul_hi_u32 s10, s9, s10
	s_add_co_i32 s9, s9, s10
	s_wait_alu 0xfffe
	s_mul_hi_u32 s2, s2, s9
	s_delay_alu instid0(SALU_CYCLE_1)
	s_mul_i32 s9, s2, s7
	s_add_co_i32 s10, s2, 1
	s_wait_alu 0xfffe
	s_sub_co_i32 s9, s11, s9
	s_wait_alu 0xfffe
	s_sub_co_i32 s12, s9, s7
	s_cmp_ge_u32 s9, s7
	s_cselect_b32 s2, s10, s2
	s_cselect_b32 s9, s12, s9
	s_add_co_i32 s10, s2, 1
	s_wait_alu 0xfffe
	s_cmp_ge_u32 s9, s7
	s_cselect_b32 s2, s10, s2
	s_add_co_i32 s6, s6, -1
	s_mul_i32 s7, s2, s7
	s_delay_alu instid0(SALU_CYCLE_1) | instskip(NEXT) | instid1(SALU_CYCLE_1)
	s_sub_co_i32 s7, s11, s7
	s_mul_i32 s7, s8, s7
	s_delay_alu instid0(SALU_CYCLE_1)
	s_add_co_i32 s3, s7, s3
	s_cmp_gt_u32 s6, 2
	s_cbranch_scc1 .LBB131_3
.LBB131_4:
	s_load_b32 s4, s[0:1], 0x1b8
	s_add_nc_u64 s[36:37], s[0:1], 0x1c8
	s_mov_b32 s13, 0
	s_wait_kmcnt 0x0
	s_cmp_lt_i32 s4, 2
	s_cbranch_scc1 .LBB131_7
; %bb.5:
	s_add_co_i32 s12, s4, -1
	s_delay_alu instid0(SALU_CYCLE_1) | instskip(NEXT) | instid1(SALU_CYCLE_1)
	s_lshl_b64 s[6:7], s[12:13], 2
	s_add_nc_u64 s[8:9], s[0:1], s[6:7]
	s_add_co_i32 s6, s4, 1
	s_wait_alu 0xfffe
	s_add_nc_u64 s[4:5], s[8:9], 0xf0
.LBB131_6:                              ; =>This Inner Loop Header: Depth=1
	s_clause 0x1
	s_load_b32 s7, s[4:5], 0x0
	s_load_b32 s8, s[4:5], 0x64
	s_mov_b32 s11, s14
	s_add_nc_u64 s[4:5], s[4:5], -4
	s_wait_kmcnt 0x0
	s_cvt_f32_u32 s9, s7
	s_sub_co_i32 s10, 0, s7
	s_wait_alu 0xfffe
	s_delay_alu instid0(SALU_CYCLE_1) | instskip(NEXT) | instid1(TRANS32_DEP_1)
	v_rcp_iflag_f32_e32 v1, s9
	v_readfirstlane_b32 s9, v1
	s_mul_f32 s9, s9, 0x4f7ffffe
	s_wait_alu 0xfffe
	s_delay_alu instid0(SALU_CYCLE_2) | instskip(SKIP_1) | instid1(SALU_CYCLE_2)
	s_cvt_u32_f32 s9, s9
	s_wait_alu 0xfffe
	s_mul_i32 s10, s10, s9
	s_delay_alu instid0(SALU_CYCLE_1) | instskip(NEXT) | instid1(SALU_CYCLE_1)
	s_mul_hi_u32 s10, s9, s10
	s_add_co_i32 s9, s9, s10
	s_wait_alu 0xfffe
	s_mul_hi_u32 s9, s14, s9
	s_wait_alu 0xfffe
	s_mul_i32 s10, s9, s7
	s_add_co_i32 s12, s9, 1
	s_sub_co_i32 s10, s14, s10
	s_delay_alu instid0(SALU_CYCLE_1)
	s_sub_co_i32 s14, s10, s7
	s_cmp_ge_u32 s10, s7
	s_cselect_b32 s9, s12, s9
	s_cselect_b32 s10, s14, s10
	s_wait_alu 0xfffe
	s_add_co_i32 s12, s9, 1
	s_cmp_ge_u32 s10, s7
	s_cselect_b32 s14, s12, s9
	s_add_co_i32 s6, s6, -1
	s_mul_i32 s7, s14, s7
	s_delay_alu instid0(SALU_CYCLE_1) | instskip(NEXT) | instid1(SALU_CYCLE_1)
	s_sub_co_i32 s7, s11, s7
	s_mul_i32 s7, s8, s7
	s_delay_alu instid0(SALU_CYCLE_1)
	s_add_co_i32 s13, s7, s13
	s_cmp_gt_u32 s6, 2
	s_cbranch_scc1 .LBB131_6
.LBB131_7:
	s_clause 0x2
	s_load_b32 s4, s[0:1], 0x6c
	s_load_b64 s[28:29], s[0:1], 0x1c0
	s_load_b64 s[16:17], s[0:1], 0x0
	s_mov_b32 s19, 0
	s_wait_kmcnt 0x0
	s_mul_i32 s2, s4, s2
	s_brev_b32 s4, 1
	s_add_co_i32 s18, s2, s3
	s_bitcmp1_b32 s29, 0
	s_cselect_b32 s12, -1, 0
	s_delay_alu instid0(SALU_CYCLE_1)
	s_and_b32 s2, s12, exec_lo
	s_cselect_b32 s4, s4, 0x7fffffff
	s_lshl_b64 s[18:19], s[18:19], 2
	s_mov_b32 s5, s4
	s_mov_b32 s6, s4
	;; [unrolled: 1-line block ×7, first 2 shown]
	v_dual_mov_b32 v1, s4 :: v_dual_and_b32 v42, 0x3ff, v0
	v_dual_mov_b32 v2, s5 :: v_dual_mov_b32 v3, s6
	s_wait_alu 0xfffe
	v_dual_mov_b32 v4, s7 :: v_dual_mov_b32 v5, s8
	s_delay_alu instid0(VALU_DEP_3)
	v_mul_lo_u32 v40, s22, v42
	v_cmp_gt_u32_e64 s2, s21, v42
	v_dual_mov_b32 v6, s9 :: v_dual_mov_b32 v7, s10
	v_dual_mov_b32 v8, s11 :: v_dual_mov_b32 v9, s4
	s_add_nc_u64 s[30:31], s[16:17], s[18:19]
	s_and_saveexec_b32 s3, s2
	s_cbranch_execz .LBB131_9
; %bb.8:
	v_mov_b32_e32 v41, 0
	s_delay_alu instid0(VALU_DEP_1) | instskip(NEXT) | instid1(VALU_DEP_1)
	v_lshlrev_b64_e32 v[1:2], 2, v[40:41]
	v_add_co_u32 v1, vcc_lo, s30, v1
	s_delay_alu instid0(VALU_DEP_1)
	v_add_co_ci_u32_e64 v2, null, s31, v2, vcc_lo
	global_load_b32 v9, v[1:2], off
	v_dual_mov_b32 v1, s4 :: v_dual_mov_b32 v4, s7
	v_dual_mov_b32 v2, s5 :: v_dual_mov_b32 v3, s6
	;; [unrolled: 1-line block ×4, first 2 shown]
.LBB131_9:
	s_or_b32 exec_lo, exec_lo, s3
	v_add_nc_u32_e32 v15, 0x100, v42
	s_delay_alu instid0(VALU_DEP_1)
	v_cmp_gt_u32_e64 s3, s21, v15
	s_and_saveexec_b32 s4, s3
	s_cbranch_execz .LBB131_11
; %bb.10:
	v_mul_lo_u32 v1, s22, v15
	v_mov_b32_e32 v2, 0
	s_delay_alu instid0(VALU_DEP_1) | instskip(NEXT) | instid1(VALU_DEP_1)
	v_lshlrev_b64_e32 v[1:2], 2, v[1:2]
	v_add_co_u32 v1, vcc_lo, s30, v1
	s_wait_alu 0xfffd
	s_delay_alu instid0(VALU_DEP_2)
	v_add_co_ci_u32_e64 v2, null, s31, v2, vcc_lo
	global_load_b32 v2, v[1:2], off
.LBB131_11:
	s_wait_alu 0xfffe
	s_or_b32 exec_lo, exec_lo, s4
	v_add_nc_u32_e32 v16, 0x200, v42
	s_delay_alu instid0(VALU_DEP_1)
	v_cmp_gt_u32_e64 s4, s21, v16
	s_and_saveexec_b32 s5, s4
	s_cbranch_execz .LBB131_13
; %bb.12:
	v_mul_lo_u32 v10, s22, v16
	v_mov_b32_e32 v11, 0
	s_delay_alu instid0(VALU_DEP_1) | instskip(NEXT) | instid1(VALU_DEP_1)
	v_lshlrev_b64_e32 v[10:11], 2, v[10:11]
	v_add_co_u32 v10, vcc_lo, s30, v10
	s_wait_alu 0xfffd
	s_delay_alu instid0(VALU_DEP_2)
	v_add_co_ci_u32_e64 v11, null, s31, v11, vcc_lo
	global_load_b32 v3, v[10:11], off
.LBB131_13:
	s_wait_alu 0xfffe
	;; [unrolled: 18-line block ×3, first 2 shown]
	s_or_b32 exec_lo, exec_lo, s6
	v_or_b32_e32 v20, 0x400, v42
	s_delay_alu instid0(VALU_DEP_1)
	v_cmp_gt_u32_e64 s6, s21, v20
	s_and_saveexec_b32 s7, s6
	s_cbranch_execz .LBB131_17
; %bb.16:
	v_mul_lo_u32 v10, s22, v20
	v_mov_b32_e32 v11, 0
	s_delay_alu instid0(VALU_DEP_1) | instskip(NEXT) | instid1(VALU_DEP_1)
	v_lshlrev_b64_e32 v[10:11], 2, v[10:11]
	v_add_co_u32 v10, vcc_lo, s30, v10
	s_wait_alu 0xfffd
	s_delay_alu instid0(VALU_DEP_2)
	v_add_co_ci_u32_e64 v11, null, s31, v11, vcc_lo
	global_load_b32 v5, v[10:11], off
.LBB131_17:
	s_wait_alu 0xfffe
	s_or_b32 exec_lo, exec_lo, s7
	v_add_nc_u32_e32 v21, 0x500, v42
	s_delay_alu instid0(VALU_DEP_1)
	v_cmp_gt_u32_e64 s7, s21, v21
	s_and_saveexec_b32 s8, s7
	s_cbranch_execz .LBB131_19
; %bb.18:
	v_mul_lo_u32 v10, s22, v21
	v_mov_b32_e32 v11, 0
	s_delay_alu instid0(VALU_DEP_1) | instskip(NEXT) | instid1(VALU_DEP_1)
	v_lshlrev_b64_e32 v[10:11], 2, v[10:11]
	v_add_co_u32 v10, vcc_lo, s30, v10
	s_wait_alu 0xfffd
	s_delay_alu instid0(VALU_DEP_2)
	v_add_co_ci_u32_e64 v11, null, s31, v11, vcc_lo
	global_load_b32 v6, v[10:11], off
.LBB131_19:
	s_wait_alu 0xfffe
	s_or_b32 exec_lo, exec_lo, s8
	v_add_nc_u32_e32 v22, 0x600, v42
	s_delay_alu instid0(VALU_DEP_1)
	v_cmp_gt_u32_e64 s8, s21, v22
	s_and_saveexec_b32 s9, s8
	s_cbranch_execz .LBB131_21
; %bb.20:
	v_mul_lo_u32 v10, s22, v22
	v_mov_b32_e32 v11, 0
	s_delay_alu instid0(VALU_DEP_1) | instskip(NEXT) | instid1(VALU_DEP_1)
	v_lshlrev_b64_e32 v[10:11], 2, v[10:11]
	v_add_co_u32 v10, vcc_lo, s30, v10
	s_wait_alu 0xfffd
	s_delay_alu instid0(VALU_DEP_2)
	v_add_co_ci_u32_e64 v11, null, s31, v11, vcc_lo
	global_load_b32 v7, v[10:11], off
.LBB131_21:
	s_wait_alu 0xfffe
	s_or_b32 exec_lo, exec_lo, s9
	s_clause 0x1
	s_load_b32 s9, s[0:1], 0x154
	s_load_b64 s[10:11], s[0:1], 0xe8
	v_add_nc_u32_e32 v23, 0x700, v42
	s_delay_alu instid0(VALU_DEP_1)
	v_cmp_gt_u32_e64 s0, s21, v23
	s_and_saveexec_b32 s1, s0
	s_cbranch_execz .LBB131_23
; %bb.22:
	v_mul_lo_u32 v10, s22, v23
	v_mov_b32_e32 v11, 0
	s_delay_alu instid0(VALU_DEP_1) | instskip(NEXT) | instid1(VALU_DEP_1)
	v_lshlrev_b64_e32 v[10:11], 2, v[10:11]
	v_add_co_u32 v10, vcc_lo, s30, v10
	s_wait_alu 0xfffd
	s_delay_alu instid0(VALU_DEP_2)
	v_add_co_ci_u32_e64 v11, null, s31, v11, vcc_lo
	global_load_b32 v8, v[10:11], off
.LBB131_23:
	s_or_b32 exec_lo, exec_lo, s1
	v_lshrrev_b32_e32 v17, 5, v42
	v_lshrrev_b32_e32 v1, 5, v15
	;; [unrolled: 1-line block ×3, first 2 shown]
	s_wait_kmcnt 0x0
	s_mul_i32 s1, s9, s14
	v_mul_lo_u32 v37, s28, v42
	v_dual_mov_b32 v38, 0 :: v_dual_add_nc_u32 v27, v17, v42
	v_add_nc_u32_e32 v26, v1, v42
	v_lshrrev_b32_e32 v1, 5, v19
	v_dual_mov_b32 v13, 0 :: v_dual_add_nc_u32 v24, v10, v42
	s_delay_alu instid0(VALU_DEP_4) | instskip(NEXT) | instid1(VALU_DEP_3)
	v_dual_mov_b32 v10, v38 :: v_dual_lshlrev_b32 v73, 2, v27
	v_add_nc_u32_e32 v25, v1, v42
	v_lshrrev_b32_e32 v1, 5, v20
	v_mov_b32_e32 v39, v38
	v_lshlrev_b32_e32 v41, 2, v26
	v_lshlrev_b32_e32 v74, 2, v24
	;; [unrolled: 1-line block ×3, first 2 shown]
	v_add_nc_u32_e32 v28, v1, v42
	v_lshrrev_b32_e32 v1, 5, v21
	s_wait_loadcnt 0x0
	ds_store_b32 v73, v9
	ds_store_b32 v41, v2 offset:1024
	ds_store_b32 v74, v3 offset:2048
	v_lshrrev_b32_e32 v2, 5, v22
	v_lshrrev_b32_e32 v3, 5, v23
	v_lshlrev_b32_e32 v75, 2, v25
	v_add_nc_u32_e32 v32, v1, v42
	v_lshrrev_b32_e32 v1, 2, v42
	v_add_nc_u32_e32 v30, v2, v42
	v_add_nc_u32_e32 v29, v3, v42
	ds_store_b32 v75, v4 offset:3072
	v_mov_b32_e32 v3, v38
	v_add_nc_u32_e32 v31, v1, v18
	v_dual_mov_b32 v1, v38 :: v_dual_lshlrev_b32 v76, 2, v28
	v_dual_mov_b32 v11, v38 :: v_dual_lshlrev_b32 v78, 2, v30
	s_delay_alu instid0(VALU_DEP_3)
	v_lshlrev_b32_e32 v80, 2, v31
	v_dual_mov_b32 v12, v38 :: v_dual_lshlrev_b32 v79, 2, v29
	ds_store_b32 v76, v5 offset:4096
	v_mov_b32_e32 v5, v38
	v_dual_mov_b32 v14, 0 :: v_dual_lshlrev_b32 v77, 2, v32
	ds_store_b32 v77, v6 offset:5120
	ds_store_b32 v78, v7 offset:6144
	;; [unrolled: 1-line block ×3, first 2 shown]
	s_wait_dscnt 0x0
	s_barrier_signal -1
	s_barrier_wait -1
	global_inv scope:SCOPE_SE
	ds_load_2addr_b32 v[49:50], v80 offset1:1
	ds_load_2addr_b32 v[47:48], v80 offset0:2 offset1:3
	ds_load_2addr_b32 v[45:46], v80 offset0:4 offset1:5
	;; [unrolled: 1-line block ×3, first 2 shown]
	s_mov_b32 s15, 0
	s_add_co_i32 s14, s1, s13
	v_dual_mov_b32 v9, v38 :: v_dual_mov_b32 v2, v38
	v_mov_b32_e32 v4, v38
	v_dual_mov_b32 v6, v38 :: v_dual_mov_b32 v7, v38
	v_mov_b32_e32 v8, v38
	s_lshl_b64 s[14:15], s[14:15], 3
	s_wait_loadcnt_dscnt 0x0
	s_add_nc_u64 s[34:35], s[10:11], s[14:15]
	s_barrier_signal -1
	s_barrier_wait -1
	global_inv scope:SCOPE_SE
	s_and_saveexec_b32 s1, s2
	s_cbranch_execnz .LBB131_59
; %bb.24:
	s_or_b32 exec_lo, exec_lo, s1
	s_and_saveexec_b32 s1, s3
	s_cbranch_execnz .LBB131_60
.LBB131_25:
	s_or_b32 exec_lo, exec_lo, s1
	s_and_saveexec_b32 s1, s4
	s_cbranch_execnz .LBB131_61
.LBB131_26:
	s_or_b32 exec_lo, exec_lo, s1
	s_and_saveexec_b32 s1, s5
	s_cbranch_execnz .LBB131_62
.LBB131_27:
	s_or_b32 exec_lo, exec_lo, s1
	s_and_saveexec_b32 s1, s6
	s_cbranch_execnz .LBB131_63
.LBB131_28:
	s_or_b32 exec_lo, exec_lo, s1
	s_and_saveexec_b32 s1, s7
	s_cbranch_execnz .LBB131_64
.LBB131_29:
	s_or_b32 exec_lo, exec_lo, s1
	s_and_saveexec_b32 s1, s8
	s_cbranch_execnz .LBB131_65
.LBB131_30:
	s_or_b32 exec_lo, exec_lo, s1
	s_xor_b32 s1, s12, -1
	s_and_saveexec_b32 s9, s0
	s_cbranch_execz .LBB131_32
.LBB131_31:
	v_mul_lo_u32 v11, s28, v23
	v_mov_b32_e32 v12, 0
	s_delay_alu instid0(VALU_DEP_1) | instskip(NEXT) | instid1(VALU_DEP_1)
	v_lshlrev_b64_e32 v[11:12], 3, v[11:12]
	v_add_co_u32 v11, vcc_lo, s34, v11
	s_wait_alu 0xfffd
	s_delay_alu instid0(VALU_DEP_2)
	v_add_co_ci_u32_e64 v12, null, s35, v12, vcc_lo
	global_load_b64 v[11:12], v[11:12], off
.LBB131_32:
	s_wait_alu 0xfffe
	s_or_b32 exec_lo, exec_lo, s9
	v_lshlrev_b32_e32 v81, 3, v27
	v_lshlrev_b32_e32 v84, 3, v25
	;; [unrolled: 1-line block ×9, first 2 shown]
	s_wait_loadcnt 0x0
	ds_store_b64 v81, v[13:14]
	ds_store_b64 v82, v[38:39] offset:2048
	ds_store_b64 v83, v[9:10] offset:4096
	;; [unrolled: 1-line block ×7, first 2 shown]
	s_wait_dscnt 0x0
	s_barrier_signal -1
	s_barrier_wait -1
	global_inv scope:SCOPE_SE
	ds_load_2addr_b64 v[5:8], v89 offset1:1
	ds_load_2addr_b64 v[1:4], v89 offset0:2 offset1:3
	v_mbcnt_lo_u32_b32 v93, -1, 0
	v_and_b32_e32 v20, 0x1f00, v18
	ds_load_2addr_b64 v[13:16], v89 offset0:4 offset1:5
	ds_load_2addr_b64 v[9:12], v89 offset0:6 offset1:7
	v_and_b32_e32 v19, 0x3e0, v42
	s_and_b32 vcc_lo, exec_lo, s1
	v_bfe_u32 v98, v0, 10, 10
	v_or_b32_e32 v20, v93, v20
	v_bfe_u32 v99, v0, 20, 10
	v_or_b32_e32 v21, v93, v19
	v_lshlrev_b32_e32 v90, 2, v18
	v_and_b32_e32 v96, 15, v93
	v_lshlrev_b32_e32 v91, 2, v20
	v_and_b32_e32 v95, 16, v93
	v_lshlrev_b32_e32 v101, 3, v21
	v_lshlrev_b32_e32 v102, 5, v21
	v_min_u32_e32 v97, 0xe0, v19
	v_lshl_add_u32 v100, v20, 2, v91
	v_cmp_gt_u32_e64 s1, 8, v42
	v_cmp_lt_u32_e64 s9, 31, v42
	v_cmp_eq_u32_e64 s10, 0, v42
	v_lshlrev_b32_e32 v92, 2, v17
	v_mul_i32_i24_e32 v94, 0xffffffe4, v42
	v_and_b32_e32 v0, 7, v93
	s_mov_b32 s24, 0
	s_mov_b32 s11, -1
	s_wait_loadcnt_dscnt 0x0
	s_barrier_signal -1
	s_barrier_wait -1
	global_inv scope:SCOPE_SE
	s_wait_alu 0xfffe
	s_cbranch_vccz .LBB131_66
; %bb.33:
	v_xor_b32_e32 v17, 0x80000000, v49
	v_xor_b32_e32 v18, 0x80000000, v50
	;; [unrolled: 1-line block ×8, first 2 shown]
	ds_store_b128 v102, v[17:20]
	ds_store_b128 v102, v[21:24] offset:16
	v_dual_mov_b32 v106, 0 :: v_dual_lshlrev_b32 v17, 3, v101
	; wave barrier
	ds_load_2addr_b32 v[65:66], v91 offset1:32
	ds_load_2addr_b32 v[67:68], v91 offset0:64 offset1:96
	ds_load_2addr_b32 v[69:70], v91 offset0:128 offset1:160
	;; [unrolled: 1-line block ×3, first 2 shown]
	s_wait_loadcnt_dscnt 0x0
	s_barrier_signal -1
	s_barrier_wait -1
	global_inv scope:SCOPE_SE
	ds_store_b128 v17, v[5:8]
	ds_store_b128 v17, v[1:4] offset:16
	ds_store_b128 v17, v[13:16] offset:32
	;; [unrolled: 1-line block ×3, first 2 shown]
	; wave barrier
	ds_load_2addr_b64 v[21:24], v100 offset1:32
	ds_load_2addr_b64 v[25:28], v100 offset0:64 offset1:96
	ds_load_2addr_b64 v[29:32], v100 offset0:128 offset1:160
	;; [unrolled: 1-line block ×3, first 2 shown]
	s_wait_loadcnt_dscnt 0x0
	s_barrier_signal -1
	s_barrier_wait -1
	global_inv scope:SCOPE_SE
	s_load_b32 s11, s[36:37], 0xc
	s_getpc_b64 s[12:13]
	s_sext_i32_i16 s13, s13
	s_add_co_u32 s12, s12, _ZN7rocprim17ROCPRIM_400000_NS16block_radix_sortIiLj256ELj8ElLj1ELj1ELj0ELNS0_26block_radix_rank_algorithmE1ELNS0_18block_padding_hintE2ELNS0_4arch9wavefront6targetE0EE19radix_bits_per_passE@rel32@lo+8
	s_add_co_ci_u32 s13, s13, _ZN7rocprim17ROCPRIM_400000_NS16block_radix_sortIiLj256ELj8ElLj1ELj1ELj0ELNS0_26block_radix_rank_algorithmE1ELNS0_18block_padding_hintE2ELNS0_4arch9wavefront6targetE0EE19radix_bits_per_passE@rel32@hi+16
	s_mov_b32 s25, s24
	s_load_b32 s23, s[12:13], 0x0
	s_mov_b32 s26, s24
	s_mov_b32 s27, s24
	v_cmp_lt_u32_e64 s13, 1, v96
	v_cmp_lt_u32_e64 s15, 7, v96
	v_cmp_eq_u32_e64 s16, 0, v95
	v_cmp_eq_u32_e64 s18, 0, v0
	v_cmp_lt_u32_e64 s19, 1, v0
	v_add_nc_u32_e32 v104, -4, v92
	v_cmp_lt_u32_e64 s20, 3, v0
	v_add_nc_u32_e32 v107, v90, v94
	v_add_nc_u32_e32 v108, v91, v91
	s_wait_kmcnt 0x0
	s_lshr_b32 s14, s11, 16
	s_and_b32 s12, s11, 0xffff
	v_mad_u32_u24 v17, v99, s14, v98
	v_sub_co_u32 v19, s11, v93, 1
	v_cmp_lt_u32_e64 s14, 3, v96
	s_delay_alu instid0(VALU_DEP_3) | instskip(NEXT) | instid1(VALU_DEP_3)
	v_mad_co_u64_u32 v[17:18], null, v17, s12, v[42:43]
	v_cmp_gt_i32_e32 vcc_lo, 0, v19
	v_or_b32_e32 v18, 31, v97
	v_cmp_eq_u32_e64 s12, 0, v96
	s_wait_alu 0xfffd
	v_cndmask_b32_e32 v19, v19, v93, vcc_lo
	v_lshrrev_b32_e32 v17, 3, v17
	v_cmp_eq_u32_e64 s17, v42, v18
	s_delay_alu instid0(VALU_DEP_3) | instskip(NEXT) | instid1(VALU_DEP_3)
	v_lshlrev_b32_e32 v103, 2, v19
	v_and_b32_e32 v105, 0x1ffffffc, v17
	v_dual_mov_b32 v17, s24 :: v_dual_mov_b32 v18, s25
	v_dual_mov_b32 v19, s26 :: v_dual_mov_b32 v20, s27
	s_mov_b32 s24, 32
	s_branch .LBB131_35
.LBB131_34:                             ;   in Loop: Header=BB131_35 Depth=1
	s_wait_alu 0xfffe
	s_and_not1_b32 vcc_lo, exec_lo, s25
	s_mov_b32 s24, s21
	s_wait_alu 0xfffe
	s_cbranch_vccz .LBB131_67
.LBB131_35:                             ; =>This Inner Loop Header: Depth=1
	v_dual_mov_b32 v109, v65 :: v_dual_mov_b32 v110, v72
	s_wait_alu 0xfffe
	s_min_u32 s21, s23, s24
	v_mov_b32_e32 v60, v26
	s_wait_alu 0xfffe
	s_lshl_b32 s21, -1, s21
	v_lshrrev_b32_e32 v38, v106, v109
	s_wait_alu 0xfffe
	s_not_b32 s25, s21
	v_mov_b32_e32 v62, v24
	v_mov_b32_e32 v64, v22
	ds_store_b128 v90, v[17:20] offset:32
	ds_store_b128 v90, v[17:20] offset:48
	s_wait_alu 0xfffe
	v_dual_mov_b32 v112, v70 :: v_dual_and_b32 v65, s25, v38
	v_mov_b32_e32 v111, v71
	s_wait_loadcnt_dscnt 0x0
	s_barrier_signal -1
	s_delay_alu instid0(VALU_DEP_2) | instskip(SKIP_2) | instid1(VALU_DEP_3)
	v_and_b32_e32 v38, 1, v65
	v_dual_mov_b32 v114, v68 :: v_dual_lshlrev_b32 v39, 30, v65
	v_dual_mov_b32 v116, v66 :: v_dual_lshlrev_b32 v51, 29, v65
	v_add_co_u32 v38, s21, v38, -1
	s_wait_alu 0xf1ff
	v_cndmask_b32_e64 v53, 0, 1, s21
	v_not_b32_e32 v57, v39
	v_dual_mov_b32 v113, v69 :: v_dual_lshlrev_b32 v52, 28, v65
	v_cmp_gt_i32_e64 s21, 0, v39
	s_delay_alu instid0(VALU_DEP_4)
	v_cmp_ne_u32_e32 vcc_lo, 0, v53
	v_not_b32_e32 v39, v51
	v_ashrrev_i32_e32 v57, 31, v57
	v_dual_mov_b32 v115, v67 :: v_dual_lshlrev_b32 v54, 27, v65
	s_wait_alu 0xfffd
	v_xor_b32_e32 v38, vcc_lo, v38
	v_cmp_gt_i32_e32 vcc_lo, 0, v51
	v_not_b32_e32 v51, v52
	v_ashrrev_i32_e32 v39, 31, v39
	s_wait_alu 0xf1ff
	v_xor_b32_e32 v57, s21, v57
	v_and_b32_e32 v38, exec_lo, v38
	v_cmp_gt_i32_e64 s21, 0, v52
	v_not_b32_e32 v52, v54
	v_lshlrev_b32_e32 v55, 26, v65
	v_ashrrev_i32_e32 v51, 31, v51
	s_wait_alu 0xfffd
	v_xor_b32_e32 v39, vcc_lo, v39
	v_and_b32_e32 v38, v38, v57
	v_lshlrev_b32_e32 v56, 25, v65
	v_cmp_gt_i32_e32 vcc_lo, 0, v54
	v_ashrrev_i32_e32 v52, 31, v52
	v_not_b32_e32 v54, v55
	s_wait_alu 0xf1ff
	v_xor_b32_e32 v51, s21, v51
	v_and_b32_e32 v38, v38, v39
	v_cmp_gt_i32_e64 s21, 0, v55
	v_not_b32_e32 v39, v56
	s_wait_alu 0xfffd
	v_xor_b32_e32 v52, vcc_lo, v52
	v_cmp_gt_i32_e32 vcc_lo, 0, v56
	v_dual_mov_b32 v56, v30 :: v_dual_lshlrev_b32 v53, 24, v65
	v_ashrrev_i32_e32 v54, 31, v54
	v_dual_mov_b32 v55, v29 :: v_dual_and_b32 v38, v38, v51
	v_ashrrev_i32_e32 v39, 31, v39
	s_delay_alu instid0(VALU_DEP_4)
	v_not_b32_e32 v51, v53
	s_wait_alu 0xf1ff
	v_xor_b32_e32 v54, s21, v54
	v_cmp_gt_i32_e64 s21, 0, v53
	v_dual_mov_b32 v59, v25 :: v_dual_and_b32 v38, v38, v52
	v_ashrrev_i32_e32 v51, 31, v51
	s_wait_alu 0xfffd
	v_xor_b32_e32 v39, vcc_lo, v39
	s_delay_alu instid0(VALU_DEP_3)
	v_dual_mov_b32 v61, v23 :: v_dual_and_b32 v38, v38, v54
	v_mov_b32_e32 v63, v21
	s_wait_alu 0xf1ff
	v_xor_b32_e32 v57, s21, v51
	v_dual_mov_b32 v52, v34 :: v_dual_lshlrev_b32 v21, 5, v65
	v_and_b32_e32 v58, v38, v39
	v_dual_mov_b32 v54, v32 :: v_dual_mov_b32 v53, v31
	v_dual_mov_b32 v39, v36 :: v_dual_mov_b32 v38, v35
	s_delay_alu instid0(VALU_DEP_3) | instskip(SKIP_2) | instid1(VALU_DEP_3)
	v_dual_mov_b32 v58, v28 :: v_dual_and_b32 v31, v58, v57
	v_mov_b32_e32 v51, v33
	v_dual_mov_b32 v57, v27 :: v_dual_add_nc_u32 v30, v105, v21
	v_mbcnt_lo_u32_b32 v29, v31, 0
	v_cmp_ne_u32_e64 s21, 0, v31
	s_barrier_wait -1
	global_inv scope:SCOPE_SE
	v_cmp_eq_u32_e32 vcc_lo, 0, v29
	; wave barrier
	s_and_b32 s26, s21, vcc_lo
	s_wait_alu 0xfffe
	s_and_saveexec_b32 s21, s26
; %bb.36:                               ;   in Loop: Header=BB131_35 Depth=1
	v_bcnt_u32_b32 v21, v31, 0
	ds_store_b32 v30, v21 offset:32
; %bb.37:                               ;   in Loop: Header=BB131_35 Depth=1
	s_wait_alu 0xfffe
	s_or_b32 exec_lo, exec_lo, s21
	v_lshrrev_b32_e32 v21, v106, v116
	; wave barrier
	s_delay_alu instid0(VALU_DEP_1) | instskip(NEXT) | instid1(VALU_DEP_1)
	v_and_b32_e32 v21, s25, v21
	v_and_b32_e32 v22, 1, v21
	v_lshlrev_b32_e32 v23, 30, v21
	v_lshlrev_b32_e32 v24, 29, v21
	;; [unrolled: 1-line block ×4, first 2 shown]
	v_add_co_u32 v22, s21, v22, -1
	s_wait_alu 0xf1ff
	v_cndmask_b32_e64 v26, 0, 1, s21
	v_not_b32_e32 v32, v23
	v_cmp_gt_i32_e64 s21, 0, v23
	v_not_b32_e32 v23, v24
	v_lshlrev_b32_e32 v28, 26, v21
	v_cmp_ne_u32_e32 vcc_lo, 0, v26
	v_ashrrev_i32_e32 v32, 31, v32
	v_lshlrev_b32_e32 v31, 25, v21
	v_ashrrev_i32_e32 v23, 31, v23
	v_lshlrev_b32_e32 v26, 24, v21
	s_wait_alu 0xfffd
	v_xor_b32_e32 v22, vcc_lo, v22
	v_cmp_gt_i32_e32 vcc_lo, 0, v24
	v_not_b32_e32 v24, v25
	s_wait_alu 0xf1ff
	v_xor_b32_e32 v32, s21, v32
	v_cmp_gt_i32_e64 s21, 0, v25
	v_and_b32_e32 v22, exec_lo, v22
	v_not_b32_e32 v25, v27
	v_ashrrev_i32_e32 v24, 31, v24
	s_wait_alu 0xfffd
	v_xor_b32_e32 v23, vcc_lo, v23
	v_cmp_gt_i32_e32 vcc_lo, 0, v27
	v_and_b32_e32 v22, v22, v32
	v_not_b32_e32 v27, v28
	v_ashrrev_i32_e32 v25, 31, v25
	s_wait_alu 0xf1ff
	v_xor_b32_e32 v24, s21, v24
	v_cmp_gt_i32_e64 s21, 0, v28
	v_and_b32_e32 v22, v22, v23
	v_not_b32_e32 v23, v31
	v_ashrrev_i32_e32 v27, 31, v27
	s_wait_alu 0xfffd
	v_xor_b32_e32 v25, vcc_lo, v25
	v_cmp_gt_i32_e32 vcc_lo, 0, v31
	v_and_b32_e32 v22, v22, v24
	v_not_b32_e32 v24, v26
	v_ashrrev_i32_e32 v23, 31, v23
	s_wait_alu 0xf1ff
	v_xor_b32_e32 v27, s21, v27
	v_lshlrev_b32_e32 v21, 5, v21
	v_and_b32_e32 v22, v22, v25
	v_cmp_gt_i32_e64 s21, 0, v26
	v_ashrrev_i32_e32 v24, 31, v24
	s_wait_alu 0xfffd
	v_xor_b32_e32 v23, vcc_lo, v23
	v_add_nc_u32_e32 v33, v105, v21
	v_and_b32_e32 v22, v22, v27
	s_wait_alu 0xf1ff
	v_xor_b32_e32 v21, s21, v24
	ds_load_b32 v31, v33 offset:32
	v_and_b32_e32 v22, v22, v23
	; wave barrier
	s_delay_alu instid0(VALU_DEP_1) | instskip(NEXT) | instid1(VALU_DEP_1)
	v_and_b32_e32 v21, v22, v21
	v_mbcnt_lo_u32_b32 v32, v21, 0
	v_cmp_ne_u32_e64 s21, 0, v21
	s_delay_alu instid0(VALU_DEP_2)
	v_cmp_eq_u32_e32 vcc_lo, 0, v32
	s_and_b32 s26, s21, vcc_lo
	s_wait_alu 0xfffe
	s_and_saveexec_b32 s21, s26
	s_cbranch_execz .LBB131_39
; %bb.38:                               ;   in Loop: Header=BB131_35 Depth=1
	s_wait_dscnt 0x0
	v_bcnt_u32_b32 v21, v21, v31
	ds_store_b32 v33, v21 offset:32
.LBB131_39:                             ;   in Loop: Header=BB131_35 Depth=1
	s_wait_alu 0xfffe
	s_or_b32 exec_lo, exec_lo, s21
	v_lshrrev_b32_e32 v21, v106, v115
	; wave barrier
	s_delay_alu instid0(VALU_DEP_1) | instskip(NEXT) | instid1(VALU_DEP_1)
	v_and_b32_e32 v21, s25, v21
	v_and_b32_e32 v22, 1, v21
	v_lshlrev_b32_e32 v23, 30, v21
	v_lshlrev_b32_e32 v24, 29, v21
	;; [unrolled: 1-line block ×4, first 2 shown]
	v_add_co_u32 v22, s21, v22, -1
	s_wait_alu 0xf1ff
	v_cndmask_b32_e64 v26, 0, 1, s21
	v_not_b32_e32 v35, v23
	v_cmp_gt_i32_e64 s21, 0, v23
	v_not_b32_e32 v23, v24
	v_lshlrev_b32_e32 v28, 26, v21
	v_cmp_ne_u32_e32 vcc_lo, 0, v26
	v_ashrrev_i32_e32 v35, 31, v35
	v_lshlrev_b32_e32 v34, 25, v21
	v_ashrrev_i32_e32 v23, 31, v23
	v_lshlrev_b32_e32 v26, 24, v21
	s_wait_alu 0xfffd
	v_xor_b32_e32 v22, vcc_lo, v22
	v_cmp_gt_i32_e32 vcc_lo, 0, v24
	v_not_b32_e32 v24, v25
	s_wait_alu 0xf1ff
	v_xor_b32_e32 v35, s21, v35
	v_cmp_gt_i32_e64 s21, 0, v25
	v_and_b32_e32 v22, exec_lo, v22
	v_not_b32_e32 v25, v27
	v_ashrrev_i32_e32 v24, 31, v24
	s_wait_alu 0xfffd
	v_xor_b32_e32 v23, vcc_lo, v23
	v_cmp_gt_i32_e32 vcc_lo, 0, v27
	v_and_b32_e32 v22, v22, v35
	v_not_b32_e32 v27, v28
	v_ashrrev_i32_e32 v25, 31, v25
	s_wait_alu 0xf1ff
	v_xor_b32_e32 v24, s21, v24
	v_cmp_gt_i32_e64 s21, 0, v28
	v_and_b32_e32 v22, v22, v23
	v_not_b32_e32 v23, v34
	v_ashrrev_i32_e32 v27, 31, v27
	s_wait_alu 0xfffd
	v_xor_b32_e32 v25, vcc_lo, v25
	v_cmp_gt_i32_e32 vcc_lo, 0, v34
	v_and_b32_e32 v22, v22, v24
	v_not_b32_e32 v24, v26
	v_ashrrev_i32_e32 v23, 31, v23
	s_wait_alu 0xf1ff
	v_xor_b32_e32 v27, s21, v27
	v_lshlrev_b32_e32 v21, 5, v21
	v_and_b32_e32 v22, v22, v25
	v_cmp_gt_i32_e64 s21, 0, v26
	v_ashrrev_i32_e32 v24, 31, v24
	s_wait_alu 0xfffd
	v_xor_b32_e32 v23, vcc_lo, v23
	v_add_nc_u32_e32 v36, v105, v21
	v_and_b32_e32 v22, v22, v27
	s_wait_alu 0xf1ff
	v_xor_b32_e32 v21, s21, v24
	ds_load_b32 v34, v36 offset:32
	v_and_b32_e32 v22, v22, v23
	; wave barrier
	s_delay_alu instid0(VALU_DEP_1) | instskip(NEXT) | instid1(VALU_DEP_1)
	v_and_b32_e32 v21, v22, v21
	v_mbcnt_lo_u32_b32 v35, v21, 0
	v_cmp_ne_u32_e64 s21, 0, v21
	s_delay_alu instid0(VALU_DEP_2)
	v_cmp_eq_u32_e32 vcc_lo, 0, v35
	s_and_b32 s26, s21, vcc_lo
	s_wait_alu 0xfffe
	s_and_saveexec_b32 s21, s26
	s_cbranch_execz .LBB131_41
; %bb.40:                               ;   in Loop: Header=BB131_35 Depth=1
	s_wait_dscnt 0x0
	v_bcnt_u32_b32 v21, v21, v34
	ds_store_b32 v36, v21 offset:32
.LBB131_41:                             ;   in Loop: Header=BB131_35 Depth=1
	s_wait_alu 0xfffe
	s_or_b32 exec_lo, exec_lo, s21
	v_lshrrev_b32_e32 v21, v106, v114
	; wave barrier
	s_delay_alu instid0(VALU_DEP_1) | instskip(NEXT) | instid1(VALU_DEP_1)
	v_and_b32_e32 v21, s25, v21
	v_and_b32_e32 v22, 1, v21
	v_lshlrev_b32_e32 v23, 30, v21
	v_lshlrev_b32_e32 v24, 29, v21
	;; [unrolled: 1-line block ×4, first 2 shown]
	v_add_co_u32 v22, s21, v22, -1
	s_wait_alu 0xf1ff
	v_cndmask_b32_e64 v26, 0, 1, s21
	v_not_b32_e32 v66, v23
	v_cmp_gt_i32_e64 s21, 0, v23
	v_not_b32_e32 v23, v24
	v_lshlrev_b32_e32 v28, 26, v21
	v_cmp_ne_u32_e32 vcc_lo, 0, v26
	v_ashrrev_i32_e32 v66, 31, v66
	v_lshlrev_b32_e32 v65, 25, v21
	v_ashrrev_i32_e32 v23, 31, v23
	v_lshlrev_b32_e32 v26, 24, v21
	s_wait_alu 0xfffd
	v_xor_b32_e32 v22, vcc_lo, v22
	v_cmp_gt_i32_e32 vcc_lo, 0, v24
	v_not_b32_e32 v24, v25
	s_wait_alu 0xf1ff
	v_xor_b32_e32 v66, s21, v66
	v_cmp_gt_i32_e64 s21, 0, v25
	v_and_b32_e32 v22, exec_lo, v22
	v_not_b32_e32 v25, v27
	v_ashrrev_i32_e32 v24, 31, v24
	s_wait_alu 0xfffd
	v_xor_b32_e32 v23, vcc_lo, v23
	v_cmp_gt_i32_e32 vcc_lo, 0, v27
	v_and_b32_e32 v22, v22, v66
	v_not_b32_e32 v27, v28
	v_ashrrev_i32_e32 v25, 31, v25
	s_wait_alu 0xf1ff
	v_xor_b32_e32 v24, s21, v24
	v_cmp_gt_i32_e64 s21, 0, v28
	v_and_b32_e32 v22, v22, v23
	v_not_b32_e32 v23, v65
	v_ashrrev_i32_e32 v27, 31, v27
	s_wait_alu 0xfffd
	v_xor_b32_e32 v25, vcc_lo, v25
	v_cmp_gt_i32_e32 vcc_lo, 0, v65
	v_and_b32_e32 v22, v22, v24
	v_not_b32_e32 v24, v26
	v_ashrrev_i32_e32 v23, 31, v23
	s_wait_alu 0xf1ff
	v_xor_b32_e32 v27, s21, v27
	v_lshlrev_b32_e32 v21, 5, v21
	v_and_b32_e32 v22, v22, v25
	v_cmp_gt_i32_e64 s21, 0, v26
	v_ashrrev_i32_e32 v24, 31, v24
	s_wait_alu 0xfffd
	v_xor_b32_e32 v23, vcc_lo, v23
	v_add_nc_u32_e32 v67, v105, v21
	v_and_b32_e32 v22, v22, v27
	s_wait_alu 0xf1ff
	v_xor_b32_e32 v21, s21, v24
	ds_load_b32 v65, v67 offset:32
	v_and_b32_e32 v22, v22, v23
	; wave barrier
	s_delay_alu instid0(VALU_DEP_1) | instskip(NEXT) | instid1(VALU_DEP_1)
	v_and_b32_e32 v21, v22, v21
	v_mbcnt_lo_u32_b32 v66, v21, 0
	v_cmp_ne_u32_e64 s21, 0, v21
	s_delay_alu instid0(VALU_DEP_2)
	v_cmp_eq_u32_e32 vcc_lo, 0, v66
	s_and_b32 s26, s21, vcc_lo
	s_wait_alu 0xfffe
	s_and_saveexec_b32 s21, s26
	s_cbranch_execz .LBB131_43
; %bb.42:                               ;   in Loop: Header=BB131_35 Depth=1
	s_wait_dscnt 0x0
	v_bcnt_u32_b32 v21, v21, v65
	ds_store_b32 v67, v21 offset:32
.LBB131_43:                             ;   in Loop: Header=BB131_35 Depth=1
	s_wait_alu 0xfffe
	s_or_b32 exec_lo, exec_lo, s21
	v_lshrrev_b32_e32 v21, v106, v113
	; wave barrier
	s_delay_alu instid0(VALU_DEP_1) | instskip(NEXT) | instid1(VALU_DEP_1)
	v_and_b32_e32 v21, s25, v21
	v_and_b32_e32 v22, 1, v21
	v_lshlrev_b32_e32 v23, 30, v21
	v_lshlrev_b32_e32 v24, 29, v21
	;; [unrolled: 1-line block ×4, first 2 shown]
	v_add_co_u32 v22, s21, v22, -1
	s_wait_alu 0xf1ff
	v_cndmask_b32_e64 v26, 0, 1, s21
	v_not_b32_e32 v69, v23
	v_cmp_gt_i32_e64 s21, 0, v23
	v_not_b32_e32 v23, v24
	v_lshlrev_b32_e32 v28, 26, v21
	v_cmp_ne_u32_e32 vcc_lo, 0, v26
	v_ashrrev_i32_e32 v69, 31, v69
	v_lshlrev_b32_e32 v68, 25, v21
	v_ashrrev_i32_e32 v23, 31, v23
	v_lshlrev_b32_e32 v26, 24, v21
	s_wait_alu 0xfffd
	v_xor_b32_e32 v22, vcc_lo, v22
	v_cmp_gt_i32_e32 vcc_lo, 0, v24
	v_not_b32_e32 v24, v25
	s_wait_alu 0xf1ff
	v_xor_b32_e32 v69, s21, v69
	v_cmp_gt_i32_e64 s21, 0, v25
	v_and_b32_e32 v22, exec_lo, v22
	v_not_b32_e32 v25, v27
	v_ashrrev_i32_e32 v24, 31, v24
	s_wait_alu 0xfffd
	v_xor_b32_e32 v23, vcc_lo, v23
	v_cmp_gt_i32_e32 vcc_lo, 0, v27
	v_and_b32_e32 v22, v22, v69
	v_not_b32_e32 v27, v28
	v_ashrrev_i32_e32 v25, 31, v25
	s_wait_alu 0xf1ff
	v_xor_b32_e32 v24, s21, v24
	v_cmp_gt_i32_e64 s21, 0, v28
	v_and_b32_e32 v22, v22, v23
	v_not_b32_e32 v23, v68
	v_ashrrev_i32_e32 v27, 31, v27
	s_wait_alu 0xfffd
	v_xor_b32_e32 v25, vcc_lo, v25
	v_cmp_gt_i32_e32 vcc_lo, 0, v68
	v_and_b32_e32 v22, v22, v24
	v_not_b32_e32 v24, v26
	v_ashrrev_i32_e32 v23, 31, v23
	s_wait_alu 0xf1ff
	v_xor_b32_e32 v27, s21, v27
	v_lshlrev_b32_e32 v21, 5, v21
	v_and_b32_e32 v22, v22, v25
	v_cmp_gt_i32_e64 s21, 0, v26
	v_ashrrev_i32_e32 v24, 31, v24
	s_wait_alu 0xfffd
	v_xor_b32_e32 v23, vcc_lo, v23
	v_add_nc_u32_e32 v70, v105, v21
	v_and_b32_e32 v22, v22, v27
	s_wait_alu 0xf1ff
	v_xor_b32_e32 v21, s21, v24
	ds_load_b32 v68, v70 offset:32
	v_and_b32_e32 v22, v22, v23
	; wave barrier
	s_delay_alu instid0(VALU_DEP_1) | instskip(NEXT) | instid1(VALU_DEP_1)
	v_and_b32_e32 v21, v22, v21
	v_mbcnt_lo_u32_b32 v69, v21, 0
	v_cmp_ne_u32_e64 s21, 0, v21
	s_delay_alu instid0(VALU_DEP_2)
	v_cmp_eq_u32_e32 vcc_lo, 0, v69
	s_and_b32 s26, s21, vcc_lo
	s_wait_alu 0xfffe
	s_and_saveexec_b32 s21, s26
	s_cbranch_execz .LBB131_45
; %bb.44:                               ;   in Loop: Header=BB131_35 Depth=1
	s_wait_dscnt 0x0
	v_bcnt_u32_b32 v21, v21, v68
	ds_store_b32 v70, v21 offset:32
.LBB131_45:                             ;   in Loop: Header=BB131_35 Depth=1
	s_wait_alu 0xfffe
	s_or_b32 exec_lo, exec_lo, s21
	v_lshrrev_b32_e32 v21, v106, v112
	; wave barrier
	s_delay_alu instid0(VALU_DEP_1) | instskip(NEXT) | instid1(VALU_DEP_1)
	v_and_b32_e32 v21, s25, v21
	v_and_b32_e32 v22, 1, v21
	v_lshlrev_b32_e32 v23, 30, v21
	v_lshlrev_b32_e32 v24, 29, v21
	;; [unrolled: 1-line block ×4, first 2 shown]
	v_add_co_u32 v22, s21, v22, -1
	s_wait_alu 0xf1ff
	v_cndmask_b32_e64 v26, 0, 1, s21
	v_not_b32_e32 v72, v23
	v_cmp_gt_i32_e64 s21, 0, v23
	v_not_b32_e32 v23, v24
	v_lshlrev_b32_e32 v28, 26, v21
	v_cmp_ne_u32_e32 vcc_lo, 0, v26
	v_ashrrev_i32_e32 v72, 31, v72
	v_lshlrev_b32_e32 v71, 25, v21
	v_ashrrev_i32_e32 v23, 31, v23
	v_lshlrev_b32_e32 v26, 24, v21
	s_wait_alu 0xfffd
	v_xor_b32_e32 v22, vcc_lo, v22
	v_cmp_gt_i32_e32 vcc_lo, 0, v24
	v_not_b32_e32 v24, v25
	s_wait_alu 0xf1ff
	v_xor_b32_e32 v72, s21, v72
	v_cmp_gt_i32_e64 s21, 0, v25
	v_and_b32_e32 v22, exec_lo, v22
	v_not_b32_e32 v25, v27
	v_ashrrev_i32_e32 v24, 31, v24
	s_wait_alu 0xfffd
	v_xor_b32_e32 v23, vcc_lo, v23
	v_cmp_gt_i32_e32 vcc_lo, 0, v27
	v_and_b32_e32 v22, v22, v72
	v_not_b32_e32 v27, v28
	v_ashrrev_i32_e32 v25, 31, v25
	s_wait_alu 0xf1ff
	v_xor_b32_e32 v24, s21, v24
	v_cmp_gt_i32_e64 s21, 0, v28
	v_and_b32_e32 v22, v22, v23
	v_not_b32_e32 v23, v71
	v_ashrrev_i32_e32 v27, 31, v27
	s_wait_alu 0xfffd
	v_xor_b32_e32 v25, vcc_lo, v25
	v_cmp_gt_i32_e32 vcc_lo, 0, v71
	v_and_b32_e32 v22, v22, v24
	v_not_b32_e32 v24, v26
	v_ashrrev_i32_e32 v23, 31, v23
	s_wait_alu 0xf1ff
	v_xor_b32_e32 v27, s21, v27
	v_lshlrev_b32_e32 v21, 5, v21
	v_and_b32_e32 v22, v22, v25
	v_cmp_gt_i32_e64 s21, 0, v26
	v_ashrrev_i32_e32 v24, 31, v24
	s_wait_alu 0xfffd
	v_xor_b32_e32 v23, vcc_lo, v23
	v_add_nc_u32_e32 v117, v105, v21
	v_and_b32_e32 v22, v22, v27
	s_wait_alu 0xf1ff
	v_xor_b32_e32 v21, s21, v24
	ds_load_b32 v71, v117 offset:32
	v_and_b32_e32 v22, v22, v23
	; wave barrier
	s_delay_alu instid0(VALU_DEP_1) | instskip(NEXT) | instid1(VALU_DEP_1)
	v_and_b32_e32 v21, v22, v21
	v_mbcnt_lo_u32_b32 v72, v21, 0
	v_cmp_ne_u32_e64 s21, 0, v21
	s_delay_alu instid0(VALU_DEP_2)
	v_cmp_eq_u32_e32 vcc_lo, 0, v72
	s_and_b32 s26, s21, vcc_lo
	s_wait_alu 0xfffe
	s_and_saveexec_b32 s21, s26
	s_cbranch_execz .LBB131_47
; %bb.46:                               ;   in Loop: Header=BB131_35 Depth=1
	s_wait_dscnt 0x0
	v_bcnt_u32_b32 v21, v21, v71
	ds_store_b32 v117, v21 offset:32
.LBB131_47:                             ;   in Loop: Header=BB131_35 Depth=1
	s_wait_alu 0xfffe
	s_or_b32 exec_lo, exec_lo, s21
	v_lshrrev_b32_e32 v21, v106, v111
	; wave barrier
	s_delay_alu instid0(VALU_DEP_1) | instskip(NEXT) | instid1(VALU_DEP_1)
	v_and_b32_e32 v21, s25, v21
	v_and_b32_e32 v22, 1, v21
	v_lshlrev_b32_e32 v23, 30, v21
	v_lshlrev_b32_e32 v24, 29, v21
	;; [unrolled: 1-line block ×4, first 2 shown]
	v_add_co_u32 v22, s21, v22, -1
	s_wait_alu 0xf1ff
	v_cndmask_b32_e64 v26, 0, 1, s21
	v_not_b32_e32 v119, v23
	v_cmp_gt_i32_e64 s21, 0, v23
	v_not_b32_e32 v23, v24
	v_lshlrev_b32_e32 v28, 26, v21
	v_cmp_ne_u32_e32 vcc_lo, 0, v26
	v_ashrrev_i32_e32 v119, 31, v119
	v_lshlrev_b32_e32 v118, 25, v21
	v_ashrrev_i32_e32 v23, 31, v23
	v_lshlrev_b32_e32 v26, 24, v21
	s_wait_alu 0xfffd
	v_xor_b32_e32 v22, vcc_lo, v22
	v_cmp_gt_i32_e32 vcc_lo, 0, v24
	v_not_b32_e32 v24, v25
	s_wait_alu 0xf1ff
	v_xor_b32_e32 v119, s21, v119
	v_cmp_gt_i32_e64 s21, 0, v25
	v_and_b32_e32 v22, exec_lo, v22
	v_not_b32_e32 v25, v27
	v_ashrrev_i32_e32 v24, 31, v24
	s_wait_alu 0xfffd
	v_xor_b32_e32 v23, vcc_lo, v23
	v_cmp_gt_i32_e32 vcc_lo, 0, v27
	v_and_b32_e32 v22, v22, v119
	v_not_b32_e32 v27, v28
	v_ashrrev_i32_e32 v25, 31, v25
	s_wait_alu 0xf1ff
	v_xor_b32_e32 v24, s21, v24
	v_cmp_gt_i32_e64 s21, 0, v28
	v_and_b32_e32 v22, v22, v23
	v_not_b32_e32 v23, v118
	v_ashrrev_i32_e32 v27, 31, v27
	s_wait_alu 0xfffd
	v_xor_b32_e32 v25, vcc_lo, v25
	v_cmp_gt_i32_e32 vcc_lo, 0, v118
	v_and_b32_e32 v22, v22, v24
	v_not_b32_e32 v24, v26
	v_ashrrev_i32_e32 v23, 31, v23
	s_wait_alu 0xf1ff
	v_xor_b32_e32 v27, s21, v27
	v_lshlrev_b32_e32 v21, 5, v21
	v_and_b32_e32 v22, v22, v25
	v_cmp_gt_i32_e64 s21, 0, v26
	v_ashrrev_i32_e32 v24, 31, v24
	s_wait_alu 0xfffd
	v_xor_b32_e32 v23, vcc_lo, v23
	v_add_nc_u32_e32 v120, v105, v21
	v_and_b32_e32 v22, v22, v27
	s_wait_alu 0xf1ff
	v_xor_b32_e32 v21, s21, v24
	ds_load_b32 v118, v120 offset:32
	v_and_b32_e32 v22, v22, v23
	; wave barrier
	s_delay_alu instid0(VALU_DEP_1) | instskip(NEXT) | instid1(VALU_DEP_1)
	v_and_b32_e32 v21, v22, v21
	v_mbcnt_lo_u32_b32 v119, v21, 0
	v_cmp_ne_u32_e64 s21, 0, v21
	s_delay_alu instid0(VALU_DEP_2)
	v_cmp_eq_u32_e32 vcc_lo, 0, v119
	s_and_b32 s26, s21, vcc_lo
	s_wait_alu 0xfffe
	s_and_saveexec_b32 s21, s26
	s_cbranch_execz .LBB131_49
; %bb.48:                               ;   in Loop: Header=BB131_35 Depth=1
	s_wait_dscnt 0x0
	v_bcnt_u32_b32 v21, v21, v118
	ds_store_b32 v120, v21 offset:32
.LBB131_49:                             ;   in Loop: Header=BB131_35 Depth=1
	s_wait_alu 0xfffe
	s_or_b32 exec_lo, exec_lo, s21
	v_lshrrev_b32_e32 v21, v106, v110
	; wave barrier
	s_delay_alu instid0(VALU_DEP_1) | instskip(NEXT) | instid1(VALU_DEP_1)
	v_and_b32_e32 v21, s25, v21
	v_and_b32_e32 v22, 1, v21
	v_lshlrev_b32_e32 v23, 30, v21
	v_lshlrev_b32_e32 v24, 29, v21
	;; [unrolled: 1-line block ×4, first 2 shown]
	v_add_co_u32 v22, s21, v22, -1
	s_wait_alu 0xf1ff
	v_cndmask_b32_e64 v26, 0, 1, s21
	v_not_b32_e32 v122, v23
	v_cmp_gt_i32_e64 s21, 0, v23
	v_not_b32_e32 v23, v24
	v_lshlrev_b32_e32 v28, 26, v21
	v_cmp_ne_u32_e32 vcc_lo, 0, v26
	v_ashrrev_i32_e32 v122, 31, v122
	v_lshlrev_b32_e32 v121, 25, v21
	v_ashrrev_i32_e32 v23, 31, v23
	v_lshlrev_b32_e32 v26, 24, v21
	s_wait_alu 0xfffd
	v_xor_b32_e32 v22, vcc_lo, v22
	v_cmp_gt_i32_e32 vcc_lo, 0, v24
	v_not_b32_e32 v24, v25
	s_wait_alu 0xf1ff
	v_xor_b32_e32 v122, s21, v122
	v_cmp_gt_i32_e64 s21, 0, v25
	v_and_b32_e32 v22, exec_lo, v22
	v_not_b32_e32 v25, v27
	v_ashrrev_i32_e32 v24, 31, v24
	s_wait_alu 0xfffd
	v_xor_b32_e32 v23, vcc_lo, v23
	v_cmp_gt_i32_e32 vcc_lo, 0, v27
	v_and_b32_e32 v22, v22, v122
	v_not_b32_e32 v27, v28
	v_ashrrev_i32_e32 v25, 31, v25
	s_wait_alu 0xf1ff
	v_xor_b32_e32 v24, s21, v24
	v_cmp_gt_i32_e64 s21, 0, v28
	v_and_b32_e32 v22, v22, v23
	v_not_b32_e32 v23, v121
	v_ashrrev_i32_e32 v27, 31, v27
	s_wait_alu 0xfffd
	v_xor_b32_e32 v25, vcc_lo, v25
	v_cmp_gt_i32_e32 vcc_lo, 0, v121
	v_and_b32_e32 v22, v22, v24
	v_not_b32_e32 v24, v26
	v_ashrrev_i32_e32 v23, 31, v23
	s_wait_alu 0xf1ff
	v_xor_b32_e32 v27, s21, v27
	v_lshlrev_b32_e32 v21, 5, v21
	v_and_b32_e32 v22, v22, v25
	v_cmp_gt_i32_e64 s21, 0, v26
	v_ashrrev_i32_e32 v24, 31, v24
	s_wait_alu 0xfffd
	v_xor_b32_e32 v23, vcc_lo, v23
	v_add_nc_u32_e32 v121, v105, v21
	v_and_b32_e32 v22, v22, v27
	s_wait_alu 0xf1ff
	v_xor_b32_e32 v21, s21, v24
	ds_load_b32 v126, v121 offset:32
	v_and_b32_e32 v22, v22, v23
	; wave barrier
	s_delay_alu instid0(VALU_DEP_1) | instskip(NEXT) | instid1(VALU_DEP_1)
	v_and_b32_e32 v21, v22, v21
	v_mbcnt_lo_u32_b32 v127, v21, 0
	v_cmp_ne_u32_e64 s21, 0, v21
	s_delay_alu instid0(VALU_DEP_2)
	v_cmp_eq_u32_e32 vcc_lo, 0, v127
	s_and_b32 s25, s21, vcc_lo
	s_wait_alu 0xfffe
	s_and_saveexec_b32 s21, s25
	s_cbranch_execz .LBB131_51
; %bb.50:                               ;   in Loop: Header=BB131_35 Depth=1
	s_wait_dscnt 0x0
	v_bcnt_u32_b32 v21, v21, v126
	ds_store_b32 v121, v21 offset:32
.LBB131_51:                             ;   in Loop: Header=BB131_35 Depth=1
	s_wait_alu 0xfffe
	s_or_b32 exec_lo, exec_lo, s21
	; wave barrier
	s_wait_loadcnt_dscnt 0x0
	s_barrier_signal -1
	s_barrier_wait -1
	global_inv scope:SCOPE_SE
	ds_load_b128 v[25:28], v90 offset:32
	ds_load_b128 v[21:24], v90 offset:48
	s_wait_dscnt 0x1
	v_add_nc_u32_e32 v122, v26, v25
	s_delay_alu instid0(VALU_DEP_1) | instskip(SKIP_1) | instid1(VALU_DEP_1)
	v_add3_u32 v122, v122, v27, v28
	s_wait_dscnt 0x0
	v_add3_u32 v122, v122, v21, v22
	s_delay_alu instid0(VALU_DEP_1) | instskip(NEXT) | instid1(VALU_DEP_1)
	v_add3_u32 v24, v122, v23, v24
	v_mov_b32_dpp v122, v24 row_shr:1 row_mask:0xf bank_mask:0xf
	s_delay_alu instid0(VALU_DEP_1) | instskip(NEXT) | instid1(VALU_DEP_1)
	v_cndmask_b32_e64 v122, v122, 0, s12
	v_add_nc_u32_e32 v24, v122, v24
	s_delay_alu instid0(VALU_DEP_1) | instskip(NEXT) | instid1(VALU_DEP_1)
	v_mov_b32_dpp v122, v24 row_shr:2 row_mask:0xf bank_mask:0xf
	v_cndmask_b32_e64 v122, 0, v122, s13
	s_delay_alu instid0(VALU_DEP_1) | instskip(NEXT) | instid1(VALU_DEP_1)
	v_add_nc_u32_e32 v24, v24, v122
	v_mov_b32_dpp v122, v24 row_shr:4 row_mask:0xf bank_mask:0xf
	s_delay_alu instid0(VALU_DEP_1) | instskip(NEXT) | instid1(VALU_DEP_1)
	v_cndmask_b32_e64 v122, 0, v122, s14
	v_add_nc_u32_e32 v24, v24, v122
	s_delay_alu instid0(VALU_DEP_1) | instskip(NEXT) | instid1(VALU_DEP_1)
	v_mov_b32_dpp v122, v24 row_shr:8 row_mask:0xf bank_mask:0xf
	v_cndmask_b32_e64 v122, 0, v122, s15
	s_delay_alu instid0(VALU_DEP_1) | instskip(SKIP_3) | instid1(VALU_DEP_1)
	v_add_nc_u32_e32 v24, v24, v122
	ds_swizzle_b32 v122, v24 offset:swizzle(BROADCAST,32,15)
	s_wait_dscnt 0x0
	v_cndmask_b32_e64 v122, v122, 0, s16
	v_add_nc_u32_e32 v24, v24, v122
	s_and_saveexec_b32 s21, s17
; %bb.52:                               ;   in Loop: Header=BB131_35 Depth=1
	ds_store_b32 v92, v24
; %bb.53:                               ;   in Loop: Header=BB131_35 Depth=1
	s_wait_alu 0xfffe
	s_or_b32 exec_lo, exec_lo, s21
	s_wait_loadcnt_dscnt 0x0
	s_barrier_signal -1
	s_barrier_wait -1
	global_inv scope:SCOPE_SE
	s_and_saveexec_b32 s21, s1
	s_cbranch_execz .LBB131_55
; %bb.54:                               ;   in Loop: Header=BB131_35 Depth=1
	ds_load_b32 v122, v107
	s_wait_dscnt 0x0
	v_mov_b32_dpp v123, v122 row_shr:1 row_mask:0xf bank_mask:0xf
	s_delay_alu instid0(VALU_DEP_1) | instskip(NEXT) | instid1(VALU_DEP_1)
	v_cndmask_b32_e64 v123, v123, 0, s18
	v_add_nc_u32_e32 v122, v123, v122
	s_delay_alu instid0(VALU_DEP_1) | instskip(NEXT) | instid1(VALU_DEP_1)
	v_mov_b32_dpp v123, v122 row_shr:2 row_mask:0xf bank_mask:0xf
	v_cndmask_b32_e64 v123, 0, v123, s19
	s_delay_alu instid0(VALU_DEP_1) | instskip(NEXT) | instid1(VALU_DEP_1)
	v_add_nc_u32_e32 v122, v122, v123
	v_mov_b32_dpp v123, v122 row_shr:4 row_mask:0xf bank_mask:0xf
	s_delay_alu instid0(VALU_DEP_1) | instskip(NEXT) | instid1(VALU_DEP_1)
	v_cndmask_b32_e64 v123, 0, v123, s20
	v_add_nc_u32_e32 v122, v122, v123
	ds_store_b32 v107, v122
.LBB131_55:                             ;   in Loop: Header=BB131_35 Depth=1
	s_wait_alu 0xfffe
	s_or_b32 exec_lo, exec_lo, s21
	v_mov_b32_e32 v122, 0
	s_wait_loadcnt_dscnt 0x0
	s_barrier_signal -1
	s_barrier_wait -1
	global_inv scope:SCOPE_SE
	s_and_saveexec_b32 s21, s9
; %bb.56:                               ;   in Loop: Header=BB131_35 Depth=1
	ds_load_b32 v122, v104
; %bb.57:                               ;   in Loop: Header=BB131_35 Depth=1
	s_wait_alu 0xfffe
	s_or_b32 exec_lo, exec_lo, s21
	s_wait_dscnt 0x0
	v_add_nc_u32_e32 v24, v122, v24
	v_cmp_lt_u32_e32 vcc_lo, 23, v106
	v_readfirstlane_b32 s21, v0
	s_mov_b32 s25, -1
	ds_bpermute_b32 v24, v103, v24
	s_and_b32 vcc_lo, exec_lo, vcc_lo
	s_wait_dscnt 0x0
	v_cndmask_b32_e64 v24, v24, v122, s11
	s_delay_alu instid0(VALU_DEP_1) | instskip(NEXT) | instid1(VALU_DEP_1)
	v_cndmask_b32_e64 v24, v24, 0, s10
	v_add_nc_u32_e32 v25, v24, v25
	s_delay_alu instid0(VALU_DEP_1) | instskip(NEXT) | instid1(VALU_DEP_1)
	v_add_nc_u32_e32 v26, v25, v26
	v_add_nc_u32_e32 v27, v26, v27
	s_delay_alu instid0(VALU_DEP_1) | instskip(NEXT) | instid1(VALU_DEP_1)
	v_add_nc_u32_e32 v122, v27, v28
	;; [unrolled: 3-line block ×3, first 2 shown]
	v_add_nc_u32_e32 v125, v124, v23
	ds_store_b128 v90, v[24:27] offset:32
	ds_store_b128 v90, v[122:125] offset:48
	s_wait_loadcnt_dscnt 0x0
	s_barrier_signal -1
	s_barrier_wait -1
	global_inv scope:SCOPE_SE
	ds_load_b32 v21, v30 offset:32
	ds_load_b32 v22, v33 offset:32
	;; [unrolled: 1-line block ×8, first 2 shown]
	s_wait_dscnt 0x7
	v_add_nc_u32_e32 v125, v21, v29
	s_wait_dscnt 0x6
	v_add3_u32 v124, v32, v31, v22
	s_wait_dscnt 0x5
	v_add3_u32 v123, v35, v34, v23
	;; [unrolled: 2-line block ×7, first 2 shown]
                                        ; implicit-def: $vgpr72
                                        ; implicit-def: $vgpr70
                                        ; implicit-def: $vgpr68
                                        ; implicit-def: $vgpr66
                                        ; implicit-def: $vgpr35_vgpr36
                                        ; implicit-def: $vgpr31_vgpr32
                                        ; implicit-def: $vgpr27_vgpr28
                                        ; implicit-def: $vgpr23_vgpr24
	s_wait_alu 0xfffe
	s_cbranch_vccnz .LBB131_34
; %bb.58:                               ;   in Loop: Header=BB131_35 Depth=1
	v_lshlrev_b32_e32 v21, 2, v125
	v_lshlrev_b32_e32 v22, 2, v124
	;; [unrolled: 1-line block ×3, first 2 shown]
	s_wait_loadcnt 0x0
	s_barrier_signal -1
	s_barrier_wait -1
	global_inv scope:SCOPE_SE
	ds_store_b32 v21, v109
	ds_store_b32 v22, v116
	;; [unrolled: 1-line block ×3, first 2 shown]
	v_lshlrev_b32_e32 v24, 2, v122
	v_add_nc_u32_e32 v21, v21, v21
	v_lshlrev_b32_e32 v25, 2, v121
	v_add_nc_u32_e32 v22, v22, v22
	;; [unrolled: 2-line block ×3, first 2 shown]
	v_lshlrev_b32_e32 v27, 2, v118
	v_lshlrev_b32_e32 v28, 2, v117
	ds_store_b32 v24, v114
	ds_store_b32 v25, v113
	;; [unrolled: 1-line block ×5, first 2 shown]
	s_wait_loadcnt_dscnt 0x0
	s_barrier_signal -1
	s_barrier_wait -1
	global_inv scope:SCOPE_SE
	ds_load_2addr_b32 v[65:66], v91 offset1:32
	ds_load_2addr_b32 v[67:68], v91 offset0:64 offset1:96
	ds_load_2addr_b32 v[69:70], v91 offset0:128 offset1:160
	;; [unrolled: 1-line block ×3, first 2 shown]
	s_wait_loadcnt_dscnt 0x0
	s_barrier_signal -1
	s_barrier_wait -1
	global_inv scope:SCOPE_SE
	ds_store_b64 v21, v[63:64]
	ds_store_b64 v22, v[61:62]
	;; [unrolled: 1-line block ×3, first 2 shown]
	v_add_nc_u32_e32 v21, v24, v24
	v_add_nc_u32_e32 v22, v25, v25
	;; [unrolled: 1-line block ×5, first 2 shown]
	ds_store_b64 v21, v[57:58]
	ds_store_b64 v22, v[55:56]
	;; [unrolled: 1-line block ×5, first 2 shown]
	s_wait_loadcnt_dscnt 0x0
	s_barrier_signal -1
	s_barrier_wait -1
	global_inv scope:SCOPE_SE
	ds_load_2addr_b64 v[21:24], v108 offset1:32
	ds_load_2addr_b64 v[25:28], v108 offset0:64 offset1:96
	ds_load_2addr_b64 v[29:32], v108 offset0:128 offset1:160
	;; [unrolled: 1-line block ×3, first 2 shown]
	v_add_nc_u32_e32 v106, 8, v106
	s_add_co_i32 s21, s24, -8
	s_mov_b32 s25, 0
	s_wait_loadcnt_dscnt 0x0
	s_barrier_signal -1
	s_barrier_wait -1
	global_inv scope:SCOPE_SE
	s_branch .LBB131_34
.LBB131_59:
	v_lshlrev_b64_e32 v[1:2], 3, v[37:38]
	v_dual_mov_b32 v39, v38 :: v_dual_mov_b32 v10, v38
	v_mov_b32_e32 v9, v38
	v_dual_mov_b32 v3, v38 :: v_dual_mov_b32 v6, v38
	s_delay_alu instid0(VALU_DEP_4)
	v_add_co_u32 v1, vcc_lo, s34, v1
	s_wait_alu 0xfffd
	v_add_co_ci_u32_e64 v2, null, s35, v2, vcc_lo
	v_dual_mov_b32 v5, v38 :: v_dual_mov_b32 v8, v38
	v_dual_mov_b32 v7, v38 :: v_dual_mov_b32 v12, v38
	global_load_b64 v[13:14], v[1:2], off
	v_dual_mov_b32 v1, v38 :: v_dual_mov_b32 v4, v38
	v_dual_mov_b32 v2, v38 :: v_dual_mov_b32 v11, v38
	s_or_b32 exec_lo, exec_lo, s1
	s_and_saveexec_b32 s1, s3
	s_cbranch_execz .LBB131_25
.LBB131_60:
	v_mul_lo_u32 v33, s28, v15
	v_mov_b32_e32 v34, 0
	s_delay_alu instid0(VALU_DEP_1) | instskip(NEXT) | instid1(VALU_DEP_1)
	v_lshlrev_b64_e32 v[33:34], 3, v[33:34]
	v_add_co_u32 v33, vcc_lo, s34, v33
	s_wait_alu 0xfffd
	s_delay_alu instid0(VALU_DEP_2)
	v_add_co_ci_u32_e64 v34, null, s35, v34, vcc_lo
	global_load_b64 v[38:39], v[33:34], off
	s_or_b32 exec_lo, exec_lo, s1
	s_and_saveexec_b32 s1, s4
	s_cbranch_execz .LBB131_26
.LBB131_61:
	v_mul_lo_u32 v9, s28, v16
	v_mov_b32_e32 v10, 0
	s_delay_alu instid0(VALU_DEP_1) | instskip(NEXT) | instid1(VALU_DEP_1)
	v_lshlrev_b64_e32 v[9:10], 3, v[9:10]
	v_add_co_u32 v9, vcc_lo, s34, v9
	s_wait_alu 0xfffd
	s_delay_alu instid0(VALU_DEP_2)
	v_add_co_ci_u32_e64 v10, null, s35, v10, vcc_lo
	global_load_b64 v[9:10], v[9:10], off
	s_or_b32 exec_lo, exec_lo, s1
	s_and_saveexec_b32 s1, s5
	s_cbranch_execz .LBB131_27
.LBB131_62:
	v_mul_lo_u32 v1, s28, v19
	v_mov_b32_e32 v2, 0
	s_delay_alu instid0(VALU_DEP_1) | instskip(NEXT) | instid1(VALU_DEP_1)
	v_lshlrev_b64_e32 v[1:2], 3, v[1:2]
	v_add_co_u32 v1, vcc_lo, s34, v1
	s_wait_alu 0xfffd
	s_delay_alu instid0(VALU_DEP_2)
	v_add_co_ci_u32_e64 v2, null, s35, v2, vcc_lo
	global_load_b64 v[1:2], v[1:2], off
	s_or_b32 exec_lo, exec_lo, s1
	s_and_saveexec_b32 s1, s6
	s_cbranch_execz .LBB131_28
.LBB131_63:
	v_mul_lo_u32 v3, s28, v20
	v_mov_b32_e32 v4, 0
	s_delay_alu instid0(VALU_DEP_1) | instskip(NEXT) | instid1(VALU_DEP_1)
	v_lshlrev_b64_e32 v[3:4], 3, v[3:4]
	v_add_co_u32 v3, vcc_lo, s34, v3
	s_wait_alu 0xfffd
	s_delay_alu instid0(VALU_DEP_2)
	v_add_co_ci_u32_e64 v4, null, s35, v4, vcc_lo
	global_load_b64 v[3:4], v[3:4], off
	s_or_b32 exec_lo, exec_lo, s1
	s_and_saveexec_b32 s1, s7
	s_cbranch_execz .LBB131_29
.LBB131_64:
	v_mul_lo_u32 v5, s28, v21
	v_mov_b32_e32 v6, 0
	s_delay_alu instid0(VALU_DEP_1) | instskip(NEXT) | instid1(VALU_DEP_1)
	v_lshlrev_b64_e32 v[5:6], 3, v[5:6]
	v_add_co_u32 v5, vcc_lo, s34, v5
	s_wait_alu 0xfffd
	s_delay_alu instid0(VALU_DEP_2)
	v_add_co_ci_u32_e64 v6, null, s35, v6, vcc_lo
	global_load_b64 v[5:6], v[5:6], off
	s_or_b32 exec_lo, exec_lo, s1
	s_and_saveexec_b32 s1, s8
	s_cbranch_execz .LBB131_30
.LBB131_65:
	v_mul_lo_u32 v7, s28, v22
	v_mov_b32_e32 v8, 0
	s_delay_alu instid0(VALU_DEP_1) | instskip(NEXT) | instid1(VALU_DEP_1)
	v_lshlrev_b64_e32 v[7:8], 3, v[7:8]
	v_add_co_u32 v7, vcc_lo, s34, v7
	s_wait_alu 0xfffd
	s_delay_alu instid0(VALU_DEP_2)
	v_add_co_ci_u32_e64 v8, null, s35, v8, vcc_lo
	global_load_b64 v[7:8], v[7:8], off
	s_or_b32 exec_lo, exec_lo, s1
	s_xor_b32 s1, s12, -1
	s_and_saveexec_b32 s9, s0
	s_cbranch_execnz .LBB131_31
	s_branch .LBB131_32
.LBB131_66:
                                        ; implicit-def: $vgpr52
                                        ; implicit-def: $vgpr39
                                        ; implicit-def: $vgpr51
                                        ; implicit-def: $vgpr36
                                        ; implicit-def: $vgpr38
                                        ; implicit-def: $vgpr34
                                        ; implicit-def: $vgpr35
                                        ; implicit-def: $vgpr33
                                        ; implicit-def: $vgpr19_vgpr20
                                        ; implicit-def: $vgpr23_vgpr24
                                        ; implicit-def: $vgpr27_vgpr28
                                        ; implicit-def: $vgpr31_vgpr32
	s_and_b32 vcc_lo, exec_lo, s11
	s_wait_alu 0xfffe
	s_cbranch_vccnz .LBB131_68
	s_branch .LBB131_95
.LBB131_67:
	v_lshlrev_b32_e32 v17, 2, v125
	v_lshlrev_b32_e32 v18, 2, v124
	;; [unrolled: 1-line block ×3, first 2 shown]
	s_wait_loadcnt 0x0
	s_barrier_signal -1
	s_barrier_wait -1
	global_inv scope:SCOPE_SE
	ds_store_b32 v17, v109
	ds_store_b32 v18, v116
	;; [unrolled: 1-line block ×3, first 2 shown]
	v_lshlrev_b32_e32 v20, 2, v122
	v_add_nc_u32_e32 v17, v17, v17
	v_lshlrev_b32_e32 v21, 2, v121
	v_add_nc_u32_e32 v18, v18, v18
	;; [unrolled: 2-line block ×3, first 2 shown]
	v_lshlrev_b32_e32 v23, 2, v118
	v_lshlrev_b32_e32 v24, 2, v117
	ds_store_b32 v20, v114
	ds_store_b32 v21, v113
	;; [unrolled: 1-line block ×5, first 2 shown]
	s_wait_loadcnt_dscnt 0x0
	s_barrier_signal -1
	s_barrier_wait -1
	global_inv scope:SCOPE_SE
	ds_load_b128 v[65:68], v90
	ds_load_b128 v[69:72], v90 offset:16
	s_wait_loadcnt_dscnt 0x0
	s_barrier_signal -1
	s_barrier_wait -1
	global_inv scope:SCOPE_SE
	ds_store_b64 v17, v[63:64]
	ds_store_b64 v18, v[61:62]
	;; [unrolled: 1-line block ×3, first 2 shown]
	v_add_nc_u32_e32 v17, v20, v20
	v_add_nc_u32_e32 v18, v21, v21
	;; [unrolled: 1-line block ×5, first 2 shown]
	ds_store_b64 v17, v[57:58]
	ds_store_b64 v18, v[55:56]
	;; [unrolled: 1-line block ×5, first 2 shown]
	v_lshl_add_u32 v17, v42, 5, v90
	s_wait_loadcnt_dscnt 0x0
	s_barrier_signal -1
	s_barrier_wait -1
	global_inv scope:SCOPE_SE
	ds_load_b128 v[29:32], v17
	ds_load_b128 v[25:28], v17 offset:16
	ds_load_b128 v[21:24], v17 offset:32
	ds_load_b128 v[17:20], v17 offset:48
	v_xor_b32_e32 v33, 0x80000000, v65
	v_xor_b32_e32 v35, 0x80000000, v66
	;; [unrolled: 1-line block ×8, first 2 shown]
	s_branch .LBB131_95
.LBB131_68:
	s_wait_dscnt 0x0
	v_xor_b32_e32 v17, 0x7fffffff, v49
	v_xor_b32_e32 v18, 0x7fffffff, v50
	;; [unrolled: 1-line block ×8, first 2 shown]
	ds_store_b128 v102, v[17:20]
	ds_store_b128 v102, v[21:24] offset:16
	v_lshl_add_u32 v17, v101, 2, v102
	; wave barrier
	ds_load_2addr_b32 v[38:39], v91 offset1:32
	ds_load_2addr_b32 v[43:44], v91 offset0:64 offset1:96
	ds_load_2addr_b32 v[45:46], v91 offset0:128 offset1:160
	ds_load_2addr_b32 v[47:48], v91 offset0:192 offset1:224
	s_wait_loadcnt_dscnt 0x0
	s_barrier_signal -1
	s_barrier_wait -1
	global_inv scope:SCOPE_SE
	ds_store_b128 v17, v[5:8]
	ds_store_b128 v17, v[1:4] offset:16
	ds_store_b128 v17, v[13:16] offset:32
	;; [unrolled: 1-line block ×3, first 2 shown]
	; wave barrier
	ds_load_2addr_b64 v[4:7], v100 offset1:32
	ds_load_2addr_b64 v[8:11], v100 offset0:64 offset1:96
	ds_load_2addr_b64 v[12:15], v100 offset0:128 offset1:160
	;; [unrolled: 1-line block ×3, first 2 shown]
	s_wait_loadcnt_dscnt 0x0
	s_barrier_signal -1
	s_barrier_wait -1
	global_inv scope:SCOPE_SE
	s_load_b32 s1, s[36:37], 0xc
	s_getpc_b64 s[10:11]
	s_wait_alu 0xfffe
	s_sext_i32_i16 s11, s11
	s_add_co_u32 s10, s10, _ZN7rocprim17ROCPRIM_400000_NS16block_radix_sortIiLj256ELj8ElLj1ELj1ELj0ELNS0_26block_radix_rank_algorithmE1ELNS0_18block_padding_hintE2ELNS0_4arch9wavefront6targetE0EE19radix_bits_per_passE@rel32@lo+12
	s_wait_alu 0xfffe
	s_add_co_ci_u32 s11, s11, _ZN7rocprim17ROCPRIM_400000_NS16block_radix_sortIiLj256ELj8ElLj1ELj1ELj0ELNS0_26block_radix_rank_algorithmE1ELNS0_18block_padding_hintE2ELNS0_4arch9wavefront6targetE0EE19radix_bits_per_passE@rel32@hi+24
	v_or_b32_e32 v3, 31, v97
	s_load_b32 s23, s[10:11], 0x0
	s_mov_b32 s24, 0
	v_cmp_eq_u32_e64 s18, 0, v0
	s_mov_b32 s25, s24
	s_mov_b32 s26, s24
	;; [unrolled: 1-line block ×3, first 2 shown]
	v_cmp_eq_u32_e64 s14, v42, v3
	v_cmp_lt_u32_e64 s19, 1, v0
	v_cmp_lt_u32_e64 s20, 3, v0
	;; [unrolled: 1-line block ×5, first 2 shown]
	v_cmp_eq_u32_e64 s13, 0, v95
	v_cmp_gt_u32_e64 s15, 8, v42
	v_cmp_lt_u32_e64 s16, 31, v42
	v_cmp_eq_u32_e64 s17, 0, v42
	v_add_nc_u32_e32 v52, v90, v94
	s_wait_kmcnt 0x0
	s_lshr_b32 s9, s1, 16
	s_and_b32 s1, s1, 0xffff
	s_wait_alu 0xfffe
	v_mad_u32_u24 v1, v99, s9, v98
	v_add_nc_u32_e32 v49, -4, v92
	v_mov_b32_e32 v51, 0
	v_add_nc_u32_e32 v53, v91, v91
	s_delay_alu instid0(VALU_DEP_4) | instskip(SKIP_2) | instid1(VALU_DEP_2)
	v_mad_co_u64_u32 v[1:2], null, v1, s1, v[42:43]
	v_sub_co_u32 v2, s9, v93, 1
	v_cmp_eq_u32_e64 s1, 0, v96
	v_cmp_gt_i32_e32 vcc_lo, 0, v2
	s_delay_alu instid0(VALU_DEP_4) | instskip(SKIP_2) | instid1(VALU_DEP_2)
	v_lshrrev_b32_e32 v1, 3, v1
	s_wait_alu 0xfffd
	v_cndmask_b32_e32 v2, v2, v93, vcc_lo
	v_and_b32_e32 v50, 0x1ffffffc, v1
	s_delay_alu instid0(VALU_DEP_2)
	v_lshlrev_b32_e32 v36, 2, v2
	v_dual_mov_b32 v0, s24 :: v_dual_mov_b32 v3, s27
	v_dual_mov_b32 v1, s25 :: v_dual_mov_b32 v2, s26
	s_mov_b32 s24, 32
	s_branch .LBB131_70
.LBB131_69:                             ;   in Loop: Header=BB131_70 Depth=1
	s_wait_alu 0xfffe
	s_and_not1_b32 vcc_lo, exec_lo, s25
	s_mov_b32 s24, s21
	s_wait_alu 0xfffe
	s_cbranch_vccz .LBB131_94
.LBB131_70:                             ; =>This Inner Loop Header: Depth=1
	v_dual_mov_b32 v54, v38 :: v_dual_mov_b32 v55, v48
	s_wait_alu 0xfffe
	s_min_u32 s21, s23, s24
	ds_store_b128 v90, v[0:3] offset:32
	ds_store_b128 v90, v[0:3] offset:48
	s_wait_alu 0xfffe
	s_lshl_b32 s21, -1, s21
	v_lshrrev_b32_e32 v20, v51, v54
	s_wait_alu 0xfffe
	s_not_b32 s25, s21
	s_wait_loadcnt_dscnt 0x0
	s_barrier_signal -1
	s_barrier_wait -1
	s_wait_alu 0xfffe
	v_dual_mov_b32 v57, v46 :: v_dual_and_b32 v38, s25, v20
	v_mov_b32_e32 v56, v47
	global_inv scope:SCOPE_SE
	v_dual_mov_b32 v59, v44 :: v_dual_and_b32 v20, 1, v38
	v_lshlrev_b32_e32 v21, 30, v38
	v_dual_mov_b32 v61, v39 :: v_dual_lshlrev_b32 v22, 29, v38
	s_delay_alu instid0(VALU_DEP_3)
	v_add_co_u32 v20, s21, v20, -1
	s_wait_alu 0xf1ff
	v_cndmask_b32_e64 v24, 0, 1, s21
	v_not_b32_e32 v28, v21
	v_dual_mov_b32 v58, v45 :: v_dual_lshlrev_b32 v23, 28, v38
	v_cmp_gt_i32_e64 s21, 0, v21
	s_delay_alu instid0(VALU_DEP_4)
	v_cmp_ne_u32_e32 vcc_lo, 0, v24
	v_not_b32_e32 v21, v22
	v_ashrrev_i32_e32 v28, 31, v28
	v_dual_mov_b32 v60, v43 :: v_dual_lshlrev_b32 v25, 27, v38
	s_wait_alu 0xfffd
	v_xor_b32_e32 v20, vcc_lo, v20
	v_cmp_gt_i32_e32 vcc_lo, 0, v22
	v_not_b32_e32 v22, v23
	v_ashrrev_i32_e32 v21, 31, v21
	s_wait_alu 0xf1ff
	v_xor_b32_e32 v28, s21, v28
	v_and_b32_e32 v20, exec_lo, v20
	v_lshlrev_b32_e32 v26, 26, v38
	v_cmp_gt_i32_e64 s21, 0, v23
	v_not_b32_e32 v23, v25
	v_ashrrev_i32_e32 v22, 31, v22
	s_wait_alu 0xfffd
	v_xor_b32_e32 v21, vcc_lo, v21
	v_and_b32_e32 v20, v20, v28
	v_lshlrev_b32_e32 v27, 25, v38
	v_cmp_gt_i32_e32 vcc_lo, 0, v25
	v_not_b32_e32 v25, v26
	v_ashrrev_i32_e32 v23, 31, v23
	s_wait_alu 0xf1ff
	v_xor_b32_e32 v22, s21, v22
	v_and_b32_e32 v20, v20, v21
	v_lshlrev_b32_e32 v24, 24, v38
	v_cmp_gt_i32_e64 s21, 0, v26
	v_not_b32_e32 v21, v27
	v_ashrrev_i32_e32 v25, 31, v25
	s_wait_alu 0xfffd
	v_xor_b32_e32 v23, vcc_lo, v23
	v_dual_mov_b32 v31, v9 :: v_dual_and_b32 v20, v20, v22
	v_cmp_gt_i32_e32 vcc_lo, 0, v27
	v_not_b32_e32 v22, v24
	v_ashrrev_i32_e32 v21, 31, v21
	s_wait_alu 0xf1ff
	v_xor_b32_e32 v25, s21, v25
	v_dual_mov_b32 v33, v7 :: v_dual_and_b32 v20, v20, v23
	v_cmp_gt_i32_e64 s21, 0, v24
	v_ashrrev_i32_e32 v22, 31, v22
	s_wait_alu 0xfffd
	v_xor_b32_e32 v21, vcc_lo, v21
	v_dual_mov_b32 v35, v5 :: v_dual_and_b32 v20, v20, v25
	v_mov_b32_e32 v25, v15
	s_wait_alu 0xf1ff
	v_xor_b32_e32 v28, s21, v22
	s_delay_alu instid0(VALU_DEP_3) | instskip(SKIP_3) | instid1(VALU_DEP_4)
	v_dual_mov_b32 v24, v14 :: v_dual_and_b32 v29, v20, v21
	v_dual_mov_b32 v27, v13 :: v_dual_mov_b32 v26, v12
	v_mov_b32_e32 v34, v4
	v_lshlrev_b32_e32 v4, 5, v38
	v_dual_mov_b32 v21, v19 :: v_dual_and_b32 v14, v29, v28
	v_mov_b32_e32 v23, v17
	v_dual_mov_b32 v29, v11 :: v_dual_mov_b32 v20, v18
	s_delay_alu instid0(VALU_DEP_3) | instskip(SKIP_3) | instid1(VALU_DEP_4)
	v_mbcnt_lo_u32_b32 v12, v14, 0
	v_cmp_ne_u32_e64 s21, 0, v14
	v_dual_mov_b32 v22, v16 :: v_dual_add_nc_u32 v13, v50, v4
	v_mov_b32_e32 v28, v10
	v_cmp_eq_u32_e32 vcc_lo, 0, v12
	v_mov_b32_e32 v30, v8
	v_mov_b32_e32 v32, v6
	; wave barrier
	s_and_b32 s26, s21, vcc_lo
	s_wait_alu 0xfffe
	s_and_saveexec_b32 s21, s26
; %bb.71:                               ;   in Loop: Header=BB131_70 Depth=1
	v_bcnt_u32_b32 v4, v14, 0
	ds_store_b32 v13, v4 offset:32
; %bb.72:                               ;   in Loop: Header=BB131_70 Depth=1
	s_wait_alu 0xfffe
	s_or_b32 exec_lo, exec_lo, s21
	v_lshrrev_b32_e32 v4, v51, v61
	; wave barrier
	s_delay_alu instid0(VALU_DEP_1) | instskip(NEXT) | instid1(VALU_DEP_1)
	v_and_b32_e32 v4, s25, v4
	v_and_b32_e32 v5, 1, v4
	v_lshlrev_b32_e32 v6, 30, v4
	v_lshlrev_b32_e32 v7, 29, v4
	;; [unrolled: 1-line block ×4, first 2 shown]
	v_add_co_u32 v5, s21, v5, -1
	s_wait_alu 0xf1ff
	v_cndmask_b32_e64 v9, 0, 1, s21
	v_not_b32_e32 v15, v6
	v_cmp_gt_i32_e64 s21, 0, v6
	v_not_b32_e32 v6, v7
	v_lshlrev_b32_e32 v11, 26, v4
	v_cmp_ne_u32_e32 vcc_lo, 0, v9
	v_ashrrev_i32_e32 v15, 31, v15
	v_lshlrev_b32_e32 v14, 25, v4
	v_ashrrev_i32_e32 v6, 31, v6
	v_lshlrev_b32_e32 v9, 24, v4
	s_wait_alu 0xfffd
	v_xor_b32_e32 v5, vcc_lo, v5
	v_cmp_gt_i32_e32 vcc_lo, 0, v7
	v_not_b32_e32 v7, v8
	s_wait_alu 0xf1ff
	v_xor_b32_e32 v15, s21, v15
	v_cmp_gt_i32_e64 s21, 0, v8
	v_and_b32_e32 v5, exec_lo, v5
	v_not_b32_e32 v8, v10
	v_ashrrev_i32_e32 v7, 31, v7
	s_wait_alu 0xfffd
	v_xor_b32_e32 v6, vcc_lo, v6
	v_cmp_gt_i32_e32 vcc_lo, 0, v10
	v_and_b32_e32 v5, v5, v15
	v_not_b32_e32 v10, v11
	v_ashrrev_i32_e32 v8, 31, v8
	s_wait_alu 0xf1ff
	v_xor_b32_e32 v7, s21, v7
	v_cmp_gt_i32_e64 s21, 0, v11
	v_and_b32_e32 v5, v5, v6
	v_not_b32_e32 v6, v14
	v_ashrrev_i32_e32 v10, 31, v10
	s_wait_alu 0xfffd
	v_xor_b32_e32 v8, vcc_lo, v8
	v_cmp_gt_i32_e32 vcc_lo, 0, v14
	v_and_b32_e32 v5, v5, v7
	v_not_b32_e32 v7, v9
	v_ashrrev_i32_e32 v6, 31, v6
	s_wait_alu 0xf1ff
	v_xor_b32_e32 v10, s21, v10
	v_lshlrev_b32_e32 v4, 5, v4
	v_and_b32_e32 v5, v5, v8
	v_cmp_gt_i32_e64 s21, 0, v9
	v_ashrrev_i32_e32 v7, 31, v7
	s_wait_alu 0xfffd
	v_xor_b32_e32 v6, vcc_lo, v6
	v_add_nc_u32_e32 v16, v50, v4
	v_and_b32_e32 v5, v5, v10
	s_wait_alu 0xf1ff
	v_xor_b32_e32 v4, s21, v7
	ds_load_b32 v14, v16 offset:32
	v_and_b32_e32 v5, v5, v6
	; wave barrier
	s_delay_alu instid0(VALU_DEP_1) | instskip(NEXT) | instid1(VALU_DEP_1)
	v_and_b32_e32 v4, v5, v4
	v_mbcnt_lo_u32_b32 v15, v4, 0
	v_cmp_ne_u32_e64 s21, 0, v4
	s_delay_alu instid0(VALU_DEP_2)
	v_cmp_eq_u32_e32 vcc_lo, 0, v15
	s_and_b32 s26, s21, vcc_lo
	s_wait_alu 0xfffe
	s_and_saveexec_b32 s21, s26
	s_cbranch_execz .LBB131_74
; %bb.73:                               ;   in Loop: Header=BB131_70 Depth=1
	s_wait_dscnt 0x0
	v_bcnt_u32_b32 v4, v4, v14
	ds_store_b32 v16, v4 offset:32
.LBB131_74:                             ;   in Loop: Header=BB131_70 Depth=1
	s_wait_alu 0xfffe
	s_or_b32 exec_lo, exec_lo, s21
	v_lshrrev_b32_e32 v4, v51, v60
	; wave barrier
	s_delay_alu instid0(VALU_DEP_1) | instskip(NEXT) | instid1(VALU_DEP_1)
	v_and_b32_e32 v4, s25, v4
	v_and_b32_e32 v5, 1, v4
	v_lshlrev_b32_e32 v6, 30, v4
	v_lshlrev_b32_e32 v7, 29, v4
	;; [unrolled: 1-line block ×4, first 2 shown]
	v_add_co_u32 v5, s21, v5, -1
	s_wait_alu 0xf1ff
	v_cndmask_b32_e64 v9, 0, 1, s21
	v_not_b32_e32 v18, v6
	v_cmp_gt_i32_e64 s21, 0, v6
	v_not_b32_e32 v6, v7
	v_lshlrev_b32_e32 v11, 26, v4
	v_cmp_ne_u32_e32 vcc_lo, 0, v9
	v_ashrrev_i32_e32 v18, 31, v18
	v_lshlrev_b32_e32 v17, 25, v4
	v_ashrrev_i32_e32 v6, 31, v6
	v_lshlrev_b32_e32 v9, 24, v4
	s_wait_alu 0xfffd
	v_xor_b32_e32 v5, vcc_lo, v5
	v_cmp_gt_i32_e32 vcc_lo, 0, v7
	v_not_b32_e32 v7, v8
	s_wait_alu 0xf1ff
	v_xor_b32_e32 v18, s21, v18
	v_cmp_gt_i32_e64 s21, 0, v8
	v_and_b32_e32 v5, exec_lo, v5
	v_not_b32_e32 v8, v10
	v_ashrrev_i32_e32 v7, 31, v7
	s_wait_alu 0xfffd
	v_xor_b32_e32 v6, vcc_lo, v6
	v_cmp_gt_i32_e32 vcc_lo, 0, v10
	v_and_b32_e32 v5, v5, v18
	v_not_b32_e32 v10, v11
	v_ashrrev_i32_e32 v8, 31, v8
	s_wait_alu 0xf1ff
	v_xor_b32_e32 v7, s21, v7
	v_cmp_gt_i32_e64 s21, 0, v11
	v_and_b32_e32 v5, v5, v6
	v_not_b32_e32 v6, v17
	v_ashrrev_i32_e32 v10, 31, v10
	s_wait_alu 0xfffd
	v_xor_b32_e32 v8, vcc_lo, v8
	v_cmp_gt_i32_e32 vcc_lo, 0, v17
	v_and_b32_e32 v5, v5, v7
	v_not_b32_e32 v7, v9
	v_ashrrev_i32_e32 v6, 31, v6
	s_wait_alu 0xf1ff
	v_xor_b32_e32 v10, s21, v10
	v_lshlrev_b32_e32 v4, 5, v4
	v_and_b32_e32 v5, v5, v8
	v_cmp_gt_i32_e64 s21, 0, v9
	v_ashrrev_i32_e32 v7, 31, v7
	s_wait_alu 0xfffd
	v_xor_b32_e32 v6, vcc_lo, v6
	v_add_nc_u32_e32 v19, v50, v4
	v_and_b32_e32 v5, v5, v10
	s_wait_alu 0xf1ff
	v_xor_b32_e32 v4, s21, v7
	ds_load_b32 v17, v19 offset:32
	v_and_b32_e32 v5, v5, v6
	; wave barrier
	s_delay_alu instid0(VALU_DEP_1) | instskip(NEXT) | instid1(VALU_DEP_1)
	v_and_b32_e32 v4, v5, v4
	v_mbcnt_lo_u32_b32 v18, v4, 0
	v_cmp_ne_u32_e64 s21, 0, v4
	s_delay_alu instid0(VALU_DEP_2)
	v_cmp_eq_u32_e32 vcc_lo, 0, v18
	s_and_b32 s26, s21, vcc_lo
	s_wait_alu 0xfffe
	s_and_saveexec_b32 s21, s26
	s_cbranch_execz .LBB131_76
; %bb.75:                               ;   in Loop: Header=BB131_70 Depth=1
	s_wait_dscnt 0x0
	v_bcnt_u32_b32 v4, v4, v17
	ds_store_b32 v19, v4 offset:32
.LBB131_76:                             ;   in Loop: Header=BB131_70 Depth=1
	s_wait_alu 0xfffe
	s_or_b32 exec_lo, exec_lo, s21
	v_lshrrev_b32_e32 v4, v51, v59
	; wave barrier
	s_delay_alu instid0(VALU_DEP_1) | instskip(NEXT) | instid1(VALU_DEP_1)
	v_and_b32_e32 v4, s25, v4
	v_and_b32_e32 v5, 1, v4
	v_lshlrev_b32_e32 v6, 30, v4
	v_lshlrev_b32_e32 v7, 29, v4
	;; [unrolled: 1-line block ×4, first 2 shown]
	v_add_co_u32 v5, s21, v5, -1
	s_wait_alu 0xf1ff
	v_cndmask_b32_e64 v9, 0, 1, s21
	v_not_b32_e32 v39, v6
	v_cmp_gt_i32_e64 s21, 0, v6
	v_not_b32_e32 v6, v7
	v_lshlrev_b32_e32 v11, 26, v4
	v_cmp_ne_u32_e32 vcc_lo, 0, v9
	v_ashrrev_i32_e32 v39, 31, v39
	v_lshlrev_b32_e32 v38, 25, v4
	v_ashrrev_i32_e32 v6, 31, v6
	v_lshlrev_b32_e32 v9, 24, v4
	s_wait_alu 0xfffd
	v_xor_b32_e32 v5, vcc_lo, v5
	v_cmp_gt_i32_e32 vcc_lo, 0, v7
	v_not_b32_e32 v7, v8
	s_wait_alu 0xf1ff
	v_xor_b32_e32 v39, s21, v39
	v_cmp_gt_i32_e64 s21, 0, v8
	v_and_b32_e32 v5, exec_lo, v5
	v_not_b32_e32 v8, v10
	v_ashrrev_i32_e32 v7, 31, v7
	s_wait_alu 0xfffd
	v_xor_b32_e32 v6, vcc_lo, v6
	v_cmp_gt_i32_e32 vcc_lo, 0, v10
	v_and_b32_e32 v5, v5, v39
	v_not_b32_e32 v10, v11
	v_ashrrev_i32_e32 v8, 31, v8
	s_wait_alu 0xf1ff
	v_xor_b32_e32 v7, s21, v7
	v_cmp_gt_i32_e64 s21, 0, v11
	v_and_b32_e32 v5, v5, v6
	v_not_b32_e32 v6, v38
	v_ashrrev_i32_e32 v10, 31, v10
	s_wait_alu 0xfffd
	v_xor_b32_e32 v8, vcc_lo, v8
	v_cmp_gt_i32_e32 vcc_lo, 0, v38
	v_and_b32_e32 v5, v5, v7
	v_not_b32_e32 v7, v9
	v_ashrrev_i32_e32 v6, 31, v6
	s_wait_alu 0xf1ff
	v_xor_b32_e32 v10, s21, v10
	v_lshlrev_b32_e32 v4, 5, v4
	v_and_b32_e32 v5, v5, v8
	v_cmp_gt_i32_e64 s21, 0, v9
	v_ashrrev_i32_e32 v7, 31, v7
	s_wait_alu 0xfffd
	v_xor_b32_e32 v6, vcc_lo, v6
	v_add_nc_u32_e32 v43, v50, v4
	v_and_b32_e32 v5, v5, v10
	s_wait_alu 0xf1ff
	v_xor_b32_e32 v4, s21, v7
	ds_load_b32 v38, v43 offset:32
	v_and_b32_e32 v5, v5, v6
	; wave barrier
	s_delay_alu instid0(VALU_DEP_1) | instskip(NEXT) | instid1(VALU_DEP_1)
	v_and_b32_e32 v4, v5, v4
	v_mbcnt_lo_u32_b32 v39, v4, 0
	v_cmp_ne_u32_e64 s21, 0, v4
	s_delay_alu instid0(VALU_DEP_2)
	v_cmp_eq_u32_e32 vcc_lo, 0, v39
	s_and_b32 s26, s21, vcc_lo
	s_wait_alu 0xfffe
	s_and_saveexec_b32 s21, s26
	s_cbranch_execz .LBB131_78
; %bb.77:                               ;   in Loop: Header=BB131_70 Depth=1
	s_wait_dscnt 0x0
	v_bcnt_u32_b32 v4, v4, v38
	ds_store_b32 v43, v4 offset:32
.LBB131_78:                             ;   in Loop: Header=BB131_70 Depth=1
	s_wait_alu 0xfffe
	s_or_b32 exec_lo, exec_lo, s21
	v_lshrrev_b32_e32 v4, v51, v58
	; wave barrier
	s_delay_alu instid0(VALU_DEP_1) | instskip(NEXT) | instid1(VALU_DEP_1)
	v_and_b32_e32 v4, s25, v4
	v_and_b32_e32 v5, 1, v4
	v_lshlrev_b32_e32 v6, 30, v4
	v_lshlrev_b32_e32 v7, 29, v4
	;; [unrolled: 1-line block ×4, first 2 shown]
	v_add_co_u32 v5, s21, v5, -1
	s_wait_alu 0xf1ff
	v_cndmask_b32_e64 v9, 0, 1, s21
	v_not_b32_e32 v45, v6
	v_cmp_gt_i32_e64 s21, 0, v6
	v_not_b32_e32 v6, v7
	v_lshlrev_b32_e32 v11, 26, v4
	v_cmp_ne_u32_e32 vcc_lo, 0, v9
	v_ashrrev_i32_e32 v45, 31, v45
	v_lshlrev_b32_e32 v44, 25, v4
	v_ashrrev_i32_e32 v6, 31, v6
	v_lshlrev_b32_e32 v9, 24, v4
	s_wait_alu 0xfffd
	v_xor_b32_e32 v5, vcc_lo, v5
	v_cmp_gt_i32_e32 vcc_lo, 0, v7
	v_not_b32_e32 v7, v8
	s_wait_alu 0xf1ff
	v_xor_b32_e32 v45, s21, v45
	v_cmp_gt_i32_e64 s21, 0, v8
	v_and_b32_e32 v5, exec_lo, v5
	v_not_b32_e32 v8, v10
	v_ashrrev_i32_e32 v7, 31, v7
	s_wait_alu 0xfffd
	v_xor_b32_e32 v6, vcc_lo, v6
	v_cmp_gt_i32_e32 vcc_lo, 0, v10
	v_and_b32_e32 v5, v5, v45
	v_not_b32_e32 v10, v11
	v_ashrrev_i32_e32 v8, 31, v8
	s_wait_alu 0xf1ff
	v_xor_b32_e32 v7, s21, v7
	v_cmp_gt_i32_e64 s21, 0, v11
	v_and_b32_e32 v5, v5, v6
	v_not_b32_e32 v6, v44
	v_ashrrev_i32_e32 v10, 31, v10
	s_wait_alu 0xfffd
	v_xor_b32_e32 v8, vcc_lo, v8
	v_cmp_gt_i32_e32 vcc_lo, 0, v44
	v_and_b32_e32 v5, v5, v7
	v_not_b32_e32 v7, v9
	v_ashrrev_i32_e32 v6, 31, v6
	s_wait_alu 0xf1ff
	v_xor_b32_e32 v10, s21, v10
	v_lshlrev_b32_e32 v4, 5, v4
	v_and_b32_e32 v5, v5, v8
	v_cmp_gt_i32_e64 s21, 0, v9
	v_ashrrev_i32_e32 v7, 31, v7
	s_wait_alu 0xfffd
	v_xor_b32_e32 v6, vcc_lo, v6
	v_add_nc_u32_e32 v46, v50, v4
	v_and_b32_e32 v5, v5, v10
	s_wait_alu 0xf1ff
	v_xor_b32_e32 v4, s21, v7
	ds_load_b32 v44, v46 offset:32
	v_and_b32_e32 v5, v5, v6
	; wave barrier
	s_delay_alu instid0(VALU_DEP_1) | instskip(NEXT) | instid1(VALU_DEP_1)
	v_and_b32_e32 v4, v5, v4
	v_mbcnt_lo_u32_b32 v45, v4, 0
	v_cmp_ne_u32_e64 s21, 0, v4
	s_delay_alu instid0(VALU_DEP_2)
	v_cmp_eq_u32_e32 vcc_lo, 0, v45
	s_and_b32 s26, s21, vcc_lo
	s_wait_alu 0xfffe
	s_and_saveexec_b32 s21, s26
	s_cbranch_execz .LBB131_80
; %bb.79:                               ;   in Loop: Header=BB131_70 Depth=1
	s_wait_dscnt 0x0
	v_bcnt_u32_b32 v4, v4, v44
	ds_store_b32 v46, v4 offset:32
.LBB131_80:                             ;   in Loop: Header=BB131_70 Depth=1
	s_wait_alu 0xfffe
	s_or_b32 exec_lo, exec_lo, s21
	v_lshrrev_b32_e32 v4, v51, v57
	; wave barrier
	s_delay_alu instid0(VALU_DEP_1) | instskip(NEXT) | instid1(VALU_DEP_1)
	v_and_b32_e32 v4, s25, v4
	v_and_b32_e32 v5, 1, v4
	v_lshlrev_b32_e32 v6, 30, v4
	v_lshlrev_b32_e32 v7, 29, v4
	;; [unrolled: 1-line block ×4, first 2 shown]
	v_add_co_u32 v5, s21, v5, -1
	s_wait_alu 0xf1ff
	v_cndmask_b32_e64 v9, 0, 1, s21
	v_not_b32_e32 v48, v6
	v_cmp_gt_i32_e64 s21, 0, v6
	v_not_b32_e32 v6, v7
	v_lshlrev_b32_e32 v11, 26, v4
	v_cmp_ne_u32_e32 vcc_lo, 0, v9
	v_ashrrev_i32_e32 v48, 31, v48
	v_lshlrev_b32_e32 v47, 25, v4
	v_ashrrev_i32_e32 v6, 31, v6
	v_lshlrev_b32_e32 v9, 24, v4
	s_wait_alu 0xfffd
	v_xor_b32_e32 v5, vcc_lo, v5
	v_cmp_gt_i32_e32 vcc_lo, 0, v7
	v_not_b32_e32 v7, v8
	s_wait_alu 0xf1ff
	v_xor_b32_e32 v48, s21, v48
	v_cmp_gt_i32_e64 s21, 0, v8
	v_and_b32_e32 v5, exec_lo, v5
	v_not_b32_e32 v8, v10
	v_ashrrev_i32_e32 v7, 31, v7
	s_wait_alu 0xfffd
	v_xor_b32_e32 v6, vcc_lo, v6
	v_cmp_gt_i32_e32 vcc_lo, 0, v10
	v_and_b32_e32 v5, v5, v48
	v_not_b32_e32 v10, v11
	v_ashrrev_i32_e32 v8, 31, v8
	s_wait_alu 0xf1ff
	v_xor_b32_e32 v7, s21, v7
	v_cmp_gt_i32_e64 s21, 0, v11
	v_and_b32_e32 v5, v5, v6
	v_not_b32_e32 v6, v47
	v_ashrrev_i32_e32 v10, 31, v10
	s_wait_alu 0xfffd
	v_xor_b32_e32 v8, vcc_lo, v8
	v_cmp_gt_i32_e32 vcc_lo, 0, v47
	v_and_b32_e32 v5, v5, v7
	v_not_b32_e32 v7, v9
	v_ashrrev_i32_e32 v6, 31, v6
	s_wait_alu 0xf1ff
	v_xor_b32_e32 v10, s21, v10
	v_lshlrev_b32_e32 v4, 5, v4
	v_and_b32_e32 v5, v5, v8
	v_cmp_gt_i32_e64 s21, 0, v9
	v_ashrrev_i32_e32 v7, 31, v7
	s_wait_alu 0xfffd
	v_xor_b32_e32 v6, vcc_lo, v6
	v_add_nc_u32_e32 v62, v50, v4
	v_and_b32_e32 v5, v5, v10
	s_wait_alu 0xf1ff
	v_xor_b32_e32 v4, s21, v7
	ds_load_b32 v47, v62 offset:32
	v_and_b32_e32 v5, v5, v6
	; wave barrier
	s_delay_alu instid0(VALU_DEP_1) | instskip(NEXT) | instid1(VALU_DEP_1)
	v_and_b32_e32 v4, v5, v4
	v_mbcnt_lo_u32_b32 v48, v4, 0
	v_cmp_ne_u32_e64 s21, 0, v4
	s_delay_alu instid0(VALU_DEP_2)
	v_cmp_eq_u32_e32 vcc_lo, 0, v48
	s_and_b32 s26, s21, vcc_lo
	s_wait_alu 0xfffe
	s_and_saveexec_b32 s21, s26
	s_cbranch_execz .LBB131_82
; %bb.81:                               ;   in Loop: Header=BB131_70 Depth=1
	s_wait_dscnt 0x0
	v_bcnt_u32_b32 v4, v4, v47
	ds_store_b32 v62, v4 offset:32
.LBB131_82:                             ;   in Loop: Header=BB131_70 Depth=1
	s_wait_alu 0xfffe
	s_or_b32 exec_lo, exec_lo, s21
	v_lshrrev_b32_e32 v4, v51, v56
	; wave barrier
	s_delay_alu instid0(VALU_DEP_1) | instskip(NEXT) | instid1(VALU_DEP_1)
	v_and_b32_e32 v4, s25, v4
	v_and_b32_e32 v5, 1, v4
	v_lshlrev_b32_e32 v6, 30, v4
	v_lshlrev_b32_e32 v7, 29, v4
	;; [unrolled: 1-line block ×4, first 2 shown]
	v_add_co_u32 v5, s21, v5, -1
	s_wait_alu 0xf1ff
	v_cndmask_b32_e64 v9, 0, 1, s21
	v_not_b32_e32 v64, v6
	v_cmp_gt_i32_e64 s21, 0, v6
	v_not_b32_e32 v6, v7
	v_lshlrev_b32_e32 v11, 26, v4
	v_cmp_ne_u32_e32 vcc_lo, 0, v9
	v_ashrrev_i32_e32 v64, 31, v64
	v_lshlrev_b32_e32 v63, 25, v4
	v_ashrrev_i32_e32 v6, 31, v6
	v_lshlrev_b32_e32 v9, 24, v4
	s_wait_alu 0xfffd
	v_xor_b32_e32 v5, vcc_lo, v5
	v_cmp_gt_i32_e32 vcc_lo, 0, v7
	v_not_b32_e32 v7, v8
	s_wait_alu 0xf1ff
	v_xor_b32_e32 v64, s21, v64
	v_cmp_gt_i32_e64 s21, 0, v8
	v_and_b32_e32 v5, exec_lo, v5
	v_not_b32_e32 v8, v10
	v_ashrrev_i32_e32 v7, 31, v7
	s_wait_alu 0xfffd
	v_xor_b32_e32 v6, vcc_lo, v6
	v_cmp_gt_i32_e32 vcc_lo, 0, v10
	v_and_b32_e32 v5, v5, v64
	v_not_b32_e32 v10, v11
	v_ashrrev_i32_e32 v8, 31, v8
	s_wait_alu 0xf1ff
	v_xor_b32_e32 v7, s21, v7
	v_cmp_gt_i32_e64 s21, 0, v11
	v_and_b32_e32 v5, v5, v6
	v_not_b32_e32 v6, v63
	v_ashrrev_i32_e32 v10, 31, v10
	s_wait_alu 0xfffd
	v_xor_b32_e32 v8, vcc_lo, v8
	v_cmp_gt_i32_e32 vcc_lo, 0, v63
	v_and_b32_e32 v5, v5, v7
	v_not_b32_e32 v7, v9
	v_ashrrev_i32_e32 v6, 31, v6
	s_wait_alu 0xf1ff
	v_xor_b32_e32 v10, s21, v10
	v_lshlrev_b32_e32 v4, 5, v4
	v_and_b32_e32 v5, v5, v8
	v_cmp_gt_i32_e64 s21, 0, v9
	v_ashrrev_i32_e32 v7, 31, v7
	s_wait_alu 0xfffd
	v_xor_b32_e32 v6, vcc_lo, v6
	v_add_nc_u32_e32 v65, v50, v4
	v_and_b32_e32 v5, v5, v10
	s_wait_alu 0xf1ff
	v_xor_b32_e32 v4, s21, v7
	ds_load_b32 v63, v65 offset:32
	v_and_b32_e32 v5, v5, v6
	; wave barrier
	s_delay_alu instid0(VALU_DEP_1) | instskip(NEXT) | instid1(VALU_DEP_1)
	v_and_b32_e32 v4, v5, v4
	v_mbcnt_lo_u32_b32 v64, v4, 0
	v_cmp_ne_u32_e64 s21, 0, v4
	s_delay_alu instid0(VALU_DEP_2)
	v_cmp_eq_u32_e32 vcc_lo, 0, v64
	s_and_b32 s26, s21, vcc_lo
	s_wait_alu 0xfffe
	s_and_saveexec_b32 s21, s26
	s_cbranch_execz .LBB131_84
; %bb.83:                               ;   in Loop: Header=BB131_70 Depth=1
	s_wait_dscnt 0x0
	v_bcnt_u32_b32 v4, v4, v63
	ds_store_b32 v65, v4 offset:32
.LBB131_84:                             ;   in Loop: Header=BB131_70 Depth=1
	s_wait_alu 0xfffe
	s_or_b32 exec_lo, exec_lo, s21
	v_lshrrev_b32_e32 v4, v51, v55
	; wave barrier
	s_delay_alu instid0(VALU_DEP_1) | instskip(NEXT) | instid1(VALU_DEP_1)
	v_and_b32_e32 v4, s25, v4
	v_and_b32_e32 v5, 1, v4
	v_lshlrev_b32_e32 v6, 30, v4
	v_lshlrev_b32_e32 v7, 29, v4
	;; [unrolled: 1-line block ×4, first 2 shown]
	v_add_co_u32 v5, s21, v5, -1
	s_wait_alu 0xf1ff
	v_cndmask_b32_e64 v9, 0, 1, s21
	v_not_b32_e32 v67, v6
	v_cmp_gt_i32_e64 s21, 0, v6
	v_not_b32_e32 v6, v7
	v_lshlrev_b32_e32 v11, 26, v4
	v_cmp_ne_u32_e32 vcc_lo, 0, v9
	v_ashrrev_i32_e32 v67, 31, v67
	v_lshlrev_b32_e32 v66, 25, v4
	v_ashrrev_i32_e32 v6, 31, v6
	v_lshlrev_b32_e32 v9, 24, v4
	s_wait_alu 0xfffd
	v_xor_b32_e32 v5, vcc_lo, v5
	v_cmp_gt_i32_e32 vcc_lo, 0, v7
	v_not_b32_e32 v7, v8
	s_wait_alu 0xf1ff
	v_xor_b32_e32 v67, s21, v67
	v_cmp_gt_i32_e64 s21, 0, v8
	v_and_b32_e32 v5, exec_lo, v5
	v_not_b32_e32 v8, v10
	v_ashrrev_i32_e32 v7, 31, v7
	s_wait_alu 0xfffd
	v_xor_b32_e32 v6, vcc_lo, v6
	v_cmp_gt_i32_e32 vcc_lo, 0, v10
	v_and_b32_e32 v5, v5, v67
	v_not_b32_e32 v10, v11
	v_ashrrev_i32_e32 v8, 31, v8
	s_wait_alu 0xf1ff
	v_xor_b32_e32 v7, s21, v7
	v_cmp_gt_i32_e64 s21, 0, v11
	v_and_b32_e32 v5, v5, v6
	v_not_b32_e32 v6, v66
	v_ashrrev_i32_e32 v10, 31, v10
	s_wait_alu 0xfffd
	v_xor_b32_e32 v8, vcc_lo, v8
	v_cmp_gt_i32_e32 vcc_lo, 0, v66
	v_and_b32_e32 v5, v5, v7
	v_not_b32_e32 v7, v9
	v_ashrrev_i32_e32 v6, 31, v6
	s_wait_alu 0xf1ff
	v_xor_b32_e32 v10, s21, v10
	v_lshlrev_b32_e32 v4, 5, v4
	v_and_b32_e32 v5, v5, v8
	v_cmp_gt_i32_e64 s21, 0, v9
	v_ashrrev_i32_e32 v7, 31, v7
	s_wait_alu 0xfffd
	v_xor_b32_e32 v6, vcc_lo, v6
	v_add_nc_u32_e32 v66, v50, v4
	v_and_b32_e32 v5, v5, v10
	s_wait_alu 0xf1ff
	v_xor_b32_e32 v4, s21, v7
	ds_load_b32 v71, v66 offset:32
	v_and_b32_e32 v5, v5, v6
	; wave barrier
	s_delay_alu instid0(VALU_DEP_1) | instskip(NEXT) | instid1(VALU_DEP_1)
	v_and_b32_e32 v4, v5, v4
	v_mbcnt_lo_u32_b32 v72, v4, 0
	v_cmp_ne_u32_e64 s21, 0, v4
	s_delay_alu instid0(VALU_DEP_2)
	v_cmp_eq_u32_e32 vcc_lo, 0, v72
	s_and_b32 s25, s21, vcc_lo
	s_wait_alu 0xfffe
	s_and_saveexec_b32 s21, s25
	s_cbranch_execz .LBB131_86
; %bb.85:                               ;   in Loop: Header=BB131_70 Depth=1
	s_wait_dscnt 0x0
	v_bcnt_u32_b32 v4, v4, v71
	ds_store_b32 v66, v4 offset:32
.LBB131_86:                             ;   in Loop: Header=BB131_70 Depth=1
	s_wait_alu 0xfffe
	s_or_b32 exec_lo, exec_lo, s21
	; wave barrier
	s_wait_loadcnt_dscnt 0x0
	s_barrier_signal -1
	s_barrier_wait -1
	global_inv scope:SCOPE_SE
	ds_load_b128 v[8:11], v90 offset:32
	ds_load_b128 v[4:7], v90 offset:48
	s_wait_dscnt 0x1
	v_add_nc_u32_e32 v67, v9, v8
	s_delay_alu instid0(VALU_DEP_1) | instskip(SKIP_1) | instid1(VALU_DEP_1)
	v_add3_u32 v67, v67, v10, v11
	s_wait_dscnt 0x0
	v_add3_u32 v67, v67, v4, v5
	s_delay_alu instid0(VALU_DEP_1) | instskip(NEXT) | instid1(VALU_DEP_1)
	v_add3_u32 v7, v67, v6, v7
	v_mov_b32_dpp v67, v7 row_shr:1 row_mask:0xf bank_mask:0xf
	s_delay_alu instid0(VALU_DEP_1) | instskip(NEXT) | instid1(VALU_DEP_1)
	v_cndmask_b32_e64 v67, v67, 0, s1
	v_add_nc_u32_e32 v7, v67, v7
	s_delay_alu instid0(VALU_DEP_1) | instskip(NEXT) | instid1(VALU_DEP_1)
	v_mov_b32_dpp v67, v7 row_shr:2 row_mask:0xf bank_mask:0xf
	v_cndmask_b32_e64 v67, 0, v67, s10
	s_delay_alu instid0(VALU_DEP_1) | instskip(NEXT) | instid1(VALU_DEP_1)
	v_add_nc_u32_e32 v7, v7, v67
	v_mov_b32_dpp v67, v7 row_shr:4 row_mask:0xf bank_mask:0xf
	s_delay_alu instid0(VALU_DEP_1) | instskip(NEXT) | instid1(VALU_DEP_1)
	v_cndmask_b32_e64 v67, 0, v67, s11
	v_add_nc_u32_e32 v7, v7, v67
	s_delay_alu instid0(VALU_DEP_1) | instskip(NEXT) | instid1(VALU_DEP_1)
	v_mov_b32_dpp v67, v7 row_shr:8 row_mask:0xf bank_mask:0xf
	v_cndmask_b32_e64 v67, 0, v67, s12
	s_delay_alu instid0(VALU_DEP_1) | instskip(SKIP_3) | instid1(VALU_DEP_1)
	v_add_nc_u32_e32 v7, v7, v67
	ds_swizzle_b32 v67, v7 offset:swizzle(BROADCAST,32,15)
	s_wait_dscnt 0x0
	v_cndmask_b32_e64 v67, v67, 0, s13
	v_add_nc_u32_e32 v7, v7, v67
	s_and_saveexec_b32 s21, s14
; %bb.87:                               ;   in Loop: Header=BB131_70 Depth=1
	ds_store_b32 v92, v7
; %bb.88:                               ;   in Loop: Header=BB131_70 Depth=1
	s_wait_alu 0xfffe
	s_or_b32 exec_lo, exec_lo, s21
	s_wait_loadcnt_dscnt 0x0
	s_barrier_signal -1
	s_barrier_wait -1
	global_inv scope:SCOPE_SE
	s_and_saveexec_b32 s21, s15
	s_cbranch_execz .LBB131_90
; %bb.89:                               ;   in Loop: Header=BB131_70 Depth=1
	ds_load_b32 v67, v52
	s_wait_dscnt 0x0
	v_mov_b32_dpp v68, v67 row_shr:1 row_mask:0xf bank_mask:0xf
	s_delay_alu instid0(VALU_DEP_1) | instskip(NEXT) | instid1(VALU_DEP_1)
	v_cndmask_b32_e64 v68, v68, 0, s18
	v_add_nc_u32_e32 v67, v68, v67
	s_delay_alu instid0(VALU_DEP_1) | instskip(NEXT) | instid1(VALU_DEP_1)
	v_mov_b32_dpp v68, v67 row_shr:2 row_mask:0xf bank_mask:0xf
	v_cndmask_b32_e64 v68, 0, v68, s19
	s_delay_alu instid0(VALU_DEP_1) | instskip(NEXT) | instid1(VALU_DEP_1)
	v_add_nc_u32_e32 v67, v67, v68
	v_mov_b32_dpp v68, v67 row_shr:4 row_mask:0xf bank_mask:0xf
	s_delay_alu instid0(VALU_DEP_1) | instskip(NEXT) | instid1(VALU_DEP_1)
	v_cndmask_b32_e64 v68, 0, v68, s20
	v_add_nc_u32_e32 v67, v67, v68
	ds_store_b32 v52, v67
.LBB131_90:                             ;   in Loop: Header=BB131_70 Depth=1
	s_wait_alu 0xfffe
	s_or_b32 exec_lo, exec_lo, s21
	v_mov_b32_e32 v67, 0
	s_wait_loadcnt_dscnt 0x0
	s_barrier_signal -1
	s_barrier_wait -1
	global_inv scope:SCOPE_SE
	s_and_saveexec_b32 s21, s16
; %bb.91:                               ;   in Loop: Header=BB131_70 Depth=1
	ds_load_b32 v67, v49
; %bb.92:                               ;   in Loop: Header=BB131_70 Depth=1
	s_wait_alu 0xfffe
	s_or_b32 exec_lo, exec_lo, s21
	s_wait_dscnt 0x0
	v_add_nc_u32_e32 v7, v67, v7
	v_cmp_lt_u32_e32 vcc_lo, 23, v51
	v_readfirstlane_b32 s21, v0
	s_mov_b32 s25, -1
	ds_bpermute_b32 v7, v36, v7
	s_and_b32 vcc_lo, exec_lo, vcc_lo
	s_wait_dscnt 0x0
	v_cndmask_b32_e64 v7, v7, v67, s9
	s_delay_alu instid0(VALU_DEP_1) | instskip(NEXT) | instid1(VALU_DEP_1)
	v_cndmask_b32_e64 v7, v7, 0, s17
	v_add_nc_u32_e32 v8, v7, v8
	s_delay_alu instid0(VALU_DEP_1) | instskip(NEXT) | instid1(VALU_DEP_1)
	v_add_nc_u32_e32 v9, v8, v9
	v_add_nc_u32_e32 v10, v9, v10
	s_delay_alu instid0(VALU_DEP_1) | instskip(NEXT) | instid1(VALU_DEP_1)
	v_add_nc_u32_e32 v67, v10, v11
	;; [unrolled: 3-line block ×3, first 2 shown]
	v_add_nc_u32_e32 v70, v69, v6
	ds_store_b128 v90, v[7:10] offset:32
	ds_store_b128 v90, v[67:70] offset:48
	s_wait_loadcnt_dscnt 0x0
	s_barrier_signal -1
	s_barrier_wait -1
	global_inv scope:SCOPE_SE
	ds_load_b32 v4, v13 offset:32
	ds_load_b32 v5, v16 offset:32
	;; [unrolled: 1-line block ×8, first 2 shown]
	s_wait_dscnt 0x7
	v_add_nc_u32_e32 v70, v4, v12
	s_wait_dscnt 0x6
	v_add3_u32 v69, v15, v14, v5
	s_wait_dscnt 0x5
	v_add3_u32 v68, v18, v17, v6
	;; [unrolled: 2-line block ×7, first 2 shown]
                                        ; implicit-def: $vgpr48
                                        ; implicit-def: $vgpr46
                                        ; implicit-def: $vgpr44
                                        ; implicit-def: $vgpr39
                                        ; implicit-def: $vgpr18_vgpr19
                                        ; implicit-def: $vgpr14_vgpr15
                                        ; implicit-def: $vgpr10_vgpr11
                                        ; implicit-def: $vgpr6_vgpr7
	s_wait_alu 0xfffe
	s_cbranch_vccnz .LBB131_69
; %bb.93:                               ;   in Loop: Header=BB131_70 Depth=1
	v_lshlrev_b32_e32 v4, 2, v70
	v_lshlrev_b32_e32 v5, 2, v69
	;; [unrolled: 1-line block ×3, first 2 shown]
	s_wait_loadcnt 0x0
	s_barrier_signal -1
	s_barrier_wait -1
	global_inv scope:SCOPE_SE
	ds_store_b32 v4, v54
	ds_store_b32 v5, v61
	;; [unrolled: 1-line block ×3, first 2 shown]
	v_lshlrev_b32_e32 v7, 2, v67
	v_add_nc_u32_e32 v4, v4, v4
	v_lshlrev_b32_e32 v8, 2, v66
	v_add_nc_u32_e32 v5, v5, v5
	;; [unrolled: 2-line block ×3, first 2 shown]
	v_lshlrev_b32_e32 v10, 2, v63
	v_lshlrev_b32_e32 v11, 2, v62
	ds_store_b32 v7, v59
	ds_store_b32 v8, v58
	;; [unrolled: 1-line block ×5, first 2 shown]
	s_wait_loadcnt_dscnt 0x0
	s_barrier_signal -1
	s_barrier_wait -1
	global_inv scope:SCOPE_SE
	ds_load_2addr_b32 v[38:39], v91 offset1:32
	ds_load_2addr_b32 v[43:44], v91 offset0:64 offset1:96
	ds_load_2addr_b32 v[45:46], v91 offset0:128 offset1:160
	;; [unrolled: 1-line block ×3, first 2 shown]
	s_wait_loadcnt_dscnt 0x0
	s_barrier_signal -1
	s_barrier_wait -1
	global_inv scope:SCOPE_SE
	ds_store_b64 v4, v[34:35]
	ds_store_b64 v5, v[32:33]
	;; [unrolled: 1-line block ×3, first 2 shown]
	v_add_nc_u32_e32 v4, v7, v7
	v_add_nc_u32_e32 v5, v8, v8
	;; [unrolled: 1-line block ×5, first 2 shown]
	ds_store_b64 v4, v[28:29]
	ds_store_b64 v5, v[26:27]
	ds_store_b64 v6, v[24:25]
	ds_store_b64 v7, v[22:23]
	ds_store_b64 v8, v[20:21]
	s_wait_loadcnt_dscnt 0x0
	s_barrier_signal -1
	s_barrier_wait -1
	global_inv scope:SCOPE_SE
	ds_load_2addr_b64 v[4:7], v53 offset1:32
	ds_load_2addr_b64 v[8:11], v53 offset0:64 offset1:96
	ds_load_2addr_b64 v[12:15], v53 offset0:128 offset1:160
	;; [unrolled: 1-line block ×3, first 2 shown]
	v_add_nc_u32_e32 v51, 8, v51
	s_add_co_i32 s21, s24, -8
	s_mov_b32 s25, 0
	s_wait_loadcnt_dscnt 0x0
	s_barrier_signal -1
	s_barrier_wait -1
	global_inv scope:SCOPE_SE
	s_branch .LBB131_69
.LBB131_94:
	v_lshlrev_b32_e32 v8, 2, v70
	v_lshlrev_b32_e32 v9, 2, v69
	;; [unrolled: 1-line block ×3, first 2 shown]
	s_wait_loadcnt 0x0
	s_barrier_signal -1
	s_barrier_wait -1
	global_inv scope:SCOPE_SE
	ds_store_b32 v8, v54
	ds_store_b32 v9, v61
	;; [unrolled: 1-line block ×3, first 2 shown]
	v_lshlrev_b32_e32 v11, 2, v67
	v_add_nc_u32_e32 v8, v8, v8
	v_lshlrev_b32_e32 v12, 2, v66
	v_add_nc_u32_e32 v9, v9, v9
	;; [unrolled: 2-line block ×3, first 2 shown]
	v_lshlrev_b32_e32 v14, 2, v63
	v_lshlrev_b32_e32 v15, 2, v62
	ds_store_b32 v11, v59
	ds_store_b32 v12, v58
	;; [unrolled: 1-line block ×5, first 2 shown]
	s_wait_loadcnt_dscnt 0x0
	s_barrier_signal -1
	s_barrier_wait -1
	global_inv scope:SCOPE_SE
	ds_load_b128 v[0:3], v90
	ds_load_b128 v[4:7], v90 offset:16
	s_wait_loadcnt_dscnt 0x0
	s_barrier_signal -1
	s_barrier_wait -1
	global_inv scope:SCOPE_SE
	ds_store_b64 v8, v[34:35]
	ds_store_b64 v9, v[32:33]
	;; [unrolled: 1-line block ×3, first 2 shown]
	v_add_nc_u32_e32 v8, v11, v11
	v_add_nc_u32_e32 v9, v12, v12
	v_add_nc_u32_e32 v10, v13, v13
	v_add_nc_u32_e32 v11, v14, v14
	v_add_nc_u32_e32 v12, v15, v15
	ds_store_b64 v8, v[28:29]
	ds_store_b64 v9, v[26:27]
	;; [unrolled: 1-line block ×5, first 2 shown]
	v_lshl_add_u32 v8, v42, 5, v90
	s_wait_loadcnt_dscnt 0x0
	s_barrier_signal -1
	s_barrier_wait -1
	global_inv scope:SCOPE_SE
	ds_load_b128 v[29:32], v8
	ds_load_b128 v[25:28], v8 offset:16
	ds_load_b128 v[21:24], v8 offset:32
	ds_load_b128 v[17:20], v8 offset:48
	v_xor_b32_e32 v33, 0x7fffffff, v0
	v_xor_b32_e32 v35, 0x7fffffff, v1
	;; [unrolled: 1-line block ×8, first 2 shown]
.LBB131_95:
	s_wait_loadcnt_dscnt 0x0
	s_barrier_signal -1
	s_barrier_wait -1
	global_inv scope:SCOPE_SE
	ds_store_2addr_b32 v80, v33, v35 offset1:1
	ds_store_2addr_b32 v80, v34, v38 offset0:2 offset1:3
	ds_store_2addr_b32 v80, v36, v51 offset0:4 offset1:5
	;; [unrolled: 1-line block ×3, first 2 shown]
	s_wait_loadcnt_dscnt 0x0
	s_barrier_signal -1
	s_barrier_wait -1
	global_inv scope:SCOPE_SE
	ds_load_b32 v8, v41 offset:1024
	ds_load_b32 v7, v74 offset:2048
	;; [unrolled: 1-line block ×7, first 2 shown]
	v_mov_b32_e32 v41, 0
	s_delay_alu instid0(VALU_DEP_1) | instskip(NEXT) | instid1(VALU_DEP_1)
	v_lshlrev_b64_e32 v[0:1], 2, v[40:41]
	v_add_co_u32 v0, vcc_lo, s30, v0
	s_wait_alu 0xfffd
	s_delay_alu instid0(VALU_DEP_2)
	v_add_co_ci_u32_e64 v1, null, s31, v1, vcc_lo
	s_and_saveexec_b32 s1, s2
	s_cbranch_execnz .LBB131_114
; %bb.96:
	s_wait_alu 0xfffe
	s_or_b32 exec_lo, exec_lo, s1
	s_and_saveexec_b32 s1, s3
	s_cbranch_execnz .LBB131_115
.LBB131_97:
	s_wait_alu 0xfffe
	s_or_b32 exec_lo, exec_lo, s1
	s_and_saveexec_b32 s1, s4
	s_cbranch_execnz .LBB131_116
.LBB131_98:
	s_wait_alu 0xfffe
	s_or_b32 exec_lo, exec_lo, s1
	s_and_saveexec_b32 s1, s5
	s_cbranch_execnz .LBB131_117
.LBB131_99:
	s_wait_alu 0xfffe
	s_or_b32 exec_lo, exec_lo, s1
	s_and_saveexec_b32 s1, s6
	s_cbranch_execnz .LBB131_118
.LBB131_100:
	s_wait_alu 0xfffe
	s_or_b32 exec_lo, exec_lo, s1
	s_and_saveexec_b32 s1, s7
	s_cbranch_execnz .LBB131_119
.LBB131_101:
	s_wait_alu 0xfffe
	s_or_b32 exec_lo, exec_lo, s1
	s_and_saveexec_b32 s1, s8
	s_cbranch_execnz .LBB131_120
.LBB131_102:
	s_wait_alu 0xfffe
	s_or_b32 exec_lo, exec_lo, s1
	s_and_saveexec_b32 s1, s0
	s_cbranch_execz .LBB131_104
.LBB131_103:
	s_mul_i32 s10, s22, 0x700
	s_mov_b32 s11, 0
	s_wait_alu 0xfffe
	s_lshl_b64 s[10:11], s[10:11], 2
	s_wait_alu 0xfffe
	v_add_co_u32 v0, vcc_lo, v0, s10
	s_wait_alu 0xfffd
	v_add_co_ci_u32_e64 v1, null, s11, v1, vcc_lo
	s_wait_dscnt 0x0
	global_store_b32 v[0:1], v2, off
.LBB131_104:
	s_wait_alu 0xfffe
	s_or_b32 exec_lo, exec_lo, s1
	s_wait_storecnt 0x0
	s_wait_loadcnt_dscnt 0x0
	s_barrier_signal -1
	s_barrier_wait -1
	global_inv scope:SCOPE_SE
	ds_store_2addr_b64 v89, v[29:30], v[31:32] offset1:1
	ds_store_2addr_b64 v89, v[25:26], v[27:28] offset0:2 offset1:3
	ds_store_2addr_b64 v89, v[21:22], v[23:24] offset0:4 offset1:5
	;; [unrolled: 1-line block ×3, first 2 shown]
	s_wait_loadcnt_dscnt 0x0
	s_barrier_signal -1
	s_barrier_wait -1
	global_inv scope:SCOPE_SE
	ds_load_b64 v[14:15], v82 offset:2048
	ds_load_b64 v[12:13], v83 offset:4096
	ds_load_b64 v[10:11], v84 offset:6144
	ds_load_b64 v[8:9], v85 offset:8192
	ds_load_b64 v[6:7], v86 offset:10240
	ds_load_b64 v[4:5], v87 offset:12288
	ds_load_b64 v[0:1], v88 offset:14336
	v_mov_b32_e32 v38, 0
	s_delay_alu instid0(VALU_DEP_1) | instskip(NEXT) | instid1(VALU_DEP_1)
	v_lshlrev_b64_e32 v[2:3], 3, v[37:38]
	v_add_co_u32 v2, vcc_lo, s34, v2
	s_wait_alu 0xfffd
	s_delay_alu instid0(VALU_DEP_2)
	v_add_co_ci_u32_e64 v3, null, s35, v3, vcc_lo
	s_and_saveexec_b32 s1, s2
	s_cbranch_execnz .LBB131_121
; %bb.105:
	s_wait_alu 0xfffe
	s_or_b32 exec_lo, exec_lo, s1
	s_and_saveexec_b32 s1, s3
	s_cbranch_execnz .LBB131_122
.LBB131_106:
	s_wait_alu 0xfffe
	s_or_b32 exec_lo, exec_lo, s1
	s_and_saveexec_b32 s1, s4
	s_cbranch_execnz .LBB131_123
.LBB131_107:
	s_wait_alu 0xfffe
	s_or_b32 exec_lo, exec_lo, s1
	s_and_saveexec_b32 s1, s5
	s_cbranch_execnz .LBB131_124
.LBB131_108:
	s_wait_alu 0xfffe
	s_or_b32 exec_lo, exec_lo, s1
	s_and_saveexec_b32 s1, s6
	s_cbranch_execnz .LBB131_125
.LBB131_109:
	s_wait_alu 0xfffe
	s_or_b32 exec_lo, exec_lo, s1
	s_and_saveexec_b32 s1, s7
	s_cbranch_execnz .LBB131_126
.LBB131_110:
	s_wait_alu 0xfffe
	s_or_b32 exec_lo, exec_lo, s1
	s_and_saveexec_b32 s1, s8
	s_cbranch_execnz .LBB131_127
.LBB131_111:
	s_wait_alu 0xfffe
	s_or_b32 exec_lo, exec_lo, s1
	s_and_saveexec_b32 s1, s0
	s_cbranch_execz .LBB131_113
.LBB131_112:
	s_mul_i32 s0, s28, 0x700
	s_mov_b32 s1, 0
	s_wait_alu 0xfffe
	s_lshl_b64 s[0:1], s[0:1], 3
	s_wait_alu 0xfffe
	v_add_co_u32 v2, vcc_lo, v2, s0
	s_wait_alu 0xfffd
	v_add_co_ci_u32_e64 v3, null, s1, v3, vcc_lo
	s_wait_dscnt 0x0
	global_store_b64 v[2:3], v[0:1], off
.LBB131_113:
	s_nop 0
	s_sendmsg sendmsg(MSG_DEALLOC_VGPRS)
	s_endpgm
.LBB131_114:
	ds_load_b32 v9, v73
	s_wait_dscnt 0x0
	global_store_b32 v[0:1], v9, off
	s_wait_alu 0xfffe
	s_or_b32 exec_lo, exec_lo, s1
	s_and_saveexec_b32 s1, s3
	s_cbranch_execz .LBB131_97
.LBB131_115:
	s_lshl_b32 s10, s22, 8
	s_mov_b32 s11, 0
	s_wait_alu 0xfffe
	s_lshl_b64 s[10:11], s[10:11], 2
	s_wait_alu 0xfffe
	v_add_co_u32 v9, vcc_lo, v0, s10
	s_wait_alu 0xfffd
	v_add_co_ci_u32_e64 v10, null, s11, v1, vcc_lo
	s_wait_dscnt 0x6
	global_store_b32 v[9:10], v8, off
	s_or_b32 exec_lo, exec_lo, s1
	s_and_saveexec_b32 s1, s4
	s_cbranch_execz .LBB131_98
.LBB131_116:
	s_lshl_b32 s10, s22, 9
	s_mov_b32 s11, 0
	s_wait_alu 0xfffe
	s_lshl_b64 s[10:11], s[10:11], 2
	s_wait_dscnt 0x6
	s_wait_alu 0xfffe
	v_add_co_u32 v8, vcc_lo, v0, s10
	s_wait_alu 0xfffd
	v_add_co_ci_u32_e64 v9, null, s11, v1, vcc_lo
	s_wait_dscnt 0x5
	global_store_b32 v[8:9], v7, off
	s_or_b32 exec_lo, exec_lo, s1
	s_and_saveexec_b32 s1, s5
	s_cbranch_execz .LBB131_99
.LBB131_117:
	s_mul_i32 s10, s22, 0x300
	s_mov_b32 s11, 0
	s_wait_alu 0xfffe
	s_lshl_b64 s[10:11], s[10:11], 2
	s_wait_dscnt 0x5
	s_wait_alu 0xfffe
	v_add_co_u32 v7, vcc_lo, v0, s10
	s_wait_alu 0xfffd
	v_add_co_ci_u32_e64 v8, null, s11, v1, vcc_lo
	s_wait_dscnt 0x4
	global_store_b32 v[7:8], v6, off
	s_or_b32 exec_lo, exec_lo, s1
	s_and_saveexec_b32 s1, s6
	s_cbranch_execz .LBB131_100
.LBB131_118:
	s_lshl_b32 s10, s22, 10
	s_mov_b32 s11, 0
	s_wait_alu 0xfffe
	s_lshl_b64 s[10:11], s[10:11], 2
	s_wait_dscnt 0x4
	s_wait_alu 0xfffe
	v_add_co_u32 v6, vcc_lo, v0, s10
	s_wait_alu 0xfffd
	v_add_co_ci_u32_e64 v7, null, s11, v1, vcc_lo
	s_wait_dscnt 0x3
	global_store_b32 v[6:7], v5, off
	s_or_b32 exec_lo, exec_lo, s1
	s_and_saveexec_b32 s1, s7
	s_cbranch_execz .LBB131_101
.LBB131_119:
	s_mul_i32 s10, s22, 0x500
	s_mov_b32 s11, 0
	s_wait_alu 0xfffe
	s_lshl_b64 s[10:11], s[10:11], 2
	s_wait_dscnt 0x3
	s_wait_alu 0xfffe
	v_add_co_u32 v5, vcc_lo, v0, s10
	s_wait_alu 0xfffd
	v_add_co_ci_u32_e64 v6, null, s11, v1, vcc_lo
	s_wait_dscnt 0x2
	global_store_b32 v[5:6], v4, off
	s_or_b32 exec_lo, exec_lo, s1
	s_and_saveexec_b32 s1, s8
	s_cbranch_execz .LBB131_102
.LBB131_120:
	s_mul_i32 s10, s22, 0x600
	s_mov_b32 s11, 0
	s_wait_alu 0xfffe
	s_lshl_b64 s[10:11], s[10:11], 2
	s_wait_dscnt 0x2
	s_wait_alu 0xfffe
	v_add_co_u32 v4, vcc_lo, v0, s10
	s_wait_alu 0xfffd
	v_add_co_ci_u32_e64 v5, null, s11, v1, vcc_lo
	s_wait_dscnt 0x1
	global_store_b32 v[4:5], v3, off
	s_or_b32 exec_lo, exec_lo, s1
	s_and_saveexec_b32 s1, s0
	s_cbranch_execnz .LBB131_103
	s_branch .LBB131_104
.LBB131_121:
	ds_load_b64 v[16:17], v81
	s_wait_dscnt 0x0
	global_store_b64 v[2:3], v[16:17], off
	s_wait_alu 0xfffe
	s_or_b32 exec_lo, exec_lo, s1
	s_and_saveexec_b32 s1, s3
	s_cbranch_execz .LBB131_106
.LBB131_122:
	s_lshl_b32 s2, s28, 8
	s_mov_b32 s3, 0
	s_delay_alu instid0(SALU_CYCLE_1) | instskip(NEXT) | instid1(SALU_CYCLE_1)
	s_lshl_b64 s[2:3], s[2:3], 3
	v_add_co_u32 v16, vcc_lo, v2, s2
	s_wait_alu 0xfffd
	v_add_co_ci_u32_e64 v17, null, s3, v3, vcc_lo
	s_wait_dscnt 0x6
	global_store_b64 v[16:17], v[14:15], off
	s_wait_alu 0xfffe
	s_or_b32 exec_lo, exec_lo, s1
	s_and_saveexec_b32 s1, s4
	s_cbranch_execz .LBB131_107
.LBB131_123:
	s_lshl_b32 s2, s28, 9
	s_mov_b32 s3, 0
	s_wait_alu 0xfffe
	s_lshl_b64 s[2:3], s[2:3], 3
	s_wait_dscnt 0x6
	s_wait_alu 0xfffe
	v_add_co_u32 v14, vcc_lo, v2, s2
	s_wait_alu 0xfffd
	v_add_co_ci_u32_e64 v15, null, s3, v3, vcc_lo
	s_wait_dscnt 0x5
	global_store_b64 v[14:15], v[12:13], off
	s_or_b32 exec_lo, exec_lo, s1
	s_and_saveexec_b32 s1, s5
	s_cbranch_execz .LBB131_108
.LBB131_124:
	s_mul_i32 s2, s28, 0x300
	s_mov_b32 s3, 0
	s_wait_alu 0xfffe
	s_lshl_b64 s[2:3], s[2:3], 3
	s_wait_dscnt 0x5
	s_wait_alu 0xfffe
	v_add_co_u32 v12, vcc_lo, v2, s2
	s_wait_alu 0xfffd
	v_add_co_ci_u32_e64 v13, null, s3, v3, vcc_lo
	s_wait_dscnt 0x4
	global_store_b64 v[12:13], v[10:11], off
	s_or_b32 exec_lo, exec_lo, s1
	s_and_saveexec_b32 s1, s6
	s_cbranch_execz .LBB131_109
.LBB131_125:
	s_lshl_b32 s2, s28, 10
	s_mov_b32 s3, 0
	s_wait_alu 0xfffe
	s_lshl_b64 s[2:3], s[2:3], 3
	s_wait_dscnt 0x4
	s_wait_alu 0xfffe
	v_add_co_u32 v10, vcc_lo, v2, s2
	s_wait_alu 0xfffd
	v_add_co_ci_u32_e64 v11, null, s3, v3, vcc_lo
	s_wait_dscnt 0x3
	global_store_b64 v[10:11], v[8:9], off
	s_or_b32 exec_lo, exec_lo, s1
	s_and_saveexec_b32 s1, s7
	s_cbranch_execz .LBB131_110
.LBB131_126:
	s_mul_i32 s2, s28, 0x500
	s_mov_b32 s3, 0
	s_wait_alu 0xfffe
	s_lshl_b64 s[2:3], s[2:3], 3
	s_wait_dscnt 0x3
	s_wait_alu 0xfffe
	v_add_co_u32 v8, vcc_lo, v2, s2
	s_wait_alu 0xfffd
	v_add_co_ci_u32_e64 v9, null, s3, v3, vcc_lo
	s_wait_dscnt 0x2
	global_store_b64 v[8:9], v[6:7], off
	s_or_b32 exec_lo, exec_lo, s1
	s_and_saveexec_b32 s1, s8
	s_cbranch_execz .LBB131_111
.LBB131_127:
	s_mul_i32 s2, s28, 0x600
	s_mov_b32 s3, 0
	s_wait_alu 0xfffe
	s_lshl_b64 s[2:3], s[2:3], 3
	s_wait_dscnt 0x2
	s_wait_alu 0xfffe
	v_add_co_u32 v6, vcc_lo, v2, s2
	s_wait_alu 0xfffd
	v_add_co_ci_u32_e64 v7, null, s3, v3, vcc_lo
	s_wait_dscnt 0x1
	global_store_b64 v[6:7], v[4:5], off
	s_or_b32 exec_lo, exec_lo, s1
	s_and_saveexec_b32 s1, s0
	s_cbranch_execnz .LBB131_112
	s_branch .LBB131_113
	.section	.rodata,"a",@progbits
	.p2align	6, 0x0
	.amdhsa_kernel _ZN2at6native18radixSortKVInPlaceILin1ELin1ELi256ELi8EiljEEvNS_4cuda6detail10TensorInfoIT3_T5_EES6_S6_S6_NS4_IT4_S6_EES6_b
		.amdhsa_group_segment_fixed_size 16896
		.amdhsa_private_segment_fixed_size 0
		.amdhsa_kernarg_size 712
		.amdhsa_user_sgpr_count 2
		.amdhsa_user_sgpr_dispatch_ptr 0
		.amdhsa_user_sgpr_queue_ptr 0
		.amdhsa_user_sgpr_kernarg_segment_ptr 1
		.amdhsa_user_sgpr_dispatch_id 0
		.amdhsa_user_sgpr_private_segment_size 0
		.amdhsa_wavefront_size32 1
		.amdhsa_uses_dynamic_stack 0
		.amdhsa_enable_private_segment 0
		.amdhsa_system_sgpr_workgroup_id_x 1
		.amdhsa_system_sgpr_workgroup_id_y 1
		.amdhsa_system_sgpr_workgroup_id_z 1
		.amdhsa_system_sgpr_workgroup_info 0
		.amdhsa_system_vgpr_workitem_id 2
		.amdhsa_next_free_vgpr 128
		.amdhsa_next_free_sgpr 38
		.amdhsa_reserve_vcc 1
		.amdhsa_float_round_mode_32 0
		.amdhsa_float_round_mode_16_64 0
		.amdhsa_float_denorm_mode_32 3
		.amdhsa_float_denorm_mode_16_64 3
		.amdhsa_fp16_overflow 0
		.amdhsa_workgroup_processor_mode 1
		.amdhsa_memory_ordered 1
		.amdhsa_forward_progress 1
		.amdhsa_inst_pref_size 115
		.amdhsa_round_robin_scheduling 0
		.amdhsa_exception_fp_ieee_invalid_op 0
		.amdhsa_exception_fp_denorm_src 0
		.amdhsa_exception_fp_ieee_div_zero 0
		.amdhsa_exception_fp_ieee_overflow 0
		.amdhsa_exception_fp_ieee_underflow 0
		.amdhsa_exception_fp_ieee_inexact 0
		.amdhsa_exception_int_div_zero 0
	.end_amdhsa_kernel
	.section	.text._ZN2at6native18radixSortKVInPlaceILin1ELin1ELi256ELi8EiljEEvNS_4cuda6detail10TensorInfoIT3_T5_EES6_S6_S6_NS4_IT4_S6_EES6_b,"axG",@progbits,_ZN2at6native18radixSortKVInPlaceILin1ELin1ELi256ELi8EiljEEvNS_4cuda6detail10TensorInfoIT3_T5_EES6_S6_S6_NS4_IT4_S6_EES6_b,comdat
.Lfunc_end131:
	.size	_ZN2at6native18radixSortKVInPlaceILin1ELin1ELi256ELi8EiljEEvNS_4cuda6detail10TensorInfoIT3_T5_EES6_S6_S6_NS4_IT4_S6_EES6_b, .Lfunc_end131-_ZN2at6native18radixSortKVInPlaceILin1ELin1ELi256ELi8EiljEEvNS_4cuda6detail10TensorInfoIT3_T5_EES6_S6_S6_NS4_IT4_S6_EES6_b
                                        ; -- End function
	.set _ZN2at6native18radixSortKVInPlaceILin1ELin1ELi256ELi8EiljEEvNS_4cuda6detail10TensorInfoIT3_T5_EES6_S6_S6_NS4_IT4_S6_EES6_b.num_vgpr, 128
	.set _ZN2at6native18radixSortKVInPlaceILin1ELin1ELi256ELi8EiljEEvNS_4cuda6detail10TensorInfoIT3_T5_EES6_S6_S6_NS4_IT4_S6_EES6_b.num_agpr, 0
	.set _ZN2at6native18radixSortKVInPlaceILin1ELin1ELi256ELi8EiljEEvNS_4cuda6detail10TensorInfoIT3_T5_EES6_S6_S6_NS4_IT4_S6_EES6_b.numbered_sgpr, 38
	.set _ZN2at6native18radixSortKVInPlaceILin1ELin1ELi256ELi8EiljEEvNS_4cuda6detail10TensorInfoIT3_T5_EES6_S6_S6_NS4_IT4_S6_EES6_b.num_named_barrier, 0
	.set _ZN2at6native18radixSortKVInPlaceILin1ELin1ELi256ELi8EiljEEvNS_4cuda6detail10TensorInfoIT3_T5_EES6_S6_S6_NS4_IT4_S6_EES6_b.private_seg_size, 0
	.set _ZN2at6native18radixSortKVInPlaceILin1ELin1ELi256ELi8EiljEEvNS_4cuda6detail10TensorInfoIT3_T5_EES6_S6_S6_NS4_IT4_S6_EES6_b.uses_vcc, 1
	.set _ZN2at6native18radixSortKVInPlaceILin1ELin1ELi256ELi8EiljEEvNS_4cuda6detail10TensorInfoIT3_T5_EES6_S6_S6_NS4_IT4_S6_EES6_b.uses_flat_scratch, 0
	.set _ZN2at6native18radixSortKVInPlaceILin1ELin1ELi256ELi8EiljEEvNS_4cuda6detail10TensorInfoIT3_T5_EES6_S6_S6_NS4_IT4_S6_EES6_b.has_dyn_sized_stack, 0
	.set _ZN2at6native18radixSortKVInPlaceILin1ELin1ELi256ELi8EiljEEvNS_4cuda6detail10TensorInfoIT3_T5_EES6_S6_S6_NS4_IT4_S6_EES6_b.has_recursion, 0
	.set _ZN2at6native18radixSortKVInPlaceILin1ELin1ELi256ELi8EiljEEvNS_4cuda6detail10TensorInfoIT3_T5_EES6_S6_S6_NS4_IT4_S6_EES6_b.has_indirect_call, 0
	.section	.AMDGPU.csdata,"",@progbits
; Kernel info:
; codeLenInByte = 14600
; TotalNumSgprs: 40
; NumVgprs: 128
; ScratchSize: 0
; MemoryBound: 0
; FloatMode: 240
; IeeeMode: 1
; LDSByteSize: 16896 bytes/workgroup (compile time only)
; SGPRBlocks: 0
; VGPRBlocks: 15
; NumSGPRsForWavesPerEU: 40
; NumVGPRsForWavesPerEU: 128
; Occupancy: 10
; WaveLimiterHint : 1
; COMPUTE_PGM_RSRC2:SCRATCH_EN: 0
; COMPUTE_PGM_RSRC2:USER_SGPR: 2
; COMPUTE_PGM_RSRC2:TRAP_HANDLER: 0
; COMPUTE_PGM_RSRC2:TGID_X_EN: 1
; COMPUTE_PGM_RSRC2:TGID_Y_EN: 1
; COMPUTE_PGM_RSRC2:TGID_Z_EN: 1
; COMPUTE_PGM_RSRC2:TIDIG_COMP_CNT: 2
	.section	.text._ZN2at6native18radixSortKVInPlaceILin1ELin1ELi128ELi8EiljEEvNS_4cuda6detail10TensorInfoIT3_T5_EES6_S6_S6_NS4_IT4_S6_EES6_b,"axG",@progbits,_ZN2at6native18radixSortKVInPlaceILin1ELin1ELi128ELi8EiljEEvNS_4cuda6detail10TensorInfoIT3_T5_EES6_S6_S6_NS4_IT4_S6_EES6_b,comdat
	.protected	_ZN2at6native18radixSortKVInPlaceILin1ELin1ELi128ELi8EiljEEvNS_4cuda6detail10TensorInfoIT3_T5_EES6_S6_S6_NS4_IT4_S6_EES6_b ; -- Begin function _ZN2at6native18radixSortKVInPlaceILin1ELin1ELi128ELi8EiljEEvNS_4cuda6detail10TensorInfoIT3_T5_EES6_S6_S6_NS4_IT4_S6_EES6_b
	.globl	_ZN2at6native18radixSortKVInPlaceILin1ELin1ELi128ELi8EiljEEvNS_4cuda6detail10TensorInfoIT3_T5_EES6_S6_S6_NS4_IT4_S6_EES6_b
	.p2align	8
	.type	_ZN2at6native18radixSortKVInPlaceILin1ELin1ELi128ELi8EiljEEvNS_4cuda6detail10TensorInfoIT3_T5_EES6_S6_S6_NS4_IT4_S6_EES6_b,@function
_ZN2at6native18radixSortKVInPlaceILin1ELin1ELi128ELi8EiljEEvNS_4cuda6detail10TensorInfoIT3_T5_EES6_S6_S6_NS4_IT4_S6_EES6_b: ; @_ZN2at6native18radixSortKVInPlaceILin1ELin1ELi128ELi8EiljEEvNS_4cuda6detail10TensorInfoIT3_T5_EES6_S6_S6_NS4_IT4_S6_EES6_b
; %bb.0:
	s_clause 0x1
	s_load_b64 s[2:3], s[0:1], 0x1c8
	s_load_b96 s[24:26], s[0:1], 0xd8
	s_lshr_b32 s4, ttmp7, 16
	s_wait_kmcnt 0x0
	s_mul_i32 s3, s3, s4
	s_and_b32 s4, ttmp7, 0xffff
	s_delay_alu instid0(SALU_CYCLE_1) | instskip(NEXT) | instid1(SALU_CYCLE_1)
	s_add_co_i32 s3, s3, s4
	s_mul_i32 s2, s3, s2
	s_delay_alu instid0(SALU_CYCLE_1) | instskip(NEXT) | instid1(SALU_CYCLE_1)
	s_add_co_i32 s14, s2, ttmp9
	s_cmp_ge_u32 s14, s24
	s_cbranch_scc1 .LBB132_113
; %bb.1:
	s_load_b32 s4, s[0:1], 0xd0
	s_mov_b32 s3, 0
	s_mov_b32 s2, s14
	s_wait_kmcnt 0x0
	s_cmp_lt_i32 s4, 2
	s_cbranch_scc1 .LBB132_4
; %bb.2:
	s_add_co_i32 s2, s4, -1
	s_delay_alu instid0(SALU_CYCLE_1)
	s_lshl_b64 s[6:7], s[2:3], 2
	s_mov_b32 s2, s14
	s_add_nc_u64 s[8:9], s[0:1], s[6:7]
	s_add_co_i32 s6, s4, 1
	s_add_nc_u64 s[4:5], s[8:9], 8
.LBB132_3:                              ; =>This Inner Loop Header: Depth=1
	s_clause 0x1
	s_load_b32 s7, s[4:5], 0x0
	s_load_b32 s8, s[4:5], 0x64
	s_mov_b32 s11, s2
	s_add_nc_u64 s[4:5], s[4:5], -4
	s_wait_kmcnt 0x0
	s_cvt_f32_u32 s9, s7
	s_sub_co_i32 s10, 0, s7
	s_wait_alu 0xfffe
	s_delay_alu instid0(SALU_CYCLE_1) | instskip(NEXT) | instid1(TRANS32_DEP_1)
	v_rcp_iflag_f32_e32 v1, s9
	v_readfirstlane_b32 s9, v1
	s_mul_f32 s9, s9, 0x4f7ffffe
	s_wait_alu 0xfffe
	s_delay_alu instid0(SALU_CYCLE_2) | instskip(SKIP_1) | instid1(SALU_CYCLE_2)
	s_cvt_u32_f32 s9, s9
	s_wait_alu 0xfffe
	s_mul_i32 s10, s10, s9
	s_delay_alu instid0(SALU_CYCLE_1) | instskip(NEXT) | instid1(SALU_CYCLE_1)
	s_mul_hi_u32 s10, s9, s10
	s_add_co_i32 s9, s9, s10
	s_wait_alu 0xfffe
	s_mul_hi_u32 s2, s2, s9
	s_delay_alu instid0(SALU_CYCLE_1)
	s_mul_i32 s9, s2, s7
	s_add_co_i32 s10, s2, 1
	s_wait_alu 0xfffe
	s_sub_co_i32 s9, s11, s9
	s_wait_alu 0xfffe
	s_sub_co_i32 s12, s9, s7
	s_cmp_ge_u32 s9, s7
	s_cselect_b32 s2, s10, s2
	s_cselect_b32 s9, s12, s9
	s_add_co_i32 s10, s2, 1
	s_wait_alu 0xfffe
	s_cmp_ge_u32 s9, s7
	s_cselect_b32 s2, s10, s2
	s_add_co_i32 s6, s6, -1
	s_mul_i32 s7, s2, s7
	s_delay_alu instid0(SALU_CYCLE_1) | instskip(NEXT) | instid1(SALU_CYCLE_1)
	s_sub_co_i32 s7, s11, s7
	s_mul_i32 s7, s8, s7
	s_delay_alu instid0(SALU_CYCLE_1)
	s_add_co_i32 s3, s7, s3
	s_cmp_gt_u32 s6, 2
	s_cbranch_scc1 .LBB132_3
.LBB132_4:
	s_load_b32 s4, s[0:1], 0x1b8
	s_add_nc_u64 s[34:35], s[0:1], 0x1c8
	s_mov_b32 s13, 0
	s_wait_kmcnt 0x0
	s_cmp_lt_i32 s4, 2
	s_cbranch_scc1 .LBB132_7
; %bb.5:
	s_add_co_i32 s12, s4, -1
	s_delay_alu instid0(SALU_CYCLE_1) | instskip(NEXT) | instid1(SALU_CYCLE_1)
	s_lshl_b64 s[6:7], s[12:13], 2
	s_add_nc_u64 s[8:9], s[0:1], s[6:7]
	s_add_co_i32 s6, s4, 1
	s_wait_alu 0xfffe
	s_add_nc_u64 s[4:5], s[8:9], 0xf0
.LBB132_6:                              ; =>This Inner Loop Header: Depth=1
	s_clause 0x1
	s_load_b32 s7, s[4:5], 0x0
	s_load_b32 s8, s[4:5], 0x64
	s_mov_b32 s11, s14
	s_add_nc_u64 s[4:5], s[4:5], -4
	s_wait_kmcnt 0x0
	s_cvt_f32_u32 s9, s7
	s_sub_co_i32 s10, 0, s7
	s_wait_alu 0xfffe
	s_delay_alu instid0(SALU_CYCLE_1) | instskip(NEXT) | instid1(TRANS32_DEP_1)
	v_rcp_iflag_f32_e32 v1, s9
	v_readfirstlane_b32 s9, v1
	s_mul_f32 s9, s9, 0x4f7ffffe
	s_wait_alu 0xfffe
	s_delay_alu instid0(SALU_CYCLE_2) | instskip(SKIP_1) | instid1(SALU_CYCLE_2)
	s_cvt_u32_f32 s9, s9
	s_wait_alu 0xfffe
	s_mul_i32 s10, s10, s9
	s_delay_alu instid0(SALU_CYCLE_1) | instskip(NEXT) | instid1(SALU_CYCLE_1)
	s_mul_hi_u32 s10, s9, s10
	s_add_co_i32 s9, s9, s10
	s_wait_alu 0xfffe
	s_mul_hi_u32 s9, s14, s9
	s_wait_alu 0xfffe
	s_mul_i32 s10, s9, s7
	s_add_co_i32 s12, s9, 1
	s_sub_co_i32 s10, s14, s10
	s_delay_alu instid0(SALU_CYCLE_1)
	s_sub_co_i32 s14, s10, s7
	s_cmp_ge_u32 s10, s7
	s_cselect_b32 s9, s12, s9
	s_cselect_b32 s10, s14, s10
	s_wait_alu 0xfffe
	s_add_co_i32 s12, s9, 1
	s_cmp_ge_u32 s10, s7
	s_cselect_b32 s14, s12, s9
	s_add_co_i32 s6, s6, -1
	s_mul_i32 s7, s14, s7
	s_delay_alu instid0(SALU_CYCLE_1) | instskip(NEXT) | instid1(SALU_CYCLE_1)
	s_sub_co_i32 s7, s11, s7
	s_mul_i32 s7, s8, s7
	s_delay_alu instid0(SALU_CYCLE_1)
	s_add_co_i32 s13, s7, s13
	s_cmp_gt_u32 s6, 2
	s_cbranch_scc1 .LBB132_6
.LBB132_7:
	s_clause 0x2
	s_load_b32 s4, s[0:1], 0x6c
	s_load_b64 s[28:29], s[0:1], 0x1c0
	s_load_b64 s[16:17], s[0:1], 0x0
	s_mov_b32 s19, 0
	s_wait_kmcnt 0x0
	s_mul_i32 s2, s4, s2
	s_brev_b32 s4, 1
	s_add_co_i32 s18, s2, s3
	s_bitcmp1_b32 s29, 0
	s_cselect_b32 s12, -1, 0
	s_delay_alu instid0(SALU_CYCLE_1)
	s_and_b32 s2, s12, exec_lo
	s_cselect_b32 s4, s4, 0x7fffffff
	s_lshl_b64 s[18:19], s[18:19], 2
	s_mov_b32 s5, s4
	s_mov_b32 s6, s4
	;; [unrolled: 1-line block ×7, first 2 shown]
	v_dual_mov_b32 v1, s4 :: v_dual_and_b32 v42, 0x3ff, v0
	v_dual_mov_b32 v2, s5 :: v_dual_mov_b32 v3, s6
	s_wait_alu 0xfffe
	v_dual_mov_b32 v4, s7 :: v_dual_mov_b32 v5, s8
	s_delay_alu instid0(VALU_DEP_3)
	v_mul_lo_u32 v40, s26, v42
	v_cmp_gt_u32_e64 s2, s25, v42
	v_dual_mov_b32 v6, s9 :: v_dual_mov_b32 v7, s10
	v_dual_mov_b32 v8, s11 :: v_dual_mov_b32 v9, s4
	s_add_nc_u64 s[30:31], s[16:17], s[18:19]
	s_and_saveexec_b32 s3, s2
	s_cbranch_execz .LBB132_9
; %bb.8:
	v_mov_b32_e32 v41, 0
	s_delay_alu instid0(VALU_DEP_1) | instskip(NEXT) | instid1(VALU_DEP_1)
	v_lshlrev_b64_e32 v[1:2], 2, v[40:41]
	v_add_co_u32 v1, vcc_lo, s30, v1
	s_delay_alu instid0(VALU_DEP_1)
	v_add_co_ci_u32_e64 v2, null, s31, v2, vcc_lo
	global_load_b32 v9, v[1:2], off
	v_dual_mov_b32 v1, s4 :: v_dual_mov_b32 v4, s7
	v_dual_mov_b32 v2, s5 :: v_dual_mov_b32 v3, s6
	;; [unrolled: 1-line block ×4, first 2 shown]
.LBB132_9:
	s_or_b32 exec_lo, exec_lo, s3
	v_add_nc_u32_e32 v15, 0x80, v42
	s_delay_alu instid0(VALU_DEP_1)
	v_cmp_gt_u32_e64 s3, s25, v15
	s_and_saveexec_b32 s4, s3
	s_cbranch_execz .LBB132_11
; %bb.10:
	v_mul_lo_u32 v1, s26, v15
	v_mov_b32_e32 v2, 0
	s_delay_alu instid0(VALU_DEP_1) | instskip(NEXT) | instid1(VALU_DEP_1)
	v_lshlrev_b64_e32 v[1:2], 2, v[1:2]
	v_add_co_u32 v1, vcc_lo, s30, v1
	s_wait_alu 0xfffd
	s_delay_alu instid0(VALU_DEP_2)
	v_add_co_ci_u32_e64 v2, null, s31, v2, vcc_lo
	global_load_b32 v2, v[1:2], off
.LBB132_11:
	s_wait_alu 0xfffe
	s_or_b32 exec_lo, exec_lo, s4
	v_add_nc_u32_e32 v16, 0x100, v42
	s_delay_alu instid0(VALU_DEP_1)
	v_cmp_gt_u32_e64 s4, s25, v16
	s_and_saveexec_b32 s5, s4
	s_cbranch_execz .LBB132_13
; %bb.12:
	v_mul_lo_u32 v10, s26, v16
	v_mov_b32_e32 v11, 0
	s_delay_alu instid0(VALU_DEP_1) | instskip(NEXT) | instid1(VALU_DEP_1)
	v_lshlrev_b64_e32 v[10:11], 2, v[10:11]
	v_add_co_u32 v10, vcc_lo, s30, v10
	s_wait_alu 0xfffd
	s_delay_alu instid0(VALU_DEP_2)
	v_add_co_ci_u32_e64 v11, null, s31, v11, vcc_lo
	global_load_b32 v3, v[10:11], off
.LBB132_13:
	s_wait_alu 0xfffe
	;; [unrolled: 18-line block ×6, first 2 shown]
	s_or_b32 exec_lo, exec_lo, s9
	s_clause 0x1
	s_load_b32 s9, s[0:1], 0x154
	s_load_b64 s[10:11], s[0:1], 0xe8
	v_add_nc_u32_e32 v23, 0x380, v42
	s_delay_alu instid0(VALU_DEP_1)
	v_cmp_gt_u32_e64 s0, s25, v23
	s_and_saveexec_b32 s1, s0
	s_cbranch_execz .LBB132_23
; %bb.22:
	v_mul_lo_u32 v10, s26, v23
	v_mov_b32_e32 v11, 0
	s_delay_alu instid0(VALU_DEP_1) | instskip(NEXT) | instid1(VALU_DEP_1)
	v_lshlrev_b64_e32 v[10:11], 2, v[10:11]
	v_add_co_u32 v10, vcc_lo, s30, v10
	s_wait_alu 0xfffd
	s_delay_alu instid0(VALU_DEP_2)
	v_add_co_ci_u32_e64 v11, null, s31, v11, vcc_lo
	global_load_b32 v8, v[10:11], off
.LBB132_23:
	s_or_b32 exec_lo, exec_lo, s1
	v_lshrrev_b32_e32 v17, 5, v42
	v_lshrrev_b32_e32 v1, 5, v15
	;; [unrolled: 1-line block ×3, first 2 shown]
	s_wait_kmcnt 0x0
	s_mul_i32 s1, s9, s14
	v_mul_lo_u32 v37, s28, v42
	v_dual_mov_b32 v38, 0 :: v_dual_add_nc_u32 v27, v17, v42
	v_add_nc_u32_e32 v26, v1, v42
	v_lshrrev_b32_e32 v1, 5, v19
	v_dual_mov_b32 v13, 0 :: v_dual_add_nc_u32 v24, v10, v42
	s_delay_alu instid0(VALU_DEP_4) | instskip(NEXT) | instid1(VALU_DEP_3)
	v_dual_mov_b32 v10, v38 :: v_dual_lshlrev_b32 v73, 2, v27
	v_add_nc_u32_e32 v25, v1, v42
	v_lshrrev_b32_e32 v1, 5, v20
	v_mov_b32_e32 v39, v38
	v_lshlrev_b32_e32 v41, 2, v26
	v_lshlrev_b32_e32 v74, 2, v24
	;; [unrolled: 1-line block ×3, first 2 shown]
	v_add_nc_u32_e32 v28, v1, v42
	v_lshrrev_b32_e32 v1, 5, v21
	s_wait_loadcnt 0x0
	ds_store_b32 v73, v9
	ds_store_b32 v41, v2 offset:512
	ds_store_b32 v74, v3 offset:1024
	v_lshrrev_b32_e32 v2, 5, v22
	v_lshrrev_b32_e32 v3, 5, v23
	v_lshlrev_b32_e32 v75, 2, v25
	v_add_nc_u32_e32 v32, v1, v42
	v_lshrrev_b32_e32 v1, 2, v42
	v_add_nc_u32_e32 v30, v2, v42
	v_add_nc_u32_e32 v29, v3, v42
	ds_store_b32 v75, v4 offset:1536
	v_mov_b32_e32 v3, v38
	v_add_nc_u32_e32 v31, v1, v18
	v_dual_mov_b32 v1, v38 :: v_dual_lshlrev_b32 v76, 2, v28
	v_dual_mov_b32 v11, v38 :: v_dual_lshlrev_b32 v78, 2, v30
	s_delay_alu instid0(VALU_DEP_3)
	v_lshlrev_b32_e32 v80, 2, v31
	v_dual_mov_b32 v12, v38 :: v_dual_lshlrev_b32 v79, 2, v29
	ds_store_b32 v76, v5 offset:2048
	v_mov_b32_e32 v5, v38
	v_dual_mov_b32 v14, 0 :: v_dual_lshlrev_b32 v77, 2, v32
	ds_store_b32 v77, v6 offset:2560
	ds_store_b32 v78, v7 offset:3072
	;; [unrolled: 1-line block ×3, first 2 shown]
	s_wait_dscnt 0x0
	s_barrier_signal -1
	s_barrier_wait -1
	global_inv scope:SCOPE_SE
	ds_load_2addr_b32 v[49:50], v80 offset1:1
	ds_load_2addr_b32 v[47:48], v80 offset0:2 offset1:3
	ds_load_2addr_b32 v[45:46], v80 offset0:4 offset1:5
	;; [unrolled: 1-line block ×3, first 2 shown]
	s_mov_b32 s15, 0
	s_add_co_i32 s14, s1, s13
	v_dual_mov_b32 v9, v38 :: v_dual_mov_b32 v2, v38
	v_mov_b32_e32 v4, v38
	v_dual_mov_b32 v6, v38 :: v_dual_mov_b32 v7, v38
	v_mov_b32_e32 v8, v38
	s_lshl_b64 s[14:15], s[14:15], 3
	s_wait_loadcnt_dscnt 0x0
	s_add_nc_u64 s[24:25], s[10:11], s[14:15]
	s_barrier_signal -1
	s_barrier_wait -1
	global_inv scope:SCOPE_SE
	s_and_saveexec_b32 s1, s2
	s_cbranch_execnz .LBB132_59
; %bb.24:
	s_or_b32 exec_lo, exec_lo, s1
	s_and_saveexec_b32 s1, s3
	s_cbranch_execnz .LBB132_60
.LBB132_25:
	s_or_b32 exec_lo, exec_lo, s1
	s_and_saveexec_b32 s1, s4
	s_cbranch_execnz .LBB132_61
.LBB132_26:
	s_or_b32 exec_lo, exec_lo, s1
	s_and_saveexec_b32 s1, s5
	s_cbranch_execnz .LBB132_62
.LBB132_27:
	s_or_b32 exec_lo, exec_lo, s1
	s_and_saveexec_b32 s1, s6
	s_cbranch_execnz .LBB132_63
.LBB132_28:
	s_or_b32 exec_lo, exec_lo, s1
	s_and_saveexec_b32 s1, s7
	s_cbranch_execnz .LBB132_64
.LBB132_29:
	s_or_b32 exec_lo, exec_lo, s1
	s_and_saveexec_b32 s1, s8
	s_cbranch_execnz .LBB132_65
.LBB132_30:
	s_or_b32 exec_lo, exec_lo, s1
	s_xor_b32 s1, s12, -1
	s_and_saveexec_b32 s9, s0
	s_cbranch_execz .LBB132_32
.LBB132_31:
	v_mul_lo_u32 v11, s28, v23
	v_mov_b32_e32 v12, 0
	s_delay_alu instid0(VALU_DEP_1) | instskip(SKIP_1) | instid1(VALU_DEP_1)
	v_lshlrev_b64_e32 v[11:12], 3, v[11:12]
	s_wait_alu 0xfffe
	v_add_co_u32 v11, vcc_lo, s24, v11
	s_wait_alu 0xfffd
	s_delay_alu instid0(VALU_DEP_2)
	v_add_co_ci_u32_e64 v12, null, s25, v12, vcc_lo
	global_load_b64 v[11:12], v[11:12], off
.LBB132_32:
	s_wait_alu 0xfffe
	s_or_b32 exec_lo, exec_lo, s9
	v_lshlrev_b32_e32 v81, 3, v27
	v_lshlrev_b32_e32 v84, 3, v25
	;; [unrolled: 1-line block ×9, first 2 shown]
	s_wait_loadcnt 0x0
	ds_store_b64 v81, v[13:14]
	ds_store_b64 v82, v[38:39] offset:1024
	ds_store_b64 v83, v[9:10] offset:2048
	;; [unrolled: 1-line block ×7, first 2 shown]
	s_wait_dscnt 0x0
	s_barrier_signal -1
	s_barrier_wait -1
	global_inv scope:SCOPE_SE
	ds_load_2addr_b64 v[5:8], v89 offset1:1
	ds_load_2addr_b64 v[1:4], v89 offset0:2 offset1:3
	v_mbcnt_lo_u32_b32 v93, -1, 0
	v_and_b32_e32 v20, 0x1f00, v18
	ds_load_2addr_b64 v[13:16], v89 offset0:4 offset1:5
	ds_load_2addr_b64 v[9:12], v89 offset0:6 offset1:7
	v_and_b32_e32 v19, 0x3e0, v42
	s_and_b32 vcc_lo, exec_lo, s1
	v_bfe_u32 v98, v0, 10, 10
	v_or_b32_e32 v20, v93, v20
	v_bfe_u32 v99, v0, 20, 10
	v_or_b32_e32 v21, v93, v19
	v_lshlrev_b32_e32 v90, 2, v18
	v_and_b32_e32 v96, 15, v93
	v_lshlrev_b32_e32 v91, 2, v20
	v_and_b32_e32 v95, 16, v93
	v_lshlrev_b32_e32 v101, 3, v21
	v_lshlrev_b32_e32 v102, 5, v21
	v_min_u32_e32 v97, 0x60, v19
	v_lshl_add_u32 v100, v20, 2, v91
	v_cmp_gt_u32_e64 s1, 4, v42
	v_cmp_lt_u32_e64 s9, 31, v42
	v_cmp_eq_u32_e64 s10, 0, v42
	v_lshlrev_b32_e32 v92, 2, v17
	v_mul_i32_i24_e32 v94, 0xffffffe4, v42
	v_and_b32_e32 v0, 3, v93
	s_mov_b32 s20, 0
	s_mov_b32 s11, -1
	s_wait_loadcnt_dscnt 0x0
	s_barrier_signal -1
	s_barrier_wait -1
	global_inv scope:SCOPE_SE
	s_wait_alu 0xfffe
	s_cbranch_vccz .LBB132_66
; %bb.33:
	v_xor_b32_e32 v17, 0x80000000, v49
	v_xor_b32_e32 v18, 0x80000000, v50
	v_xor_b32_e32 v19, 0x80000000, v47
	v_xor_b32_e32 v20, 0x80000000, v48
	v_xor_b32_e32 v21, 0x80000000, v45
	v_xor_b32_e32 v22, 0x80000000, v46
	v_xor_b32_e32 v23, 0x80000000, v43
	v_xor_b32_e32 v24, 0x80000000, v44
	ds_store_b128 v102, v[17:20]
	ds_store_b128 v102, v[21:24] offset:16
	v_dual_mov_b32 v106, 0 :: v_dual_lshlrev_b32 v17, 3, v101
	; wave barrier
	ds_load_2addr_b32 v[65:66], v91 offset1:32
	ds_load_2addr_b32 v[67:68], v91 offset0:64 offset1:96
	ds_load_2addr_b32 v[69:70], v91 offset0:128 offset1:160
	;; [unrolled: 1-line block ×3, first 2 shown]
	s_wait_loadcnt_dscnt 0x0
	s_barrier_signal -1
	s_barrier_wait -1
	global_inv scope:SCOPE_SE
	ds_store_b128 v17, v[5:8]
	ds_store_b128 v17, v[1:4] offset:16
	ds_store_b128 v17, v[13:16] offset:32
	;; [unrolled: 1-line block ×3, first 2 shown]
	; wave barrier
	ds_load_2addr_b64 v[21:24], v100 offset1:32
	ds_load_2addr_b64 v[25:28], v100 offset0:64 offset1:96
	ds_load_2addr_b64 v[29:32], v100 offset0:128 offset1:160
	;; [unrolled: 1-line block ×3, first 2 shown]
	s_wait_loadcnt_dscnt 0x0
	s_barrier_signal -1
	s_barrier_wait -1
	global_inv scope:SCOPE_SE
	s_load_b32 s11, s[34:35], 0xc
	s_getpc_b64 s[12:13]
	s_sext_i32_i16 s13, s13
	s_add_co_u32 s12, s12, _ZN7rocprim17ROCPRIM_400000_NS16block_radix_sortIiLj128ELj8ElLj1ELj1ELj0ELNS0_26block_radix_rank_algorithmE1ELNS0_18block_padding_hintE2ELNS0_4arch9wavefront6targetE0EE19radix_bits_per_passE@rel32@lo+8
	s_add_co_ci_u32 s13, s13, _ZN7rocprim17ROCPRIM_400000_NS16block_radix_sortIiLj128ELj8ElLj1ELj1ELj0ELNS0_26block_radix_rank_algorithmE1ELNS0_18block_padding_hintE2ELNS0_4arch9wavefront6targetE0EE19radix_bits_per_passE@rel32@hi+16
	v_or_b32_e32 v19, 31, v97
	s_load_b32 s27, s[12:13], 0x0
	s_mov_b32 s21, s20
	s_mov_b32 s22, s20
	s_mov_b32 s23, s20
	v_cmp_eq_u32_e64 s17, v42, v19
	v_add_nc_u32_e32 v104, -4, v92
	v_cmp_eq_u32_e64 s12, 0, v96
	v_cmp_lt_u32_e64 s13, 1, v96
	v_cmp_lt_u32_e64 s15, 7, v96
	v_cmp_eq_u32_e64 s16, 0, v95
	v_cmp_eq_u32_e64 s18, 0, v0
	v_cmp_lt_u32_e64 s19, 1, v0
	v_add_nc_u32_e32 v107, v90, v94
	v_add_nc_u32_e32 v108, v91, v91
	s_wait_kmcnt 0x0
	s_lshr_b32 s14, s11, 16
	s_and_b32 s11, s11, 0xffff
	v_mad_u32_u24 v17, v99, s14, v98
	v_cmp_lt_u32_e64 s14, 3, v96
	s_wait_alu 0xfffe
	s_delay_alu instid0(VALU_DEP_2) | instskip(SKIP_1) | instid1(VALU_DEP_1)
	v_mad_co_u64_u32 v[17:18], null, v17, s11, v[42:43]
	v_sub_co_u32 v18, s11, v93, 1
	v_cmp_gt_i32_e32 vcc_lo, 0, v18
	s_delay_alu instid0(VALU_DEP_3) | instskip(SKIP_2) | instid1(VALU_DEP_2)
	v_lshrrev_b32_e32 v17, 3, v17
	s_wait_alu 0xfffd
	v_cndmask_b32_e32 v18, v18, v93, vcc_lo
	v_and_b32_e32 v105, 0x1ffffffc, v17
	s_delay_alu instid0(VALU_DEP_2)
	v_lshlrev_b32_e32 v103, 2, v18
	v_dual_mov_b32 v17, s20 :: v_dual_mov_b32 v18, s21
	v_dual_mov_b32 v19, s22 :: v_dual_mov_b32 v20, s23
	s_mov_b32 s21, 32
	s_branch .LBB132_35
.LBB132_34:                             ;   in Loop: Header=BB132_35 Depth=1
	s_wait_alu 0xfffe
	s_and_not1_b32 vcc_lo, exec_lo, s22
	s_mov_b32 s21, s20
	s_wait_alu 0xfffe
	s_cbranch_vccz .LBB132_67
.LBB132_35:                             ; =>This Inner Loop Header: Depth=1
	v_dual_mov_b32 v109, v65 :: v_dual_mov_b32 v110, v72
	s_wait_alu 0xfffe
	s_min_u32 s20, s27, s21
	v_mov_b32_e32 v60, v26
	s_wait_alu 0xfffe
	s_lshl_b32 s20, -1, s20
	v_lshrrev_b32_e32 v38, v106, v109
	s_wait_alu 0xfffe
	s_not_b32 s22, s20
	v_mov_b32_e32 v62, v24
	v_mov_b32_e32 v64, v22
	ds_store_b128 v90, v[17:20] offset:16
	ds_store_b128 v90, v[17:20] offset:32
	s_wait_alu 0xfffe
	v_dual_mov_b32 v112, v70 :: v_dual_and_b32 v65, s22, v38
	v_mov_b32_e32 v111, v71
	s_wait_loadcnt_dscnt 0x0
	s_barrier_signal -1
	s_delay_alu instid0(VALU_DEP_2) | instskip(SKIP_2) | instid1(VALU_DEP_3)
	v_and_b32_e32 v38, 1, v65
	v_dual_mov_b32 v114, v68 :: v_dual_lshlrev_b32 v39, 30, v65
	v_dual_mov_b32 v116, v66 :: v_dual_lshlrev_b32 v51, 29, v65
	v_add_co_u32 v38, s20, v38, -1
	s_wait_alu 0xf1ff
	v_cndmask_b32_e64 v53, 0, 1, s20
	v_not_b32_e32 v57, v39
	v_dual_mov_b32 v113, v69 :: v_dual_lshlrev_b32 v52, 28, v65
	v_cmp_gt_i32_e64 s20, 0, v39
	s_delay_alu instid0(VALU_DEP_4)
	v_cmp_ne_u32_e32 vcc_lo, 0, v53
	v_not_b32_e32 v39, v51
	v_ashrrev_i32_e32 v57, 31, v57
	v_dual_mov_b32 v115, v67 :: v_dual_lshlrev_b32 v54, 27, v65
	s_wait_alu 0xfffd
	v_xor_b32_e32 v38, vcc_lo, v38
	v_cmp_gt_i32_e32 vcc_lo, 0, v51
	v_not_b32_e32 v51, v52
	v_ashrrev_i32_e32 v39, 31, v39
	s_wait_alu 0xf1ff
	v_xor_b32_e32 v57, s20, v57
	v_and_b32_e32 v38, exec_lo, v38
	v_cmp_gt_i32_e64 s20, 0, v52
	v_not_b32_e32 v52, v54
	v_lshlrev_b32_e32 v55, 26, v65
	v_ashrrev_i32_e32 v51, 31, v51
	s_wait_alu 0xfffd
	v_xor_b32_e32 v39, vcc_lo, v39
	v_and_b32_e32 v38, v38, v57
	v_lshlrev_b32_e32 v56, 25, v65
	v_cmp_gt_i32_e32 vcc_lo, 0, v54
	v_ashrrev_i32_e32 v52, 31, v52
	v_not_b32_e32 v54, v55
	s_wait_alu 0xf1ff
	v_xor_b32_e32 v51, s20, v51
	v_and_b32_e32 v38, v38, v39
	v_cmp_gt_i32_e64 s20, 0, v55
	v_not_b32_e32 v39, v56
	s_wait_alu 0xfffd
	v_xor_b32_e32 v52, vcc_lo, v52
	v_cmp_gt_i32_e32 vcc_lo, 0, v56
	v_dual_mov_b32 v56, v30 :: v_dual_lshlrev_b32 v53, 24, v65
	v_ashrrev_i32_e32 v54, 31, v54
	v_dual_mov_b32 v55, v29 :: v_dual_and_b32 v38, v38, v51
	v_ashrrev_i32_e32 v39, 31, v39
	s_delay_alu instid0(VALU_DEP_4)
	v_not_b32_e32 v51, v53
	s_wait_alu 0xf1ff
	v_xor_b32_e32 v54, s20, v54
	v_cmp_gt_i32_e64 s20, 0, v53
	v_dual_mov_b32 v59, v25 :: v_dual_and_b32 v38, v38, v52
	v_ashrrev_i32_e32 v51, 31, v51
	s_wait_alu 0xfffd
	v_xor_b32_e32 v39, vcc_lo, v39
	s_delay_alu instid0(VALU_DEP_3)
	v_dual_mov_b32 v61, v23 :: v_dual_and_b32 v38, v38, v54
	v_mov_b32_e32 v63, v21
	s_wait_alu 0xf1ff
	v_xor_b32_e32 v57, s20, v51
	v_dual_mov_b32 v52, v34 :: v_dual_lshlrev_b32 v21, 4, v65
	v_and_b32_e32 v58, v38, v39
	v_dual_mov_b32 v54, v32 :: v_dual_mov_b32 v53, v31
	v_dual_mov_b32 v39, v36 :: v_dual_mov_b32 v38, v35
	s_delay_alu instid0(VALU_DEP_3) | instskip(SKIP_2) | instid1(VALU_DEP_3)
	v_dual_mov_b32 v58, v28 :: v_dual_and_b32 v31, v58, v57
	v_mov_b32_e32 v51, v33
	v_dual_mov_b32 v57, v27 :: v_dual_add_nc_u32 v30, v105, v21
	v_mbcnt_lo_u32_b32 v29, v31, 0
	v_cmp_ne_u32_e64 s20, 0, v31
	s_barrier_wait -1
	global_inv scope:SCOPE_SE
	v_cmp_eq_u32_e32 vcc_lo, 0, v29
	; wave barrier
	s_and_b32 s23, s20, vcc_lo
	s_wait_alu 0xfffe
	s_and_saveexec_b32 s20, s23
; %bb.36:                               ;   in Loop: Header=BB132_35 Depth=1
	v_bcnt_u32_b32 v21, v31, 0
	ds_store_b32 v30, v21 offset:16
; %bb.37:                               ;   in Loop: Header=BB132_35 Depth=1
	s_wait_alu 0xfffe
	s_or_b32 exec_lo, exec_lo, s20
	v_lshrrev_b32_e32 v21, v106, v116
	; wave barrier
	s_delay_alu instid0(VALU_DEP_1) | instskip(NEXT) | instid1(VALU_DEP_1)
	v_and_b32_e32 v21, s22, v21
	v_and_b32_e32 v22, 1, v21
	v_lshlrev_b32_e32 v23, 30, v21
	v_lshlrev_b32_e32 v24, 29, v21
	;; [unrolled: 1-line block ×4, first 2 shown]
	v_add_co_u32 v22, s20, v22, -1
	s_wait_alu 0xf1ff
	v_cndmask_b32_e64 v26, 0, 1, s20
	v_not_b32_e32 v32, v23
	v_cmp_gt_i32_e64 s20, 0, v23
	v_not_b32_e32 v23, v24
	v_lshlrev_b32_e32 v28, 26, v21
	v_cmp_ne_u32_e32 vcc_lo, 0, v26
	v_ashrrev_i32_e32 v32, 31, v32
	v_lshlrev_b32_e32 v31, 25, v21
	v_ashrrev_i32_e32 v23, 31, v23
	v_lshlrev_b32_e32 v26, 24, v21
	s_wait_alu 0xfffd
	v_xor_b32_e32 v22, vcc_lo, v22
	v_cmp_gt_i32_e32 vcc_lo, 0, v24
	v_not_b32_e32 v24, v25
	s_wait_alu 0xf1ff
	v_xor_b32_e32 v32, s20, v32
	v_cmp_gt_i32_e64 s20, 0, v25
	v_and_b32_e32 v22, exec_lo, v22
	v_not_b32_e32 v25, v27
	v_ashrrev_i32_e32 v24, 31, v24
	s_wait_alu 0xfffd
	v_xor_b32_e32 v23, vcc_lo, v23
	v_cmp_gt_i32_e32 vcc_lo, 0, v27
	v_and_b32_e32 v22, v22, v32
	v_not_b32_e32 v27, v28
	v_ashrrev_i32_e32 v25, 31, v25
	s_wait_alu 0xf1ff
	v_xor_b32_e32 v24, s20, v24
	v_cmp_gt_i32_e64 s20, 0, v28
	v_and_b32_e32 v22, v22, v23
	v_not_b32_e32 v23, v31
	v_ashrrev_i32_e32 v27, 31, v27
	s_wait_alu 0xfffd
	v_xor_b32_e32 v25, vcc_lo, v25
	v_cmp_gt_i32_e32 vcc_lo, 0, v31
	v_and_b32_e32 v22, v22, v24
	v_not_b32_e32 v24, v26
	v_ashrrev_i32_e32 v23, 31, v23
	s_wait_alu 0xf1ff
	v_xor_b32_e32 v27, s20, v27
	v_lshlrev_b32_e32 v21, 4, v21
	v_and_b32_e32 v22, v22, v25
	v_cmp_gt_i32_e64 s20, 0, v26
	v_ashrrev_i32_e32 v24, 31, v24
	s_wait_alu 0xfffd
	v_xor_b32_e32 v23, vcc_lo, v23
	v_add_nc_u32_e32 v33, v105, v21
	v_and_b32_e32 v22, v22, v27
	s_wait_alu 0xf1ff
	v_xor_b32_e32 v21, s20, v24
	ds_load_b32 v31, v33 offset:16
	v_and_b32_e32 v22, v22, v23
	; wave barrier
	s_delay_alu instid0(VALU_DEP_1) | instskip(NEXT) | instid1(VALU_DEP_1)
	v_and_b32_e32 v21, v22, v21
	v_mbcnt_lo_u32_b32 v32, v21, 0
	v_cmp_ne_u32_e64 s20, 0, v21
	s_delay_alu instid0(VALU_DEP_2)
	v_cmp_eq_u32_e32 vcc_lo, 0, v32
	s_and_b32 s23, s20, vcc_lo
	s_wait_alu 0xfffe
	s_and_saveexec_b32 s20, s23
	s_cbranch_execz .LBB132_39
; %bb.38:                               ;   in Loop: Header=BB132_35 Depth=1
	s_wait_dscnt 0x0
	v_bcnt_u32_b32 v21, v21, v31
	ds_store_b32 v33, v21 offset:16
.LBB132_39:                             ;   in Loop: Header=BB132_35 Depth=1
	s_wait_alu 0xfffe
	s_or_b32 exec_lo, exec_lo, s20
	v_lshrrev_b32_e32 v21, v106, v115
	; wave barrier
	s_delay_alu instid0(VALU_DEP_1) | instskip(NEXT) | instid1(VALU_DEP_1)
	v_and_b32_e32 v21, s22, v21
	v_and_b32_e32 v22, 1, v21
	v_lshlrev_b32_e32 v23, 30, v21
	v_lshlrev_b32_e32 v24, 29, v21
	;; [unrolled: 1-line block ×4, first 2 shown]
	v_add_co_u32 v22, s20, v22, -1
	s_wait_alu 0xf1ff
	v_cndmask_b32_e64 v26, 0, 1, s20
	v_not_b32_e32 v35, v23
	v_cmp_gt_i32_e64 s20, 0, v23
	v_not_b32_e32 v23, v24
	v_lshlrev_b32_e32 v28, 26, v21
	v_cmp_ne_u32_e32 vcc_lo, 0, v26
	v_ashrrev_i32_e32 v35, 31, v35
	v_lshlrev_b32_e32 v34, 25, v21
	v_ashrrev_i32_e32 v23, 31, v23
	v_lshlrev_b32_e32 v26, 24, v21
	s_wait_alu 0xfffd
	v_xor_b32_e32 v22, vcc_lo, v22
	v_cmp_gt_i32_e32 vcc_lo, 0, v24
	v_not_b32_e32 v24, v25
	s_wait_alu 0xf1ff
	v_xor_b32_e32 v35, s20, v35
	v_cmp_gt_i32_e64 s20, 0, v25
	v_and_b32_e32 v22, exec_lo, v22
	v_not_b32_e32 v25, v27
	v_ashrrev_i32_e32 v24, 31, v24
	s_wait_alu 0xfffd
	v_xor_b32_e32 v23, vcc_lo, v23
	v_cmp_gt_i32_e32 vcc_lo, 0, v27
	v_and_b32_e32 v22, v22, v35
	v_not_b32_e32 v27, v28
	v_ashrrev_i32_e32 v25, 31, v25
	s_wait_alu 0xf1ff
	v_xor_b32_e32 v24, s20, v24
	v_cmp_gt_i32_e64 s20, 0, v28
	v_and_b32_e32 v22, v22, v23
	v_not_b32_e32 v23, v34
	v_ashrrev_i32_e32 v27, 31, v27
	s_wait_alu 0xfffd
	v_xor_b32_e32 v25, vcc_lo, v25
	v_cmp_gt_i32_e32 vcc_lo, 0, v34
	v_and_b32_e32 v22, v22, v24
	v_not_b32_e32 v24, v26
	v_ashrrev_i32_e32 v23, 31, v23
	s_wait_alu 0xf1ff
	v_xor_b32_e32 v27, s20, v27
	v_lshlrev_b32_e32 v21, 4, v21
	v_and_b32_e32 v22, v22, v25
	v_cmp_gt_i32_e64 s20, 0, v26
	v_ashrrev_i32_e32 v24, 31, v24
	s_wait_alu 0xfffd
	v_xor_b32_e32 v23, vcc_lo, v23
	v_add_nc_u32_e32 v36, v105, v21
	v_and_b32_e32 v22, v22, v27
	s_wait_alu 0xf1ff
	v_xor_b32_e32 v21, s20, v24
	ds_load_b32 v34, v36 offset:16
	v_and_b32_e32 v22, v22, v23
	; wave barrier
	s_delay_alu instid0(VALU_DEP_1) | instskip(NEXT) | instid1(VALU_DEP_1)
	v_and_b32_e32 v21, v22, v21
	v_mbcnt_lo_u32_b32 v35, v21, 0
	v_cmp_ne_u32_e64 s20, 0, v21
	s_delay_alu instid0(VALU_DEP_2)
	v_cmp_eq_u32_e32 vcc_lo, 0, v35
	s_and_b32 s23, s20, vcc_lo
	s_wait_alu 0xfffe
	s_and_saveexec_b32 s20, s23
	s_cbranch_execz .LBB132_41
; %bb.40:                               ;   in Loop: Header=BB132_35 Depth=1
	s_wait_dscnt 0x0
	v_bcnt_u32_b32 v21, v21, v34
	ds_store_b32 v36, v21 offset:16
.LBB132_41:                             ;   in Loop: Header=BB132_35 Depth=1
	s_wait_alu 0xfffe
	s_or_b32 exec_lo, exec_lo, s20
	v_lshrrev_b32_e32 v21, v106, v114
	; wave barrier
	s_delay_alu instid0(VALU_DEP_1) | instskip(NEXT) | instid1(VALU_DEP_1)
	v_and_b32_e32 v21, s22, v21
	v_and_b32_e32 v22, 1, v21
	v_lshlrev_b32_e32 v23, 30, v21
	v_lshlrev_b32_e32 v24, 29, v21
	;; [unrolled: 1-line block ×4, first 2 shown]
	v_add_co_u32 v22, s20, v22, -1
	s_wait_alu 0xf1ff
	v_cndmask_b32_e64 v26, 0, 1, s20
	v_not_b32_e32 v66, v23
	v_cmp_gt_i32_e64 s20, 0, v23
	v_not_b32_e32 v23, v24
	v_lshlrev_b32_e32 v28, 26, v21
	v_cmp_ne_u32_e32 vcc_lo, 0, v26
	v_ashrrev_i32_e32 v66, 31, v66
	v_lshlrev_b32_e32 v65, 25, v21
	v_ashrrev_i32_e32 v23, 31, v23
	v_lshlrev_b32_e32 v26, 24, v21
	s_wait_alu 0xfffd
	v_xor_b32_e32 v22, vcc_lo, v22
	v_cmp_gt_i32_e32 vcc_lo, 0, v24
	v_not_b32_e32 v24, v25
	s_wait_alu 0xf1ff
	v_xor_b32_e32 v66, s20, v66
	v_cmp_gt_i32_e64 s20, 0, v25
	v_and_b32_e32 v22, exec_lo, v22
	v_not_b32_e32 v25, v27
	v_ashrrev_i32_e32 v24, 31, v24
	s_wait_alu 0xfffd
	v_xor_b32_e32 v23, vcc_lo, v23
	v_cmp_gt_i32_e32 vcc_lo, 0, v27
	v_and_b32_e32 v22, v22, v66
	v_not_b32_e32 v27, v28
	v_ashrrev_i32_e32 v25, 31, v25
	s_wait_alu 0xf1ff
	v_xor_b32_e32 v24, s20, v24
	v_cmp_gt_i32_e64 s20, 0, v28
	v_and_b32_e32 v22, v22, v23
	v_not_b32_e32 v23, v65
	v_ashrrev_i32_e32 v27, 31, v27
	s_wait_alu 0xfffd
	v_xor_b32_e32 v25, vcc_lo, v25
	v_cmp_gt_i32_e32 vcc_lo, 0, v65
	v_and_b32_e32 v22, v22, v24
	v_not_b32_e32 v24, v26
	v_ashrrev_i32_e32 v23, 31, v23
	s_wait_alu 0xf1ff
	v_xor_b32_e32 v27, s20, v27
	v_lshlrev_b32_e32 v21, 4, v21
	v_and_b32_e32 v22, v22, v25
	v_cmp_gt_i32_e64 s20, 0, v26
	v_ashrrev_i32_e32 v24, 31, v24
	s_wait_alu 0xfffd
	v_xor_b32_e32 v23, vcc_lo, v23
	v_add_nc_u32_e32 v67, v105, v21
	v_and_b32_e32 v22, v22, v27
	s_wait_alu 0xf1ff
	v_xor_b32_e32 v21, s20, v24
	ds_load_b32 v65, v67 offset:16
	v_and_b32_e32 v22, v22, v23
	; wave barrier
	s_delay_alu instid0(VALU_DEP_1) | instskip(NEXT) | instid1(VALU_DEP_1)
	v_and_b32_e32 v21, v22, v21
	v_mbcnt_lo_u32_b32 v66, v21, 0
	v_cmp_ne_u32_e64 s20, 0, v21
	s_delay_alu instid0(VALU_DEP_2)
	v_cmp_eq_u32_e32 vcc_lo, 0, v66
	s_and_b32 s23, s20, vcc_lo
	s_wait_alu 0xfffe
	s_and_saveexec_b32 s20, s23
	s_cbranch_execz .LBB132_43
; %bb.42:                               ;   in Loop: Header=BB132_35 Depth=1
	s_wait_dscnt 0x0
	v_bcnt_u32_b32 v21, v21, v65
	ds_store_b32 v67, v21 offset:16
.LBB132_43:                             ;   in Loop: Header=BB132_35 Depth=1
	s_wait_alu 0xfffe
	s_or_b32 exec_lo, exec_lo, s20
	v_lshrrev_b32_e32 v21, v106, v113
	; wave barrier
	s_delay_alu instid0(VALU_DEP_1) | instskip(NEXT) | instid1(VALU_DEP_1)
	v_and_b32_e32 v21, s22, v21
	v_and_b32_e32 v22, 1, v21
	v_lshlrev_b32_e32 v23, 30, v21
	v_lshlrev_b32_e32 v24, 29, v21
	;; [unrolled: 1-line block ×4, first 2 shown]
	v_add_co_u32 v22, s20, v22, -1
	s_wait_alu 0xf1ff
	v_cndmask_b32_e64 v26, 0, 1, s20
	v_not_b32_e32 v69, v23
	v_cmp_gt_i32_e64 s20, 0, v23
	v_not_b32_e32 v23, v24
	v_lshlrev_b32_e32 v28, 26, v21
	v_cmp_ne_u32_e32 vcc_lo, 0, v26
	v_ashrrev_i32_e32 v69, 31, v69
	v_lshlrev_b32_e32 v68, 25, v21
	v_ashrrev_i32_e32 v23, 31, v23
	v_lshlrev_b32_e32 v26, 24, v21
	s_wait_alu 0xfffd
	v_xor_b32_e32 v22, vcc_lo, v22
	v_cmp_gt_i32_e32 vcc_lo, 0, v24
	v_not_b32_e32 v24, v25
	s_wait_alu 0xf1ff
	v_xor_b32_e32 v69, s20, v69
	v_cmp_gt_i32_e64 s20, 0, v25
	v_and_b32_e32 v22, exec_lo, v22
	v_not_b32_e32 v25, v27
	v_ashrrev_i32_e32 v24, 31, v24
	s_wait_alu 0xfffd
	v_xor_b32_e32 v23, vcc_lo, v23
	v_cmp_gt_i32_e32 vcc_lo, 0, v27
	v_and_b32_e32 v22, v22, v69
	v_not_b32_e32 v27, v28
	v_ashrrev_i32_e32 v25, 31, v25
	s_wait_alu 0xf1ff
	v_xor_b32_e32 v24, s20, v24
	v_cmp_gt_i32_e64 s20, 0, v28
	v_and_b32_e32 v22, v22, v23
	v_not_b32_e32 v23, v68
	v_ashrrev_i32_e32 v27, 31, v27
	s_wait_alu 0xfffd
	v_xor_b32_e32 v25, vcc_lo, v25
	v_cmp_gt_i32_e32 vcc_lo, 0, v68
	v_and_b32_e32 v22, v22, v24
	v_not_b32_e32 v24, v26
	v_ashrrev_i32_e32 v23, 31, v23
	s_wait_alu 0xf1ff
	v_xor_b32_e32 v27, s20, v27
	v_lshlrev_b32_e32 v21, 4, v21
	v_and_b32_e32 v22, v22, v25
	v_cmp_gt_i32_e64 s20, 0, v26
	v_ashrrev_i32_e32 v24, 31, v24
	s_wait_alu 0xfffd
	v_xor_b32_e32 v23, vcc_lo, v23
	v_add_nc_u32_e32 v70, v105, v21
	v_and_b32_e32 v22, v22, v27
	s_wait_alu 0xf1ff
	v_xor_b32_e32 v21, s20, v24
	ds_load_b32 v68, v70 offset:16
	v_and_b32_e32 v22, v22, v23
	; wave barrier
	s_delay_alu instid0(VALU_DEP_1) | instskip(NEXT) | instid1(VALU_DEP_1)
	v_and_b32_e32 v21, v22, v21
	v_mbcnt_lo_u32_b32 v69, v21, 0
	v_cmp_ne_u32_e64 s20, 0, v21
	s_delay_alu instid0(VALU_DEP_2)
	v_cmp_eq_u32_e32 vcc_lo, 0, v69
	s_and_b32 s23, s20, vcc_lo
	s_wait_alu 0xfffe
	s_and_saveexec_b32 s20, s23
	s_cbranch_execz .LBB132_45
; %bb.44:                               ;   in Loop: Header=BB132_35 Depth=1
	s_wait_dscnt 0x0
	v_bcnt_u32_b32 v21, v21, v68
	ds_store_b32 v70, v21 offset:16
.LBB132_45:                             ;   in Loop: Header=BB132_35 Depth=1
	s_wait_alu 0xfffe
	s_or_b32 exec_lo, exec_lo, s20
	v_lshrrev_b32_e32 v21, v106, v112
	; wave barrier
	s_delay_alu instid0(VALU_DEP_1) | instskip(NEXT) | instid1(VALU_DEP_1)
	v_and_b32_e32 v21, s22, v21
	v_and_b32_e32 v22, 1, v21
	v_lshlrev_b32_e32 v23, 30, v21
	v_lshlrev_b32_e32 v24, 29, v21
	;; [unrolled: 1-line block ×4, first 2 shown]
	v_add_co_u32 v22, s20, v22, -1
	s_wait_alu 0xf1ff
	v_cndmask_b32_e64 v26, 0, 1, s20
	v_not_b32_e32 v72, v23
	v_cmp_gt_i32_e64 s20, 0, v23
	v_not_b32_e32 v23, v24
	v_lshlrev_b32_e32 v28, 26, v21
	v_cmp_ne_u32_e32 vcc_lo, 0, v26
	v_ashrrev_i32_e32 v72, 31, v72
	v_lshlrev_b32_e32 v71, 25, v21
	v_ashrrev_i32_e32 v23, 31, v23
	v_lshlrev_b32_e32 v26, 24, v21
	s_wait_alu 0xfffd
	v_xor_b32_e32 v22, vcc_lo, v22
	v_cmp_gt_i32_e32 vcc_lo, 0, v24
	v_not_b32_e32 v24, v25
	s_wait_alu 0xf1ff
	v_xor_b32_e32 v72, s20, v72
	v_cmp_gt_i32_e64 s20, 0, v25
	v_and_b32_e32 v22, exec_lo, v22
	v_not_b32_e32 v25, v27
	v_ashrrev_i32_e32 v24, 31, v24
	s_wait_alu 0xfffd
	v_xor_b32_e32 v23, vcc_lo, v23
	v_cmp_gt_i32_e32 vcc_lo, 0, v27
	v_and_b32_e32 v22, v22, v72
	v_not_b32_e32 v27, v28
	v_ashrrev_i32_e32 v25, 31, v25
	s_wait_alu 0xf1ff
	v_xor_b32_e32 v24, s20, v24
	v_cmp_gt_i32_e64 s20, 0, v28
	v_and_b32_e32 v22, v22, v23
	v_not_b32_e32 v23, v71
	v_ashrrev_i32_e32 v27, 31, v27
	s_wait_alu 0xfffd
	v_xor_b32_e32 v25, vcc_lo, v25
	v_cmp_gt_i32_e32 vcc_lo, 0, v71
	v_and_b32_e32 v22, v22, v24
	v_not_b32_e32 v24, v26
	v_ashrrev_i32_e32 v23, 31, v23
	s_wait_alu 0xf1ff
	v_xor_b32_e32 v27, s20, v27
	v_lshlrev_b32_e32 v21, 4, v21
	v_and_b32_e32 v22, v22, v25
	v_cmp_gt_i32_e64 s20, 0, v26
	v_ashrrev_i32_e32 v24, 31, v24
	s_wait_alu 0xfffd
	v_xor_b32_e32 v23, vcc_lo, v23
	v_add_nc_u32_e32 v117, v105, v21
	v_and_b32_e32 v22, v22, v27
	s_wait_alu 0xf1ff
	v_xor_b32_e32 v21, s20, v24
	ds_load_b32 v71, v117 offset:16
	v_and_b32_e32 v22, v22, v23
	; wave barrier
	s_delay_alu instid0(VALU_DEP_1) | instskip(NEXT) | instid1(VALU_DEP_1)
	v_and_b32_e32 v21, v22, v21
	v_mbcnt_lo_u32_b32 v72, v21, 0
	v_cmp_ne_u32_e64 s20, 0, v21
	s_delay_alu instid0(VALU_DEP_2)
	v_cmp_eq_u32_e32 vcc_lo, 0, v72
	s_and_b32 s23, s20, vcc_lo
	s_wait_alu 0xfffe
	s_and_saveexec_b32 s20, s23
	s_cbranch_execz .LBB132_47
; %bb.46:                               ;   in Loop: Header=BB132_35 Depth=1
	s_wait_dscnt 0x0
	v_bcnt_u32_b32 v21, v21, v71
	ds_store_b32 v117, v21 offset:16
.LBB132_47:                             ;   in Loop: Header=BB132_35 Depth=1
	s_wait_alu 0xfffe
	s_or_b32 exec_lo, exec_lo, s20
	v_lshrrev_b32_e32 v21, v106, v111
	; wave barrier
	s_delay_alu instid0(VALU_DEP_1) | instskip(NEXT) | instid1(VALU_DEP_1)
	v_and_b32_e32 v21, s22, v21
	v_and_b32_e32 v22, 1, v21
	v_lshlrev_b32_e32 v23, 30, v21
	v_lshlrev_b32_e32 v24, 29, v21
	;; [unrolled: 1-line block ×4, first 2 shown]
	v_add_co_u32 v22, s20, v22, -1
	s_wait_alu 0xf1ff
	v_cndmask_b32_e64 v26, 0, 1, s20
	v_not_b32_e32 v119, v23
	v_cmp_gt_i32_e64 s20, 0, v23
	v_not_b32_e32 v23, v24
	v_lshlrev_b32_e32 v28, 26, v21
	v_cmp_ne_u32_e32 vcc_lo, 0, v26
	v_ashrrev_i32_e32 v119, 31, v119
	v_lshlrev_b32_e32 v118, 25, v21
	v_ashrrev_i32_e32 v23, 31, v23
	v_lshlrev_b32_e32 v26, 24, v21
	s_wait_alu 0xfffd
	v_xor_b32_e32 v22, vcc_lo, v22
	v_cmp_gt_i32_e32 vcc_lo, 0, v24
	v_not_b32_e32 v24, v25
	s_wait_alu 0xf1ff
	v_xor_b32_e32 v119, s20, v119
	v_cmp_gt_i32_e64 s20, 0, v25
	v_and_b32_e32 v22, exec_lo, v22
	v_not_b32_e32 v25, v27
	v_ashrrev_i32_e32 v24, 31, v24
	s_wait_alu 0xfffd
	v_xor_b32_e32 v23, vcc_lo, v23
	v_cmp_gt_i32_e32 vcc_lo, 0, v27
	v_and_b32_e32 v22, v22, v119
	v_not_b32_e32 v27, v28
	v_ashrrev_i32_e32 v25, 31, v25
	s_wait_alu 0xf1ff
	v_xor_b32_e32 v24, s20, v24
	v_cmp_gt_i32_e64 s20, 0, v28
	v_and_b32_e32 v22, v22, v23
	v_not_b32_e32 v23, v118
	v_ashrrev_i32_e32 v27, 31, v27
	s_wait_alu 0xfffd
	v_xor_b32_e32 v25, vcc_lo, v25
	v_cmp_gt_i32_e32 vcc_lo, 0, v118
	v_and_b32_e32 v22, v22, v24
	v_not_b32_e32 v24, v26
	v_ashrrev_i32_e32 v23, 31, v23
	s_wait_alu 0xf1ff
	v_xor_b32_e32 v27, s20, v27
	v_lshlrev_b32_e32 v21, 4, v21
	v_and_b32_e32 v22, v22, v25
	v_cmp_gt_i32_e64 s20, 0, v26
	v_ashrrev_i32_e32 v24, 31, v24
	s_wait_alu 0xfffd
	v_xor_b32_e32 v23, vcc_lo, v23
	v_add_nc_u32_e32 v120, v105, v21
	v_and_b32_e32 v22, v22, v27
	s_wait_alu 0xf1ff
	v_xor_b32_e32 v21, s20, v24
	ds_load_b32 v118, v120 offset:16
	v_and_b32_e32 v22, v22, v23
	; wave barrier
	s_delay_alu instid0(VALU_DEP_1) | instskip(NEXT) | instid1(VALU_DEP_1)
	v_and_b32_e32 v21, v22, v21
	v_mbcnt_lo_u32_b32 v119, v21, 0
	v_cmp_ne_u32_e64 s20, 0, v21
	s_delay_alu instid0(VALU_DEP_2)
	v_cmp_eq_u32_e32 vcc_lo, 0, v119
	s_and_b32 s23, s20, vcc_lo
	s_wait_alu 0xfffe
	s_and_saveexec_b32 s20, s23
	s_cbranch_execz .LBB132_49
; %bb.48:                               ;   in Loop: Header=BB132_35 Depth=1
	s_wait_dscnt 0x0
	v_bcnt_u32_b32 v21, v21, v118
	ds_store_b32 v120, v21 offset:16
.LBB132_49:                             ;   in Loop: Header=BB132_35 Depth=1
	s_wait_alu 0xfffe
	s_or_b32 exec_lo, exec_lo, s20
	v_lshrrev_b32_e32 v21, v106, v110
	; wave barrier
	s_delay_alu instid0(VALU_DEP_1) | instskip(NEXT) | instid1(VALU_DEP_1)
	v_and_b32_e32 v21, s22, v21
	v_and_b32_e32 v22, 1, v21
	v_lshlrev_b32_e32 v23, 30, v21
	v_lshlrev_b32_e32 v24, 29, v21
	;; [unrolled: 1-line block ×4, first 2 shown]
	v_add_co_u32 v22, s20, v22, -1
	s_wait_alu 0xf1ff
	v_cndmask_b32_e64 v26, 0, 1, s20
	v_not_b32_e32 v122, v23
	v_cmp_gt_i32_e64 s20, 0, v23
	v_not_b32_e32 v23, v24
	v_lshlrev_b32_e32 v28, 26, v21
	v_cmp_ne_u32_e32 vcc_lo, 0, v26
	v_ashrrev_i32_e32 v122, 31, v122
	v_lshlrev_b32_e32 v121, 25, v21
	v_ashrrev_i32_e32 v23, 31, v23
	v_lshlrev_b32_e32 v26, 24, v21
	s_wait_alu 0xfffd
	v_xor_b32_e32 v22, vcc_lo, v22
	v_cmp_gt_i32_e32 vcc_lo, 0, v24
	v_not_b32_e32 v24, v25
	s_wait_alu 0xf1ff
	v_xor_b32_e32 v122, s20, v122
	v_cmp_gt_i32_e64 s20, 0, v25
	v_and_b32_e32 v22, exec_lo, v22
	v_not_b32_e32 v25, v27
	v_ashrrev_i32_e32 v24, 31, v24
	s_wait_alu 0xfffd
	v_xor_b32_e32 v23, vcc_lo, v23
	v_cmp_gt_i32_e32 vcc_lo, 0, v27
	v_and_b32_e32 v22, v22, v122
	v_not_b32_e32 v27, v28
	v_ashrrev_i32_e32 v25, 31, v25
	s_wait_alu 0xf1ff
	v_xor_b32_e32 v24, s20, v24
	v_cmp_gt_i32_e64 s20, 0, v28
	v_and_b32_e32 v22, v22, v23
	v_not_b32_e32 v23, v121
	v_ashrrev_i32_e32 v27, 31, v27
	s_wait_alu 0xfffd
	v_xor_b32_e32 v25, vcc_lo, v25
	v_cmp_gt_i32_e32 vcc_lo, 0, v121
	v_and_b32_e32 v22, v22, v24
	v_not_b32_e32 v24, v26
	v_ashrrev_i32_e32 v23, 31, v23
	s_wait_alu 0xf1ff
	v_xor_b32_e32 v27, s20, v27
	v_lshlrev_b32_e32 v21, 4, v21
	v_and_b32_e32 v22, v22, v25
	v_cmp_gt_i32_e64 s20, 0, v26
	v_ashrrev_i32_e32 v24, 31, v24
	s_wait_alu 0xfffd
	v_xor_b32_e32 v23, vcc_lo, v23
	v_add_nc_u32_e32 v121, v105, v21
	v_and_b32_e32 v22, v22, v27
	s_wait_alu 0xf1ff
	v_xor_b32_e32 v21, s20, v24
	ds_load_b32 v126, v121 offset:16
	v_and_b32_e32 v22, v22, v23
	; wave barrier
	s_delay_alu instid0(VALU_DEP_1) | instskip(NEXT) | instid1(VALU_DEP_1)
	v_and_b32_e32 v21, v22, v21
	v_mbcnt_lo_u32_b32 v127, v21, 0
	v_cmp_ne_u32_e64 s20, 0, v21
	s_delay_alu instid0(VALU_DEP_2)
	v_cmp_eq_u32_e32 vcc_lo, 0, v127
	s_and_b32 s22, s20, vcc_lo
	s_wait_alu 0xfffe
	s_and_saveexec_b32 s20, s22
	s_cbranch_execz .LBB132_51
; %bb.50:                               ;   in Loop: Header=BB132_35 Depth=1
	s_wait_dscnt 0x0
	v_bcnt_u32_b32 v21, v21, v126
	ds_store_b32 v121, v21 offset:16
.LBB132_51:                             ;   in Loop: Header=BB132_35 Depth=1
	s_wait_alu 0xfffe
	s_or_b32 exec_lo, exec_lo, s20
	; wave barrier
	s_wait_loadcnt_dscnt 0x0
	s_barrier_signal -1
	s_barrier_wait -1
	global_inv scope:SCOPE_SE
	ds_load_b128 v[25:28], v90 offset:16
	ds_load_b128 v[21:24], v90 offset:32
	s_wait_dscnt 0x1
	v_add_nc_u32_e32 v122, v26, v25
	s_delay_alu instid0(VALU_DEP_1) | instskip(SKIP_1) | instid1(VALU_DEP_1)
	v_add3_u32 v122, v122, v27, v28
	s_wait_dscnt 0x0
	v_add3_u32 v122, v122, v21, v22
	s_delay_alu instid0(VALU_DEP_1) | instskip(NEXT) | instid1(VALU_DEP_1)
	v_add3_u32 v24, v122, v23, v24
	v_mov_b32_dpp v122, v24 row_shr:1 row_mask:0xf bank_mask:0xf
	s_delay_alu instid0(VALU_DEP_1) | instskip(NEXT) | instid1(VALU_DEP_1)
	v_cndmask_b32_e64 v122, v122, 0, s12
	v_add_nc_u32_e32 v24, v122, v24
	s_delay_alu instid0(VALU_DEP_1) | instskip(NEXT) | instid1(VALU_DEP_1)
	v_mov_b32_dpp v122, v24 row_shr:2 row_mask:0xf bank_mask:0xf
	v_cndmask_b32_e64 v122, 0, v122, s13
	s_delay_alu instid0(VALU_DEP_1) | instskip(NEXT) | instid1(VALU_DEP_1)
	v_add_nc_u32_e32 v24, v24, v122
	v_mov_b32_dpp v122, v24 row_shr:4 row_mask:0xf bank_mask:0xf
	s_delay_alu instid0(VALU_DEP_1) | instskip(NEXT) | instid1(VALU_DEP_1)
	v_cndmask_b32_e64 v122, 0, v122, s14
	v_add_nc_u32_e32 v24, v24, v122
	s_delay_alu instid0(VALU_DEP_1) | instskip(NEXT) | instid1(VALU_DEP_1)
	v_mov_b32_dpp v122, v24 row_shr:8 row_mask:0xf bank_mask:0xf
	v_cndmask_b32_e64 v122, 0, v122, s15
	s_delay_alu instid0(VALU_DEP_1) | instskip(SKIP_3) | instid1(VALU_DEP_1)
	v_add_nc_u32_e32 v24, v24, v122
	ds_swizzle_b32 v122, v24 offset:swizzle(BROADCAST,32,15)
	s_wait_dscnt 0x0
	v_cndmask_b32_e64 v122, v122, 0, s16
	v_add_nc_u32_e32 v24, v24, v122
	s_and_saveexec_b32 s20, s17
; %bb.52:                               ;   in Loop: Header=BB132_35 Depth=1
	ds_store_b32 v92, v24
; %bb.53:                               ;   in Loop: Header=BB132_35 Depth=1
	s_wait_alu 0xfffe
	s_or_b32 exec_lo, exec_lo, s20
	s_wait_loadcnt_dscnt 0x0
	s_barrier_signal -1
	s_barrier_wait -1
	global_inv scope:SCOPE_SE
	s_and_saveexec_b32 s20, s1
	s_cbranch_execz .LBB132_55
; %bb.54:                               ;   in Loop: Header=BB132_35 Depth=1
	ds_load_b32 v122, v107
	s_wait_dscnt 0x0
	v_mov_b32_dpp v123, v122 row_shr:1 row_mask:0xf bank_mask:0xf
	s_delay_alu instid0(VALU_DEP_1) | instskip(NEXT) | instid1(VALU_DEP_1)
	v_cndmask_b32_e64 v123, v123, 0, s18
	v_add_nc_u32_e32 v122, v123, v122
	s_delay_alu instid0(VALU_DEP_1) | instskip(NEXT) | instid1(VALU_DEP_1)
	v_mov_b32_dpp v123, v122 row_shr:2 row_mask:0xf bank_mask:0xf
	v_cndmask_b32_e64 v123, 0, v123, s19
	s_delay_alu instid0(VALU_DEP_1)
	v_add_nc_u32_e32 v122, v122, v123
	ds_store_b32 v107, v122
.LBB132_55:                             ;   in Loop: Header=BB132_35 Depth=1
	s_wait_alu 0xfffe
	s_or_b32 exec_lo, exec_lo, s20
	v_mov_b32_e32 v122, 0
	s_wait_loadcnt_dscnt 0x0
	s_barrier_signal -1
	s_barrier_wait -1
	global_inv scope:SCOPE_SE
	s_and_saveexec_b32 s20, s9
; %bb.56:                               ;   in Loop: Header=BB132_35 Depth=1
	ds_load_b32 v122, v104
; %bb.57:                               ;   in Loop: Header=BB132_35 Depth=1
	s_wait_alu 0xfffe
	s_or_b32 exec_lo, exec_lo, s20
	s_wait_dscnt 0x0
	v_add_nc_u32_e32 v24, v122, v24
	v_cmp_lt_u32_e32 vcc_lo, 23, v106
	v_readfirstlane_b32 s20, v0
	s_mov_b32 s22, -1
	ds_bpermute_b32 v24, v103, v24
	s_and_b32 vcc_lo, exec_lo, vcc_lo
	s_wait_dscnt 0x0
	v_cndmask_b32_e64 v24, v24, v122, s11
	s_delay_alu instid0(VALU_DEP_1) | instskip(NEXT) | instid1(VALU_DEP_1)
	v_cndmask_b32_e64 v24, v24, 0, s10
	v_add_nc_u32_e32 v25, v24, v25
	s_delay_alu instid0(VALU_DEP_1) | instskip(NEXT) | instid1(VALU_DEP_1)
	v_add_nc_u32_e32 v26, v25, v26
	v_add_nc_u32_e32 v27, v26, v27
	s_delay_alu instid0(VALU_DEP_1) | instskip(NEXT) | instid1(VALU_DEP_1)
	v_add_nc_u32_e32 v122, v27, v28
	v_add_nc_u32_e32 v123, v122, v21
	s_delay_alu instid0(VALU_DEP_1) | instskip(NEXT) | instid1(VALU_DEP_1)
	v_add_nc_u32_e32 v124, v123, v22
	v_add_nc_u32_e32 v125, v124, v23
	ds_store_b128 v90, v[24:27] offset:16
	ds_store_b128 v90, v[122:125] offset:32
	s_wait_loadcnt_dscnt 0x0
	s_barrier_signal -1
	s_barrier_wait -1
	global_inv scope:SCOPE_SE
	ds_load_b32 v21, v30 offset:16
	ds_load_b32 v22, v33 offset:16
	ds_load_b32 v23, v36 offset:16
	ds_load_b32 v24, v67 offset:16
	ds_load_b32 v25, v70 offset:16
	ds_load_b32 v26, v117 offset:16
	ds_load_b32 v27, v120 offset:16
	ds_load_b32 v28, v121 offset:16
	s_wait_dscnt 0x7
	v_add_nc_u32_e32 v125, v21, v29
	s_wait_dscnt 0x6
	v_add3_u32 v124, v32, v31, v22
	s_wait_dscnt 0x5
	v_add3_u32 v123, v35, v34, v23
	;; [unrolled: 2-line block ×7, first 2 shown]
                                        ; implicit-def: $vgpr72
                                        ; implicit-def: $vgpr70
                                        ; implicit-def: $vgpr68
                                        ; implicit-def: $vgpr66
                                        ; implicit-def: $vgpr35_vgpr36
                                        ; implicit-def: $vgpr31_vgpr32
                                        ; implicit-def: $vgpr27_vgpr28
                                        ; implicit-def: $vgpr23_vgpr24
	s_wait_alu 0xfffe
	s_cbranch_vccnz .LBB132_34
; %bb.58:                               ;   in Loop: Header=BB132_35 Depth=1
	v_lshlrev_b32_e32 v21, 2, v125
	v_lshlrev_b32_e32 v22, 2, v124
	;; [unrolled: 1-line block ×3, first 2 shown]
	s_wait_loadcnt 0x0
	s_barrier_signal -1
	s_barrier_wait -1
	global_inv scope:SCOPE_SE
	ds_store_b32 v21, v109
	ds_store_b32 v22, v116
	;; [unrolled: 1-line block ×3, first 2 shown]
	v_lshlrev_b32_e32 v24, 2, v122
	v_add_nc_u32_e32 v21, v21, v21
	v_lshlrev_b32_e32 v25, 2, v121
	v_add_nc_u32_e32 v22, v22, v22
	;; [unrolled: 2-line block ×3, first 2 shown]
	v_lshlrev_b32_e32 v27, 2, v118
	v_lshlrev_b32_e32 v28, 2, v117
	ds_store_b32 v24, v114
	ds_store_b32 v25, v113
	;; [unrolled: 1-line block ×5, first 2 shown]
	s_wait_loadcnt_dscnt 0x0
	s_barrier_signal -1
	s_barrier_wait -1
	global_inv scope:SCOPE_SE
	ds_load_2addr_b32 v[65:66], v91 offset1:32
	ds_load_2addr_b32 v[67:68], v91 offset0:64 offset1:96
	ds_load_2addr_b32 v[69:70], v91 offset0:128 offset1:160
	;; [unrolled: 1-line block ×3, first 2 shown]
	s_wait_loadcnt_dscnt 0x0
	s_barrier_signal -1
	s_barrier_wait -1
	global_inv scope:SCOPE_SE
	ds_store_b64 v21, v[63:64]
	ds_store_b64 v22, v[61:62]
	;; [unrolled: 1-line block ×3, first 2 shown]
	v_add_nc_u32_e32 v21, v24, v24
	v_add_nc_u32_e32 v22, v25, v25
	;; [unrolled: 1-line block ×5, first 2 shown]
	ds_store_b64 v21, v[57:58]
	ds_store_b64 v22, v[55:56]
	;; [unrolled: 1-line block ×5, first 2 shown]
	s_wait_loadcnt_dscnt 0x0
	s_barrier_signal -1
	s_barrier_wait -1
	global_inv scope:SCOPE_SE
	ds_load_2addr_b64 v[21:24], v108 offset1:32
	ds_load_2addr_b64 v[25:28], v108 offset0:64 offset1:96
	ds_load_2addr_b64 v[29:32], v108 offset0:128 offset1:160
	;; [unrolled: 1-line block ×3, first 2 shown]
	v_add_nc_u32_e32 v106, 8, v106
	s_add_co_i32 s20, s21, -8
	s_mov_b32 s22, 0
	s_wait_loadcnt_dscnt 0x0
	s_barrier_signal -1
	s_barrier_wait -1
	global_inv scope:SCOPE_SE
	s_branch .LBB132_34
.LBB132_59:
	v_lshlrev_b64_e32 v[1:2], 3, v[37:38]
	v_dual_mov_b32 v39, v38 :: v_dual_mov_b32 v10, v38
	v_mov_b32_e32 v9, v38
	v_dual_mov_b32 v3, v38 :: v_dual_mov_b32 v6, v38
	s_wait_alu 0xfffe
	s_delay_alu instid0(VALU_DEP_4)
	v_add_co_u32 v1, vcc_lo, s24, v1
	s_wait_alu 0xfffd
	v_add_co_ci_u32_e64 v2, null, s25, v2, vcc_lo
	v_dual_mov_b32 v5, v38 :: v_dual_mov_b32 v8, v38
	v_dual_mov_b32 v7, v38 :: v_dual_mov_b32 v12, v38
	global_load_b64 v[13:14], v[1:2], off
	v_dual_mov_b32 v1, v38 :: v_dual_mov_b32 v4, v38
	v_dual_mov_b32 v2, v38 :: v_dual_mov_b32 v11, v38
	s_or_b32 exec_lo, exec_lo, s1
	s_and_saveexec_b32 s1, s3
	s_cbranch_execz .LBB132_25
.LBB132_60:
	v_mul_lo_u32 v33, s28, v15
	v_mov_b32_e32 v34, 0
	s_delay_alu instid0(VALU_DEP_1) | instskip(SKIP_1) | instid1(VALU_DEP_1)
	v_lshlrev_b64_e32 v[33:34], 3, v[33:34]
	s_wait_alu 0xfffe
	v_add_co_u32 v33, vcc_lo, s24, v33
	s_wait_alu 0xfffd
	s_delay_alu instid0(VALU_DEP_2)
	v_add_co_ci_u32_e64 v34, null, s25, v34, vcc_lo
	global_load_b64 v[38:39], v[33:34], off
	s_or_b32 exec_lo, exec_lo, s1
	s_and_saveexec_b32 s1, s4
	s_cbranch_execz .LBB132_26
.LBB132_61:
	v_mul_lo_u32 v9, s28, v16
	v_mov_b32_e32 v10, 0
	s_delay_alu instid0(VALU_DEP_1) | instskip(SKIP_1) | instid1(VALU_DEP_1)
	v_lshlrev_b64_e32 v[9:10], 3, v[9:10]
	s_wait_alu 0xfffe
	v_add_co_u32 v9, vcc_lo, s24, v9
	s_wait_alu 0xfffd
	s_delay_alu instid0(VALU_DEP_2)
	v_add_co_ci_u32_e64 v10, null, s25, v10, vcc_lo
	global_load_b64 v[9:10], v[9:10], off
	s_or_b32 exec_lo, exec_lo, s1
	s_and_saveexec_b32 s1, s5
	s_cbranch_execz .LBB132_27
.LBB132_62:
	v_mul_lo_u32 v1, s28, v19
	v_mov_b32_e32 v2, 0
	s_delay_alu instid0(VALU_DEP_1) | instskip(SKIP_1) | instid1(VALU_DEP_1)
	v_lshlrev_b64_e32 v[1:2], 3, v[1:2]
	s_wait_alu 0xfffe
	v_add_co_u32 v1, vcc_lo, s24, v1
	s_wait_alu 0xfffd
	s_delay_alu instid0(VALU_DEP_2)
	v_add_co_ci_u32_e64 v2, null, s25, v2, vcc_lo
	global_load_b64 v[1:2], v[1:2], off
	s_or_b32 exec_lo, exec_lo, s1
	s_and_saveexec_b32 s1, s6
	s_cbranch_execz .LBB132_28
.LBB132_63:
	v_mul_lo_u32 v3, s28, v20
	v_mov_b32_e32 v4, 0
	s_delay_alu instid0(VALU_DEP_1) | instskip(SKIP_1) | instid1(VALU_DEP_1)
	v_lshlrev_b64_e32 v[3:4], 3, v[3:4]
	s_wait_alu 0xfffe
	v_add_co_u32 v3, vcc_lo, s24, v3
	s_wait_alu 0xfffd
	s_delay_alu instid0(VALU_DEP_2)
	v_add_co_ci_u32_e64 v4, null, s25, v4, vcc_lo
	global_load_b64 v[3:4], v[3:4], off
	s_or_b32 exec_lo, exec_lo, s1
	s_and_saveexec_b32 s1, s7
	s_cbranch_execz .LBB132_29
.LBB132_64:
	v_mul_lo_u32 v5, s28, v21
	v_mov_b32_e32 v6, 0
	s_delay_alu instid0(VALU_DEP_1) | instskip(SKIP_1) | instid1(VALU_DEP_1)
	v_lshlrev_b64_e32 v[5:6], 3, v[5:6]
	s_wait_alu 0xfffe
	v_add_co_u32 v5, vcc_lo, s24, v5
	s_wait_alu 0xfffd
	s_delay_alu instid0(VALU_DEP_2)
	v_add_co_ci_u32_e64 v6, null, s25, v6, vcc_lo
	global_load_b64 v[5:6], v[5:6], off
	s_or_b32 exec_lo, exec_lo, s1
	s_and_saveexec_b32 s1, s8
	s_cbranch_execz .LBB132_30
.LBB132_65:
	v_mul_lo_u32 v7, s28, v22
	v_mov_b32_e32 v8, 0
	s_delay_alu instid0(VALU_DEP_1) | instskip(SKIP_1) | instid1(VALU_DEP_1)
	v_lshlrev_b64_e32 v[7:8], 3, v[7:8]
	s_wait_alu 0xfffe
	v_add_co_u32 v7, vcc_lo, s24, v7
	s_wait_alu 0xfffd
	s_delay_alu instid0(VALU_DEP_2)
	v_add_co_ci_u32_e64 v8, null, s25, v8, vcc_lo
	global_load_b64 v[7:8], v[7:8], off
	s_or_b32 exec_lo, exec_lo, s1
	s_xor_b32 s1, s12, -1
	s_and_saveexec_b32 s9, s0
	s_cbranch_execnz .LBB132_31
	s_branch .LBB132_32
.LBB132_66:
                                        ; implicit-def: $vgpr52
                                        ; implicit-def: $vgpr39
                                        ; implicit-def: $vgpr51
                                        ; implicit-def: $vgpr36
                                        ; implicit-def: $vgpr38
                                        ; implicit-def: $vgpr34
                                        ; implicit-def: $vgpr35
                                        ; implicit-def: $vgpr33
                                        ; implicit-def: $vgpr19_vgpr20
                                        ; implicit-def: $vgpr23_vgpr24
                                        ; implicit-def: $vgpr27_vgpr28
                                        ; implicit-def: $vgpr31_vgpr32
	s_and_b32 vcc_lo, exec_lo, s11
	s_wait_alu 0xfffe
	s_cbranch_vccnz .LBB132_68
	s_branch .LBB132_95
.LBB132_67:
	v_lshlrev_b32_e32 v17, 2, v125
	v_lshlrev_b32_e32 v18, 2, v124
	;; [unrolled: 1-line block ×3, first 2 shown]
	s_wait_loadcnt 0x0
	s_barrier_signal -1
	s_barrier_wait -1
	global_inv scope:SCOPE_SE
	ds_store_b32 v17, v109
	ds_store_b32 v18, v116
	;; [unrolled: 1-line block ×3, first 2 shown]
	v_lshlrev_b32_e32 v20, 2, v122
	v_add_nc_u32_e32 v17, v17, v17
	v_lshlrev_b32_e32 v21, 2, v121
	v_add_nc_u32_e32 v18, v18, v18
	;; [unrolled: 2-line block ×3, first 2 shown]
	v_lshlrev_b32_e32 v23, 2, v118
	v_lshlrev_b32_e32 v24, 2, v117
	ds_store_b32 v20, v114
	ds_store_b32 v21, v113
	ds_store_b32 v22, v112
	ds_store_b32 v23, v111
	ds_store_b32 v24, v110
	s_wait_loadcnt_dscnt 0x0
	s_barrier_signal -1
	s_barrier_wait -1
	global_inv scope:SCOPE_SE
	ds_load_b128 v[65:68], v90
	ds_load_b128 v[69:72], v90 offset:16
	s_wait_loadcnt_dscnt 0x0
	s_barrier_signal -1
	s_barrier_wait -1
	global_inv scope:SCOPE_SE
	ds_store_b64 v17, v[63:64]
	ds_store_b64 v18, v[61:62]
	;; [unrolled: 1-line block ×3, first 2 shown]
	v_add_nc_u32_e32 v17, v20, v20
	v_add_nc_u32_e32 v18, v21, v21
	;; [unrolled: 1-line block ×5, first 2 shown]
	ds_store_b64 v17, v[57:58]
	ds_store_b64 v18, v[55:56]
	;; [unrolled: 1-line block ×5, first 2 shown]
	v_lshl_add_u32 v17, v42, 5, v90
	s_wait_loadcnt_dscnt 0x0
	s_barrier_signal -1
	s_barrier_wait -1
	global_inv scope:SCOPE_SE
	ds_load_b128 v[29:32], v17
	ds_load_b128 v[25:28], v17 offset:16
	ds_load_b128 v[21:24], v17 offset:32
	;; [unrolled: 1-line block ×3, first 2 shown]
	v_xor_b32_e32 v33, 0x80000000, v65
	v_xor_b32_e32 v35, 0x80000000, v66
	;; [unrolled: 1-line block ×8, first 2 shown]
	s_branch .LBB132_95
.LBB132_68:
	s_wait_dscnt 0x0
	v_xor_b32_e32 v17, 0x7fffffff, v49
	v_xor_b32_e32 v18, 0x7fffffff, v50
	;; [unrolled: 1-line block ×8, first 2 shown]
	ds_store_b128 v102, v[17:20]
	ds_store_b128 v102, v[21:24] offset:16
	v_lshl_add_u32 v17, v101, 2, v102
	; wave barrier
	ds_load_2addr_b32 v[38:39], v91 offset1:32
	ds_load_2addr_b32 v[43:44], v91 offset0:64 offset1:96
	ds_load_2addr_b32 v[45:46], v91 offset0:128 offset1:160
	;; [unrolled: 1-line block ×3, first 2 shown]
	s_wait_loadcnt_dscnt 0x0
	s_barrier_signal -1
	s_barrier_wait -1
	global_inv scope:SCOPE_SE
	ds_store_b128 v17, v[5:8]
	ds_store_b128 v17, v[1:4] offset:16
	ds_store_b128 v17, v[13:16] offset:32
	;; [unrolled: 1-line block ×3, first 2 shown]
	; wave barrier
	ds_load_2addr_b64 v[4:7], v100 offset1:32
	ds_load_2addr_b64 v[8:11], v100 offset0:64 offset1:96
	ds_load_2addr_b64 v[12:15], v100 offset0:128 offset1:160
	;; [unrolled: 1-line block ×3, first 2 shown]
	s_wait_loadcnt_dscnt 0x0
	s_barrier_signal -1
	s_barrier_wait -1
	global_inv scope:SCOPE_SE
	s_load_b32 s1, s[34:35], 0xc
	s_getpc_b64 s[10:11]
	s_wait_alu 0xfffe
	s_sext_i32_i16 s11, s11
	s_add_co_u32 s10, s10, _ZN7rocprim17ROCPRIM_400000_NS16block_radix_sortIiLj128ELj8ElLj1ELj1ELj0ELNS0_26block_radix_rank_algorithmE1ELNS0_18block_padding_hintE2ELNS0_4arch9wavefront6targetE0EE19radix_bits_per_passE@rel32@lo+12
	s_wait_alu 0xfffe
	s_add_co_ci_u32 s11, s11, _ZN7rocprim17ROCPRIM_400000_NS16block_radix_sortIiLj128ELj8ElLj1ELj1ELj0ELNS0_26block_radix_rank_algorithmE1ELNS0_18block_padding_hintE2ELNS0_4arch9wavefront6targetE0EE19radix_bits_per_passE@rel32@hi+24
	v_or_b32_e32 v3, 31, v97
	s_load_b32 s21, s[10:11], 0x0
	s_mov_b32 s36, 0
	v_cmp_eq_u32_e64 s18, 0, v0
	s_mov_b32 s37, s36
	s_mov_b32 s38, s36
	;; [unrolled: 1-line block ×3, first 2 shown]
	v_cmp_eq_u32_e64 s14, v42, v3
	v_cmp_lt_u32_e64 s19, 1, v0
	v_cmp_lt_u32_e64 s10, 1, v96
	;; [unrolled: 1-line block ×4, first 2 shown]
	v_cmp_eq_u32_e64 s13, 0, v95
	v_cmp_gt_u32_e64 s15, 4, v42
	v_cmp_lt_u32_e64 s16, 31, v42
	v_cmp_eq_u32_e64 s17, 0, v42
	v_add_nc_u32_e32 v52, v90, v94
	s_mov_b32 s22, 32
	s_wait_kmcnt 0x0
	s_lshr_b32 s9, s1, 16
	s_and_b32 s1, s1, 0xffff
	s_wait_alu 0xfffe
	v_mad_u32_u24 v1, v99, s9, v98
	v_add_nc_u32_e32 v49, -4, v92
	v_mov_b32_e32 v51, 0
	v_add_nc_u32_e32 v53, v91, v91
	s_delay_alu instid0(VALU_DEP_4) | instskip(SKIP_2) | instid1(VALU_DEP_2)
	v_mad_co_u64_u32 v[1:2], null, v1, s1, v[42:43]
	v_sub_co_u32 v2, s9, v93, 1
	v_cmp_eq_u32_e64 s1, 0, v96
	v_cmp_gt_i32_e32 vcc_lo, 0, v2
	s_delay_alu instid0(VALU_DEP_4) | instskip(SKIP_2) | instid1(VALU_DEP_2)
	v_lshrrev_b32_e32 v1, 3, v1
	s_wait_alu 0xfffd
	v_cndmask_b32_e32 v2, v2, v93, vcc_lo
	v_and_b32_e32 v50, 0x1ffffffc, v1
	s_delay_alu instid0(VALU_DEP_2)
	v_lshlrev_b32_e32 v36, 2, v2
	v_dual_mov_b32 v0, s36 :: v_dual_mov_b32 v3, s39
	v_dual_mov_b32 v1, s37 :: v_dual_mov_b32 v2, s38
	s_branch .LBB132_70
.LBB132_69:                             ;   in Loop: Header=BB132_70 Depth=1
	s_wait_alu 0xfffe
	s_and_not1_b32 vcc_lo, exec_lo, s23
	s_mov_b32 s22, s20
	s_wait_alu 0xfffe
	s_cbranch_vccz .LBB132_94
.LBB132_70:                             ; =>This Inner Loop Header: Depth=1
	v_dual_mov_b32 v54, v38 :: v_dual_mov_b32 v55, v48
	s_min_u32 s20, s21, s22
	ds_store_b128 v90, v[0:3] offset:16
	ds_store_b128 v90, v[0:3] offset:32
	s_wait_alu 0xfffe
	s_lshl_b32 s20, -1, s20
	v_lshrrev_b32_e32 v20, v51, v54
	s_wait_alu 0xfffe
	s_not_b32 s23, s20
	s_wait_loadcnt_dscnt 0x0
	s_barrier_signal -1
	s_barrier_wait -1
	s_wait_alu 0xfffe
	v_dual_mov_b32 v57, v46 :: v_dual_and_b32 v38, s23, v20
	v_mov_b32_e32 v56, v47
	global_inv scope:SCOPE_SE
	v_dual_mov_b32 v59, v44 :: v_dual_and_b32 v20, 1, v38
	v_lshlrev_b32_e32 v21, 30, v38
	v_dual_mov_b32 v61, v39 :: v_dual_lshlrev_b32 v22, 29, v38
	s_delay_alu instid0(VALU_DEP_3)
	v_add_co_u32 v20, s20, v20, -1
	s_wait_alu 0xf1ff
	v_cndmask_b32_e64 v24, 0, 1, s20
	v_not_b32_e32 v28, v21
	v_dual_mov_b32 v58, v45 :: v_dual_lshlrev_b32 v23, 28, v38
	v_cmp_gt_i32_e64 s20, 0, v21
	s_delay_alu instid0(VALU_DEP_4)
	v_cmp_ne_u32_e32 vcc_lo, 0, v24
	v_not_b32_e32 v21, v22
	v_ashrrev_i32_e32 v28, 31, v28
	v_dual_mov_b32 v60, v43 :: v_dual_lshlrev_b32 v25, 27, v38
	s_wait_alu 0xfffd
	v_xor_b32_e32 v20, vcc_lo, v20
	v_cmp_gt_i32_e32 vcc_lo, 0, v22
	v_not_b32_e32 v22, v23
	v_ashrrev_i32_e32 v21, 31, v21
	s_wait_alu 0xf1ff
	v_xor_b32_e32 v28, s20, v28
	v_and_b32_e32 v20, exec_lo, v20
	v_lshlrev_b32_e32 v26, 26, v38
	v_cmp_gt_i32_e64 s20, 0, v23
	v_not_b32_e32 v23, v25
	v_ashrrev_i32_e32 v22, 31, v22
	s_wait_alu 0xfffd
	v_xor_b32_e32 v21, vcc_lo, v21
	v_and_b32_e32 v20, v20, v28
	v_lshlrev_b32_e32 v27, 25, v38
	v_cmp_gt_i32_e32 vcc_lo, 0, v25
	v_not_b32_e32 v25, v26
	v_ashrrev_i32_e32 v23, 31, v23
	s_wait_alu 0xf1ff
	v_xor_b32_e32 v22, s20, v22
	v_and_b32_e32 v20, v20, v21
	v_lshlrev_b32_e32 v24, 24, v38
	v_cmp_gt_i32_e64 s20, 0, v26
	v_not_b32_e32 v21, v27
	v_ashrrev_i32_e32 v25, 31, v25
	s_wait_alu 0xfffd
	v_xor_b32_e32 v23, vcc_lo, v23
	v_dual_mov_b32 v31, v9 :: v_dual_and_b32 v20, v20, v22
	v_cmp_gt_i32_e32 vcc_lo, 0, v27
	v_not_b32_e32 v22, v24
	v_ashrrev_i32_e32 v21, 31, v21
	s_wait_alu 0xf1ff
	v_xor_b32_e32 v25, s20, v25
	v_dual_mov_b32 v33, v7 :: v_dual_and_b32 v20, v20, v23
	v_cmp_gt_i32_e64 s20, 0, v24
	v_ashrrev_i32_e32 v22, 31, v22
	s_wait_alu 0xfffd
	v_xor_b32_e32 v21, vcc_lo, v21
	v_dual_mov_b32 v35, v5 :: v_dual_and_b32 v20, v20, v25
	v_mov_b32_e32 v25, v15
	s_wait_alu 0xf1ff
	v_xor_b32_e32 v28, s20, v22
	s_delay_alu instid0(VALU_DEP_3) | instskip(SKIP_3) | instid1(VALU_DEP_4)
	v_dual_mov_b32 v24, v14 :: v_dual_and_b32 v29, v20, v21
	v_dual_mov_b32 v27, v13 :: v_dual_mov_b32 v26, v12
	v_mov_b32_e32 v34, v4
	v_lshlrev_b32_e32 v4, 4, v38
	v_dual_mov_b32 v21, v19 :: v_dual_and_b32 v14, v29, v28
	v_mov_b32_e32 v23, v17
	v_dual_mov_b32 v29, v11 :: v_dual_mov_b32 v20, v18
	s_delay_alu instid0(VALU_DEP_3) | instskip(SKIP_3) | instid1(VALU_DEP_4)
	v_mbcnt_lo_u32_b32 v12, v14, 0
	v_cmp_ne_u32_e64 s20, 0, v14
	v_dual_mov_b32 v22, v16 :: v_dual_add_nc_u32 v13, v50, v4
	v_mov_b32_e32 v28, v10
	v_cmp_eq_u32_e32 vcc_lo, 0, v12
	v_mov_b32_e32 v30, v8
	v_mov_b32_e32 v32, v6
	; wave barrier
	s_and_b32 s27, s20, vcc_lo
	s_wait_alu 0xfffe
	s_and_saveexec_b32 s20, s27
; %bb.71:                               ;   in Loop: Header=BB132_70 Depth=1
	v_bcnt_u32_b32 v4, v14, 0
	ds_store_b32 v13, v4 offset:16
; %bb.72:                               ;   in Loop: Header=BB132_70 Depth=1
	s_wait_alu 0xfffe
	s_or_b32 exec_lo, exec_lo, s20
	v_lshrrev_b32_e32 v4, v51, v61
	; wave barrier
	s_delay_alu instid0(VALU_DEP_1) | instskip(NEXT) | instid1(VALU_DEP_1)
	v_and_b32_e32 v4, s23, v4
	v_and_b32_e32 v5, 1, v4
	v_lshlrev_b32_e32 v6, 30, v4
	v_lshlrev_b32_e32 v7, 29, v4
	;; [unrolled: 1-line block ×4, first 2 shown]
	v_add_co_u32 v5, s20, v5, -1
	s_wait_alu 0xf1ff
	v_cndmask_b32_e64 v9, 0, 1, s20
	v_not_b32_e32 v15, v6
	v_cmp_gt_i32_e64 s20, 0, v6
	v_not_b32_e32 v6, v7
	v_lshlrev_b32_e32 v11, 26, v4
	v_cmp_ne_u32_e32 vcc_lo, 0, v9
	v_ashrrev_i32_e32 v15, 31, v15
	v_lshlrev_b32_e32 v14, 25, v4
	v_ashrrev_i32_e32 v6, 31, v6
	v_lshlrev_b32_e32 v9, 24, v4
	s_wait_alu 0xfffd
	v_xor_b32_e32 v5, vcc_lo, v5
	v_cmp_gt_i32_e32 vcc_lo, 0, v7
	v_not_b32_e32 v7, v8
	s_wait_alu 0xf1ff
	v_xor_b32_e32 v15, s20, v15
	v_cmp_gt_i32_e64 s20, 0, v8
	v_and_b32_e32 v5, exec_lo, v5
	v_not_b32_e32 v8, v10
	v_ashrrev_i32_e32 v7, 31, v7
	s_wait_alu 0xfffd
	v_xor_b32_e32 v6, vcc_lo, v6
	v_cmp_gt_i32_e32 vcc_lo, 0, v10
	v_and_b32_e32 v5, v5, v15
	v_not_b32_e32 v10, v11
	v_ashrrev_i32_e32 v8, 31, v8
	s_wait_alu 0xf1ff
	v_xor_b32_e32 v7, s20, v7
	v_cmp_gt_i32_e64 s20, 0, v11
	v_and_b32_e32 v5, v5, v6
	v_not_b32_e32 v6, v14
	v_ashrrev_i32_e32 v10, 31, v10
	s_wait_alu 0xfffd
	v_xor_b32_e32 v8, vcc_lo, v8
	v_cmp_gt_i32_e32 vcc_lo, 0, v14
	v_and_b32_e32 v5, v5, v7
	v_not_b32_e32 v7, v9
	v_ashrrev_i32_e32 v6, 31, v6
	s_wait_alu 0xf1ff
	v_xor_b32_e32 v10, s20, v10
	v_lshlrev_b32_e32 v4, 4, v4
	v_and_b32_e32 v5, v5, v8
	v_cmp_gt_i32_e64 s20, 0, v9
	v_ashrrev_i32_e32 v7, 31, v7
	s_wait_alu 0xfffd
	v_xor_b32_e32 v6, vcc_lo, v6
	v_add_nc_u32_e32 v16, v50, v4
	v_and_b32_e32 v5, v5, v10
	s_wait_alu 0xf1ff
	v_xor_b32_e32 v4, s20, v7
	ds_load_b32 v14, v16 offset:16
	v_and_b32_e32 v5, v5, v6
	; wave barrier
	s_delay_alu instid0(VALU_DEP_1) | instskip(NEXT) | instid1(VALU_DEP_1)
	v_and_b32_e32 v4, v5, v4
	v_mbcnt_lo_u32_b32 v15, v4, 0
	v_cmp_ne_u32_e64 s20, 0, v4
	s_delay_alu instid0(VALU_DEP_2)
	v_cmp_eq_u32_e32 vcc_lo, 0, v15
	s_and_b32 s27, s20, vcc_lo
	s_wait_alu 0xfffe
	s_and_saveexec_b32 s20, s27
	s_cbranch_execz .LBB132_74
; %bb.73:                               ;   in Loop: Header=BB132_70 Depth=1
	s_wait_dscnt 0x0
	v_bcnt_u32_b32 v4, v4, v14
	ds_store_b32 v16, v4 offset:16
.LBB132_74:                             ;   in Loop: Header=BB132_70 Depth=1
	s_wait_alu 0xfffe
	s_or_b32 exec_lo, exec_lo, s20
	v_lshrrev_b32_e32 v4, v51, v60
	; wave barrier
	s_delay_alu instid0(VALU_DEP_1) | instskip(NEXT) | instid1(VALU_DEP_1)
	v_and_b32_e32 v4, s23, v4
	v_and_b32_e32 v5, 1, v4
	v_lshlrev_b32_e32 v6, 30, v4
	v_lshlrev_b32_e32 v7, 29, v4
	;; [unrolled: 1-line block ×4, first 2 shown]
	v_add_co_u32 v5, s20, v5, -1
	s_wait_alu 0xf1ff
	v_cndmask_b32_e64 v9, 0, 1, s20
	v_not_b32_e32 v18, v6
	v_cmp_gt_i32_e64 s20, 0, v6
	v_not_b32_e32 v6, v7
	v_lshlrev_b32_e32 v11, 26, v4
	v_cmp_ne_u32_e32 vcc_lo, 0, v9
	v_ashrrev_i32_e32 v18, 31, v18
	v_lshlrev_b32_e32 v17, 25, v4
	v_ashrrev_i32_e32 v6, 31, v6
	v_lshlrev_b32_e32 v9, 24, v4
	s_wait_alu 0xfffd
	v_xor_b32_e32 v5, vcc_lo, v5
	v_cmp_gt_i32_e32 vcc_lo, 0, v7
	v_not_b32_e32 v7, v8
	s_wait_alu 0xf1ff
	v_xor_b32_e32 v18, s20, v18
	v_cmp_gt_i32_e64 s20, 0, v8
	v_and_b32_e32 v5, exec_lo, v5
	v_not_b32_e32 v8, v10
	v_ashrrev_i32_e32 v7, 31, v7
	s_wait_alu 0xfffd
	v_xor_b32_e32 v6, vcc_lo, v6
	v_cmp_gt_i32_e32 vcc_lo, 0, v10
	v_and_b32_e32 v5, v5, v18
	v_not_b32_e32 v10, v11
	v_ashrrev_i32_e32 v8, 31, v8
	s_wait_alu 0xf1ff
	v_xor_b32_e32 v7, s20, v7
	v_cmp_gt_i32_e64 s20, 0, v11
	v_and_b32_e32 v5, v5, v6
	v_not_b32_e32 v6, v17
	v_ashrrev_i32_e32 v10, 31, v10
	s_wait_alu 0xfffd
	v_xor_b32_e32 v8, vcc_lo, v8
	v_cmp_gt_i32_e32 vcc_lo, 0, v17
	v_and_b32_e32 v5, v5, v7
	v_not_b32_e32 v7, v9
	v_ashrrev_i32_e32 v6, 31, v6
	s_wait_alu 0xf1ff
	v_xor_b32_e32 v10, s20, v10
	v_lshlrev_b32_e32 v4, 4, v4
	v_and_b32_e32 v5, v5, v8
	v_cmp_gt_i32_e64 s20, 0, v9
	v_ashrrev_i32_e32 v7, 31, v7
	s_wait_alu 0xfffd
	v_xor_b32_e32 v6, vcc_lo, v6
	v_add_nc_u32_e32 v19, v50, v4
	v_and_b32_e32 v5, v5, v10
	s_wait_alu 0xf1ff
	v_xor_b32_e32 v4, s20, v7
	ds_load_b32 v17, v19 offset:16
	v_and_b32_e32 v5, v5, v6
	; wave barrier
	s_delay_alu instid0(VALU_DEP_1) | instskip(NEXT) | instid1(VALU_DEP_1)
	v_and_b32_e32 v4, v5, v4
	v_mbcnt_lo_u32_b32 v18, v4, 0
	v_cmp_ne_u32_e64 s20, 0, v4
	s_delay_alu instid0(VALU_DEP_2)
	v_cmp_eq_u32_e32 vcc_lo, 0, v18
	s_and_b32 s27, s20, vcc_lo
	s_wait_alu 0xfffe
	s_and_saveexec_b32 s20, s27
	s_cbranch_execz .LBB132_76
; %bb.75:                               ;   in Loop: Header=BB132_70 Depth=1
	s_wait_dscnt 0x0
	v_bcnt_u32_b32 v4, v4, v17
	ds_store_b32 v19, v4 offset:16
.LBB132_76:                             ;   in Loop: Header=BB132_70 Depth=1
	s_wait_alu 0xfffe
	s_or_b32 exec_lo, exec_lo, s20
	v_lshrrev_b32_e32 v4, v51, v59
	; wave barrier
	s_delay_alu instid0(VALU_DEP_1) | instskip(NEXT) | instid1(VALU_DEP_1)
	v_and_b32_e32 v4, s23, v4
	v_and_b32_e32 v5, 1, v4
	v_lshlrev_b32_e32 v6, 30, v4
	v_lshlrev_b32_e32 v7, 29, v4
	;; [unrolled: 1-line block ×4, first 2 shown]
	v_add_co_u32 v5, s20, v5, -1
	s_wait_alu 0xf1ff
	v_cndmask_b32_e64 v9, 0, 1, s20
	v_not_b32_e32 v39, v6
	v_cmp_gt_i32_e64 s20, 0, v6
	v_not_b32_e32 v6, v7
	v_lshlrev_b32_e32 v11, 26, v4
	v_cmp_ne_u32_e32 vcc_lo, 0, v9
	v_ashrrev_i32_e32 v39, 31, v39
	v_lshlrev_b32_e32 v38, 25, v4
	v_ashrrev_i32_e32 v6, 31, v6
	v_lshlrev_b32_e32 v9, 24, v4
	s_wait_alu 0xfffd
	v_xor_b32_e32 v5, vcc_lo, v5
	v_cmp_gt_i32_e32 vcc_lo, 0, v7
	v_not_b32_e32 v7, v8
	s_wait_alu 0xf1ff
	v_xor_b32_e32 v39, s20, v39
	v_cmp_gt_i32_e64 s20, 0, v8
	v_and_b32_e32 v5, exec_lo, v5
	v_not_b32_e32 v8, v10
	v_ashrrev_i32_e32 v7, 31, v7
	s_wait_alu 0xfffd
	v_xor_b32_e32 v6, vcc_lo, v6
	v_cmp_gt_i32_e32 vcc_lo, 0, v10
	v_and_b32_e32 v5, v5, v39
	v_not_b32_e32 v10, v11
	v_ashrrev_i32_e32 v8, 31, v8
	s_wait_alu 0xf1ff
	v_xor_b32_e32 v7, s20, v7
	v_cmp_gt_i32_e64 s20, 0, v11
	v_and_b32_e32 v5, v5, v6
	v_not_b32_e32 v6, v38
	v_ashrrev_i32_e32 v10, 31, v10
	s_wait_alu 0xfffd
	v_xor_b32_e32 v8, vcc_lo, v8
	v_cmp_gt_i32_e32 vcc_lo, 0, v38
	v_and_b32_e32 v5, v5, v7
	v_not_b32_e32 v7, v9
	v_ashrrev_i32_e32 v6, 31, v6
	s_wait_alu 0xf1ff
	v_xor_b32_e32 v10, s20, v10
	v_lshlrev_b32_e32 v4, 4, v4
	v_and_b32_e32 v5, v5, v8
	v_cmp_gt_i32_e64 s20, 0, v9
	v_ashrrev_i32_e32 v7, 31, v7
	s_wait_alu 0xfffd
	v_xor_b32_e32 v6, vcc_lo, v6
	v_add_nc_u32_e32 v43, v50, v4
	v_and_b32_e32 v5, v5, v10
	s_wait_alu 0xf1ff
	v_xor_b32_e32 v4, s20, v7
	ds_load_b32 v38, v43 offset:16
	v_and_b32_e32 v5, v5, v6
	; wave barrier
	s_delay_alu instid0(VALU_DEP_1) | instskip(NEXT) | instid1(VALU_DEP_1)
	v_and_b32_e32 v4, v5, v4
	v_mbcnt_lo_u32_b32 v39, v4, 0
	v_cmp_ne_u32_e64 s20, 0, v4
	s_delay_alu instid0(VALU_DEP_2)
	v_cmp_eq_u32_e32 vcc_lo, 0, v39
	s_and_b32 s27, s20, vcc_lo
	s_wait_alu 0xfffe
	s_and_saveexec_b32 s20, s27
	s_cbranch_execz .LBB132_78
; %bb.77:                               ;   in Loop: Header=BB132_70 Depth=1
	s_wait_dscnt 0x0
	v_bcnt_u32_b32 v4, v4, v38
	ds_store_b32 v43, v4 offset:16
.LBB132_78:                             ;   in Loop: Header=BB132_70 Depth=1
	s_wait_alu 0xfffe
	s_or_b32 exec_lo, exec_lo, s20
	v_lshrrev_b32_e32 v4, v51, v58
	; wave barrier
	s_delay_alu instid0(VALU_DEP_1) | instskip(NEXT) | instid1(VALU_DEP_1)
	v_and_b32_e32 v4, s23, v4
	v_and_b32_e32 v5, 1, v4
	v_lshlrev_b32_e32 v6, 30, v4
	v_lshlrev_b32_e32 v7, 29, v4
	v_lshlrev_b32_e32 v8, 28, v4
	v_lshlrev_b32_e32 v10, 27, v4
	v_add_co_u32 v5, s20, v5, -1
	s_wait_alu 0xf1ff
	v_cndmask_b32_e64 v9, 0, 1, s20
	v_not_b32_e32 v45, v6
	v_cmp_gt_i32_e64 s20, 0, v6
	v_not_b32_e32 v6, v7
	v_lshlrev_b32_e32 v11, 26, v4
	v_cmp_ne_u32_e32 vcc_lo, 0, v9
	v_ashrrev_i32_e32 v45, 31, v45
	v_lshlrev_b32_e32 v44, 25, v4
	v_ashrrev_i32_e32 v6, 31, v6
	v_lshlrev_b32_e32 v9, 24, v4
	s_wait_alu 0xfffd
	v_xor_b32_e32 v5, vcc_lo, v5
	v_cmp_gt_i32_e32 vcc_lo, 0, v7
	v_not_b32_e32 v7, v8
	s_wait_alu 0xf1ff
	v_xor_b32_e32 v45, s20, v45
	v_cmp_gt_i32_e64 s20, 0, v8
	v_and_b32_e32 v5, exec_lo, v5
	v_not_b32_e32 v8, v10
	v_ashrrev_i32_e32 v7, 31, v7
	s_wait_alu 0xfffd
	v_xor_b32_e32 v6, vcc_lo, v6
	v_cmp_gt_i32_e32 vcc_lo, 0, v10
	v_and_b32_e32 v5, v5, v45
	v_not_b32_e32 v10, v11
	v_ashrrev_i32_e32 v8, 31, v8
	s_wait_alu 0xf1ff
	v_xor_b32_e32 v7, s20, v7
	v_cmp_gt_i32_e64 s20, 0, v11
	v_and_b32_e32 v5, v5, v6
	v_not_b32_e32 v6, v44
	v_ashrrev_i32_e32 v10, 31, v10
	s_wait_alu 0xfffd
	v_xor_b32_e32 v8, vcc_lo, v8
	v_cmp_gt_i32_e32 vcc_lo, 0, v44
	v_and_b32_e32 v5, v5, v7
	v_not_b32_e32 v7, v9
	v_ashrrev_i32_e32 v6, 31, v6
	s_wait_alu 0xf1ff
	v_xor_b32_e32 v10, s20, v10
	v_lshlrev_b32_e32 v4, 4, v4
	v_and_b32_e32 v5, v5, v8
	v_cmp_gt_i32_e64 s20, 0, v9
	v_ashrrev_i32_e32 v7, 31, v7
	s_wait_alu 0xfffd
	v_xor_b32_e32 v6, vcc_lo, v6
	v_add_nc_u32_e32 v46, v50, v4
	v_and_b32_e32 v5, v5, v10
	s_wait_alu 0xf1ff
	v_xor_b32_e32 v4, s20, v7
	ds_load_b32 v44, v46 offset:16
	v_and_b32_e32 v5, v5, v6
	; wave barrier
	s_delay_alu instid0(VALU_DEP_1) | instskip(NEXT) | instid1(VALU_DEP_1)
	v_and_b32_e32 v4, v5, v4
	v_mbcnt_lo_u32_b32 v45, v4, 0
	v_cmp_ne_u32_e64 s20, 0, v4
	s_delay_alu instid0(VALU_DEP_2)
	v_cmp_eq_u32_e32 vcc_lo, 0, v45
	s_and_b32 s27, s20, vcc_lo
	s_wait_alu 0xfffe
	s_and_saveexec_b32 s20, s27
	s_cbranch_execz .LBB132_80
; %bb.79:                               ;   in Loop: Header=BB132_70 Depth=1
	s_wait_dscnt 0x0
	v_bcnt_u32_b32 v4, v4, v44
	ds_store_b32 v46, v4 offset:16
.LBB132_80:                             ;   in Loop: Header=BB132_70 Depth=1
	s_wait_alu 0xfffe
	s_or_b32 exec_lo, exec_lo, s20
	v_lshrrev_b32_e32 v4, v51, v57
	; wave barrier
	s_delay_alu instid0(VALU_DEP_1) | instskip(NEXT) | instid1(VALU_DEP_1)
	v_and_b32_e32 v4, s23, v4
	v_and_b32_e32 v5, 1, v4
	v_lshlrev_b32_e32 v6, 30, v4
	v_lshlrev_b32_e32 v7, 29, v4
	;; [unrolled: 1-line block ×4, first 2 shown]
	v_add_co_u32 v5, s20, v5, -1
	s_wait_alu 0xf1ff
	v_cndmask_b32_e64 v9, 0, 1, s20
	v_not_b32_e32 v48, v6
	v_cmp_gt_i32_e64 s20, 0, v6
	v_not_b32_e32 v6, v7
	v_lshlrev_b32_e32 v11, 26, v4
	v_cmp_ne_u32_e32 vcc_lo, 0, v9
	v_ashrrev_i32_e32 v48, 31, v48
	v_lshlrev_b32_e32 v47, 25, v4
	v_ashrrev_i32_e32 v6, 31, v6
	v_lshlrev_b32_e32 v9, 24, v4
	s_wait_alu 0xfffd
	v_xor_b32_e32 v5, vcc_lo, v5
	v_cmp_gt_i32_e32 vcc_lo, 0, v7
	v_not_b32_e32 v7, v8
	s_wait_alu 0xf1ff
	v_xor_b32_e32 v48, s20, v48
	v_cmp_gt_i32_e64 s20, 0, v8
	v_and_b32_e32 v5, exec_lo, v5
	v_not_b32_e32 v8, v10
	v_ashrrev_i32_e32 v7, 31, v7
	s_wait_alu 0xfffd
	v_xor_b32_e32 v6, vcc_lo, v6
	v_cmp_gt_i32_e32 vcc_lo, 0, v10
	v_and_b32_e32 v5, v5, v48
	v_not_b32_e32 v10, v11
	v_ashrrev_i32_e32 v8, 31, v8
	s_wait_alu 0xf1ff
	v_xor_b32_e32 v7, s20, v7
	v_cmp_gt_i32_e64 s20, 0, v11
	v_and_b32_e32 v5, v5, v6
	v_not_b32_e32 v6, v47
	v_ashrrev_i32_e32 v10, 31, v10
	s_wait_alu 0xfffd
	v_xor_b32_e32 v8, vcc_lo, v8
	v_cmp_gt_i32_e32 vcc_lo, 0, v47
	v_and_b32_e32 v5, v5, v7
	v_not_b32_e32 v7, v9
	v_ashrrev_i32_e32 v6, 31, v6
	s_wait_alu 0xf1ff
	v_xor_b32_e32 v10, s20, v10
	v_lshlrev_b32_e32 v4, 4, v4
	v_and_b32_e32 v5, v5, v8
	v_cmp_gt_i32_e64 s20, 0, v9
	v_ashrrev_i32_e32 v7, 31, v7
	s_wait_alu 0xfffd
	v_xor_b32_e32 v6, vcc_lo, v6
	v_add_nc_u32_e32 v62, v50, v4
	v_and_b32_e32 v5, v5, v10
	s_wait_alu 0xf1ff
	v_xor_b32_e32 v4, s20, v7
	ds_load_b32 v47, v62 offset:16
	v_and_b32_e32 v5, v5, v6
	; wave barrier
	s_delay_alu instid0(VALU_DEP_1) | instskip(NEXT) | instid1(VALU_DEP_1)
	v_and_b32_e32 v4, v5, v4
	v_mbcnt_lo_u32_b32 v48, v4, 0
	v_cmp_ne_u32_e64 s20, 0, v4
	s_delay_alu instid0(VALU_DEP_2)
	v_cmp_eq_u32_e32 vcc_lo, 0, v48
	s_and_b32 s27, s20, vcc_lo
	s_wait_alu 0xfffe
	s_and_saveexec_b32 s20, s27
	s_cbranch_execz .LBB132_82
; %bb.81:                               ;   in Loop: Header=BB132_70 Depth=1
	s_wait_dscnt 0x0
	v_bcnt_u32_b32 v4, v4, v47
	ds_store_b32 v62, v4 offset:16
.LBB132_82:                             ;   in Loop: Header=BB132_70 Depth=1
	s_wait_alu 0xfffe
	s_or_b32 exec_lo, exec_lo, s20
	v_lshrrev_b32_e32 v4, v51, v56
	; wave barrier
	s_delay_alu instid0(VALU_DEP_1) | instskip(NEXT) | instid1(VALU_DEP_1)
	v_and_b32_e32 v4, s23, v4
	v_and_b32_e32 v5, 1, v4
	v_lshlrev_b32_e32 v6, 30, v4
	v_lshlrev_b32_e32 v7, 29, v4
	;; [unrolled: 1-line block ×4, first 2 shown]
	v_add_co_u32 v5, s20, v5, -1
	s_wait_alu 0xf1ff
	v_cndmask_b32_e64 v9, 0, 1, s20
	v_not_b32_e32 v64, v6
	v_cmp_gt_i32_e64 s20, 0, v6
	v_not_b32_e32 v6, v7
	v_lshlrev_b32_e32 v11, 26, v4
	v_cmp_ne_u32_e32 vcc_lo, 0, v9
	v_ashrrev_i32_e32 v64, 31, v64
	v_lshlrev_b32_e32 v63, 25, v4
	v_ashrrev_i32_e32 v6, 31, v6
	v_lshlrev_b32_e32 v9, 24, v4
	s_wait_alu 0xfffd
	v_xor_b32_e32 v5, vcc_lo, v5
	v_cmp_gt_i32_e32 vcc_lo, 0, v7
	v_not_b32_e32 v7, v8
	s_wait_alu 0xf1ff
	v_xor_b32_e32 v64, s20, v64
	v_cmp_gt_i32_e64 s20, 0, v8
	v_and_b32_e32 v5, exec_lo, v5
	v_not_b32_e32 v8, v10
	v_ashrrev_i32_e32 v7, 31, v7
	s_wait_alu 0xfffd
	v_xor_b32_e32 v6, vcc_lo, v6
	v_cmp_gt_i32_e32 vcc_lo, 0, v10
	v_and_b32_e32 v5, v5, v64
	v_not_b32_e32 v10, v11
	v_ashrrev_i32_e32 v8, 31, v8
	s_wait_alu 0xf1ff
	v_xor_b32_e32 v7, s20, v7
	v_cmp_gt_i32_e64 s20, 0, v11
	v_and_b32_e32 v5, v5, v6
	v_not_b32_e32 v6, v63
	v_ashrrev_i32_e32 v10, 31, v10
	s_wait_alu 0xfffd
	v_xor_b32_e32 v8, vcc_lo, v8
	v_cmp_gt_i32_e32 vcc_lo, 0, v63
	v_and_b32_e32 v5, v5, v7
	v_not_b32_e32 v7, v9
	v_ashrrev_i32_e32 v6, 31, v6
	s_wait_alu 0xf1ff
	v_xor_b32_e32 v10, s20, v10
	v_lshlrev_b32_e32 v4, 4, v4
	v_and_b32_e32 v5, v5, v8
	v_cmp_gt_i32_e64 s20, 0, v9
	v_ashrrev_i32_e32 v7, 31, v7
	s_wait_alu 0xfffd
	v_xor_b32_e32 v6, vcc_lo, v6
	v_add_nc_u32_e32 v65, v50, v4
	v_and_b32_e32 v5, v5, v10
	s_wait_alu 0xf1ff
	v_xor_b32_e32 v4, s20, v7
	ds_load_b32 v63, v65 offset:16
	v_and_b32_e32 v5, v5, v6
	; wave barrier
	s_delay_alu instid0(VALU_DEP_1) | instskip(NEXT) | instid1(VALU_DEP_1)
	v_and_b32_e32 v4, v5, v4
	v_mbcnt_lo_u32_b32 v64, v4, 0
	v_cmp_ne_u32_e64 s20, 0, v4
	s_delay_alu instid0(VALU_DEP_2)
	v_cmp_eq_u32_e32 vcc_lo, 0, v64
	s_and_b32 s27, s20, vcc_lo
	s_wait_alu 0xfffe
	s_and_saveexec_b32 s20, s27
	s_cbranch_execz .LBB132_84
; %bb.83:                               ;   in Loop: Header=BB132_70 Depth=1
	s_wait_dscnt 0x0
	v_bcnt_u32_b32 v4, v4, v63
	ds_store_b32 v65, v4 offset:16
.LBB132_84:                             ;   in Loop: Header=BB132_70 Depth=1
	s_wait_alu 0xfffe
	s_or_b32 exec_lo, exec_lo, s20
	v_lshrrev_b32_e32 v4, v51, v55
	; wave barrier
	s_delay_alu instid0(VALU_DEP_1) | instskip(NEXT) | instid1(VALU_DEP_1)
	v_and_b32_e32 v4, s23, v4
	v_and_b32_e32 v5, 1, v4
	v_lshlrev_b32_e32 v6, 30, v4
	v_lshlrev_b32_e32 v7, 29, v4
	;; [unrolled: 1-line block ×4, first 2 shown]
	v_add_co_u32 v5, s20, v5, -1
	s_wait_alu 0xf1ff
	v_cndmask_b32_e64 v9, 0, 1, s20
	v_not_b32_e32 v67, v6
	v_cmp_gt_i32_e64 s20, 0, v6
	v_not_b32_e32 v6, v7
	v_lshlrev_b32_e32 v11, 26, v4
	v_cmp_ne_u32_e32 vcc_lo, 0, v9
	v_ashrrev_i32_e32 v67, 31, v67
	v_lshlrev_b32_e32 v66, 25, v4
	v_ashrrev_i32_e32 v6, 31, v6
	v_lshlrev_b32_e32 v9, 24, v4
	s_wait_alu 0xfffd
	v_xor_b32_e32 v5, vcc_lo, v5
	v_cmp_gt_i32_e32 vcc_lo, 0, v7
	v_not_b32_e32 v7, v8
	s_wait_alu 0xf1ff
	v_xor_b32_e32 v67, s20, v67
	v_cmp_gt_i32_e64 s20, 0, v8
	v_and_b32_e32 v5, exec_lo, v5
	v_not_b32_e32 v8, v10
	v_ashrrev_i32_e32 v7, 31, v7
	s_wait_alu 0xfffd
	v_xor_b32_e32 v6, vcc_lo, v6
	v_cmp_gt_i32_e32 vcc_lo, 0, v10
	v_and_b32_e32 v5, v5, v67
	v_not_b32_e32 v10, v11
	v_ashrrev_i32_e32 v8, 31, v8
	s_wait_alu 0xf1ff
	v_xor_b32_e32 v7, s20, v7
	v_cmp_gt_i32_e64 s20, 0, v11
	v_and_b32_e32 v5, v5, v6
	v_not_b32_e32 v6, v66
	v_ashrrev_i32_e32 v10, 31, v10
	s_wait_alu 0xfffd
	v_xor_b32_e32 v8, vcc_lo, v8
	v_cmp_gt_i32_e32 vcc_lo, 0, v66
	v_and_b32_e32 v5, v5, v7
	v_not_b32_e32 v7, v9
	v_ashrrev_i32_e32 v6, 31, v6
	s_wait_alu 0xf1ff
	v_xor_b32_e32 v10, s20, v10
	v_lshlrev_b32_e32 v4, 4, v4
	v_and_b32_e32 v5, v5, v8
	v_cmp_gt_i32_e64 s20, 0, v9
	v_ashrrev_i32_e32 v7, 31, v7
	s_wait_alu 0xfffd
	v_xor_b32_e32 v6, vcc_lo, v6
	v_add_nc_u32_e32 v66, v50, v4
	v_and_b32_e32 v5, v5, v10
	s_wait_alu 0xf1ff
	v_xor_b32_e32 v4, s20, v7
	ds_load_b32 v71, v66 offset:16
	v_and_b32_e32 v5, v5, v6
	; wave barrier
	s_delay_alu instid0(VALU_DEP_1) | instskip(NEXT) | instid1(VALU_DEP_1)
	v_and_b32_e32 v4, v5, v4
	v_mbcnt_lo_u32_b32 v72, v4, 0
	v_cmp_ne_u32_e64 s20, 0, v4
	s_delay_alu instid0(VALU_DEP_2)
	v_cmp_eq_u32_e32 vcc_lo, 0, v72
	s_and_b32 s23, s20, vcc_lo
	s_wait_alu 0xfffe
	s_and_saveexec_b32 s20, s23
	s_cbranch_execz .LBB132_86
; %bb.85:                               ;   in Loop: Header=BB132_70 Depth=1
	s_wait_dscnt 0x0
	v_bcnt_u32_b32 v4, v4, v71
	ds_store_b32 v66, v4 offset:16
.LBB132_86:                             ;   in Loop: Header=BB132_70 Depth=1
	s_wait_alu 0xfffe
	s_or_b32 exec_lo, exec_lo, s20
	; wave barrier
	s_wait_loadcnt_dscnt 0x0
	s_barrier_signal -1
	s_barrier_wait -1
	global_inv scope:SCOPE_SE
	ds_load_b128 v[8:11], v90 offset:16
	ds_load_b128 v[4:7], v90 offset:32
	s_wait_dscnt 0x1
	v_add_nc_u32_e32 v67, v9, v8
	s_delay_alu instid0(VALU_DEP_1) | instskip(SKIP_1) | instid1(VALU_DEP_1)
	v_add3_u32 v67, v67, v10, v11
	s_wait_dscnt 0x0
	v_add3_u32 v67, v67, v4, v5
	s_delay_alu instid0(VALU_DEP_1) | instskip(NEXT) | instid1(VALU_DEP_1)
	v_add3_u32 v7, v67, v6, v7
	v_mov_b32_dpp v67, v7 row_shr:1 row_mask:0xf bank_mask:0xf
	s_delay_alu instid0(VALU_DEP_1) | instskip(NEXT) | instid1(VALU_DEP_1)
	v_cndmask_b32_e64 v67, v67, 0, s1
	v_add_nc_u32_e32 v7, v67, v7
	s_delay_alu instid0(VALU_DEP_1) | instskip(NEXT) | instid1(VALU_DEP_1)
	v_mov_b32_dpp v67, v7 row_shr:2 row_mask:0xf bank_mask:0xf
	v_cndmask_b32_e64 v67, 0, v67, s10
	s_delay_alu instid0(VALU_DEP_1) | instskip(NEXT) | instid1(VALU_DEP_1)
	v_add_nc_u32_e32 v7, v7, v67
	v_mov_b32_dpp v67, v7 row_shr:4 row_mask:0xf bank_mask:0xf
	s_delay_alu instid0(VALU_DEP_1) | instskip(NEXT) | instid1(VALU_DEP_1)
	v_cndmask_b32_e64 v67, 0, v67, s11
	v_add_nc_u32_e32 v7, v7, v67
	s_delay_alu instid0(VALU_DEP_1) | instskip(NEXT) | instid1(VALU_DEP_1)
	v_mov_b32_dpp v67, v7 row_shr:8 row_mask:0xf bank_mask:0xf
	v_cndmask_b32_e64 v67, 0, v67, s12
	s_delay_alu instid0(VALU_DEP_1) | instskip(SKIP_3) | instid1(VALU_DEP_1)
	v_add_nc_u32_e32 v7, v7, v67
	ds_swizzle_b32 v67, v7 offset:swizzle(BROADCAST,32,15)
	s_wait_dscnt 0x0
	v_cndmask_b32_e64 v67, v67, 0, s13
	v_add_nc_u32_e32 v7, v7, v67
	s_and_saveexec_b32 s20, s14
; %bb.87:                               ;   in Loop: Header=BB132_70 Depth=1
	ds_store_b32 v92, v7
; %bb.88:                               ;   in Loop: Header=BB132_70 Depth=1
	s_wait_alu 0xfffe
	s_or_b32 exec_lo, exec_lo, s20
	s_wait_loadcnt_dscnt 0x0
	s_barrier_signal -1
	s_barrier_wait -1
	global_inv scope:SCOPE_SE
	s_and_saveexec_b32 s20, s15
	s_cbranch_execz .LBB132_90
; %bb.89:                               ;   in Loop: Header=BB132_70 Depth=1
	ds_load_b32 v67, v52
	s_wait_dscnt 0x0
	v_mov_b32_dpp v68, v67 row_shr:1 row_mask:0xf bank_mask:0xf
	s_delay_alu instid0(VALU_DEP_1) | instskip(NEXT) | instid1(VALU_DEP_1)
	v_cndmask_b32_e64 v68, v68, 0, s18
	v_add_nc_u32_e32 v67, v68, v67
	s_delay_alu instid0(VALU_DEP_1) | instskip(NEXT) | instid1(VALU_DEP_1)
	v_mov_b32_dpp v68, v67 row_shr:2 row_mask:0xf bank_mask:0xf
	v_cndmask_b32_e64 v68, 0, v68, s19
	s_delay_alu instid0(VALU_DEP_1)
	v_add_nc_u32_e32 v67, v67, v68
	ds_store_b32 v52, v67
.LBB132_90:                             ;   in Loop: Header=BB132_70 Depth=1
	s_wait_alu 0xfffe
	s_or_b32 exec_lo, exec_lo, s20
	v_mov_b32_e32 v67, 0
	s_wait_loadcnt_dscnt 0x0
	s_barrier_signal -1
	s_barrier_wait -1
	global_inv scope:SCOPE_SE
	s_and_saveexec_b32 s20, s16
; %bb.91:                               ;   in Loop: Header=BB132_70 Depth=1
	ds_load_b32 v67, v49
; %bb.92:                               ;   in Loop: Header=BB132_70 Depth=1
	s_wait_alu 0xfffe
	s_or_b32 exec_lo, exec_lo, s20
	s_wait_dscnt 0x0
	v_add_nc_u32_e32 v7, v67, v7
	v_cmp_lt_u32_e32 vcc_lo, 23, v51
	v_readfirstlane_b32 s20, v0
	s_mov_b32 s23, -1
	ds_bpermute_b32 v7, v36, v7
	s_and_b32 vcc_lo, exec_lo, vcc_lo
	s_wait_dscnt 0x0
	v_cndmask_b32_e64 v7, v7, v67, s9
	s_delay_alu instid0(VALU_DEP_1) | instskip(NEXT) | instid1(VALU_DEP_1)
	v_cndmask_b32_e64 v7, v7, 0, s17
	v_add_nc_u32_e32 v8, v7, v8
	s_delay_alu instid0(VALU_DEP_1) | instskip(NEXT) | instid1(VALU_DEP_1)
	v_add_nc_u32_e32 v9, v8, v9
	v_add_nc_u32_e32 v10, v9, v10
	s_delay_alu instid0(VALU_DEP_1) | instskip(NEXT) | instid1(VALU_DEP_1)
	v_add_nc_u32_e32 v67, v10, v11
	;; [unrolled: 3-line block ×3, first 2 shown]
	v_add_nc_u32_e32 v70, v69, v6
	ds_store_b128 v90, v[7:10] offset:16
	ds_store_b128 v90, v[67:70] offset:32
	s_wait_loadcnt_dscnt 0x0
	s_barrier_signal -1
	s_barrier_wait -1
	global_inv scope:SCOPE_SE
	ds_load_b32 v4, v13 offset:16
	ds_load_b32 v5, v16 offset:16
	;; [unrolled: 1-line block ×8, first 2 shown]
	s_wait_dscnt 0x7
	v_add_nc_u32_e32 v70, v4, v12
	s_wait_dscnt 0x6
	v_add3_u32 v69, v15, v14, v5
	s_wait_dscnt 0x5
	v_add3_u32 v68, v18, v17, v6
	;; [unrolled: 2-line block ×7, first 2 shown]
                                        ; implicit-def: $vgpr48
                                        ; implicit-def: $vgpr46
                                        ; implicit-def: $vgpr44
                                        ; implicit-def: $vgpr39
                                        ; implicit-def: $vgpr18_vgpr19
                                        ; implicit-def: $vgpr14_vgpr15
                                        ; implicit-def: $vgpr10_vgpr11
                                        ; implicit-def: $vgpr6_vgpr7
	s_wait_alu 0xfffe
	s_cbranch_vccnz .LBB132_69
; %bb.93:                               ;   in Loop: Header=BB132_70 Depth=1
	v_lshlrev_b32_e32 v4, 2, v70
	v_lshlrev_b32_e32 v5, 2, v69
	;; [unrolled: 1-line block ×3, first 2 shown]
	s_wait_loadcnt 0x0
	s_barrier_signal -1
	s_barrier_wait -1
	global_inv scope:SCOPE_SE
	ds_store_b32 v4, v54
	ds_store_b32 v5, v61
	;; [unrolled: 1-line block ×3, first 2 shown]
	v_lshlrev_b32_e32 v7, 2, v67
	v_add_nc_u32_e32 v4, v4, v4
	v_lshlrev_b32_e32 v8, 2, v66
	v_add_nc_u32_e32 v5, v5, v5
	;; [unrolled: 2-line block ×3, first 2 shown]
	v_lshlrev_b32_e32 v10, 2, v63
	v_lshlrev_b32_e32 v11, 2, v62
	ds_store_b32 v7, v59
	ds_store_b32 v8, v58
	ds_store_b32 v9, v57
	ds_store_b32 v10, v56
	ds_store_b32 v11, v55
	s_wait_loadcnt_dscnt 0x0
	s_barrier_signal -1
	s_barrier_wait -1
	global_inv scope:SCOPE_SE
	ds_load_2addr_b32 v[38:39], v91 offset1:32
	ds_load_2addr_b32 v[43:44], v91 offset0:64 offset1:96
	ds_load_2addr_b32 v[45:46], v91 offset0:128 offset1:160
	;; [unrolled: 1-line block ×3, first 2 shown]
	s_wait_loadcnt_dscnt 0x0
	s_barrier_signal -1
	s_barrier_wait -1
	global_inv scope:SCOPE_SE
	ds_store_b64 v4, v[34:35]
	ds_store_b64 v5, v[32:33]
	;; [unrolled: 1-line block ×3, first 2 shown]
	v_add_nc_u32_e32 v4, v7, v7
	v_add_nc_u32_e32 v5, v8, v8
	;; [unrolled: 1-line block ×5, first 2 shown]
	ds_store_b64 v4, v[28:29]
	ds_store_b64 v5, v[26:27]
	;; [unrolled: 1-line block ×5, first 2 shown]
	s_wait_loadcnt_dscnt 0x0
	s_barrier_signal -1
	s_barrier_wait -1
	global_inv scope:SCOPE_SE
	ds_load_2addr_b64 v[4:7], v53 offset1:32
	ds_load_2addr_b64 v[8:11], v53 offset0:64 offset1:96
	ds_load_2addr_b64 v[12:15], v53 offset0:128 offset1:160
	;; [unrolled: 1-line block ×3, first 2 shown]
	v_add_nc_u32_e32 v51, 8, v51
	s_add_co_i32 s20, s22, -8
	s_mov_b32 s23, 0
	s_wait_loadcnt_dscnt 0x0
	s_barrier_signal -1
	s_barrier_wait -1
	global_inv scope:SCOPE_SE
	s_branch .LBB132_69
.LBB132_94:
	v_lshlrev_b32_e32 v8, 2, v70
	v_lshlrev_b32_e32 v9, 2, v69
	;; [unrolled: 1-line block ×3, first 2 shown]
	s_wait_loadcnt 0x0
	s_barrier_signal -1
	s_barrier_wait -1
	global_inv scope:SCOPE_SE
	ds_store_b32 v8, v54
	ds_store_b32 v9, v61
	;; [unrolled: 1-line block ×3, first 2 shown]
	v_lshlrev_b32_e32 v11, 2, v67
	v_add_nc_u32_e32 v8, v8, v8
	v_lshlrev_b32_e32 v12, 2, v66
	v_add_nc_u32_e32 v9, v9, v9
	;; [unrolled: 2-line block ×3, first 2 shown]
	v_lshlrev_b32_e32 v14, 2, v63
	v_lshlrev_b32_e32 v15, 2, v62
	ds_store_b32 v11, v59
	ds_store_b32 v12, v58
	ds_store_b32 v13, v57
	ds_store_b32 v14, v56
	ds_store_b32 v15, v55
	s_wait_loadcnt_dscnt 0x0
	s_barrier_signal -1
	s_barrier_wait -1
	global_inv scope:SCOPE_SE
	ds_load_b128 v[0:3], v90
	ds_load_b128 v[4:7], v90 offset:16
	s_wait_loadcnt_dscnt 0x0
	s_barrier_signal -1
	s_barrier_wait -1
	global_inv scope:SCOPE_SE
	ds_store_b64 v8, v[34:35]
	ds_store_b64 v9, v[32:33]
	ds_store_b64 v10, v[30:31]
	v_add_nc_u32_e32 v8, v11, v11
	v_add_nc_u32_e32 v9, v12, v12
	;; [unrolled: 1-line block ×5, first 2 shown]
	ds_store_b64 v8, v[28:29]
	ds_store_b64 v9, v[26:27]
	;; [unrolled: 1-line block ×5, first 2 shown]
	v_lshl_add_u32 v8, v42, 5, v90
	s_wait_loadcnt_dscnt 0x0
	s_barrier_signal -1
	s_barrier_wait -1
	global_inv scope:SCOPE_SE
	ds_load_b128 v[29:32], v8
	ds_load_b128 v[25:28], v8 offset:16
	ds_load_b128 v[21:24], v8 offset:32
	;; [unrolled: 1-line block ×3, first 2 shown]
	v_xor_b32_e32 v33, 0x7fffffff, v0
	v_xor_b32_e32 v35, 0x7fffffff, v1
	;; [unrolled: 1-line block ×8, first 2 shown]
.LBB132_95:
	s_wait_loadcnt_dscnt 0x0
	s_barrier_signal -1
	s_barrier_wait -1
	global_inv scope:SCOPE_SE
	ds_store_2addr_b32 v80, v33, v35 offset1:1
	ds_store_2addr_b32 v80, v34, v38 offset0:2 offset1:3
	ds_store_2addr_b32 v80, v36, v51 offset0:4 offset1:5
	;; [unrolled: 1-line block ×3, first 2 shown]
	s_wait_loadcnt_dscnt 0x0
	s_barrier_signal -1
	s_barrier_wait -1
	global_inv scope:SCOPE_SE
	ds_load_b32 v8, v41 offset:512
	ds_load_b32 v7, v74 offset:1024
	;; [unrolled: 1-line block ×7, first 2 shown]
	v_mov_b32_e32 v41, 0
	s_delay_alu instid0(VALU_DEP_1) | instskip(NEXT) | instid1(VALU_DEP_1)
	v_lshlrev_b64_e32 v[0:1], 2, v[40:41]
	v_add_co_u32 v0, vcc_lo, s30, v0
	s_wait_alu 0xfffd
	s_delay_alu instid0(VALU_DEP_2)
	v_add_co_ci_u32_e64 v1, null, s31, v1, vcc_lo
	s_and_saveexec_b32 s1, s2
	s_cbranch_execnz .LBB132_114
; %bb.96:
	s_wait_alu 0xfffe
	s_or_b32 exec_lo, exec_lo, s1
	s_and_saveexec_b32 s1, s3
	s_cbranch_execnz .LBB132_115
.LBB132_97:
	s_wait_alu 0xfffe
	s_or_b32 exec_lo, exec_lo, s1
	s_and_saveexec_b32 s1, s4
	s_cbranch_execnz .LBB132_116
.LBB132_98:
	s_wait_alu 0xfffe
	s_or_b32 exec_lo, exec_lo, s1
	s_and_saveexec_b32 s1, s5
	s_cbranch_execnz .LBB132_117
.LBB132_99:
	s_wait_alu 0xfffe
	s_or_b32 exec_lo, exec_lo, s1
	s_and_saveexec_b32 s1, s6
	s_cbranch_execnz .LBB132_118
.LBB132_100:
	s_wait_alu 0xfffe
	s_or_b32 exec_lo, exec_lo, s1
	s_and_saveexec_b32 s1, s7
	s_cbranch_execnz .LBB132_119
.LBB132_101:
	s_wait_alu 0xfffe
	s_or_b32 exec_lo, exec_lo, s1
	s_and_saveexec_b32 s1, s8
	s_cbranch_execnz .LBB132_120
.LBB132_102:
	s_wait_alu 0xfffe
	s_or_b32 exec_lo, exec_lo, s1
	s_and_saveexec_b32 s1, s0
	s_cbranch_execz .LBB132_104
.LBB132_103:
	s_mul_i32 s10, s26, 0x380
	s_mov_b32 s11, 0
	s_wait_alu 0xfffe
	s_lshl_b64 s[10:11], s[10:11], 2
	s_wait_alu 0xfffe
	v_add_co_u32 v0, vcc_lo, v0, s10
	s_wait_alu 0xfffd
	v_add_co_ci_u32_e64 v1, null, s11, v1, vcc_lo
	s_wait_dscnt 0x0
	global_store_b32 v[0:1], v2, off
.LBB132_104:
	s_wait_alu 0xfffe
	s_or_b32 exec_lo, exec_lo, s1
	s_wait_storecnt 0x0
	s_wait_loadcnt_dscnt 0x0
	s_barrier_signal -1
	s_barrier_wait -1
	global_inv scope:SCOPE_SE
	ds_store_2addr_b64 v89, v[29:30], v[31:32] offset1:1
	ds_store_2addr_b64 v89, v[25:26], v[27:28] offset0:2 offset1:3
	ds_store_2addr_b64 v89, v[21:22], v[23:24] offset0:4 offset1:5
	;; [unrolled: 1-line block ×3, first 2 shown]
	s_wait_loadcnt_dscnt 0x0
	s_barrier_signal -1
	s_barrier_wait -1
	global_inv scope:SCOPE_SE
	ds_load_b64 v[14:15], v82 offset:1024
	ds_load_b64 v[12:13], v83 offset:2048
	;; [unrolled: 1-line block ×7, first 2 shown]
	v_mov_b32_e32 v38, 0
	s_delay_alu instid0(VALU_DEP_1) | instskip(NEXT) | instid1(VALU_DEP_1)
	v_lshlrev_b64_e32 v[2:3], 3, v[37:38]
	v_add_co_u32 v2, vcc_lo, s24, v2
	s_wait_alu 0xfffd
	s_delay_alu instid0(VALU_DEP_2)
	v_add_co_ci_u32_e64 v3, null, s25, v3, vcc_lo
	s_and_saveexec_b32 s1, s2
	s_cbranch_execnz .LBB132_121
; %bb.105:
	s_wait_alu 0xfffe
	s_or_b32 exec_lo, exec_lo, s1
	s_and_saveexec_b32 s1, s3
	s_cbranch_execnz .LBB132_122
.LBB132_106:
	s_wait_alu 0xfffe
	s_or_b32 exec_lo, exec_lo, s1
	s_and_saveexec_b32 s1, s4
	s_cbranch_execnz .LBB132_123
.LBB132_107:
	s_wait_alu 0xfffe
	s_or_b32 exec_lo, exec_lo, s1
	s_and_saveexec_b32 s1, s5
	s_cbranch_execnz .LBB132_124
.LBB132_108:
	s_wait_alu 0xfffe
	s_or_b32 exec_lo, exec_lo, s1
	s_and_saveexec_b32 s1, s6
	s_cbranch_execnz .LBB132_125
.LBB132_109:
	s_wait_alu 0xfffe
	s_or_b32 exec_lo, exec_lo, s1
	s_and_saveexec_b32 s1, s7
	s_cbranch_execnz .LBB132_126
.LBB132_110:
	s_wait_alu 0xfffe
	s_or_b32 exec_lo, exec_lo, s1
	s_and_saveexec_b32 s1, s8
	s_cbranch_execnz .LBB132_127
.LBB132_111:
	s_wait_alu 0xfffe
	s_or_b32 exec_lo, exec_lo, s1
	s_and_saveexec_b32 s1, s0
	s_cbranch_execz .LBB132_113
.LBB132_112:
	s_mul_i32 s0, s28, 0x380
	s_mov_b32 s1, 0
	s_wait_alu 0xfffe
	s_lshl_b64 s[0:1], s[0:1], 3
	s_wait_alu 0xfffe
	v_add_co_u32 v2, vcc_lo, v2, s0
	s_wait_alu 0xfffd
	v_add_co_ci_u32_e64 v3, null, s1, v3, vcc_lo
	s_wait_dscnt 0x0
	global_store_b64 v[2:3], v[0:1], off
.LBB132_113:
	s_nop 0
	s_sendmsg sendmsg(MSG_DEALLOC_VGPRS)
	s_endpgm
.LBB132_114:
	ds_load_b32 v9, v73
	s_wait_dscnt 0x0
	global_store_b32 v[0:1], v9, off
	s_wait_alu 0xfffe
	s_or_b32 exec_lo, exec_lo, s1
	s_and_saveexec_b32 s1, s3
	s_cbranch_execz .LBB132_97
.LBB132_115:
	s_lshl_b32 s10, s26, 7
	s_mov_b32 s11, 0
	s_wait_alu 0xfffe
	s_lshl_b64 s[10:11], s[10:11], 2
	s_wait_alu 0xfffe
	v_add_co_u32 v9, vcc_lo, v0, s10
	s_wait_alu 0xfffd
	v_add_co_ci_u32_e64 v10, null, s11, v1, vcc_lo
	s_wait_dscnt 0x6
	global_store_b32 v[9:10], v8, off
	s_or_b32 exec_lo, exec_lo, s1
	s_and_saveexec_b32 s1, s4
	s_cbranch_execz .LBB132_98
.LBB132_116:
	s_lshl_b32 s10, s26, 8
	s_mov_b32 s11, 0
	s_wait_alu 0xfffe
	s_lshl_b64 s[10:11], s[10:11], 2
	s_wait_dscnt 0x6
	s_wait_alu 0xfffe
	v_add_co_u32 v8, vcc_lo, v0, s10
	s_wait_alu 0xfffd
	v_add_co_ci_u32_e64 v9, null, s11, v1, vcc_lo
	s_wait_dscnt 0x5
	global_store_b32 v[8:9], v7, off
	s_or_b32 exec_lo, exec_lo, s1
	s_and_saveexec_b32 s1, s5
	s_cbranch_execz .LBB132_99
.LBB132_117:
	s_mul_i32 s10, s26, 0x180
	s_mov_b32 s11, 0
	s_wait_alu 0xfffe
	s_lshl_b64 s[10:11], s[10:11], 2
	s_wait_dscnt 0x5
	s_wait_alu 0xfffe
	v_add_co_u32 v7, vcc_lo, v0, s10
	s_wait_alu 0xfffd
	v_add_co_ci_u32_e64 v8, null, s11, v1, vcc_lo
	s_wait_dscnt 0x4
	global_store_b32 v[7:8], v6, off
	s_or_b32 exec_lo, exec_lo, s1
	s_and_saveexec_b32 s1, s6
	s_cbranch_execz .LBB132_100
.LBB132_118:
	s_lshl_b32 s10, s26, 9
	s_mov_b32 s11, 0
	s_wait_alu 0xfffe
	s_lshl_b64 s[10:11], s[10:11], 2
	s_wait_dscnt 0x4
	s_wait_alu 0xfffe
	v_add_co_u32 v6, vcc_lo, v0, s10
	s_wait_alu 0xfffd
	v_add_co_ci_u32_e64 v7, null, s11, v1, vcc_lo
	s_wait_dscnt 0x3
	global_store_b32 v[6:7], v5, off
	s_or_b32 exec_lo, exec_lo, s1
	s_and_saveexec_b32 s1, s7
	s_cbranch_execz .LBB132_101
.LBB132_119:
	s_mul_i32 s10, s26, 0x280
	s_mov_b32 s11, 0
	s_wait_alu 0xfffe
	s_lshl_b64 s[10:11], s[10:11], 2
	s_wait_dscnt 0x3
	s_wait_alu 0xfffe
	v_add_co_u32 v5, vcc_lo, v0, s10
	s_wait_alu 0xfffd
	v_add_co_ci_u32_e64 v6, null, s11, v1, vcc_lo
	s_wait_dscnt 0x2
	global_store_b32 v[5:6], v4, off
	s_or_b32 exec_lo, exec_lo, s1
	s_and_saveexec_b32 s1, s8
	s_cbranch_execz .LBB132_102
.LBB132_120:
	s_mul_i32 s10, s26, 0x300
	s_mov_b32 s11, 0
	s_wait_alu 0xfffe
	s_lshl_b64 s[10:11], s[10:11], 2
	s_wait_dscnt 0x2
	s_wait_alu 0xfffe
	v_add_co_u32 v4, vcc_lo, v0, s10
	s_wait_alu 0xfffd
	v_add_co_ci_u32_e64 v5, null, s11, v1, vcc_lo
	s_wait_dscnt 0x1
	global_store_b32 v[4:5], v3, off
	s_or_b32 exec_lo, exec_lo, s1
	s_and_saveexec_b32 s1, s0
	s_cbranch_execnz .LBB132_103
	s_branch .LBB132_104
.LBB132_121:
	ds_load_b64 v[16:17], v81
	s_wait_dscnt 0x0
	global_store_b64 v[2:3], v[16:17], off
	s_wait_alu 0xfffe
	s_or_b32 exec_lo, exec_lo, s1
	s_and_saveexec_b32 s1, s3
	s_cbranch_execz .LBB132_106
.LBB132_122:
	s_lshl_b32 s2, s28, 7
	s_mov_b32 s3, 0
	s_delay_alu instid0(SALU_CYCLE_1) | instskip(NEXT) | instid1(SALU_CYCLE_1)
	s_lshl_b64 s[2:3], s[2:3], 3
	v_add_co_u32 v16, vcc_lo, v2, s2
	s_wait_alu 0xfffd
	v_add_co_ci_u32_e64 v17, null, s3, v3, vcc_lo
	s_wait_dscnt 0x6
	global_store_b64 v[16:17], v[14:15], off
	s_wait_alu 0xfffe
	s_or_b32 exec_lo, exec_lo, s1
	s_and_saveexec_b32 s1, s4
	s_cbranch_execz .LBB132_107
.LBB132_123:
	s_lshl_b32 s2, s28, 8
	s_mov_b32 s3, 0
	s_wait_alu 0xfffe
	s_lshl_b64 s[2:3], s[2:3], 3
	s_wait_dscnt 0x6
	s_wait_alu 0xfffe
	v_add_co_u32 v14, vcc_lo, v2, s2
	s_wait_alu 0xfffd
	v_add_co_ci_u32_e64 v15, null, s3, v3, vcc_lo
	s_wait_dscnt 0x5
	global_store_b64 v[14:15], v[12:13], off
	s_or_b32 exec_lo, exec_lo, s1
	s_and_saveexec_b32 s1, s5
	s_cbranch_execz .LBB132_108
.LBB132_124:
	s_mul_i32 s2, s28, 0x180
	s_mov_b32 s3, 0
	s_wait_alu 0xfffe
	s_lshl_b64 s[2:3], s[2:3], 3
	s_wait_dscnt 0x5
	s_wait_alu 0xfffe
	v_add_co_u32 v12, vcc_lo, v2, s2
	s_wait_alu 0xfffd
	v_add_co_ci_u32_e64 v13, null, s3, v3, vcc_lo
	s_wait_dscnt 0x4
	global_store_b64 v[12:13], v[10:11], off
	s_or_b32 exec_lo, exec_lo, s1
	s_and_saveexec_b32 s1, s6
	s_cbranch_execz .LBB132_109
.LBB132_125:
	s_lshl_b32 s2, s28, 9
	s_mov_b32 s3, 0
	s_wait_alu 0xfffe
	s_lshl_b64 s[2:3], s[2:3], 3
	s_wait_dscnt 0x4
	s_wait_alu 0xfffe
	v_add_co_u32 v10, vcc_lo, v2, s2
	s_wait_alu 0xfffd
	v_add_co_ci_u32_e64 v11, null, s3, v3, vcc_lo
	s_wait_dscnt 0x3
	global_store_b64 v[10:11], v[8:9], off
	s_or_b32 exec_lo, exec_lo, s1
	s_and_saveexec_b32 s1, s7
	s_cbranch_execz .LBB132_110
.LBB132_126:
	s_mul_i32 s2, s28, 0x280
	s_mov_b32 s3, 0
	s_wait_alu 0xfffe
	s_lshl_b64 s[2:3], s[2:3], 3
	s_wait_dscnt 0x3
	s_wait_alu 0xfffe
	v_add_co_u32 v8, vcc_lo, v2, s2
	s_wait_alu 0xfffd
	v_add_co_ci_u32_e64 v9, null, s3, v3, vcc_lo
	s_wait_dscnt 0x2
	global_store_b64 v[8:9], v[6:7], off
	s_or_b32 exec_lo, exec_lo, s1
	s_and_saveexec_b32 s1, s8
	s_cbranch_execz .LBB132_111
.LBB132_127:
	s_mul_i32 s2, s28, 0x300
	s_mov_b32 s3, 0
	s_wait_alu 0xfffe
	s_lshl_b64 s[2:3], s[2:3], 3
	s_wait_dscnt 0x2
	s_wait_alu 0xfffe
	v_add_co_u32 v6, vcc_lo, v2, s2
	s_wait_alu 0xfffd
	v_add_co_ci_u32_e64 v7, null, s3, v3, vcc_lo
	s_wait_dscnt 0x1
	global_store_b64 v[6:7], v[4:5], off
	s_or_b32 exec_lo, exec_lo, s1
	s_and_saveexec_b32 s1, s0
	s_cbranch_execnz .LBB132_112
	s_branch .LBB132_113
	.section	.rodata,"a",@progbits
	.p2align	6, 0x0
	.amdhsa_kernel _ZN2at6native18radixSortKVInPlaceILin1ELin1ELi128ELi8EiljEEvNS_4cuda6detail10TensorInfoIT3_T5_EES6_S6_S6_NS4_IT4_S6_EES6_b
		.amdhsa_group_segment_fixed_size 8448
		.amdhsa_private_segment_fixed_size 0
		.amdhsa_kernarg_size 712
		.amdhsa_user_sgpr_count 2
		.amdhsa_user_sgpr_dispatch_ptr 0
		.amdhsa_user_sgpr_queue_ptr 0
		.amdhsa_user_sgpr_kernarg_segment_ptr 1
		.amdhsa_user_sgpr_dispatch_id 0
		.amdhsa_user_sgpr_private_segment_size 0
		.amdhsa_wavefront_size32 1
		.amdhsa_uses_dynamic_stack 0
		.amdhsa_enable_private_segment 0
		.amdhsa_system_sgpr_workgroup_id_x 1
		.amdhsa_system_sgpr_workgroup_id_y 1
		.amdhsa_system_sgpr_workgroup_id_z 1
		.amdhsa_system_sgpr_workgroup_info 0
		.amdhsa_system_vgpr_workitem_id 2
		.amdhsa_next_free_vgpr 128
		.amdhsa_next_free_sgpr 40
		.amdhsa_reserve_vcc 1
		.amdhsa_float_round_mode_32 0
		.amdhsa_float_round_mode_16_64 0
		.amdhsa_float_denorm_mode_32 3
		.amdhsa_float_denorm_mode_16_64 3
		.amdhsa_fp16_overflow 0
		.amdhsa_workgroup_processor_mode 1
		.amdhsa_memory_ordered 1
		.amdhsa_forward_progress 1
		.amdhsa_inst_pref_size 114
		.amdhsa_round_robin_scheduling 0
		.amdhsa_exception_fp_ieee_invalid_op 0
		.amdhsa_exception_fp_denorm_src 0
		.amdhsa_exception_fp_ieee_div_zero 0
		.amdhsa_exception_fp_ieee_overflow 0
		.amdhsa_exception_fp_ieee_underflow 0
		.amdhsa_exception_fp_ieee_inexact 0
		.amdhsa_exception_int_div_zero 0
	.end_amdhsa_kernel
	.section	.text._ZN2at6native18radixSortKVInPlaceILin1ELin1ELi128ELi8EiljEEvNS_4cuda6detail10TensorInfoIT3_T5_EES6_S6_S6_NS4_IT4_S6_EES6_b,"axG",@progbits,_ZN2at6native18radixSortKVInPlaceILin1ELin1ELi128ELi8EiljEEvNS_4cuda6detail10TensorInfoIT3_T5_EES6_S6_S6_NS4_IT4_S6_EES6_b,comdat
.Lfunc_end132:
	.size	_ZN2at6native18radixSortKVInPlaceILin1ELin1ELi128ELi8EiljEEvNS_4cuda6detail10TensorInfoIT3_T5_EES6_S6_S6_NS4_IT4_S6_EES6_b, .Lfunc_end132-_ZN2at6native18radixSortKVInPlaceILin1ELin1ELi128ELi8EiljEEvNS_4cuda6detail10TensorInfoIT3_T5_EES6_S6_S6_NS4_IT4_S6_EES6_b
                                        ; -- End function
	.set _ZN2at6native18radixSortKVInPlaceILin1ELin1ELi128ELi8EiljEEvNS_4cuda6detail10TensorInfoIT3_T5_EES6_S6_S6_NS4_IT4_S6_EES6_b.num_vgpr, 128
	.set _ZN2at6native18radixSortKVInPlaceILin1ELin1ELi128ELi8EiljEEvNS_4cuda6detail10TensorInfoIT3_T5_EES6_S6_S6_NS4_IT4_S6_EES6_b.num_agpr, 0
	.set _ZN2at6native18radixSortKVInPlaceILin1ELin1ELi128ELi8EiljEEvNS_4cuda6detail10TensorInfoIT3_T5_EES6_S6_S6_NS4_IT4_S6_EES6_b.numbered_sgpr, 40
	.set _ZN2at6native18radixSortKVInPlaceILin1ELin1ELi128ELi8EiljEEvNS_4cuda6detail10TensorInfoIT3_T5_EES6_S6_S6_NS4_IT4_S6_EES6_b.num_named_barrier, 0
	.set _ZN2at6native18radixSortKVInPlaceILin1ELin1ELi128ELi8EiljEEvNS_4cuda6detail10TensorInfoIT3_T5_EES6_S6_S6_NS4_IT4_S6_EES6_b.private_seg_size, 0
	.set _ZN2at6native18radixSortKVInPlaceILin1ELin1ELi128ELi8EiljEEvNS_4cuda6detail10TensorInfoIT3_T5_EES6_S6_S6_NS4_IT4_S6_EES6_b.uses_vcc, 1
	.set _ZN2at6native18radixSortKVInPlaceILin1ELin1ELi128ELi8EiljEEvNS_4cuda6detail10TensorInfoIT3_T5_EES6_S6_S6_NS4_IT4_S6_EES6_b.uses_flat_scratch, 0
	.set _ZN2at6native18radixSortKVInPlaceILin1ELin1ELi128ELi8EiljEEvNS_4cuda6detail10TensorInfoIT3_T5_EES6_S6_S6_NS4_IT4_S6_EES6_b.has_dyn_sized_stack, 0
	.set _ZN2at6native18radixSortKVInPlaceILin1ELin1ELi128ELi8EiljEEvNS_4cuda6detail10TensorInfoIT3_T5_EES6_S6_S6_NS4_IT4_S6_EES6_b.has_recursion, 0
	.set _ZN2at6native18radixSortKVInPlaceILin1ELin1ELi128ELi8EiljEEvNS_4cuda6detail10TensorInfoIT3_T5_EES6_S6_S6_NS4_IT4_S6_EES6_b.has_indirect_call, 0
	.section	.AMDGPU.csdata,"",@progbits
; Kernel info:
; codeLenInByte = 14572
; TotalNumSgprs: 42
; NumVgprs: 128
; ScratchSize: 0
; MemoryBound: 0
; FloatMode: 240
; IeeeMode: 1
; LDSByteSize: 8448 bytes/workgroup (compile time only)
; SGPRBlocks: 0
; VGPRBlocks: 15
; NumSGPRsForWavesPerEU: 42
; NumVGPRsForWavesPerEU: 128
; Occupancy: 10
; WaveLimiterHint : 1
; COMPUTE_PGM_RSRC2:SCRATCH_EN: 0
; COMPUTE_PGM_RSRC2:USER_SGPR: 2
; COMPUTE_PGM_RSRC2:TRAP_HANDLER: 0
; COMPUTE_PGM_RSRC2:TGID_X_EN: 1
; COMPUTE_PGM_RSRC2:TGID_Y_EN: 1
; COMPUTE_PGM_RSRC2:TGID_Z_EN: 1
; COMPUTE_PGM_RSRC2:TIDIG_COMP_CNT: 2
	.section	.text._ZN2at6native18radixSortKVInPlaceILin1ELin1ELi32ELi4EiljEEvNS_4cuda6detail10TensorInfoIT3_T5_EES6_S6_S6_NS4_IT4_S6_EES6_b,"axG",@progbits,_ZN2at6native18radixSortKVInPlaceILin1ELin1ELi32ELi4EiljEEvNS_4cuda6detail10TensorInfoIT3_T5_EES6_S6_S6_NS4_IT4_S6_EES6_b,comdat
	.protected	_ZN2at6native18radixSortKVInPlaceILin1ELin1ELi32ELi4EiljEEvNS_4cuda6detail10TensorInfoIT3_T5_EES6_S6_S6_NS4_IT4_S6_EES6_b ; -- Begin function _ZN2at6native18radixSortKVInPlaceILin1ELin1ELi32ELi4EiljEEvNS_4cuda6detail10TensorInfoIT3_T5_EES6_S6_S6_NS4_IT4_S6_EES6_b
	.globl	_ZN2at6native18radixSortKVInPlaceILin1ELin1ELi32ELi4EiljEEvNS_4cuda6detail10TensorInfoIT3_T5_EES6_S6_S6_NS4_IT4_S6_EES6_b
	.p2align	8
	.type	_ZN2at6native18radixSortKVInPlaceILin1ELin1ELi32ELi4EiljEEvNS_4cuda6detail10TensorInfoIT3_T5_EES6_S6_S6_NS4_IT4_S6_EES6_b,@function
_ZN2at6native18radixSortKVInPlaceILin1ELin1ELi32ELi4EiljEEvNS_4cuda6detail10TensorInfoIT3_T5_EES6_S6_S6_NS4_IT4_S6_EES6_b: ; @_ZN2at6native18radixSortKVInPlaceILin1ELin1ELi32ELi4EiljEEvNS_4cuda6detail10TensorInfoIT3_T5_EES6_S6_S6_NS4_IT4_S6_EES6_b
; %bb.0:
	s_clause 0x1
	s_load_b64 s[2:3], s[0:1], 0x1c8
	s_load_b96 s[16:18], s[0:1], 0xd8
	s_lshr_b32 s4, ttmp7, 16
	s_wait_kmcnt 0x0
	s_mul_i32 s3, s3, s4
	s_and_b32 s4, ttmp7, 0xffff
	s_delay_alu instid0(SALU_CYCLE_1) | instskip(NEXT) | instid1(SALU_CYCLE_1)
	s_add_co_i32 s3, s3, s4
	s_mul_i32 s2, s3, s2
	s_delay_alu instid0(SALU_CYCLE_1) | instskip(NEXT) | instid1(SALU_CYCLE_1)
	s_add_co_i32 s10, s2, ttmp9
	s_cmp_ge_u32 s10, s16
	s_cbranch_scc1 .LBB133_65
; %bb.1:
	s_load_b32 s4, s[0:1], 0xd0
	s_mov_b32 s3, 0
	s_mov_b32 s2, s10
	s_wait_kmcnt 0x0
	s_cmp_lt_i32 s4, 2
	s_cbranch_scc1 .LBB133_4
; %bb.2:
	s_add_co_i32 s2, s4, -1
	s_delay_alu instid0(SALU_CYCLE_1)
	s_lshl_b64 s[6:7], s[2:3], 2
	s_mov_b32 s2, s10
	s_add_nc_u64 s[8:9], s[0:1], s[6:7]
	s_add_co_i32 s6, s4, 1
	s_add_nc_u64 s[4:5], s[8:9], 8
.LBB133_3:                              ; =>This Inner Loop Header: Depth=1
	s_clause 0x1
	s_load_b32 s7, s[4:5], 0x0
	s_load_b32 s8, s[4:5], 0x64
	s_mov_b32 s12, s2
	s_add_nc_u64 s[4:5], s[4:5], -4
	s_wait_kmcnt 0x0
	s_cvt_f32_u32 s9, s7
	s_sub_co_i32 s11, 0, s7
	s_wait_alu 0xfffe
	s_delay_alu instid0(SALU_CYCLE_1) | instskip(NEXT) | instid1(TRANS32_DEP_1)
	v_rcp_iflag_f32_e32 v1, s9
	v_readfirstlane_b32 s9, v1
	s_mul_f32 s9, s9, 0x4f7ffffe
	s_wait_alu 0xfffe
	s_delay_alu instid0(SALU_CYCLE_2) | instskip(SKIP_1) | instid1(SALU_CYCLE_2)
	s_cvt_u32_f32 s9, s9
	s_wait_alu 0xfffe
	s_mul_i32 s11, s11, s9
	s_delay_alu instid0(SALU_CYCLE_1) | instskip(NEXT) | instid1(SALU_CYCLE_1)
	s_mul_hi_u32 s11, s9, s11
	s_add_co_i32 s9, s9, s11
	s_wait_alu 0xfffe
	s_mul_hi_u32 s2, s2, s9
	s_delay_alu instid0(SALU_CYCLE_1)
	s_mul_i32 s9, s2, s7
	s_add_co_i32 s11, s2, 1
	s_wait_alu 0xfffe
	s_sub_co_i32 s9, s12, s9
	s_wait_alu 0xfffe
	s_sub_co_i32 s13, s9, s7
	s_cmp_ge_u32 s9, s7
	s_cselect_b32 s2, s11, s2
	s_cselect_b32 s9, s13, s9
	s_add_co_i32 s11, s2, 1
	s_wait_alu 0xfffe
	s_cmp_ge_u32 s9, s7
	s_cselect_b32 s2, s11, s2
	s_add_co_i32 s6, s6, -1
	s_mul_i32 s7, s2, s7
	s_delay_alu instid0(SALU_CYCLE_1) | instskip(NEXT) | instid1(SALU_CYCLE_1)
	s_sub_co_i32 s7, s12, s7
	s_mul_i32 s7, s8, s7
	s_delay_alu instid0(SALU_CYCLE_1)
	s_add_co_i32 s3, s7, s3
	s_cmp_gt_u32 s6, 2
	s_cbranch_scc1 .LBB133_3
.LBB133_4:
	s_load_b32 s4, s[0:1], 0x1b8
	s_add_nc_u64 s[24:25], s[0:1], 0x1c8
	s_mov_b32 s9, 0
	s_wait_kmcnt 0x0
	s_cmp_lt_i32 s4, 2
	s_cbranch_scc1 .LBB133_7
; %bb.5:
	s_add_co_i32 s8, s4, -1
	s_wait_alu 0xfffe
	s_lshl_b64 s[6:7], s[8:9], 2
	s_delay_alu instid0(SALU_CYCLE_1)
	s_add_nc_u64 s[12:13], s[0:1], s[6:7]
	s_add_co_i32 s6, s4, 1
	s_add_nc_u64 s[4:5], s[12:13], 0xf0
.LBB133_6:                              ; =>This Inner Loop Header: Depth=1
	s_clause 0x1
	s_load_b32 s7, s[4:5], 0x0
	s_load_b32 s8, s[4:5], 0x64
	s_mov_b32 s13, s10
	s_add_nc_u64 s[4:5], s[4:5], -4
	s_wait_kmcnt 0x0
	s_cvt_f32_u32 s11, s7
	s_sub_co_i32 s12, 0, s7
	s_wait_alu 0xfffe
	s_delay_alu instid0(SALU_CYCLE_1) | instskip(NEXT) | instid1(TRANS32_DEP_1)
	v_rcp_iflag_f32_e32 v1, s11
	v_readfirstlane_b32 s11, v1
	s_mul_f32 s11, s11, 0x4f7ffffe
	s_wait_alu 0xfffe
	s_delay_alu instid0(SALU_CYCLE_2) | instskip(SKIP_1) | instid1(SALU_CYCLE_2)
	s_cvt_u32_f32 s11, s11
	s_wait_alu 0xfffe
	s_mul_i32 s12, s12, s11
	s_delay_alu instid0(SALU_CYCLE_1) | instskip(NEXT) | instid1(SALU_CYCLE_1)
	s_mul_hi_u32 s12, s11, s12
	s_add_co_i32 s11, s11, s12
	s_wait_alu 0xfffe
	s_mul_hi_u32 s10, s10, s11
	s_wait_alu 0xfffe
	s_mul_i32 s11, s10, s7
	s_add_co_i32 s12, s10, 1
	s_wait_alu 0xfffe
	s_sub_co_i32 s11, s13, s11
	s_wait_alu 0xfffe
	s_sub_co_i32 s14, s11, s7
	s_cmp_ge_u32 s11, s7
	s_cselect_b32 s10, s12, s10
	s_cselect_b32 s11, s14, s11
	s_wait_alu 0xfffe
	s_add_co_i32 s12, s10, 1
	s_cmp_ge_u32 s11, s7
	s_cselect_b32 s10, s12, s10
	s_add_co_i32 s6, s6, -1
	s_wait_alu 0xfffe
	s_mul_i32 s7, s10, s7
	s_delay_alu instid0(SALU_CYCLE_1) | instskip(NEXT) | instid1(SALU_CYCLE_1)
	s_sub_co_i32 s7, s13, s7
	s_mul_i32 s7, s8, s7
	s_delay_alu instid0(SALU_CYCLE_1)
	s_add_co_i32 s9, s7, s9
	s_cmp_gt_u32 s6, 2
	s_cbranch_scc1 .LBB133_6
.LBB133_7:
	s_clause 0x2
	s_load_b32 s4, s[0:1], 0x6c
	s_load_b64 s[20:21], s[0:1], 0x1c0
	s_load_b64 s[12:13], s[0:1], 0x0
	s_mov_b32 s15, 0
	s_wait_kmcnt 0x0
	s_mul_i32 s2, s4, s2
	s_brev_b32 s4, 1
	s_add_co_i32 s14, s2, s3
	s_bitcmp1_b32 s21, 0
	s_cselect_b32 s8, -1, 0
	s_wait_alu 0xfffe
	s_and_b32 s2, s8, exec_lo
	s_cselect_b32 s4, s4, 0x7fffffff
	s_lshl_b64 s[14:15], s[14:15], 2
	s_mov_b32 s5, s4
	s_mov_b32 s6, s4
	;; [unrolled: 1-line block ×3, first 2 shown]
	v_and_b32_e32 v21, 0x3ff, v0
	v_dual_mov_b32 v1, s4 :: v_dual_mov_b32 v4, s7
	v_dual_mov_b32 v2, s5 :: v_dual_mov_b32 v3, s6
	v_mov_b32_e32 v6, s4
	s_delay_alu instid0(VALU_DEP_4)
	v_mul_lo_u32 v17, s18, v21
	v_cmp_gt_u32_e64 s2, s17, v21
	s_add_nc_u64 s[22:23], s[12:13], s[14:15]
	s_and_saveexec_b32 s3, s2
	s_cbranch_execz .LBB133_9
; %bb.8:
	v_mov_b32_e32 v18, 0
	s_delay_alu instid0(VALU_DEP_1) | instskip(NEXT) | instid1(VALU_DEP_1)
	v_lshlrev_b64_e32 v[1:2], 2, v[17:18]
	v_add_co_u32 v1, vcc_lo, s22, v1
	s_delay_alu instid0(VALU_DEP_1)
	v_add_co_ci_u32_e64 v2, null, s23, v2, vcc_lo
	global_load_b32 v6, v[1:2], off
	v_dual_mov_b32 v1, s4 :: v_dual_mov_b32 v2, s5
	v_dual_mov_b32 v3, s6 :: v_dual_mov_b32 v4, s7
.LBB133_9:
	s_or_b32 exec_lo, exec_lo, s3
	v_add_nc_u32_e32 v5, 32, v21
	s_delay_alu instid0(VALU_DEP_1)
	v_cmp_gt_u32_e64 s3, s17, v5
	s_and_saveexec_b32 s4, s3
	s_cbranch_execz .LBB133_11
; %bb.10:
	v_mul_lo_u32 v1, s18, v5
	v_mov_b32_e32 v2, 0
	s_delay_alu instid0(VALU_DEP_1) | instskip(NEXT) | instid1(VALU_DEP_1)
	v_lshlrev_b64_e32 v[1:2], 2, v[1:2]
	v_add_co_u32 v1, vcc_lo, s22, v1
	s_wait_alu 0xfffd
	s_delay_alu instid0(VALU_DEP_2)
	v_add_co_ci_u32_e64 v2, null, s23, v2, vcc_lo
	global_load_b32 v2, v[1:2], off
.LBB133_11:
	s_wait_alu 0xfffe
	s_or_b32 exec_lo, exec_lo, s4
	v_add_nc_u32_e32 v9, 64, v21
	s_delay_alu instid0(VALU_DEP_1)
	v_cmp_gt_u32_e64 s4, s17, v9
	s_and_saveexec_b32 s5, s4
	s_cbranch_execz .LBB133_13
; %bb.12:
	v_mul_lo_u32 v7, s18, v9
	v_mov_b32_e32 v8, 0
	s_delay_alu instid0(VALU_DEP_1) | instskip(NEXT) | instid1(VALU_DEP_1)
	v_lshlrev_b64_e32 v[7:8], 2, v[7:8]
	v_add_co_u32 v7, vcc_lo, s22, v7
	s_wait_alu 0xfffd
	s_delay_alu instid0(VALU_DEP_2)
	v_add_co_ci_u32_e64 v8, null, s23, v8, vcc_lo
	global_load_b32 v3, v[7:8], off
.LBB133_13:
	s_wait_alu 0xfffe
	s_or_b32 exec_lo, exec_lo, s5
	s_clause 0x1
	s_load_b32 s5, s[0:1], 0x154
	s_load_b64 s[6:7], s[0:1], 0xe8
	v_add_nc_u32_e32 v10, 0x60, v21
	s_delay_alu instid0(VALU_DEP_1)
	v_cmp_gt_u32_e64 s0, s17, v10
	s_and_saveexec_b32 s1, s0
	s_cbranch_execz .LBB133_15
; %bb.14:
	v_mul_lo_u32 v7, s18, v10
	v_mov_b32_e32 v8, 0
	s_delay_alu instid0(VALU_DEP_1) | instskip(NEXT) | instid1(VALU_DEP_1)
	v_lshlrev_b64_e32 v[7:8], 2, v[7:8]
	v_add_co_u32 v7, vcc_lo, s22, v7
	s_wait_alu 0xfffd
	s_delay_alu instid0(VALU_DEP_2)
	v_add_co_ci_u32_e64 v8, null, s23, v8, vcc_lo
	global_load_b32 v4, v[7:8], off
.LBB133_15:
	s_or_b32 exec_lo, exec_lo, s1
	v_lshrrev_b32_e32 v1, 5, v21
	v_lshrrev_b32_e32 v7, 5, v5
	v_lshrrev_b32_e32 v8, 5, v9
	v_lshlrev_b32_e32 v41, 2, v21
	v_lshrrev_b32_e32 v11, 5, v10
	v_add_nc_u32_e32 v1, v1, v21
	v_add_nc_u32_e32 v12, v7, v21
	v_lshrrev_b32_e32 v7, 3, v21
	v_add_nc_u32_e32 v13, v8, v21
	v_add_nc_u32_e32 v11, v11, v21
	v_lshlrev_b32_e32 v38, 2, v1
	v_lshlrev_b32_e32 v18, 2, v12
	v_add_nc_u32_e32 v1, v7, v41
	v_lshlrev_b32_e32 v39, 2, v13
	v_lshlrev_b32_e32 v40, 2, v11
	s_wait_loadcnt 0x0
	ds_store_b32 v38, v6
	ds_store_b32 v18, v2 offset:128
	ds_store_b32 v39, v3 offset:256
	;; [unrolled: 1-line block ×3, first 2 shown]
	v_lshlrev_b32_e32 v42, 2, v1
	s_wait_dscnt 0x0
	; wave barrier
	global_inv scope:SCOPE_SE
	ds_load_2addr_b32 v[24:25], v42 offset1:1
	ds_load_2addr_b32 v[22:23], v42 offset0:2 offset1:3
	s_wait_kmcnt 0x0
	s_mul_i32 s1, s5, s10
	v_mul_lo_u32 v19, s20, v21
	s_add_co_i32 s10, s1, s9
	s_mov_b32 s11, 0
	v_mov_b32_e32 v1, 0
	v_dual_mov_b32 v3, 0 :: v_dual_mov_b32 v2, 0
	v_mov_b32_e32 v4, 0
	s_wait_alu 0xfffe
	s_lshl_b64 s[10:11], s[10:11], 3
	s_wait_loadcnt_dscnt 0x0
	s_wait_alu 0xfffe
	s_add_nc_u64 s[16:17], s[6:7], s[10:11]
	; wave barrier
	global_inv scope:SCOPE_SE
	s_and_saveexec_b32 s1, s2
	s_cbranch_execz .LBB133_17
; %bb.16:
	v_mov_b32_e32 v20, 0
	s_delay_alu instid0(VALU_DEP_1) | instskip(SKIP_1) | instid1(VALU_DEP_1)
	v_lshlrev_b64_e32 v[3:4], 3, v[19:20]
	s_wait_alu 0xfffe
	v_add_co_u32 v3, vcc_lo, s16, v3
	s_wait_alu 0xfffd
	s_delay_alu instid0(VALU_DEP_2)
	v_add_co_ci_u32_e64 v4, null, s17, v4, vcc_lo
	global_load_b64 v[3:4], v[3:4], off
.LBB133_17:
	s_or_b32 exec_lo, exec_lo, s1
	s_and_saveexec_b32 s1, s3
	s_cbranch_execz .LBB133_19
; %bb.18:
	v_mul_lo_u32 v1, s20, v5
	v_mov_b32_e32 v2, 0
	s_delay_alu instid0(VALU_DEP_1) | instskip(SKIP_1) | instid1(VALU_DEP_1)
	v_lshlrev_b64_e32 v[1:2], 3, v[1:2]
	s_wait_alu 0xfffe
	v_add_co_u32 v1, vcc_lo, s16, v1
	s_wait_alu 0xfffd
	s_delay_alu instid0(VALU_DEP_2)
	v_add_co_ci_u32_e64 v2, null, s17, v2, vcc_lo
	global_load_b64 v[1:2], v[1:2], off
.LBB133_19:
	s_or_b32 exec_lo, exec_lo, s1
	v_mov_b32_e32 v5, 0
	v_dual_mov_b32 v6, 0 :: v_dual_mov_b32 v7, 0
	v_mov_b32_e32 v8, 0
	s_and_saveexec_b32 s1, s4
	s_cbranch_execz .LBB133_21
; %bb.20:
	v_mul_lo_u32 v7, s20, v9
	v_mov_b32_e32 v8, 0
	s_delay_alu instid0(VALU_DEP_1) | instskip(SKIP_1) | instid1(VALU_DEP_1)
	v_lshlrev_b64_e32 v[7:8], 3, v[7:8]
	s_wait_alu 0xfffe
	v_add_co_u32 v7, vcc_lo, s16, v7
	s_wait_alu 0xfffd
	s_delay_alu instid0(VALU_DEP_2)
	v_add_co_ci_u32_e64 v8, null, s17, v8, vcc_lo
	global_load_b64 v[7:8], v[7:8], off
.LBB133_21:
	s_or_b32 exec_lo, exec_lo, s1
	s_xor_b32 s8, s8, -1
	s_and_saveexec_b32 s1, s0
	s_cbranch_execz .LBB133_23
; %bb.22:
	v_mul_lo_u32 v5, s20, v10
	v_mov_b32_e32 v6, 0
	s_delay_alu instid0(VALU_DEP_1) | instskip(SKIP_1) | instid1(VALU_DEP_1)
	v_lshlrev_b64_e32 v[5:6], 3, v[5:6]
	s_wait_alu 0xfffe
	v_add_co_u32 v5, vcc_lo, s16, v5
	s_wait_alu 0xfffd
	s_delay_alu instid0(VALU_DEP_2)
	v_add_co_ci_u32_e64 v6, null, s17, v6, vcc_lo
	global_load_b64 v[5:6], v[5:6], off
.LBB133_23:
	s_or_b32 exec_lo, exec_lo, s1
	v_add_nc_u32_e32 v43, v38, v38
	v_lshlrev_b32_e32 v45, 3, v11
	v_add_nc_u32_e32 v46, v42, v42
	v_lshlrev_b32_e32 v20, 3, v12
	v_lshlrev_b32_e32 v44, 3, v13
	s_wait_loadcnt 0x0
	ds_store_b64 v43, v[3:4]
	ds_store_b64 v20, v[1:2] offset:256
	ds_store_b64 v44, v[7:8] offset:512
	ds_store_b64 v45, v[5:6] offset:768
	s_wait_dscnt 0x0
	; wave barrier
	global_inv scope:SCOPE_SE
	ds_load_2addr_b64 v[5:8], v46 offset1:1
	ds_load_2addr_b64 v[1:4], v46 offset0:2 offset1:3
	v_mbcnt_lo_u32_b32 v48, -1, 0
	s_wait_alu 0xfffe
	s_and_b32 vcc_lo, exec_lo, s8
	v_bfe_u32 v52, v0, 10, 10
	v_bfe_u32 v53, v0, 20, 10
	v_lshlrev_b32_e32 v47, 5, v21
	v_and_b32_e32 v9, 3, v48
	v_and_b32_e32 v54, 28, v48
	;; [unrolled: 1-line block ×4, first 2 shown]
	v_cmp_eq_u32_e64 s8, 31, v21
	v_cmp_eq_u32_e64 s7, 0, v9
	;; [unrolled: 1-line block ×5, first 2 shown]
	v_or_b32_e32 v55, 32, v54
	v_cmp_eq_u32_e64 s14, 0, v21
	v_and_or_b32 v49, 0xf80, v41, v48
	s_mov_b32 s9, -1
	s_mov_b32 s15, 32
	; wave barrier
	s_wait_loadcnt_dscnt 0x0
	global_inv scope:SCOPE_SE
                                        ; implicit-def: $vgpr12
                                        ; implicit-def: $vgpr10
                                        ; implicit-def: $vgpr11
                                        ; implicit-def: $vgpr9
	s_wait_alu 0xfffe
	s_cbranch_vccz .LBB133_39
; %bb.24:
	v_xor_b32_e32 v0, 0x80000000, v24
	v_xor_b32_e32 v9, 0x80000000, v25
	;; [unrolled: 1-line block ×4, first 2 shown]
	ds_bpermute_b32 v12, v54, v5
	ds_bpermute_b32 v13, v54, v0
	;; [unrolled: 1-line block ×3, first 2 shown]
	ds_bpermute_b32 v30, v54, v0 offset:64
	ds_bpermute_b32 v32, v54, v10
	ds_bpermute_b32 v26, v55, v0
	ds_bpermute_b32 v34, v54, v9 offset:64
	ds_bpermute_b32 v36, v54, v11
	ds_bpermute_b32 v0, v54, v0 offset:96
	ds_bpermute_b32 v14, v54, v6
	ds_bpermute_b32 v31, v55, v9
	ds_bpermute_b32 v9, v54, v9 offset:96
	ds_bpermute_b32 v15, v54, v7
	ds_bpermute_b32 v16, v54, v8
	;; [unrolled: 1-line block ×4, first 2 shown]
	ds_bpermute_b32 v58, v54, v10 offset:64
	ds_bpermute_b32 v10, v54, v10 offset:96
	ds_bpermute_b32 v28, v54, v1
	ds_bpermute_b32 v29, v54, v2
	;; [unrolled: 1-line block ×3, first 2 shown]
	s_wait_dscnt 0x13
	s_wait_alu 0xf1ff
	v_cndmask_b32_e64 v13, 0, v13, s7
	ds_bpermute_b32 v60, v54, v11 offset:64
	s_wait_dscnt 0x12
	v_cndmask_b32_e64 v30, 0, v30, s7
	ds_bpermute_b32 v11, v54, v11 offset:96
	ds_bpermute_b32 v33, v54, v3
	v_cndmask_b32_e64 v13, v13, v27, s6
	ds_bpermute_b32 v27, v55, v7
	ds_bpermute_b32 v56, v54, v4
	;; [unrolled: 1-line block ×3, first 2 shown]
	s_wait_dscnt 0x15
	v_cndmask_b32_e64 v26, 0, v26, s7
	v_cndmask_b32_e64 v13, v13, v32, s5
	s_wait_dscnt 0x14
	v_cndmask_b32_e64 v30, v30, v34, s6
	s_wait_dscnt 0x12
	;; [unrolled: 2-line block ×4, first 2 shown]
	v_cndmask_b32_e64 v26, v26, v31, s6
	v_cndmask_b32_e64 v34, v13, v36, s1
	ds_bpermute_b32 v13, v55, v1
	ds_bpermute_b32 v31, v55, v8
	v_cndmask_b32_e64 v12, 0, v12, s7
	s_wait_dscnt 0x11
	v_cndmask_b32_e64 v0, v0, v9, s6
	s_wait_dscnt 0xf
	;; [unrolled: 2-line block ×3, first 2 shown]
	v_cndmask_b32_e64 v26, v26, v35, s5
	ds_bpermute_b32 v16, v55, v4
	v_cndmask_b32_e64 v12, v12, v15, s6
	s_wait_dscnt 0xc
	v_cndmask_b32_e64 v0, v0, v10, s5
	v_cndmask_b32_e64 v10, 0, v37, s7
	s_wait_dscnt 0xa
	v_cndmask_b32_e64 v9, v9, v29, s5
	s_wait_dscnt 0x9
	v_cndmask_b32_e64 v35, v26, v59, s1
	v_cndmask_b32_e64 v12, v12, v28, s5
	s_wait_dscnt 0x7
	v_cndmask_b32_e64 v37, v0, v11, s1
	s_wait_dscnt 0x5
	;; [unrolled: 2-line block ×3, first 2 shown]
	v_cndmask_b32_e64 v14, 0, v57, s7
	v_cndmask_b32_e64 v10, v9, v56, s1
	;; [unrolled: 1-line block ×3, first 2 shown]
	ds_bpermute_b32 v12, v55, v2
	ds_bpermute_b32 v26, v54, v6 offset:96
	s_wait_dscnt 0x4
	v_cndmask_b32_e64 v0, v0, v13, s5
	ds_bpermute_b32 v13, v54, v6 offset:64
	s_wait_dscnt 0x4
	v_cndmask_b32_e64 v11, v14, v31, s6
	ds_bpermute_b32 v15, v54, v5 offset:64
	ds_bpermute_b32 v27, v54, v8 offset:64
	;; [unrolled: 1-line block ×4, first 2 shown]
	v_cndmask_b32_e64 v30, v30, v58, s5
	ds_bpermute_b32 v14, v55, v3
	ds_bpermute_b32 v29, v54, v7 offset:64
	ds_bpermute_b32 v33, v54, v7 offset:96
	;; [unrolled: 1-line block ×3, first 2 shown]
	; wave barrier
	s_wait_loadcnt_dscnt 0x0
	global_inv scope:SCOPE_SE
	s_load_b32 s9, s[24:25], 0xc
	v_cndmask_b32_e64 v36, v30, v60, s1
	ds_bpermute_b32 v30, v54, v1 offset:64
	ds_bpermute_b32 v32, v54, v2 offset:64
	;; [unrolled: 1-line block ×6, first 2 shown]
	v_cndmask_b32_e64 v13, 0, v13, s7
	ds_bpermute_b32 v61, v54, v3 offset:96
	v_cndmask_b32_e64 v11, v11, v12, s5
	v_cndmask_b32_e64 v26, 0, v26, s7
	;; [unrolled: 1-line block ×10, first 2 shown]
	s_wait_kmcnt 0x0
	s_lshr_b32 s10, s9, 16
	v_cndmask_b32_e64 v0, v16, v58, s5
	s_wait_dscnt 0x6
	v_cndmask_b32_e64 v15, v15, v30, s5
	s_wait_dscnt 0x5
	;; [unrolled: 2-line block ×3, first 2 shown]
	v_cndmask_b32_e64 v26, v26, v59, s5
	v_cmp_lt_u32_e64 s12, 7, v50
	s_wait_dscnt 0x3
	v_cndmask_b32_e64 v16, v0, v60, s1
	s_wait_alu 0xfffe
	v_mad_u32_u24 v0, v53, s10, v52
	s_getpc_b64 s[10:11]
	s_wait_alu 0xfffe
	s_sext_i32_i16 s11, s11
	s_add_co_u32 s10, s10, _ZN7rocprim17ROCPRIM_400000_NS16block_radix_sortIiLj32ELj4ElLj1ELj1ELj0ELNS0_26block_radix_rank_algorithmE1ELNS0_18block_padding_hintE2ELNS0_4arch9wavefront6targetE0EE19radix_bits_per_passE@rel32@lo+12
	s_wait_alu 0xfffe
	s_add_co_ci_u32 s11, s11, _ZN7rocprim17ROCPRIM_400000_NS16block_radix_sortIiLj32ELj4ElLj1ELj1ELj0ELNS0_26block_radix_rank_algorithmE1ELNS0_18block_padding_hintE2ELNS0_4arch9wavefront6targetE0EE19radix_bits_per_passE@rel32@hi+24
	s_and_b32 s9, s9, 0xffff
	s_wait_dscnt 0x1
	v_cndmask_b32_e64 v14, v13, v57, s1
	v_cndmask_b32_e64 v13, v15, v56, s1
	s_wait_dscnt 0x0
	v_cndmask_b32_e64 v15, v26, v61, s1
	s_wait_alu 0xfffe
	v_mad_co_u64_u32 v[26:27], null, v0, s9, v[21:22]
	v_sub_co_u32 v0, s21, v48, 1
	s_load_b32 s19, s[10:11], 0x0
	v_cmp_eq_u32_e64 s9, 0, v50
	v_cmp_lt_u32_e64 s10, 1, v50
	v_cmp_gt_i32_e32 vcc_lo, 0, v0
	v_lshrrev_b32_e32 v26, 3, v26
	v_cmp_lt_u32_e64 s11, 3, v50
	v_cmp_eq_u32_e64 s13, 0, v51
	s_wait_alu 0xfffd
	v_dual_mov_b32 v58, 0 :: v_dual_cndmask_b32 v27, v0, v48
	v_lshlrev_b32_e32 v0, 2, v49
	v_and_b32_e32 v57, 0x1ffffffc, v26
	v_dual_mov_b32 v59, 0 :: v_dual_mov_b32 v62, 0
	s_delay_alu instid0(VALU_DEP_4) | instskip(NEXT) | instid1(VALU_DEP_4)
	v_lshlrev_b32_e32 v56, 2, v27
	v_add_nc_u32_e32 v60, v0, v0
	s_or_b32 s21, s14, s21
	s_branch .LBB133_26
.LBB133_25:                             ;   in Loop: Header=BB133_26 Depth=1
	s_wait_alu 0xfffe
	s_and_not1_b32 vcc_lo, exec_lo, s26
	s_mov_b32 s15, s14
	s_wait_alu 0xfffe
	s_cbranch_vccz .LBB133_38
.LBB133_26:                             ; =>This Inner Loop Header: Depth=1
	s_wait_kmcnt 0x0
	s_min_u32 s14, s19, s15
	ds_store_2addr_b32 v47, v59, v59 offset0:1 offset1:2
	ds_store_2addr_b32 v47, v59, v59 offset0:3 offset1:4
	;; [unrolled: 1-line block ×4, first 2 shown]
	s_wait_alu 0xfffe
	s_lshl_b32 s14, -1, s14
	s_wait_loadcnt_dscnt 0x0
	s_wait_alu 0xfffe
	s_not_b32 s26, s14
	v_mov_b32_e32 v61, v34
	; wave barrier
	global_inv scope:SCOPE_SE
	; wave barrier
	v_mov_b32_e32 v63, v37
	v_lshrrev_b32_e32 v26, v62, v61
	v_dual_mov_b32 v64, v36 :: v_dual_mov_b32 v65, v35
	s_wait_alu 0xfffe
	s_delay_alu instid0(VALU_DEP_2) | instskip(NEXT) | instid1(VALU_DEP_1)
	v_and_b32_e32 v66, s26, v26
	v_and_b32_e32 v26, 1, v66
	v_lshlrev_b32_e32 v27, 30, v66
	v_lshlrev_b32_e32 v28, 29, v66
	v_lshlrev_b32_e32 v29, 28, v66
	v_lshlrev_b32_e32 v31, 27, v66
	v_add_co_u32 v26, s14, v26, -1
	s_wait_alu 0xf1ff
	v_cndmask_b32_e64 v30, 0, 1, s14
	v_not_b32_e32 v34, v27
	v_cmp_gt_i32_e64 s14, 0, v27
	v_not_b32_e32 v27, v28
	v_lshlrev_b32_e32 v32, 26, v66
	v_cmp_ne_u32_e32 vcc_lo, 0, v30
	v_ashrrev_i32_e32 v34, 31, v34
	v_lshlrev_b32_e32 v33, 25, v66
	v_ashrrev_i32_e32 v27, 31, v27
	v_lshlrev_b32_e32 v30, 24, v66
	s_wait_alu 0xfffd
	v_xor_b32_e32 v26, vcc_lo, v26
	v_cmp_gt_i32_e32 vcc_lo, 0, v28
	v_not_b32_e32 v28, v29
	s_wait_alu 0xf1ff
	v_xor_b32_e32 v34, s14, v34
	v_cmp_gt_i32_e64 s14, 0, v29
	v_and_b32_e32 v26, exec_lo, v26
	v_not_b32_e32 v29, v31
	v_ashrrev_i32_e32 v28, 31, v28
	s_wait_alu 0xfffd
	v_xor_b32_e32 v27, vcc_lo, v27
	v_cmp_gt_i32_e32 vcc_lo, 0, v31
	v_and_b32_e32 v26, v26, v34
	v_not_b32_e32 v31, v32
	v_ashrrev_i32_e32 v29, 31, v29
	s_wait_alu 0xf1ff
	v_xor_b32_e32 v28, s14, v28
	v_cmp_gt_i32_e64 s14, 0, v32
	v_and_b32_e32 v26, v26, v27
	v_not_b32_e32 v27, v33
	v_ashrrev_i32_e32 v31, 31, v31
	s_wait_alu 0xfffd
	v_xor_b32_e32 v29, vcc_lo, v29
	v_cmp_gt_i32_e32 vcc_lo, 0, v33
	v_and_b32_e32 v26, v26, v28
	v_ashrrev_i32_e32 v27, 31, v27
	s_wait_alu 0xf1ff
	v_xor_b32_e32 v31, s14, v31
	v_mov_b32_e32 v33, v10
	v_not_b32_e32 v28, v30
	v_and_b32_e32 v26, v26, v29
	v_cmp_gt_i32_e64 s14, 0, v30
	s_wait_alu 0xfffd
	v_xor_b32_e32 v27, vcc_lo, v27
	v_mov_b32_e32 v32, v9
	v_ashrrev_i32_e32 v28, 31, v28
	v_dual_mov_b32 v31, v12 :: v_dual_and_b32 v26, v26, v31
	v_mov_b32_e32 v30, v11
	v_lshl_add_u32 v35, v66, 2, v57
	s_wait_alu 0xf1ff
	v_xor_b32_e32 v28, s14, v28
	v_and_b32_e32 v26, v26, v27
	s_delay_alu instid0(VALU_DEP_1) | instskip(SKIP_2) | instid1(VALU_DEP_3)
	v_dual_mov_b32 v27, v16 :: v_dual_and_b32 v36, v26, v28
	v_dual_mov_b32 v29, v14 :: v_dual_mov_b32 v28, v13
	v_mov_b32_e32 v26, v15
	v_mbcnt_lo_u32_b32 v34, v36, 0
	v_cmp_ne_u32_e64 s14, 0, v36
	s_delay_alu instid0(VALU_DEP_2)
	v_cmp_eq_u32_e32 vcc_lo, 0, v34
	s_and_b32 s27, s14, vcc_lo
	s_wait_alu 0xfffe
	s_and_saveexec_b32 s14, s27
; %bb.27:                               ;   in Loop: Header=BB133_26 Depth=1
	v_bcnt_u32_b32 v9, v36, 0
	ds_store_b32 v35, v9 offset:4
; %bb.28:                               ;   in Loop: Header=BB133_26 Depth=1
	s_wait_alu 0xfffe
	s_or_b32 exec_lo, exec_lo, s14
	v_lshrrev_b32_e32 v9, v62, v65
	; wave barrier
	s_delay_alu instid0(VALU_DEP_1) | instskip(NEXT) | instid1(VALU_DEP_1)
	v_and_b32_e32 v9, s26, v9
	v_and_b32_e32 v10, 1, v9
	v_lshlrev_b32_e32 v11, 30, v9
	v_lshlrev_b32_e32 v12, 29, v9
	;; [unrolled: 1-line block ×4, first 2 shown]
	v_add_co_u32 v10, s14, v10, -1
	s_wait_alu 0xf1ff
	v_cndmask_b32_e64 v14, 0, 1, s14
	v_not_b32_e32 v37, v11
	v_cmp_gt_i32_e64 s14, 0, v11
	v_not_b32_e32 v11, v12
	v_lshlrev_b32_e32 v16, 26, v9
	v_cmp_ne_u32_e32 vcc_lo, 0, v14
	v_ashrrev_i32_e32 v37, 31, v37
	v_lshlrev_b32_e32 v36, 25, v9
	v_ashrrev_i32_e32 v11, 31, v11
	v_lshlrev_b32_e32 v14, 24, v9
	s_wait_alu 0xfffd
	v_xor_b32_e32 v10, vcc_lo, v10
	v_cmp_gt_i32_e32 vcc_lo, 0, v12
	v_not_b32_e32 v12, v13
	s_wait_alu 0xf1ff
	v_xor_b32_e32 v37, s14, v37
	v_cmp_gt_i32_e64 s14, 0, v13
	v_and_b32_e32 v10, exec_lo, v10
	v_not_b32_e32 v13, v15
	v_ashrrev_i32_e32 v12, 31, v12
	s_wait_alu 0xfffd
	v_xor_b32_e32 v11, vcc_lo, v11
	v_cmp_gt_i32_e32 vcc_lo, 0, v15
	v_and_b32_e32 v10, v10, v37
	v_not_b32_e32 v15, v16
	v_ashrrev_i32_e32 v13, 31, v13
	s_wait_alu 0xf1ff
	v_xor_b32_e32 v12, s14, v12
	v_cmp_gt_i32_e64 s14, 0, v16
	v_and_b32_e32 v10, v10, v11
	v_not_b32_e32 v11, v36
	v_ashrrev_i32_e32 v15, 31, v15
	s_wait_alu 0xfffd
	v_xor_b32_e32 v13, vcc_lo, v13
	v_cmp_gt_i32_e32 vcc_lo, 0, v36
	v_and_b32_e32 v10, v10, v12
	v_not_b32_e32 v12, v14
	v_ashrrev_i32_e32 v11, 31, v11
	s_wait_alu 0xf1ff
	v_xor_b32_e32 v15, s14, v15
	v_cmp_gt_i32_e64 s14, 0, v14
	v_and_b32_e32 v10, v10, v13
	v_ashrrev_i32_e32 v12, 31, v12
	s_wait_alu 0xfffd
	v_xor_b32_e32 v11, vcc_lo, v11
	v_lshl_add_u32 v37, v9, 2, v57
	v_and_b32_e32 v10, v10, v15
	s_wait_alu 0xf1ff
	v_xor_b32_e32 v9, s14, v12
	ds_load_b32 v36, v37 offset:4
	v_and_b32_e32 v10, v10, v11
	; wave barrier
	s_delay_alu instid0(VALU_DEP_1) | instskip(NEXT) | instid1(VALU_DEP_1)
	v_and_b32_e32 v9, v10, v9
	v_mbcnt_lo_u32_b32 v66, v9, 0
	v_cmp_ne_u32_e64 s14, 0, v9
	s_delay_alu instid0(VALU_DEP_2)
	v_cmp_eq_u32_e32 vcc_lo, 0, v66
	s_and_b32 s27, s14, vcc_lo
	s_wait_alu 0xfffe
	s_and_saveexec_b32 s14, s27
	s_cbranch_execz .LBB133_30
; %bb.29:                               ;   in Loop: Header=BB133_26 Depth=1
	s_wait_dscnt 0x0
	v_bcnt_u32_b32 v9, v9, v36
	ds_store_b32 v37, v9 offset:4
.LBB133_30:                             ;   in Loop: Header=BB133_26 Depth=1
	s_wait_alu 0xfffe
	s_or_b32 exec_lo, exec_lo, s14
	v_lshrrev_b32_e32 v9, v62, v64
	; wave barrier
	s_delay_alu instid0(VALU_DEP_1) | instskip(NEXT) | instid1(VALU_DEP_1)
	v_and_b32_e32 v9, s26, v9
	v_and_b32_e32 v10, 1, v9
	v_lshlrev_b32_e32 v11, 30, v9
	v_lshlrev_b32_e32 v12, 29, v9
	;; [unrolled: 1-line block ×4, first 2 shown]
	v_add_co_u32 v10, s14, v10, -1
	s_wait_alu 0xf1ff
	v_cndmask_b32_e64 v14, 0, 1, s14
	v_not_b32_e32 v68, v11
	v_cmp_gt_i32_e64 s14, 0, v11
	v_not_b32_e32 v11, v12
	v_lshlrev_b32_e32 v16, 26, v9
	v_cmp_ne_u32_e32 vcc_lo, 0, v14
	v_ashrrev_i32_e32 v68, 31, v68
	v_lshlrev_b32_e32 v67, 25, v9
	v_ashrrev_i32_e32 v11, 31, v11
	v_lshlrev_b32_e32 v14, 24, v9
	s_wait_alu 0xfffd
	v_xor_b32_e32 v10, vcc_lo, v10
	v_cmp_gt_i32_e32 vcc_lo, 0, v12
	v_not_b32_e32 v12, v13
	s_wait_alu 0xf1ff
	v_xor_b32_e32 v68, s14, v68
	v_cmp_gt_i32_e64 s14, 0, v13
	v_and_b32_e32 v10, exec_lo, v10
	v_not_b32_e32 v13, v15
	v_ashrrev_i32_e32 v12, 31, v12
	s_wait_alu 0xfffd
	v_xor_b32_e32 v11, vcc_lo, v11
	v_cmp_gt_i32_e32 vcc_lo, 0, v15
	v_and_b32_e32 v10, v10, v68
	v_not_b32_e32 v15, v16
	v_ashrrev_i32_e32 v13, 31, v13
	s_wait_alu 0xf1ff
	v_xor_b32_e32 v12, s14, v12
	v_cmp_gt_i32_e64 s14, 0, v16
	v_and_b32_e32 v10, v10, v11
	v_not_b32_e32 v11, v67
	v_ashrrev_i32_e32 v15, 31, v15
	s_wait_alu 0xfffd
	v_xor_b32_e32 v13, vcc_lo, v13
	v_cmp_gt_i32_e32 vcc_lo, 0, v67
	v_and_b32_e32 v10, v10, v12
	v_not_b32_e32 v12, v14
	v_ashrrev_i32_e32 v11, 31, v11
	s_wait_alu 0xf1ff
	v_xor_b32_e32 v15, s14, v15
	v_cmp_gt_i32_e64 s14, 0, v14
	v_and_b32_e32 v10, v10, v13
	v_ashrrev_i32_e32 v12, 31, v12
	s_wait_alu 0xfffd
	v_xor_b32_e32 v11, vcc_lo, v11
	v_lshl_add_u32 v68, v9, 2, v57
	v_and_b32_e32 v10, v10, v15
	s_wait_alu 0xf1ff
	v_xor_b32_e32 v9, s14, v12
	ds_load_b32 v67, v68 offset:4
	v_and_b32_e32 v10, v10, v11
	; wave barrier
	s_delay_alu instid0(VALU_DEP_1) | instskip(NEXT) | instid1(VALU_DEP_1)
	v_and_b32_e32 v9, v10, v9
	v_mbcnt_lo_u32_b32 v69, v9, 0
	v_cmp_ne_u32_e64 s14, 0, v9
	s_delay_alu instid0(VALU_DEP_2)
	v_cmp_eq_u32_e32 vcc_lo, 0, v69
	s_and_b32 s27, s14, vcc_lo
	s_wait_alu 0xfffe
	s_and_saveexec_b32 s14, s27
	s_cbranch_execz .LBB133_32
; %bb.31:                               ;   in Loop: Header=BB133_26 Depth=1
	s_wait_dscnt 0x0
	v_bcnt_u32_b32 v9, v9, v67
	ds_store_b32 v68, v9 offset:4
.LBB133_32:                             ;   in Loop: Header=BB133_26 Depth=1
	s_wait_alu 0xfffe
	s_or_b32 exec_lo, exec_lo, s14
	v_lshrrev_b32_e32 v9, v62, v63
	; wave barrier
	s_delay_alu instid0(VALU_DEP_1) | instskip(NEXT) | instid1(VALU_DEP_1)
	v_and_b32_e32 v9, s26, v9
	v_and_b32_e32 v10, 1, v9
	v_lshlrev_b32_e32 v11, 30, v9
	v_lshlrev_b32_e32 v12, 29, v9
	;; [unrolled: 1-line block ×4, first 2 shown]
	v_add_co_u32 v10, s14, v10, -1
	s_wait_alu 0xf1ff
	v_cndmask_b32_e64 v14, 0, 1, s14
	v_not_b32_e32 v71, v11
	v_cmp_gt_i32_e64 s14, 0, v11
	v_not_b32_e32 v11, v12
	v_lshlrev_b32_e32 v16, 26, v9
	v_cmp_ne_u32_e32 vcc_lo, 0, v14
	v_ashrrev_i32_e32 v71, 31, v71
	v_lshlrev_b32_e32 v70, 25, v9
	v_ashrrev_i32_e32 v11, 31, v11
	v_lshlrev_b32_e32 v14, 24, v9
	s_wait_alu 0xfffd
	v_xor_b32_e32 v10, vcc_lo, v10
	v_cmp_gt_i32_e32 vcc_lo, 0, v12
	v_not_b32_e32 v12, v13
	s_wait_alu 0xf1ff
	v_xor_b32_e32 v71, s14, v71
	v_cmp_gt_i32_e64 s14, 0, v13
	v_and_b32_e32 v10, exec_lo, v10
	v_not_b32_e32 v13, v15
	v_ashrrev_i32_e32 v12, 31, v12
	s_wait_alu 0xfffd
	v_xor_b32_e32 v11, vcc_lo, v11
	v_cmp_gt_i32_e32 vcc_lo, 0, v15
	v_and_b32_e32 v10, v10, v71
	v_not_b32_e32 v15, v16
	v_ashrrev_i32_e32 v13, 31, v13
	s_wait_alu 0xf1ff
	v_xor_b32_e32 v12, s14, v12
	v_cmp_gt_i32_e64 s14, 0, v16
	v_and_b32_e32 v10, v10, v11
	v_not_b32_e32 v11, v70
	v_ashrrev_i32_e32 v15, 31, v15
	s_wait_alu 0xfffd
	v_xor_b32_e32 v13, vcc_lo, v13
	v_cmp_gt_i32_e32 vcc_lo, 0, v70
	v_and_b32_e32 v10, v10, v12
	v_not_b32_e32 v12, v14
	v_ashrrev_i32_e32 v11, 31, v11
	s_wait_alu 0xf1ff
	v_xor_b32_e32 v15, s14, v15
	v_cmp_gt_i32_e64 s14, 0, v14
	v_and_b32_e32 v10, v10, v13
	v_ashrrev_i32_e32 v12, 31, v12
	s_wait_alu 0xfffd
	v_xor_b32_e32 v11, vcc_lo, v11
	v_lshl_add_u32 v70, v9, 2, v57
	v_and_b32_e32 v10, v10, v15
	s_wait_alu 0xf1ff
	v_xor_b32_e32 v9, s14, v12
	ds_load_b32 v71, v70 offset:4
	v_and_b32_e32 v10, v10, v11
	; wave barrier
	s_delay_alu instid0(VALU_DEP_1) | instskip(NEXT) | instid1(VALU_DEP_1)
	v_and_b32_e32 v9, v10, v9
	v_mbcnt_lo_u32_b32 v72, v9, 0
	v_cmp_ne_u32_e64 s14, 0, v9
	s_delay_alu instid0(VALU_DEP_2)
	v_cmp_eq_u32_e32 vcc_lo, 0, v72
	s_and_b32 s26, s14, vcc_lo
	s_wait_alu 0xfffe
	s_and_saveexec_b32 s14, s26
	s_cbranch_execz .LBB133_34
; %bb.33:                               ;   in Loop: Header=BB133_26 Depth=1
	s_wait_dscnt 0x0
	v_bcnt_u32_b32 v9, v9, v71
	ds_store_b32 v70, v9 offset:4
.LBB133_34:                             ;   in Loop: Header=BB133_26 Depth=1
	s_wait_alu 0xfffe
	s_or_b32 exec_lo, exec_lo, s14
	; wave barrier
	; wave barrier
	s_wait_loadcnt_dscnt 0x0
	global_inv scope:SCOPE_SE
	ds_load_2addr_b32 v[15:16], v47 offset0:1 offset1:2
	ds_load_2addr_b32 v[13:14], v47 offset0:3 offset1:4
	;; [unrolled: 1-line block ×4, first 2 shown]
	s_wait_dscnt 0x3
	v_add_nc_u32_e32 v73, v16, v15
	s_wait_dscnt 0x2
	s_delay_alu instid0(VALU_DEP_1) | instskip(SKIP_1) | instid1(VALU_DEP_1)
	v_add3_u32 v73, v73, v13, v14
	s_wait_dscnt 0x1
	v_add3_u32 v73, v73, v11, v12
	s_wait_dscnt 0x0
	s_delay_alu instid0(VALU_DEP_1) | instskip(NEXT) | instid1(VALU_DEP_1)
	v_add3_u32 v10, v73, v9, v10
	v_mov_b32_dpp v73, v10 row_shr:1 row_mask:0xf bank_mask:0xf
	s_delay_alu instid0(VALU_DEP_1) | instskip(NEXT) | instid1(VALU_DEP_1)
	v_cndmask_b32_e64 v73, v73, 0, s9
	v_add_nc_u32_e32 v10, v73, v10
	s_delay_alu instid0(VALU_DEP_1) | instskip(NEXT) | instid1(VALU_DEP_1)
	v_mov_b32_dpp v73, v10 row_shr:2 row_mask:0xf bank_mask:0xf
	v_cndmask_b32_e64 v73, 0, v73, s10
	s_delay_alu instid0(VALU_DEP_1) | instskip(NEXT) | instid1(VALU_DEP_1)
	v_add_nc_u32_e32 v10, v10, v73
	v_mov_b32_dpp v73, v10 row_shr:4 row_mask:0xf bank_mask:0xf
	s_delay_alu instid0(VALU_DEP_1) | instskip(NEXT) | instid1(VALU_DEP_1)
	v_cndmask_b32_e64 v73, 0, v73, s11
	v_add_nc_u32_e32 v10, v10, v73
	s_delay_alu instid0(VALU_DEP_1) | instskip(NEXT) | instid1(VALU_DEP_1)
	v_mov_b32_dpp v73, v10 row_shr:8 row_mask:0xf bank_mask:0xf
	v_cndmask_b32_e64 v73, 0, v73, s12
	s_delay_alu instid0(VALU_DEP_1) | instskip(SKIP_3) | instid1(VALU_DEP_1)
	v_add_nc_u32_e32 v10, v10, v73
	ds_swizzle_b32 v73, v10 offset:swizzle(BROADCAST,32,15)
	s_wait_dscnt 0x0
	v_cndmask_b32_e64 v73, v73, 0, s13
	v_add_nc_u32_e32 v10, v10, v73
	s_and_saveexec_b32 s14, s8
; %bb.35:                               ;   in Loop: Header=BB133_26 Depth=1
	ds_store_b32 v58, v10
; %bb.36:                               ;   in Loop: Header=BB133_26 Depth=1
	s_wait_alu 0xfffe
	s_or_b32 exec_lo, exec_lo, s14
	ds_bpermute_b32 v10, v56, v10
	; wave barrier
	s_wait_loadcnt_dscnt 0x0
	global_inv scope:SCOPE_SE
	v_cmp_lt_u32_e32 vcc_lo, 23, v62
	v_readfirstlane_b32 s14, v0
	s_mov_b32 s26, -1
	s_and_b32 vcc_lo, exec_lo, vcc_lo
	v_cndmask_b32_e64 v10, v10, 0, s21
	s_delay_alu instid0(VALU_DEP_1) | instskip(NEXT) | instid1(VALU_DEP_1)
	v_add_nc_u32_e32 v15, v10, v15
	v_add_nc_u32_e32 v16, v15, v16
	s_delay_alu instid0(VALU_DEP_1) | instskip(NEXT) | instid1(VALU_DEP_1)
	v_add_nc_u32_e32 v13, v16, v13
	v_add_nc_u32_e32 v14, v13, v14
	;; [unrolled: 3-line block ×3, first 2 shown]
	s_delay_alu instid0(VALU_DEP_1)
	v_add_nc_u32_e32 v9, v12, v9
	ds_store_2addr_b32 v47, v10, v15 offset0:1 offset1:2
	ds_store_2addr_b32 v47, v16, v13 offset0:3 offset1:4
	;; [unrolled: 1-line block ×4, first 2 shown]
	; wave barrier
	s_wait_loadcnt_dscnt 0x0
	global_inv scope:SCOPE_SE
	ds_load_b32 v9, v35 offset:4
	ds_load_b32 v10, v37 offset:4
	;; [unrolled: 1-line block ×4, first 2 shown]
                                        ; implicit-def: $vgpr13_vgpr14
	s_wait_dscnt 0x3
	v_add_nc_u32_e32 v70, v9, v34
	s_wait_dscnt 0x2
	v_add3_u32 v68, v66, v36, v10
	s_wait_dscnt 0x1
	v_add3_u32 v67, v69, v67, v11
	;; [unrolled: 2-line block ×3, first 2 shown]
                                        ; implicit-def: $vgpr37
                                        ; implicit-def: $vgpr35
                                        ; implicit-def: $vgpr9_vgpr10
	s_wait_alu 0xfffe
	s_cbranch_vccnz .LBB133_25
; %bb.37:                               ;   in Loop: Header=BB133_26 Depth=1
	v_lshlrev_b32_e32 v9, 2, v70
	v_lshlrev_b32_e32 v10, 2, v68
	;; [unrolled: 1-line block ×4, first 2 shown]
	s_wait_loadcnt 0x0
	; wave barrier
	global_inv scope:SCOPE_SE
	ds_store_b32 v9, v61
	ds_store_b32 v10, v65
	;; [unrolled: 1-line block ×4, first 2 shown]
	v_add_nc_u32_e32 v9, v9, v9
	v_add_nc_u32_e32 v10, v10, v10
	;; [unrolled: 1-line block ×4, first 2 shown]
	; wave barrier
	s_wait_loadcnt_dscnt 0x0
	global_inv scope:SCOPE_SE
	ds_load_2addr_b32 v[34:35], v0 offset1:32
	ds_load_2addr_b32 v[36:37], v0 offset0:64 offset1:96
	; wave barrier
	s_wait_loadcnt_dscnt 0x0
	global_inv scope:SCOPE_SE
	ds_store_b64 v9, v[32:33]
	ds_store_b64 v10, v[30:31]
	;; [unrolled: 1-line block ×4, first 2 shown]
	; wave barrier
	s_wait_loadcnt_dscnt 0x0
	global_inv scope:SCOPE_SE
	ds_load_2addr_b64 v[9:12], v60 offset1:32
	ds_load_2addr_b64 v[13:16], v60 offset0:64 offset1:96
	v_add_nc_u32_e32 v62, 8, v62
	s_add_co_i32 s14, s15, -8
	s_mov_b32 s26, 0
	; wave barrier
	s_wait_loadcnt_dscnt 0x0
	global_inv scope:SCOPE_SE
	s_branch .LBB133_25
.LBB133_38:
	v_lshlrev_b32_e32 v0, 2, v70
	v_lshlrev_b32_e32 v14, 2, v67
	;; [unrolled: 1-line block ×5, first 2 shown]
	s_wait_loadcnt 0x0
	; wave barrier
	global_inv scope:SCOPE_SE
	ds_store_b32 v0, v61
	ds_store_b32 v9, v65
	;; [unrolled: 1-line block ×4, first 2 shown]
	; wave barrier
	s_wait_loadcnt_dscnt 0x0
	global_inv scope:SCOPE_SE
	ds_load_b128 v[10:13], v10
	v_add_nc_u32_e32 v0, v0, v0
	v_add_nc_u32_e32 v9, v9, v9
	;; [unrolled: 1-line block ×3, first 2 shown]
	; wave barrier
	s_wait_loadcnt_dscnt 0x0
	global_inv scope:SCOPE_SE
	v_add_nc_u32_e32 v15, v15, v15
	ds_store_b64 v0, v[32:33]
	ds_store_b64 v9, v[30:31]
	;; [unrolled: 1-line block ×3, first 2 shown]
	s_mov_b32 s9, 0
	ds_store_b64 v15, v[26:27]
	; wave barrier
	s_wait_loadcnt_dscnt 0x0
	global_inv scope:SCOPE_SE
	v_xor_b32_e32 v9, 0x80000000, v10
	v_xor_b32_e32 v11, 0x80000000, v11
	;; [unrolled: 1-line block ×4, first 2 shown]
.LBB133_39:
	s_wait_alu 0xfffe
	s_and_b32 vcc_lo, exec_lo, s9
	s_wait_alu 0xfffe
	s_cbranch_vccz .LBB133_55
; %bb.40:
	v_xor_b32_e32 v0, 0x7fffffff, v24
	v_xor_b32_e32 v9, 0x7fffffff, v25
	;; [unrolled: 1-line block ×4, first 2 shown]
	ds_bpermute_b32 v12, v54, v5
	ds_bpermute_b32 v13, v54, v0
	;; [unrolled: 1-line block ×4, first 2 shown]
	ds_bpermute_b32 v24, v54, v0 offset:64
	ds_bpermute_b32 v27, v55, v9
	ds_bpermute_b32 v28, v54, v10
	;; [unrolled: 1-line block ×3, first 2 shown]
	ds_bpermute_b32 v0, v54, v0 offset:96
	ds_bpermute_b32 v30, v54, v9 offset:64
	ds_bpermute_b32 v31, v55, v10
	ds_bpermute_b32 v32, v54, v11
	;; [unrolled: 1-line block ×4, first 2 shown]
	ds_bpermute_b32 v9, v54, v9 offset:96
	ds_bpermute_b32 v25, v54, v1
	ds_bpermute_b32 v26, v54, v2
	;; [unrolled: 1-line block ×3, first 2 shown]
	ds_bpermute_b32 v37, v54, v10 offset:64
	ds_bpermute_b32 v10, v54, v10 offset:96
	ds_bpermute_b32 v29, v54, v3
	s_wait_dscnt 0x13
	v_cndmask_b32_e64 v13, 0, v13, s7
	s_wait_dscnt 0x12
	v_cndmask_b32_e64 v22, 0, v22, s7
	ds_bpermute_b32 v33, v54, v4
	ds_bpermute_b32 v35, v55, v6
	;; [unrolled: 1-line block ×3, first 2 shown]
	s_wait_dscnt 0x14
	v_cndmask_b32_e64 v13, v13, v23, s6
	ds_bpermute_b32 v56, v55, v7
	ds_bpermute_b32 v57, v54, v11 offset:64
	s_wait_dscnt 0x15
	v_cndmask_b32_e64 v23, 0, v24, s7
	s_wait_dscnt 0x14
	v_cndmask_b32_e64 v22, v22, v27, s6
	;; [unrolled: 2-line block ×3, first 2 shown]
	ds_bpermute_b32 v11, v54, v11 offset:96
	s_wait_dscnt 0x12
	v_cndmask_b32_e64 v0, 0, v0, s7
	s_wait_dscnt 0x11
	v_cndmask_b32_e64 v24, v23, v30, s6
	;; [unrolled: 2-line block ×4, first 2 shown]
	ds_bpermute_b32 v13, v55, v8
	v_cndmask_b32_e64 v14, 0, v14, s7
	ds_bpermute_b32 v27, v55, v1
	v_cndmask_b32_e64 v12, 0, v12, s7
	s_wait_dscnt 0xe
	v_cndmask_b32_e64 v0, v0, v9, s6
	ds_bpermute_b32 v28, v54, v2 offset:64
	v_cndmask_b32_e64 v9, v14, v16, s6
	ds_bpermute_b32 v14, v54, v6 offset:64
	v_cndmask_b32_e64 v12, v12, v15, s6
	s_wait_dscnt 0xb
	v_cndmask_b32_e64 v0, v0, v10, s5
	v_cndmask_b32_e64 v10, 0, v34, s7
	;; [unrolled: 1-line block ×3, first 2 shown]
	s_wait_dscnt 0x8
	v_cndmask_b32_e64 v15, 0, v35, s7
	v_cndmask_b32_e64 v12, v12, v25, s5
	ds_bpermute_b32 v16, v54, v5 offset:64
	s_wait_dscnt 0x5
	v_cndmask_b32_e64 v25, v0, v11, s1
	v_cndmask_b32_e64 v0, v10, v56, s6
	;; [unrolled: 1-line block ×4, first 2 shown]
	ds_bpermute_b32 v12, v55, v2
	ds_bpermute_b32 v6, v54, v6 offset:96
	ds_bpermute_b32 v5, v54, v5 offset:96
	s_wait_dscnt 0x7
	v_cndmask_b32_e64 v11, v15, v13, s6
	s_wait_dscnt 0x6
	v_cndmask_b32_e64 v0, v0, v27, s5
	ds_bpermute_b32 v15, v55, v4
	ds_bpermute_b32 v26, v54, v8 offset:64
	ds_bpermute_b32 v27, v54, v7 offset:64
	;; [unrolled: 1-line block ×4, first 2 shown]
	ds_bpermute_b32 v13, v55, v3
	ds_bpermute_b32 v29, v54, v1 offset:64
	ds_bpermute_b32 v2, v54, v2 offset:96
	;; [unrolled: 1-line block ×7, first 2 shown]
	; wave barrier
	s_wait_loadcnt_dscnt 0x0
	global_inv scope:SCOPE_SE
	s_load_b32 s8, s[24:25], 0xc
	v_cndmask_b32_e64 v14, 0, v14, s7
	v_cndmask_b32_e64 v4, v11, v12, s5
	v_cndmask_b32_e64 v11, 0, v16, s7
	v_cndmask_b32_e64 v6, 0, v6, s7
	v_cndmask_b32_e64 v5, 0, v5, s7
	v_cndmask_b32_e64 v14, v14, v26, s6
	v_cndmask_b32_e64 v12, v4, v15, s1
	v_cndmask_b32_e64 v4, v11, v27, s6
	v_cndmask_b32_e64 v6, v6, v8, s6
	v_cndmask_b32_e64 v5, v5, v7, s6
	v_cndmask_b32_e64 v24, v24, v37, s5
	v_cndmask_b32_e64 v7, v14, v28, s5
	v_cndmask_b32_e64 v11, v0, v13, s1
	v_cndmask_b32_e64 v0, v4, v29, s5
	v_cndmask_b32_e64 v2, v6, v2, s5
	v_cndmask_b32_e64 v4, v5, v1, s5
	s_getpc_b64 s[6:7]
	s_wait_alu 0xfffe
	s_sext_i32_i16 s7, s7
	s_add_co_u32 s6, s6, _ZN7rocprim17ROCPRIM_400000_NS16block_radix_sortIiLj32ELj4ElLj1ELj1ELj0ELNS0_26block_radix_rank_algorithmE1ELNS0_18block_padding_hintE2ELNS0_4arch9wavefront6targetE0EE19radix_bits_per_passE@rel32@lo+12
	s_wait_alu 0xfffe
	s_add_co_ci_u32 s7, s7, _ZN7rocprim17ROCPRIM_400000_NS16block_radix_sortIiLj32ELj4ElLj1ELj1ELj0ELNS0_26block_radix_rank_algorithmE1ELNS0_18block_padding_hintE2ELNS0_4arch9wavefront6targetE0EE19radix_bits_per_passE@rel32@hi+24
	v_cndmask_b32_e64 v23, v23, v36, s1
	v_cndmask_b32_e64 v24, v24, v57, s1
	;; [unrolled: 1-line block ×6, first 2 shown]
	s_wait_kmcnt 0x0
	s_lshr_b32 s1, s8, 16
	s_load_b32 s11, s[6:7], 0x0
	v_mad_u32_u24 v4, v53, s1, v52
	s_and_b32 s1, s8, 0xffff
	v_sub_co_u32 v6, s10, v48, 1
	v_dual_mov_b32 v32, 0 :: v_dual_lshlrev_b32 v27, 2, v49
	s_wait_alu 0xfffe
	v_mad_co_u64_u32 v[4:5], null, v4, s1, v[21:22]
	s_delay_alu instid0(VALU_DEP_3)
	v_cmp_gt_i32_e32 vcc_lo, 0, v6
	v_cmp_eq_u32_e64 s1, 0, v50
	v_cmp_lt_u32_e64 s5, 1, v50
	v_cmp_lt_u32_e64 s6, 3, v50
	;; [unrolled: 1-line block ×3, first 2 shown]
	s_wait_alu 0xfffd
	v_dual_cndmask_b32 v5, v6, v48 :: v_dual_mov_b32 v28, 0
	v_lshrrev_b32_e32 v4, 3, v4
	v_cmp_eq_u32_e32 vcc_lo, 0, v21
	v_cmp_eq_u32_e64 s8, 0, v51
	v_cmp_eq_u32_e64 s9, 31, v21
	v_dual_mov_b32 v29, 0 :: v_dual_lshlrev_b32 v26, 2, v5
	v_and_b32_e32 v21, 0x1ffffffc, v4
	v_add_nc_u32_e32 v30, v27, v27
	s_or_b32 s12, vcc_lo, s10
	s_mov_b32 s13, 32
	s_branch .LBB133_42
.LBB133_41:                             ;   in Loop: Header=BB133_42 Depth=1
	s_wait_alu 0xfffe
	s_and_not1_b32 vcc_lo, exec_lo, s14
	s_mov_b32 s13, s10
	s_wait_alu 0xfffe
	s_cbranch_vccz .LBB133_54
.LBB133_42:                             ; =>This Inner Loop Header: Depth=1
	s_wait_kmcnt 0x0
	s_wait_alu 0xfffe
	s_min_u32 s10, s11, s13
	ds_store_2addr_b32 v47, v29, v29 offset0:1 offset1:2
	ds_store_2addr_b32 v47, v29, v29 offset0:3 offset1:4
	;; [unrolled: 1-line block ×4, first 2 shown]
	s_wait_alu 0xfffe
	s_lshl_b32 s10, -1, s10
	s_wait_loadcnt_dscnt 0x0
	s_wait_alu 0xfffe
	s_not_b32 s14, s10
	v_mov_b32_e32 v31, v22
	; wave barrier
	global_inv scope:SCOPE_SE
	; wave barrier
	v_mov_b32_e32 v33, v25
	v_lshrrev_b32_e32 v4, v32, v31
	v_dual_mov_b32 v34, v24 :: v_dual_mov_b32 v35, v23
	s_wait_alu 0xfffe
	s_delay_alu instid0(VALU_DEP_2) | instskip(NEXT) | instid1(VALU_DEP_1)
	v_and_b32_e32 v22, s14, v4
	v_and_b32_e32 v4, 1, v22
	v_lshlrev_b32_e32 v5, 30, v22
	v_lshlrev_b32_e32 v6, 29, v22
	;; [unrolled: 1-line block ×4, first 2 shown]
	v_add_co_u32 v4, s10, v4, -1
	s_wait_alu 0xf1ff
	v_cndmask_b32_e64 v8, 0, 1, s10
	v_not_b32_e32 v16, v5
	v_cmp_gt_i32_e64 s10, 0, v5
	v_not_b32_e32 v5, v6
	v_lshlrev_b32_e32 v15, 25, v22
	v_cmp_ne_u32_e32 vcc_lo, 0, v8
	v_ashrrev_i32_e32 v16, 31, v16
	v_lshlrev_b32_e32 v14, 26, v22
	v_ashrrev_i32_e32 v5, 31, v5
	v_lshlrev_b32_e32 v8, 24, v22
	s_wait_alu 0xfffd
	v_xor_b32_e32 v4, vcc_lo, v4
	v_cmp_gt_i32_e32 vcc_lo, 0, v6
	v_not_b32_e32 v6, v7
	s_wait_alu 0xf1ff
	v_xor_b32_e32 v16, s10, v16
	v_cmp_gt_i32_e64 s10, 0, v7
	v_and_b32_e32 v4, exec_lo, v4
	v_not_b32_e32 v7, v13
	s_wait_alu 0xfffd
	v_xor_b32_e32 v5, vcc_lo, v5
	v_cmp_gt_i32_e32 vcc_lo, 0, v13
	v_ashrrev_i32_e32 v6, 31, v6
	v_and_b32_e32 v4, v4, v16
	v_ashrrev_i32_e32 v7, 31, v7
	v_lshl_add_u32 v22, v22, 2, v21
	s_wait_alu 0xf1ff
	v_xor_b32_e32 v6, s10, v6
	v_and_b32_e32 v4, v4, v5
	v_not_b32_e32 v5, v15
	s_wait_alu 0xfffd
	v_xor_b32_e32 v7, vcc_lo, v7
	v_cmp_gt_i32_e32 vcc_lo, 0, v15
	v_dual_mov_b32 v16, v10 :: v_dual_mov_b32 v15, v9
	v_not_b32_e32 v13, v14
	v_cmp_gt_i32_e64 s10, 0, v14
	v_and_b32_e32 v4, v4, v6
	v_ashrrev_i32_e32 v5, 31, v5
	s_delay_alu instid0(VALU_DEP_4) | instskip(NEXT) | instid1(VALU_DEP_3)
	v_ashrrev_i32_e32 v13, 31, v13
	v_and_b32_e32 v4, v4, v7
	s_wait_alu 0xfffd
	s_delay_alu instid0(VALU_DEP_3) | instskip(SKIP_2) | instid1(VALU_DEP_1)
	v_xor_b32_e32 v5, vcc_lo, v5
	s_wait_alu 0xf1ff
	v_xor_b32_e32 v13, s10, v13
	v_and_b32_e32 v4, v4, v13
	v_dual_mov_b32 v14, v12 :: v_dual_mov_b32 v13, v11
	v_not_b32_e32 v6, v8
	v_cmp_gt_i32_e64 s10, 0, v8
	s_delay_alu instid0(VALU_DEP_4) | instskip(NEXT) | instid1(VALU_DEP_3)
	v_and_b32_e32 v4, v4, v5
	v_ashrrev_i32_e32 v6, 31, v6
	s_wait_alu 0xf1ff
	s_delay_alu instid0(VALU_DEP_1) | instskip(NEXT) | instid1(VALU_DEP_1)
	v_xor_b32_e32 v6, s10, v6
	v_dual_mov_b32 v5, v3 :: v_dual_and_b32 v8, v4, v6
	v_dual_mov_b32 v7, v1 :: v_dual_mov_b32 v6, v0
	v_mov_b32_e32 v4, v2
	s_delay_alu instid0(VALU_DEP_3) | instskip(SKIP_1) | instid1(VALU_DEP_2)
	v_mbcnt_lo_u32_b32 v12, v8, 0
	v_cmp_ne_u32_e64 s10, 0, v8
	v_cmp_eq_u32_e32 vcc_lo, 0, v12
	s_and_b32 s15, s10, vcc_lo
	s_wait_alu 0xfffe
	s_and_saveexec_b32 s10, s15
; %bb.43:                               ;   in Loop: Header=BB133_42 Depth=1
	v_bcnt_u32_b32 v0, v8, 0
	ds_store_b32 v22, v0 offset:4
; %bb.44:                               ;   in Loop: Header=BB133_42 Depth=1
	s_wait_alu 0xfffe
	s_or_b32 exec_lo, exec_lo, s10
	v_lshrrev_b32_e32 v0, v32, v35
	; wave barrier
	s_delay_alu instid0(VALU_DEP_1) | instskip(NEXT) | instid1(VALU_DEP_1)
	v_and_b32_e32 v0, s14, v0
	v_and_b32_e32 v1, 1, v0
	v_lshlrev_b32_e32 v2, 30, v0
	v_lshlrev_b32_e32 v3, 29, v0
	;; [unrolled: 1-line block ×4, first 2 shown]
	v_add_co_u32 v1, s10, v1, -1
	s_wait_alu 0xf1ff
	v_cndmask_b32_e64 v9, 0, 1, s10
	v_not_b32_e32 v24, v2
	v_cmp_gt_i32_e64 s10, 0, v2
	v_not_b32_e32 v2, v3
	v_lshlrev_b32_e32 v11, 26, v0
	v_cmp_ne_u32_e32 vcc_lo, 0, v9
	v_ashrrev_i32_e32 v24, 31, v24
	v_lshlrev_b32_e32 v23, 25, v0
	v_ashrrev_i32_e32 v2, 31, v2
	v_lshlrev_b32_e32 v9, 24, v0
	s_wait_alu 0xfffd
	v_xor_b32_e32 v1, vcc_lo, v1
	v_cmp_gt_i32_e32 vcc_lo, 0, v3
	v_not_b32_e32 v3, v8
	s_wait_alu 0xf1ff
	v_xor_b32_e32 v24, s10, v24
	v_cmp_gt_i32_e64 s10, 0, v8
	v_and_b32_e32 v1, exec_lo, v1
	v_not_b32_e32 v8, v10
	v_ashrrev_i32_e32 v3, 31, v3
	s_wait_alu 0xfffd
	v_xor_b32_e32 v2, vcc_lo, v2
	v_cmp_gt_i32_e32 vcc_lo, 0, v10
	v_and_b32_e32 v1, v1, v24
	v_not_b32_e32 v10, v11
	v_ashrrev_i32_e32 v8, 31, v8
	s_wait_alu 0xf1ff
	v_xor_b32_e32 v3, s10, v3
	v_cmp_gt_i32_e64 s10, 0, v11
	v_and_b32_e32 v1, v1, v2
	v_not_b32_e32 v2, v23
	v_ashrrev_i32_e32 v10, 31, v10
	s_wait_alu 0xfffd
	v_xor_b32_e32 v8, vcc_lo, v8
	v_cmp_gt_i32_e32 vcc_lo, 0, v23
	v_and_b32_e32 v1, v1, v3
	v_not_b32_e32 v3, v9
	v_ashrrev_i32_e32 v2, 31, v2
	s_wait_alu 0xf1ff
	v_xor_b32_e32 v10, s10, v10
	v_cmp_gt_i32_e64 s10, 0, v9
	v_and_b32_e32 v1, v1, v8
	v_ashrrev_i32_e32 v3, 31, v3
	s_wait_alu 0xfffd
	v_xor_b32_e32 v2, vcc_lo, v2
	v_lshl_add_u32 v24, v0, 2, v21
	v_and_b32_e32 v1, v1, v10
	s_wait_alu 0xf1ff
	v_xor_b32_e32 v0, s10, v3
	ds_load_b32 v23, v24 offset:4
	v_and_b32_e32 v1, v1, v2
	; wave barrier
	s_delay_alu instid0(VALU_DEP_1) | instskip(NEXT) | instid1(VALU_DEP_1)
	v_and_b32_e32 v0, v1, v0
	v_mbcnt_lo_u32_b32 v25, v0, 0
	v_cmp_ne_u32_e64 s10, 0, v0
	s_delay_alu instid0(VALU_DEP_2)
	v_cmp_eq_u32_e32 vcc_lo, 0, v25
	s_and_b32 s15, s10, vcc_lo
	s_wait_alu 0xfffe
	s_and_saveexec_b32 s10, s15
	s_cbranch_execz .LBB133_46
; %bb.45:                               ;   in Loop: Header=BB133_42 Depth=1
	s_wait_dscnt 0x0
	v_bcnt_u32_b32 v0, v0, v23
	ds_store_b32 v24, v0 offset:4
.LBB133_46:                             ;   in Loop: Header=BB133_42 Depth=1
	s_wait_alu 0xfffe
	s_or_b32 exec_lo, exec_lo, s10
	v_lshrrev_b32_e32 v0, v32, v34
	; wave barrier
	s_delay_alu instid0(VALU_DEP_1) | instskip(NEXT) | instid1(VALU_DEP_1)
	v_and_b32_e32 v0, s14, v0
	v_and_b32_e32 v1, 1, v0
	v_lshlrev_b32_e32 v2, 30, v0
	v_lshlrev_b32_e32 v3, 29, v0
	;; [unrolled: 1-line block ×4, first 2 shown]
	v_add_co_u32 v1, s10, v1, -1
	s_wait_alu 0xf1ff
	v_cndmask_b32_e64 v9, 0, 1, s10
	v_not_b32_e32 v37, v2
	v_cmp_gt_i32_e64 s10, 0, v2
	v_not_b32_e32 v2, v3
	v_lshlrev_b32_e32 v11, 26, v0
	v_cmp_ne_u32_e32 vcc_lo, 0, v9
	v_ashrrev_i32_e32 v37, 31, v37
	v_lshlrev_b32_e32 v36, 25, v0
	v_ashrrev_i32_e32 v2, 31, v2
	v_lshlrev_b32_e32 v9, 24, v0
	s_wait_alu 0xfffd
	v_xor_b32_e32 v1, vcc_lo, v1
	v_cmp_gt_i32_e32 vcc_lo, 0, v3
	v_not_b32_e32 v3, v8
	s_wait_alu 0xf1ff
	v_xor_b32_e32 v37, s10, v37
	v_cmp_gt_i32_e64 s10, 0, v8
	v_and_b32_e32 v1, exec_lo, v1
	v_not_b32_e32 v8, v10
	v_ashrrev_i32_e32 v3, 31, v3
	s_wait_alu 0xfffd
	v_xor_b32_e32 v2, vcc_lo, v2
	v_cmp_gt_i32_e32 vcc_lo, 0, v10
	v_and_b32_e32 v1, v1, v37
	v_not_b32_e32 v10, v11
	v_ashrrev_i32_e32 v8, 31, v8
	s_wait_alu 0xf1ff
	v_xor_b32_e32 v3, s10, v3
	v_cmp_gt_i32_e64 s10, 0, v11
	v_and_b32_e32 v1, v1, v2
	v_not_b32_e32 v2, v36
	v_ashrrev_i32_e32 v10, 31, v10
	s_wait_alu 0xfffd
	v_xor_b32_e32 v8, vcc_lo, v8
	v_cmp_gt_i32_e32 vcc_lo, 0, v36
	v_and_b32_e32 v1, v1, v3
	v_not_b32_e32 v3, v9
	v_ashrrev_i32_e32 v2, 31, v2
	s_wait_alu 0xf1ff
	v_xor_b32_e32 v10, s10, v10
	v_cmp_gt_i32_e64 s10, 0, v9
	v_and_b32_e32 v1, v1, v8
	v_ashrrev_i32_e32 v3, 31, v3
	s_wait_alu 0xfffd
	v_xor_b32_e32 v2, vcc_lo, v2
	v_lshl_add_u32 v37, v0, 2, v21
	v_and_b32_e32 v1, v1, v10
	s_wait_alu 0xf1ff
	v_xor_b32_e32 v0, s10, v3
	ds_load_b32 v36, v37 offset:4
	v_and_b32_e32 v1, v1, v2
	; wave barrier
	s_delay_alu instid0(VALU_DEP_1) | instskip(NEXT) | instid1(VALU_DEP_1)
	v_and_b32_e32 v0, v1, v0
	v_mbcnt_lo_u32_b32 v48, v0, 0
	v_cmp_ne_u32_e64 s10, 0, v0
	s_delay_alu instid0(VALU_DEP_2)
	v_cmp_eq_u32_e32 vcc_lo, 0, v48
	s_and_b32 s15, s10, vcc_lo
	s_wait_alu 0xfffe
	s_and_saveexec_b32 s10, s15
	s_cbranch_execz .LBB133_48
; %bb.47:                               ;   in Loop: Header=BB133_42 Depth=1
	s_wait_dscnt 0x0
	v_bcnt_u32_b32 v0, v0, v36
	ds_store_b32 v37, v0 offset:4
.LBB133_48:                             ;   in Loop: Header=BB133_42 Depth=1
	s_wait_alu 0xfffe
	s_or_b32 exec_lo, exec_lo, s10
	v_lshrrev_b32_e32 v0, v32, v33
	; wave barrier
	s_delay_alu instid0(VALU_DEP_1) | instskip(NEXT) | instid1(VALU_DEP_1)
	v_and_b32_e32 v0, s14, v0
	v_and_b32_e32 v1, 1, v0
	v_lshlrev_b32_e32 v2, 30, v0
	v_lshlrev_b32_e32 v3, 29, v0
	;; [unrolled: 1-line block ×4, first 2 shown]
	v_add_co_u32 v1, s10, v1, -1
	s_wait_alu 0xf1ff
	v_cndmask_b32_e64 v9, 0, 1, s10
	v_not_b32_e32 v50, v2
	v_cmp_gt_i32_e64 s10, 0, v2
	v_not_b32_e32 v2, v3
	v_lshlrev_b32_e32 v11, 26, v0
	v_cmp_ne_u32_e32 vcc_lo, 0, v9
	v_ashrrev_i32_e32 v50, 31, v50
	v_lshlrev_b32_e32 v49, 25, v0
	v_ashrrev_i32_e32 v2, 31, v2
	v_lshlrev_b32_e32 v9, 24, v0
	s_wait_alu 0xfffd
	v_xor_b32_e32 v1, vcc_lo, v1
	v_cmp_gt_i32_e32 vcc_lo, 0, v3
	v_not_b32_e32 v3, v8
	s_wait_alu 0xf1ff
	v_xor_b32_e32 v50, s10, v50
	v_cmp_gt_i32_e64 s10, 0, v8
	v_and_b32_e32 v1, exec_lo, v1
	v_not_b32_e32 v8, v10
	v_ashrrev_i32_e32 v3, 31, v3
	s_wait_alu 0xfffd
	v_xor_b32_e32 v2, vcc_lo, v2
	v_cmp_gt_i32_e32 vcc_lo, 0, v10
	v_and_b32_e32 v1, v1, v50
	v_not_b32_e32 v10, v11
	v_ashrrev_i32_e32 v8, 31, v8
	s_wait_alu 0xf1ff
	v_xor_b32_e32 v3, s10, v3
	v_cmp_gt_i32_e64 s10, 0, v11
	v_and_b32_e32 v1, v1, v2
	v_not_b32_e32 v2, v49
	v_ashrrev_i32_e32 v10, 31, v10
	s_wait_alu 0xfffd
	v_xor_b32_e32 v8, vcc_lo, v8
	v_cmp_gt_i32_e32 vcc_lo, 0, v49
	v_and_b32_e32 v1, v1, v3
	v_not_b32_e32 v3, v9
	v_ashrrev_i32_e32 v2, 31, v2
	s_wait_alu 0xf1ff
	v_xor_b32_e32 v10, s10, v10
	v_cmp_gt_i32_e64 s10, 0, v9
	v_and_b32_e32 v1, v1, v8
	v_ashrrev_i32_e32 v3, 31, v3
	s_wait_alu 0xfffd
	v_xor_b32_e32 v2, vcc_lo, v2
	v_lshl_add_u32 v49, v0, 2, v21
	v_and_b32_e32 v1, v1, v10
	s_wait_alu 0xf1ff
	v_xor_b32_e32 v0, s10, v3
	ds_load_b32 v50, v49 offset:4
	v_and_b32_e32 v1, v1, v2
	; wave barrier
	s_delay_alu instid0(VALU_DEP_1) | instskip(NEXT) | instid1(VALU_DEP_1)
	v_and_b32_e32 v0, v1, v0
	v_mbcnt_lo_u32_b32 v51, v0, 0
	v_cmp_ne_u32_e64 s10, 0, v0
	s_delay_alu instid0(VALU_DEP_2)
	v_cmp_eq_u32_e32 vcc_lo, 0, v51
	s_and_b32 s14, s10, vcc_lo
	s_wait_alu 0xfffe
	s_and_saveexec_b32 s10, s14
	s_cbranch_execz .LBB133_50
; %bb.49:                               ;   in Loop: Header=BB133_42 Depth=1
	s_wait_dscnt 0x0
	v_bcnt_u32_b32 v0, v0, v50
	ds_store_b32 v49, v0 offset:4
.LBB133_50:                             ;   in Loop: Header=BB133_42 Depth=1
	s_wait_alu 0xfffe
	s_or_b32 exec_lo, exec_lo, s10
	; wave barrier
	; wave barrier
	s_wait_loadcnt_dscnt 0x0
	global_inv scope:SCOPE_SE
	ds_load_2addr_b32 v[10:11], v47 offset0:1 offset1:2
	ds_load_2addr_b32 v[8:9], v47 offset0:3 offset1:4
	;; [unrolled: 1-line block ×4, first 2 shown]
	s_wait_dscnt 0x3
	v_add_nc_u32_e32 v52, v11, v10
	s_wait_dscnt 0x2
	s_delay_alu instid0(VALU_DEP_1) | instskip(SKIP_1) | instid1(VALU_DEP_1)
	v_add3_u32 v52, v52, v8, v9
	s_wait_dscnt 0x1
	v_add3_u32 v52, v52, v2, v3
	s_wait_dscnt 0x0
	s_delay_alu instid0(VALU_DEP_1) | instskip(NEXT) | instid1(VALU_DEP_1)
	v_add3_u32 v1, v52, v0, v1
	v_mov_b32_dpp v52, v1 row_shr:1 row_mask:0xf bank_mask:0xf
	s_delay_alu instid0(VALU_DEP_1) | instskip(NEXT) | instid1(VALU_DEP_1)
	v_cndmask_b32_e64 v52, v52, 0, s1
	v_add_nc_u32_e32 v1, v52, v1
	s_delay_alu instid0(VALU_DEP_1) | instskip(NEXT) | instid1(VALU_DEP_1)
	v_mov_b32_dpp v52, v1 row_shr:2 row_mask:0xf bank_mask:0xf
	v_cndmask_b32_e64 v52, 0, v52, s5
	s_delay_alu instid0(VALU_DEP_1) | instskip(NEXT) | instid1(VALU_DEP_1)
	v_add_nc_u32_e32 v1, v1, v52
	v_mov_b32_dpp v52, v1 row_shr:4 row_mask:0xf bank_mask:0xf
	s_delay_alu instid0(VALU_DEP_1) | instskip(NEXT) | instid1(VALU_DEP_1)
	v_cndmask_b32_e64 v52, 0, v52, s6
	v_add_nc_u32_e32 v1, v1, v52
	s_delay_alu instid0(VALU_DEP_1) | instskip(NEXT) | instid1(VALU_DEP_1)
	v_mov_b32_dpp v52, v1 row_shr:8 row_mask:0xf bank_mask:0xf
	v_cndmask_b32_e64 v52, 0, v52, s7
	s_delay_alu instid0(VALU_DEP_1) | instskip(SKIP_3) | instid1(VALU_DEP_1)
	v_add_nc_u32_e32 v1, v1, v52
	ds_swizzle_b32 v52, v1 offset:swizzle(BROADCAST,32,15)
	s_wait_dscnt 0x0
	v_cndmask_b32_e64 v52, v52, 0, s8
	v_add_nc_u32_e32 v1, v1, v52
	s_and_saveexec_b32 s10, s9
; %bb.51:                               ;   in Loop: Header=BB133_42 Depth=1
	ds_store_b32 v28, v1
; %bb.52:                               ;   in Loop: Header=BB133_42 Depth=1
	s_wait_alu 0xfffe
	s_or_b32 exec_lo, exec_lo, s10
	ds_bpermute_b32 v1, v26, v1
	; wave barrier
	s_wait_loadcnt_dscnt 0x0
	global_inv scope:SCOPE_SE
	v_cmp_lt_u32_e32 vcc_lo, 23, v32
	s_mov_b32 s14, -1
	s_and_b32 vcc_lo, exec_lo, vcc_lo
	v_cndmask_b32_e64 v1, v1, 0, s12
	s_delay_alu instid0(VALU_DEP_1) | instskip(NEXT) | instid1(VALU_DEP_1)
	v_add_nc_u32_e32 v10, v1, v10
	v_add_nc_u32_e32 v11, v10, v11
	s_delay_alu instid0(VALU_DEP_1) | instskip(NEXT) | instid1(VALU_DEP_1)
	v_add_nc_u32_e32 v8, v11, v8
	v_add_nc_u32_e32 v9, v8, v9
	;; [unrolled: 3-line block ×3, first 2 shown]
	s_delay_alu instid0(VALU_DEP_1)
	v_add_nc_u32_e32 v0, v3, v0
	ds_store_2addr_b32 v47, v1, v10 offset0:1 offset1:2
	ds_store_2addr_b32 v47, v11, v8 offset0:3 offset1:4
	;; [unrolled: 1-line block ×4, first 2 shown]
	; wave barrier
	s_wait_loadcnt_dscnt 0x0
	global_inv scope:SCOPE_SE
	ds_load_b32 v0, v22 offset:4
	ds_load_b32 v1, v24 offset:4
	;; [unrolled: 1-line block ×4, first 2 shown]
	s_wait_dscnt 0x3
	v_add_nc_u32_e32 v49, v0, v12
	s_wait_dscnt 0x2
	v_add3_u32 v37, v25, v23, v1
	s_wait_dscnt 0x1
	v_add3_u32 v36, v48, v36, v2
	;; [unrolled: 2-line block ×3, first 2 shown]
	v_readfirstlane_b32 s10, v0
                                        ; implicit-def: $vgpr25
                                        ; implicit-def: $vgpr23
                                        ; implicit-def: $vgpr9_vgpr10
                                        ; implicit-def: $vgpr0_vgpr1
	s_wait_alu 0xfffe
	s_cbranch_vccnz .LBB133_41
; %bb.53:                               ;   in Loop: Header=BB133_42 Depth=1
	v_lshlrev_b32_e32 v0, 2, v49
	v_lshlrev_b32_e32 v1, 2, v37
	;; [unrolled: 1-line block ×4, first 2 shown]
	s_wait_loadcnt 0x0
	; wave barrier
	global_inv scope:SCOPE_SE
	ds_store_b32 v0, v31
	ds_store_b32 v1, v35
	;; [unrolled: 1-line block ×4, first 2 shown]
	v_add_nc_u32_e32 v0, v0, v0
	v_add_nc_u32_e32 v1, v1, v1
	;; [unrolled: 1-line block ×4, first 2 shown]
	; wave barrier
	s_wait_loadcnt_dscnt 0x0
	global_inv scope:SCOPE_SE
	ds_load_2addr_b32 v[22:23], v27 offset1:32
	ds_load_2addr_b32 v[24:25], v27 offset0:64 offset1:96
	; wave barrier
	s_wait_loadcnt_dscnt 0x0
	global_inv scope:SCOPE_SE
	ds_store_b64 v0, v[15:16]
	ds_store_b64 v1, v[13:14]
	;; [unrolled: 1-line block ×4, first 2 shown]
	; wave barrier
	s_wait_loadcnt_dscnt 0x0
	global_inv scope:SCOPE_SE
	ds_load_2addr_b64 v[9:12], v30 offset1:32
	ds_load_2addr_b64 v[0:3], v30 offset0:64 offset1:96
	v_add_nc_u32_e32 v32, 8, v32
	s_add_co_i32 s10, s13, -8
	s_mov_b32 s14, 0
	; wave barrier
	s_wait_loadcnt_dscnt 0x0
	global_inv scope:SCOPE_SE
	s_branch .LBB133_41
.LBB133_54:
	v_lshlrev_b32_e32 v9, 2, v49
	v_lshlrev_b32_e32 v11, 2, v36
	;; [unrolled: 1-line block ×5, first 2 shown]
	s_wait_loadcnt 0x0
	; wave barrier
	global_inv scope:SCOPE_SE
	ds_store_b32 v9, v31
	ds_store_b32 v10, v35
	;; [unrolled: 1-line block ×4, first 2 shown]
	; wave barrier
	s_wait_loadcnt_dscnt 0x0
	global_inv scope:SCOPE_SE
	ds_load_b128 v[0:3], v0
	v_add_nc_u32_e32 v9, v9, v9
	v_add_nc_u32_e32 v10, v10, v10
	; wave barrier
	s_wait_loadcnt_dscnt 0x0
	global_inv scope:SCOPE_SE
	v_add_nc_u32_e32 v21, v11, v11
	ds_store_b64 v9, v[15:16]
	ds_store_b64 v10, v[13:14]
	v_add_nc_u32_e32 v8, v8, v8
	ds_store_b64 v21, v[6:7]
	ds_store_b64 v8, v[4:5]
	; wave barrier
	s_wait_loadcnt_dscnt 0x0
	global_inv scope:SCOPE_SE
	v_xor_b32_e32 v9, 0x7fffffff, v0
	v_xor_b32_e32 v11, 0x7fffffff, v1
	;; [unrolled: 1-line block ×4, first 2 shown]
.LBB133_55:
	v_lshlrev_b32_e32 v4, 3, v41
	ds_load_b128 v[0:3], v4
	ds_load_b128 v[4:7], v4 offset:16
	; wave barrier
	s_wait_loadcnt_dscnt 0x0
	global_inv scope:SCOPE_SE
	ds_store_2addr_b32 v42, v9, v11 offset1:1
	ds_store_2addr_b32 v42, v10, v12 offset0:2 offset1:3
	; wave barrier
	s_wait_loadcnt_dscnt 0x0
	global_inv scope:SCOPE_SE
	ds_load_b32 v12, v18 offset:128
	ds_load_b32 v11, v39 offset:256
	;; [unrolled: 1-line block ×3, first 2 shown]
	v_mov_b32_e32 v18, 0
	s_delay_alu instid0(VALU_DEP_1) | instskip(NEXT) | instid1(VALU_DEP_1)
	v_lshlrev_b64_e32 v[8:9], 2, v[17:18]
	v_add_co_u32 v8, vcc_lo, s22, v8
	s_wait_alu 0xfffd
	s_delay_alu instid0(VALU_DEP_2)
	v_add_co_ci_u32_e64 v9, null, s23, v9, vcc_lo
	s_and_saveexec_b32 s1, s2
	s_cbranch_execnz .LBB133_66
; %bb.56:
	s_wait_alu 0xfffe
	s_or_b32 exec_lo, exec_lo, s1
	s_and_saveexec_b32 s1, s3
	s_cbranch_execnz .LBB133_67
.LBB133_57:
	s_wait_alu 0xfffe
	s_or_b32 exec_lo, exec_lo, s1
	s_and_saveexec_b32 s1, s4
	s_cbranch_execnz .LBB133_68
.LBB133_58:
	s_wait_alu 0xfffe
	s_or_b32 exec_lo, exec_lo, s1
	s_and_saveexec_b32 s1, s0
	s_cbranch_execz .LBB133_60
.LBB133_59:
	s_mul_i32 s6, s18, 0x60
	s_mov_b32 s7, 0
	s_wait_alu 0xfffe
	s_lshl_b64 s[6:7], s[6:7], 2
	s_wait_alu 0xfffe
	v_add_co_u32 v8, vcc_lo, v8, s6
	s_wait_alu 0xfffd
	v_add_co_ci_u32_e64 v9, null, s7, v9, vcc_lo
	s_wait_dscnt 0x0
	global_store_b32 v[8:9], v10, off
.LBB133_60:
	s_wait_alu 0xfffe
	s_or_b32 exec_lo, exec_lo, s1
	s_wait_storecnt 0x0
	; wave barrier
	s_wait_loadcnt_dscnt 0x0
	global_inv scope:SCOPE_SE
	ds_store_2addr_b64 v46, v[0:1], v[2:3] offset1:1
	ds_store_2addr_b64 v46, v[4:5], v[6:7] offset0:2 offset1:3
	; wave barrier
	s_wait_loadcnt_dscnt 0x0
	global_inv scope:SCOPE_SE
	ds_load_b64 v[6:7], v20 offset:256
	ds_load_b64 v[4:5], v44 offset:512
	;; [unrolled: 1-line block ×3, first 2 shown]
	v_mov_b32_e32 v20, 0
	s_delay_alu instid0(VALU_DEP_1) | instskip(NEXT) | instid1(VALU_DEP_1)
	v_lshlrev_b64_e32 v[2:3], 3, v[19:20]
	v_add_co_u32 v2, vcc_lo, s16, v2
	s_wait_alu 0xfffd
	s_delay_alu instid0(VALU_DEP_2)
	v_add_co_ci_u32_e64 v3, null, s17, v3, vcc_lo
	s_and_saveexec_b32 s1, s2
	s_cbranch_execnz .LBB133_69
; %bb.61:
	s_wait_alu 0xfffe
	s_or_b32 exec_lo, exec_lo, s1
	s_and_saveexec_b32 s1, s3
	s_cbranch_execnz .LBB133_70
.LBB133_62:
	s_wait_alu 0xfffe
	s_or_b32 exec_lo, exec_lo, s1
	s_and_saveexec_b32 s1, s4
	s_cbranch_execnz .LBB133_71
.LBB133_63:
	s_wait_alu 0xfffe
	s_or_b32 exec_lo, exec_lo, s1
	s_and_saveexec_b32 s1, s0
	s_cbranch_execz .LBB133_65
.LBB133_64:
	s_mul_i32 s0, s20, 0x60
	s_mov_b32 s1, 0
	s_wait_alu 0xfffe
	s_lshl_b64 s[0:1], s[0:1], 3
	s_wait_alu 0xfffe
	v_add_co_u32 v2, vcc_lo, v2, s0
	s_wait_alu 0xfffd
	v_add_co_ci_u32_e64 v3, null, s1, v3, vcc_lo
	s_wait_dscnt 0x0
	global_store_b64 v[2:3], v[0:1], off
.LBB133_65:
	s_endpgm
.LBB133_66:
	ds_load_b32 v13, v38
	s_wait_dscnt 0x0
	global_store_b32 v[8:9], v13, off
	s_wait_alu 0xfffe
	s_or_b32 exec_lo, exec_lo, s1
	s_and_saveexec_b32 s1, s3
	s_cbranch_execz .LBB133_57
.LBB133_67:
	s_lshl_b32 s6, s18, 5
	s_mov_b32 s7, 0
	s_wait_alu 0xfffe
	s_lshl_b64 s[6:7], s[6:7], 2
	s_wait_alu 0xfffe
	v_add_co_u32 v13, vcc_lo, v8, s6
	s_wait_alu 0xfffd
	v_add_co_ci_u32_e64 v14, null, s7, v9, vcc_lo
	s_wait_dscnt 0x2
	global_store_b32 v[13:14], v12, off
	s_or_b32 exec_lo, exec_lo, s1
	s_and_saveexec_b32 s1, s4
	s_cbranch_execz .LBB133_58
.LBB133_68:
	s_lshl_b32 s6, s18, 6
	s_mov_b32 s7, 0
	s_wait_alu 0xfffe
	s_lshl_b64 s[6:7], s[6:7], 2
	s_wait_dscnt 0x2
	s_wait_alu 0xfffe
	v_add_co_u32 v12, vcc_lo, v8, s6
	s_wait_alu 0xfffd
	v_add_co_ci_u32_e64 v13, null, s7, v9, vcc_lo
	s_wait_dscnt 0x1
	global_store_b32 v[12:13], v11, off
	s_or_b32 exec_lo, exec_lo, s1
	s_and_saveexec_b32 s1, s0
	s_cbranch_execnz .LBB133_59
	s_branch .LBB133_60
.LBB133_69:
	ds_load_b64 v[8:9], v43
	s_wait_dscnt 0x0
	global_store_b64 v[2:3], v[8:9], off
	s_wait_alu 0xfffe
	s_or_b32 exec_lo, exec_lo, s1
	s_and_saveexec_b32 s1, s3
	s_cbranch_execz .LBB133_62
.LBB133_70:
	s_lshl_b32 s2, s20, 5
	s_mov_b32 s3, 0
	s_delay_alu instid0(SALU_CYCLE_1) | instskip(NEXT) | instid1(SALU_CYCLE_1)
	s_lshl_b64 s[2:3], s[2:3], 3
	v_add_co_u32 v8, vcc_lo, v2, s2
	s_wait_alu 0xfffd
	v_add_co_ci_u32_e64 v9, null, s3, v3, vcc_lo
	s_wait_dscnt 0x2
	global_store_b64 v[8:9], v[6:7], off
	s_wait_alu 0xfffe
	s_or_b32 exec_lo, exec_lo, s1
	s_and_saveexec_b32 s1, s4
	s_cbranch_execz .LBB133_63
.LBB133_71:
	s_lshl_b32 s2, s20, 6
	s_mov_b32 s3, 0
	s_wait_alu 0xfffe
	s_lshl_b64 s[2:3], s[2:3], 3
	s_wait_dscnt 0x2
	s_wait_alu 0xfffe
	v_add_co_u32 v6, vcc_lo, v2, s2
	s_wait_alu 0xfffd
	v_add_co_ci_u32_e64 v7, null, s3, v3, vcc_lo
	s_wait_dscnt 0x1
	global_store_b64 v[6:7], v[4:5], off
	s_or_b32 exec_lo, exec_lo, s1
	s_and_saveexec_b32 s1, s0
	s_cbranch_execnz .LBB133_64
	s_branch .LBB133_65
	.section	.rodata,"a",@progbits
	.p2align	6, 0x0
	.amdhsa_kernel _ZN2at6native18radixSortKVInPlaceILin1ELin1ELi32ELi4EiljEEvNS_4cuda6detail10TensorInfoIT3_T5_EES6_S6_S6_NS4_IT4_S6_EES6_b
		.amdhsa_group_segment_fixed_size 1056
		.amdhsa_private_segment_fixed_size 0
		.amdhsa_kernarg_size 712
		.amdhsa_user_sgpr_count 2
		.amdhsa_user_sgpr_dispatch_ptr 0
		.amdhsa_user_sgpr_queue_ptr 0
		.amdhsa_user_sgpr_kernarg_segment_ptr 1
		.amdhsa_user_sgpr_dispatch_id 0
		.amdhsa_user_sgpr_private_segment_size 0
		.amdhsa_wavefront_size32 1
		.amdhsa_uses_dynamic_stack 0
		.amdhsa_enable_private_segment 0
		.amdhsa_system_sgpr_workgroup_id_x 1
		.amdhsa_system_sgpr_workgroup_id_y 1
		.amdhsa_system_sgpr_workgroup_id_z 1
		.amdhsa_system_sgpr_workgroup_info 0
		.amdhsa_system_vgpr_workitem_id 2
		.amdhsa_next_free_vgpr 74
		.amdhsa_next_free_sgpr 28
		.amdhsa_reserve_vcc 1
		.amdhsa_float_round_mode_32 0
		.amdhsa_float_round_mode_16_64 0
		.amdhsa_float_denorm_mode_32 3
		.amdhsa_float_denorm_mode_16_64 3
		.amdhsa_fp16_overflow 0
		.amdhsa_workgroup_processor_mode 1
		.amdhsa_memory_ordered 1
		.amdhsa_forward_progress 1
		.amdhsa_inst_pref_size 77
		.amdhsa_round_robin_scheduling 0
		.amdhsa_exception_fp_ieee_invalid_op 0
		.amdhsa_exception_fp_denorm_src 0
		.amdhsa_exception_fp_ieee_div_zero 0
		.amdhsa_exception_fp_ieee_overflow 0
		.amdhsa_exception_fp_ieee_underflow 0
		.amdhsa_exception_fp_ieee_inexact 0
		.amdhsa_exception_int_div_zero 0
	.end_amdhsa_kernel
	.section	.text._ZN2at6native18radixSortKVInPlaceILin1ELin1ELi32ELi4EiljEEvNS_4cuda6detail10TensorInfoIT3_T5_EES6_S6_S6_NS4_IT4_S6_EES6_b,"axG",@progbits,_ZN2at6native18radixSortKVInPlaceILin1ELin1ELi32ELi4EiljEEvNS_4cuda6detail10TensorInfoIT3_T5_EES6_S6_S6_NS4_IT4_S6_EES6_b,comdat
.Lfunc_end133:
	.size	_ZN2at6native18radixSortKVInPlaceILin1ELin1ELi32ELi4EiljEEvNS_4cuda6detail10TensorInfoIT3_T5_EES6_S6_S6_NS4_IT4_S6_EES6_b, .Lfunc_end133-_ZN2at6native18radixSortKVInPlaceILin1ELin1ELi32ELi4EiljEEvNS_4cuda6detail10TensorInfoIT3_T5_EES6_S6_S6_NS4_IT4_S6_EES6_b
                                        ; -- End function
	.set _ZN2at6native18radixSortKVInPlaceILin1ELin1ELi32ELi4EiljEEvNS_4cuda6detail10TensorInfoIT3_T5_EES6_S6_S6_NS4_IT4_S6_EES6_b.num_vgpr, 74
	.set _ZN2at6native18radixSortKVInPlaceILin1ELin1ELi32ELi4EiljEEvNS_4cuda6detail10TensorInfoIT3_T5_EES6_S6_S6_NS4_IT4_S6_EES6_b.num_agpr, 0
	.set _ZN2at6native18radixSortKVInPlaceILin1ELin1ELi32ELi4EiljEEvNS_4cuda6detail10TensorInfoIT3_T5_EES6_S6_S6_NS4_IT4_S6_EES6_b.numbered_sgpr, 28
	.set _ZN2at6native18radixSortKVInPlaceILin1ELin1ELi32ELi4EiljEEvNS_4cuda6detail10TensorInfoIT3_T5_EES6_S6_S6_NS4_IT4_S6_EES6_b.num_named_barrier, 0
	.set _ZN2at6native18radixSortKVInPlaceILin1ELin1ELi32ELi4EiljEEvNS_4cuda6detail10TensorInfoIT3_T5_EES6_S6_S6_NS4_IT4_S6_EES6_b.private_seg_size, 0
	.set _ZN2at6native18radixSortKVInPlaceILin1ELin1ELi32ELi4EiljEEvNS_4cuda6detail10TensorInfoIT3_T5_EES6_S6_S6_NS4_IT4_S6_EES6_b.uses_vcc, 1
	.set _ZN2at6native18radixSortKVInPlaceILin1ELin1ELi32ELi4EiljEEvNS_4cuda6detail10TensorInfoIT3_T5_EES6_S6_S6_NS4_IT4_S6_EES6_b.uses_flat_scratch, 0
	.set _ZN2at6native18radixSortKVInPlaceILin1ELin1ELi32ELi4EiljEEvNS_4cuda6detail10TensorInfoIT3_T5_EES6_S6_S6_NS4_IT4_S6_EES6_b.has_dyn_sized_stack, 0
	.set _ZN2at6native18radixSortKVInPlaceILin1ELin1ELi32ELi4EiljEEvNS_4cuda6detail10TensorInfoIT3_T5_EES6_S6_S6_NS4_IT4_S6_EES6_b.has_recursion, 0
	.set _ZN2at6native18radixSortKVInPlaceILin1ELin1ELi32ELi4EiljEEvNS_4cuda6detail10TensorInfoIT3_T5_EES6_S6_S6_NS4_IT4_S6_EES6_b.has_indirect_call, 0
	.section	.AMDGPU.csdata,"",@progbits
; Kernel info:
; codeLenInByte = 9780
; TotalNumSgprs: 30
; NumVgprs: 74
; ScratchSize: 0
; MemoryBound: 0
; FloatMode: 240
; IeeeMode: 1
; LDSByteSize: 1056 bytes/workgroup (compile time only)
; SGPRBlocks: 0
; VGPRBlocks: 9
; NumSGPRsForWavesPerEU: 30
; NumVGPRsForWavesPerEU: 74
; Occupancy: 16
; WaveLimiterHint : 1
; COMPUTE_PGM_RSRC2:SCRATCH_EN: 0
; COMPUTE_PGM_RSRC2:USER_SGPR: 2
; COMPUTE_PGM_RSRC2:TRAP_HANDLER: 0
; COMPUTE_PGM_RSRC2:TGID_X_EN: 1
; COMPUTE_PGM_RSRC2:TGID_Y_EN: 1
; COMPUTE_PGM_RSRC2:TGID_Z_EN: 1
; COMPUTE_PGM_RSRC2:TIDIG_COMP_CNT: 2
	.section	.text._ZN2at6native18radixSortKVInPlaceILin1ELin1ELi16ELi2EiljEEvNS_4cuda6detail10TensorInfoIT3_T5_EES6_S6_S6_NS4_IT4_S6_EES6_b,"axG",@progbits,_ZN2at6native18radixSortKVInPlaceILin1ELin1ELi16ELi2EiljEEvNS_4cuda6detail10TensorInfoIT3_T5_EES6_S6_S6_NS4_IT4_S6_EES6_b,comdat
	.protected	_ZN2at6native18radixSortKVInPlaceILin1ELin1ELi16ELi2EiljEEvNS_4cuda6detail10TensorInfoIT3_T5_EES6_S6_S6_NS4_IT4_S6_EES6_b ; -- Begin function _ZN2at6native18radixSortKVInPlaceILin1ELin1ELi16ELi2EiljEEvNS_4cuda6detail10TensorInfoIT3_T5_EES6_S6_S6_NS4_IT4_S6_EES6_b
	.globl	_ZN2at6native18radixSortKVInPlaceILin1ELin1ELi16ELi2EiljEEvNS_4cuda6detail10TensorInfoIT3_T5_EES6_S6_S6_NS4_IT4_S6_EES6_b
	.p2align	8
	.type	_ZN2at6native18radixSortKVInPlaceILin1ELin1ELi16ELi2EiljEEvNS_4cuda6detail10TensorInfoIT3_T5_EES6_S6_S6_NS4_IT4_S6_EES6_b,@function
_ZN2at6native18radixSortKVInPlaceILin1ELin1ELi16ELi2EiljEEvNS_4cuda6detail10TensorInfoIT3_T5_EES6_S6_S6_NS4_IT4_S6_EES6_b: ; @_ZN2at6native18radixSortKVInPlaceILin1ELin1ELi16ELi2EiljEEvNS_4cuda6detail10TensorInfoIT3_T5_EES6_S6_S6_NS4_IT4_S6_EES6_b
; %bb.0:
	s_clause 0x1
	s_load_b64 s[2:3], s[0:1], 0x1c8
	s_load_b96 s[16:18], s[0:1], 0xd8
	s_lshr_b32 s4, ttmp7, 16
	s_wait_kmcnt 0x0
	s_mul_i32 s3, s3, s4
	s_and_b32 s4, ttmp7, 0xffff
	s_delay_alu instid0(SALU_CYCLE_1) | instskip(NEXT) | instid1(SALU_CYCLE_1)
	s_add_co_i32 s3, s3, s4
	s_mul_i32 s2, s3, s2
	s_delay_alu instid0(SALU_CYCLE_1) | instskip(NEXT) | instid1(SALU_CYCLE_1)
	s_add_co_i32 s8, s2, ttmp9
	s_cmp_ge_u32 s8, s16
	s_cbranch_scc1 .LBB134_57
; %bb.1:
	s_load_b32 s4, s[0:1], 0xd0
	s_mov_b32 s3, 0
	s_mov_b32 s2, s8
	s_wait_kmcnt 0x0
	s_cmp_lt_i32 s4, 2
	s_cbranch_scc1 .LBB134_4
; %bb.2:
	s_add_co_i32 s2, s4, -1
	s_delay_alu instid0(SALU_CYCLE_1)
	s_lshl_b64 s[6:7], s[2:3], 2
	s_mov_b32 s2, s8
	s_add_nc_u64 s[10:11], s[0:1], s[6:7]
	s_add_co_i32 s6, s4, 1
	s_add_nc_u64 s[4:5], s[10:11], 8
.LBB134_3:                              ; =>This Inner Loop Header: Depth=1
	s_clause 0x1
	s_load_b32 s7, s[4:5], 0x0
	s_load_b32 s9, s[4:5], 0x64
	s_mov_b32 s12, s2
	s_add_nc_u64 s[4:5], s[4:5], -4
	s_wait_kmcnt 0x0
	s_cvt_f32_u32 s10, s7
	s_sub_co_i32 s11, 0, s7
	s_wait_alu 0xfffe
	s_delay_alu instid0(SALU_CYCLE_1) | instskip(NEXT) | instid1(TRANS32_DEP_1)
	v_rcp_iflag_f32_e32 v1, s10
	v_readfirstlane_b32 s10, v1
	s_mul_f32 s10, s10, 0x4f7ffffe
	s_wait_alu 0xfffe
	s_delay_alu instid0(SALU_CYCLE_2) | instskip(SKIP_1) | instid1(SALU_CYCLE_2)
	s_cvt_u32_f32 s10, s10
	s_wait_alu 0xfffe
	s_mul_i32 s11, s11, s10
	s_wait_alu 0xfffe
	s_mul_hi_u32 s11, s10, s11
	s_wait_alu 0xfffe
	s_add_co_i32 s10, s10, s11
	s_wait_alu 0xfffe
	s_mul_hi_u32 s2, s2, s10
	s_delay_alu instid0(SALU_CYCLE_1)
	s_mul_i32 s10, s2, s7
	s_add_co_i32 s11, s2, 1
	s_wait_alu 0xfffe
	s_sub_co_i32 s10, s12, s10
	s_wait_alu 0xfffe
	s_sub_co_i32 s13, s10, s7
	s_cmp_ge_u32 s10, s7
	s_cselect_b32 s2, s11, s2
	s_cselect_b32 s10, s13, s10
	s_add_co_i32 s11, s2, 1
	s_wait_alu 0xfffe
	s_cmp_ge_u32 s10, s7
	s_cselect_b32 s2, s11, s2
	s_add_co_i32 s6, s6, -1
	s_mul_i32 s7, s2, s7
	s_delay_alu instid0(SALU_CYCLE_1) | instskip(NEXT) | instid1(SALU_CYCLE_1)
	s_sub_co_i32 s7, s12, s7
	s_mul_i32 s7, s9, s7
	s_delay_alu instid0(SALU_CYCLE_1)
	s_add_co_i32 s3, s7, s3
	s_cmp_gt_u32 s6, 2
	s_cbranch_scc1 .LBB134_3
.LBB134_4:
	s_load_b32 s6, s[0:1], 0x1b8
	s_mov_b32 s5, 0
	s_wait_kmcnt 0x0
	s_cmp_lt_i32 s6, 2
	s_cbranch_scc1 .LBB134_7
; %bb.5:
	s_add_co_i32 s4, s6, -1
	s_delay_alu instid0(SALU_CYCLE_1)
	s_lshl_b64 s[10:11], s[4:5], 2
	s_add_co_i32 s4, s6, 1
	s_wait_alu 0xfffe
	s_add_nc_u64 s[10:11], s[0:1], s[10:11]
	s_wait_alu 0xfffe
	s_add_nc_u64 s[6:7], s[10:11], 0xf0
.LBB134_6:                              ; =>This Inner Loop Header: Depth=1
	s_clause 0x1
	s_load_b32 s9, s[6:7], 0x0
	s_load_b32 s10, s[6:7], 0x64
	s_mov_b32 s13, s8
	s_add_nc_u64 s[6:7], s[6:7], -4
	s_wait_kmcnt 0x0
	s_cvt_f32_u32 s11, s9
	s_sub_co_i32 s12, 0, s9
	s_wait_alu 0xfffe
	s_delay_alu instid0(SALU_CYCLE_1) | instskip(NEXT) | instid1(TRANS32_DEP_1)
	v_rcp_iflag_f32_e32 v1, s11
	v_readfirstlane_b32 s11, v1
	s_mul_f32 s11, s11, 0x4f7ffffe
	s_wait_alu 0xfffe
	s_delay_alu instid0(SALU_CYCLE_2) | instskip(SKIP_1) | instid1(SALU_CYCLE_2)
	s_cvt_u32_f32 s11, s11
	s_wait_alu 0xfffe
	s_mul_i32 s12, s12, s11
	s_delay_alu instid0(SALU_CYCLE_1) | instskip(NEXT) | instid1(SALU_CYCLE_1)
	s_mul_hi_u32 s12, s11, s12
	s_add_co_i32 s11, s11, s12
	s_wait_alu 0xfffe
	s_mul_hi_u32 s8, s8, s11
	s_delay_alu instid0(SALU_CYCLE_1)
	s_mul_i32 s11, s8, s9
	s_add_co_i32 s12, s8, 1
	s_wait_alu 0xfffe
	s_sub_co_i32 s11, s13, s11
	s_wait_alu 0xfffe
	s_sub_co_i32 s14, s11, s9
	s_cmp_ge_u32 s11, s9
	s_cselect_b32 s8, s12, s8
	s_cselect_b32 s11, s14, s11
	s_add_co_i32 s12, s8, 1
	s_wait_alu 0xfffe
	s_cmp_ge_u32 s11, s9
	s_cselect_b32 s8, s12, s8
	s_add_co_i32 s4, s4, -1
	s_mul_i32 s9, s8, s9
	s_delay_alu instid0(SALU_CYCLE_1) | instskip(NEXT) | instid1(SALU_CYCLE_1)
	s_sub_co_i32 s9, s13, s9
	s_mul_i32 s9, s10, s9
	s_delay_alu instid0(SALU_CYCLE_1)
	s_add_co_i32 s5, s9, s5
	s_cmp_gt_u32 s4, 2
	s_cbranch_scc1 .LBB134_6
.LBB134_7:
	s_clause 0x2
	s_load_b32 s4, s[0:1], 0x6c
	s_load_b64 s[20:21], s[0:1], 0x1c0
	s_load_b64 s[10:11], s[0:1], 0x0
	v_mul_lo_u32 v16, s18, v0
	s_mov_b32 s13, 0
	s_wait_kmcnt 0x0
	s_mul_i32 s2, s4, s2
	s_delay_alu instid0(SALU_CYCLE_1) | instskip(SKIP_3) | instid1(SALU_CYCLE_1)
	s_add_co_i32 s12, s2, s3
	s_bitcmp1_b32 s21, 0
	s_brev_b32 s2, 1
	s_cselect_b32 s3, -1, 0
	s_and_b32 s4, s3, exec_lo
	s_cselect_b32 s6, s2, 0x7fffffff
	v_cmp_gt_u32_e64 s2, s17, v0
	s_mov_b32 s7, s6
	s_delay_alu instid0(SALU_CYCLE_1) | instskip(SKIP_1) | instid1(SALU_CYCLE_1)
	v_dual_mov_b32 v1, s6 :: v_dual_mov_b32 v2, s7
	s_lshl_b64 s[12:13], s[12:13], 2
	s_add_nc_u64 s[22:23], s[10:11], s[12:13]
	s_and_saveexec_b32 s4, s2
	s_cbranch_execz .LBB134_9
; %bb.8:
	v_mov_b32_e32 v17, 0
	s_delay_alu instid0(VALU_DEP_1) | instskip(NEXT) | instid1(VALU_DEP_1)
	v_lshlrev_b64_e32 v[1:2], 2, v[16:17]
	v_add_co_u32 v1, vcc_lo, s22, v1
	s_delay_alu instid0(VALU_DEP_1)
	v_add_co_ci_u32_e64 v2, null, s23, v2, vcc_lo
	global_load_b32 v1, v[1:2], off
	v_mov_b32_e32 v2, s6
.LBB134_9:
	s_or_b32 exec_lo, exec_lo, s4
	s_clause 0x1
	s_load_b32 s4, s[0:1], 0x154
	s_load_b64 s[6:7], s[0:1], 0xe8
	v_or_b32_e32 v3, 16, v0
	s_delay_alu instid0(VALU_DEP_1)
	v_cmp_gt_u32_e64 s0, s17, v3
	s_and_saveexec_b32 s1, s0
	s_cbranch_execz .LBB134_11
; %bb.10:
	v_mul_lo_u32 v4, s18, v3
	v_mov_b32_e32 v5, 0
	s_delay_alu instid0(VALU_DEP_1) | instskip(NEXT) | instid1(VALU_DEP_1)
	v_lshlrev_b64_e32 v[4:5], 2, v[4:5]
	v_add_co_u32 v4, vcc_lo, s22, v4
	s_wait_alu 0xfffd
	s_delay_alu instid0(VALU_DEP_2)
	v_add_co_ci_u32_e64 v5, null, s23, v5, vcc_lo
	global_load_b32 v2, v[4:5], off
.LBB134_11:
	s_or_b32 exec_lo, exec_lo, s1
	v_lshlrev_b32_e32 v22, 2, v0
	v_dual_mov_b32 v14, 0 :: v_dual_lshlrev_b32 v21, 3, v0
	s_wait_kmcnt 0x0
	s_mul_i32 s1, s4, s8
	v_mul_lo_u32 v13, s20, v0
	s_wait_loadcnt 0x0
	ds_store_2addr_b32 v22, v1, v2 offset1:16
	s_wait_dscnt 0x0
	; wave barrier
	global_inv scope:SCOPE_SE
	ds_load_2addr_b32 v[17:18], v21 offset1:1
	s_add_co_i32 s4, s1, s5
	s_mov_b32 s5, 0
	v_mov_b32_e32 v1, 0
	v_dual_mov_b32 v2, 0 :: v_dual_mov_b32 v15, v14
	s_lshl_b64 s[4:5], s[4:5], 3
	s_wait_loadcnt_dscnt 0x0
	s_add_nc_u64 s[16:17], s[6:7], s[4:5]
	; wave barrier
	global_inv scope:SCOPE_SE
	s_and_saveexec_b32 s1, s2
	s_cbranch_execz .LBB134_13
; %bb.12:
	v_lshlrev_b64_e32 v[1:2], 3, v[13:14]
	v_mov_b32_e32 v15, v14
	s_wait_alu 0xfffe
	s_delay_alu instid0(VALU_DEP_2) | instskip(SKIP_1) | instid1(VALU_DEP_3)
	v_add_co_u32 v1, vcc_lo, s16, v1
	s_wait_alu 0xfffd
	v_add_co_ci_u32_e64 v2, null, s17, v2, vcc_lo
	global_load_b64 v[1:2], v[1:2], off
.LBB134_13:
	s_or_b32 exec_lo, exec_lo, s1
	v_lshlrev_b32_e32 v4, 1, v0
	s_xor_b32 s8, s3, -1
	s_and_saveexec_b32 s1, s0
	s_cbranch_execz .LBB134_15
; %bb.14:
	v_mul_lo_u32 v5, s20, v3
	v_mov_b32_e32 v6, 0
	s_delay_alu instid0(VALU_DEP_1) | instskip(SKIP_1) | instid1(VALU_DEP_1)
	v_lshlrev_b64_e32 v[5:6], 3, v[5:6]
	s_wait_alu 0xfffe
	v_add_co_u32 v5, vcc_lo, s16, v5
	s_wait_alu 0xfffd
	s_delay_alu instid0(VALU_DEP_2)
	v_add_co_ci_u32_e64 v6, null, s17, v6, vcc_lo
	global_load_b64 v[14:15], v[5:6], off
.LBB134_15:
	s_or_b32 exec_lo, exec_lo, s1
	v_mbcnt_lo_u32_b32 v5, -1, 0
	v_lshlrev_b32_e32 v3, 2, v4
	v_add_nc_u32_e32 v23, v22, v22
	s_getpc_b64 s[4:5]
	s_sext_i32_i16 s5, s5
	s_add_co_u32 s4, s4, _ZN7rocprim17ROCPRIM_400000_NS16block_radix_sortIiLj16ELj2ElLj1ELj1ELj0ELNS0_26block_radix_rank_algorithmE1ELNS0_18block_padding_hintE2ELNS0_4arch9wavefront6targetE0EE19radix_bits_per_passE@rel32@lo+8
	s_add_co_ci_u32 s5, s5, _ZN7rocprim17ROCPRIM_400000_NS16block_radix_sortIiLj16ELj2ElLj1ELj1ELj0ELNS0_26block_radix_rank_algorithmE1ELNS0_18block_padding_hintE2ELNS0_4arch9wavefront6targetE0EE19radix_bits_per_passE@rel32@hi+16
	v_lshlrev_b32_e32 v27, 5, v0
	v_sub_co_u32 v7, s19, v5, 1
	v_and_b32_e32 v8, 16, v5
	s_wait_loadcnt 0x0
	ds_store_b64 v23, v[1:2]
	ds_store_b64 v21, v[14:15] offset:128
	s_wait_dscnt 0x0
	; wave barrier
	global_inv scope:SCOPE_SE
	s_load_b32 s15, s[4:5], 0x0
	v_cmp_lt_i32_e32 vcc_lo, v7, v8
	v_add_nc_u32_e32 v24, v21, v3
	v_and_b32_e32 v6, 15, v5
	v_mad_i32_i24 v26, 0xffffffe8, v0, v27
	v_cmp_gt_u32_e64 s1, 0x80, v0
	s_wait_alu 0xfffd
	v_cndmask_b32_e32 v5, v7, v5, vcc_lo
	ds_load_2addr_b64 v[1:4], v24 offset1:1
	v_cmp_eq_u32_e64 s3, 0, v6
	v_cmp_lt_u32_e64 s4, 1, v6
	v_cmp_lt_u32_e64 s5, 3, v6
	;; [unrolled: 1-line block ×3, first 2 shown]
	v_cmp_eq_u32_e64 s7, 15, v0
	v_lshlrev_b32_e32 v28, 2, v5
	v_lshl_add_u32 v25, v0, 3, v26
	s_and_b32 vcc_lo, exec_lo, s8
	v_cmp_gt_u32_e64 s8, 0x70, v0
	v_cmp_gt_u32_e64 s9, 0x60, v0
	;; [unrolled: 1-line block ×7, first 2 shown]
	s_mov_b32 s21, -1
	; wave barrier
	s_wait_loadcnt_dscnt 0x0
	global_inv scope:SCOPE_SE
	s_wait_alu 0xfffe
	s_cbranch_vccz .LBB134_31
; %bb.16:
	v_mov_b32_e32 v6, v2
	v_mov_b32_e32 v8, v4
	v_xor_b32_e32 v9, 0x80000000, v17
	v_xor_b32_e32 v10, 0x80000000, v18
	v_dual_mov_b32 v30, 0 :: v_dual_mov_b32 v5, v1
	v_dual_mov_b32 v32, 0 :: v_dual_mov_b32 v7, v3
	s_mov_b32 s21, 32
	s_branch .LBB134_18
.LBB134_17:                             ;   in Loop: Header=BB134_18 Depth=1
	s_wait_alu 0xfffe
	s_and_not1_b32 vcc_lo, exec_lo, s25
	s_mov_b32 s21, s24
	s_wait_alu 0xfffe
	s_cbranch_vccz .LBB134_32
.LBB134_18:                             ; =>This Inner Loop Header: Depth=1
	v_dual_mov_b32 v31, v9 :: v_dual_mov_b32 v20, v6
	v_mov_b32_e32 v15, v8
	v_dual_mov_b32 v29, v10 :: v_dual_mov_b32 v14, v7
	v_mov_b32_e32 v19, v5
	s_and_saveexec_b32 s24, s1
	s_cbranch_execz .LBB134_27
; %bb.19:                               ;   in Loop: Header=BB134_18 Depth=1
	ds_store_b32 v22, v30
	s_and_b32 exec_lo, exec_lo, s8
	s_cbranch_execz .LBB134_27
; %bb.20:                               ;   in Loop: Header=BB134_18 Depth=1
	ds_store_b32 v22, v30 offset:64
	s_and_b32 exec_lo, exec_lo, s9
	s_cbranch_execz .LBB134_27
; %bb.21:                               ;   in Loop: Header=BB134_18 Depth=1
	ds_store_b32 v22, v30 offset:128
	;; [unrolled: 4-line block ×6, first 2 shown]
	s_and_b32 exec_lo, exec_lo, s14
; %bb.26:                               ;   in Loop: Header=BB134_18 Depth=1
	ds_store_b32 v22, v30 offset:448
.LBB134_27:                             ;   in Loop: Header=BB134_18 Depth=1
	s_wait_alu 0xfffe
	s_or_b32 exec_lo, exec_lo, s24
	s_wait_kmcnt 0x0
	s_min_u32 s24, s15, s21
	v_lshrrev_b32_e32 v5, v32, v31
	s_wait_alu 0xfffe
	s_lshl_b32 s24, -1, s24
	s_wait_alu 0xfffe
	s_not_b32 s24, s24
	s_wait_alu 0xfffe
	v_and_b32_e32 v5, s24, v5
	s_delay_alu instid0(VALU_DEP_1) | instskip(SKIP_1) | instid1(VALU_DEP_2)
	v_lshlrev_b32_e32 v6, 4, v5
	v_lshrrev_b32_e32 v5, 2, v5
	v_and_or_b32 v6, 0x70, v6, v0
	s_delay_alu instid0(VALU_DEP_2) | instskip(NEXT) | instid1(VALU_DEP_1)
	v_and_b32_e32 v5, 0x1ffffffe, v5
	v_lshl_add_u32 v34, v6, 2, v5
	v_lshrrev_b32_e32 v5, v32, v29
	ds_load_u16 v33, v34
	v_and_b32_e32 v5, s24, v5
	s_delay_alu instid0(VALU_DEP_1) | instskip(SKIP_1) | instid1(VALU_DEP_2)
	v_lshlrev_b32_e32 v6, 4, v5
	v_lshrrev_b32_e32 v5, 2, v5
	v_and_or_b32 v6, 0x70, v6, v0
	s_delay_alu instid0(VALU_DEP_2) | instskip(NEXT) | instid1(VALU_DEP_1)
	v_and_b32_e32 v5, 0x1ffffffe, v5
	v_lshl_add_u32 v35, v6, 2, v5
	s_wait_dscnt 0x0
	v_add_nc_u16 v7, v33, 1
	ds_store_b16 v34, v7
	ds_load_u16 v36, v35
	s_wait_dscnt 0x0
	v_add_nc_u16 v5, v36, 1
	ds_store_b16 v35, v5
	; wave barrier
	s_wait_loadcnt_dscnt 0x0
	global_inv scope:SCOPE_SE
	ds_load_b128 v[9:12], v27
	ds_load_b128 v[5:8], v27 offset:16
	s_wait_dscnt 0x1
	v_add_nc_u32_e32 v37, v10, v9
	s_delay_alu instid0(VALU_DEP_1) | instskip(SKIP_1) | instid1(VALU_DEP_1)
	v_add3_u32 v37, v37, v11, v12
	s_wait_dscnt 0x0
	v_add3_u32 v37, v37, v5, v6
	s_delay_alu instid0(VALU_DEP_1) | instskip(NEXT) | instid1(VALU_DEP_1)
	v_add3_u32 v8, v37, v7, v8
	v_mov_b32_dpp v37, v8 row_shr:1 row_mask:0xf bank_mask:0xf
	s_delay_alu instid0(VALU_DEP_1) | instskip(NEXT) | instid1(VALU_DEP_1)
	v_cndmask_b32_e64 v37, v37, 0, s3
	v_add_nc_u32_e32 v8, v37, v8
	s_delay_alu instid0(VALU_DEP_1) | instskip(NEXT) | instid1(VALU_DEP_1)
	v_mov_b32_dpp v37, v8 row_shr:2 row_mask:0xf bank_mask:0xf
	v_cndmask_b32_e64 v37, 0, v37, s4
	s_delay_alu instid0(VALU_DEP_1) | instskip(NEXT) | instid1(VALU_DEP_1)
	v_add_nc_u32_e32 v8, v8, v37
	v_mov_b32_dpp v37, v8 row_shr:4 row_mask:0xf bank_mask:0xf
	s_delay_alu instid0(VALU_DEP_1) | instskip(NEXT) | instid1(VALU_DEP_1)
	v_cndmask_b32_e64 v37, 0, v37, s5
	v_add_nc_u32_e32 v8, v8, v37
	s_delay_alu instid0(VALU_DEP_1) | instskip(NEXT) | instid1(VALU_DEP_1)
	v_mov_b32_dpp v37, v8 row_shr:8 row_mask:0xf bank_mask:0xf
	v_cndmask_b32_e64 v37, 0, v37, s6
	s_delay_alu instid0(VALU_DEP_1)
	v_add_nc_u32_e32 v8, v8, v37
	s_and_saveexec_b32 s24, s7
; %bb.28:                               ;   in Loop: Header=BB134_18 Depth=1
	ds_store_b32 v30, v8 offset:512
; %bb.29:                               ;   in Loop: Header=BB134_18 Depth=1
	s_wait_alu 0xfffe
	s_or_b32 exec_lo, exec_lo, s24
	ds_bpermute_b32 v8, v28, v8
	; wave barrier
	s_wait_loadcnt_dscnt 0x0
	global_inv scope:SCOPE_SE
	ds_load_b32 v37, v30 offset:512
	v_cmp_lt_u32_e32 vcc_lo, 27, v32
	v_readfirstlane_b32 s24, v0
	s_mov_b32 s25, -1
	s_and_b32 vcc_lo, exec_lo, vcc_lo
	v_cndmask_b32_e64 v8, v8, 0, s19
	s_wait_dscnt 0x0
	s_delay_alu instid0(VALU_DEP_1) | instskip(NEXT) | instid1(VALU_DEP_1)
	v_lshl_add_u32 v8, v37, 16, v8
	v_add_nc_u32_e32 v9, v8, v9
	s_delay_alu instid0(VALU_DEP_1) | instskip(NEXT) | instid1(VALU_DEP_1)
	v_add_nc_u32_e32 v10, v9, v10
	v_add_nc_u32_e32 v11, v10, v11
	s_delay_alu instid0(VALU_DEP_1) | instskip(NEXT) | instid1(VALU_DEP_1)
	v_add_nc_u32_e32 v37, v11, v12
	;; [unrolled: 3-line block ×3, first 2 shown]
	v_add_nc_u32_e32 v40, v39, v7
	v_and_b32_e32 v7, 0xffff, v33
	ds_store_b128 v27, v[8:11]
	ds_store_b128 v27, v[37:40] offset:16
	; wave barrier
	s_wait_loadcnt_dscnt 0x0
	global_inv scope:SCOPE_SE
	ds_load_u16 v5, v34
	ds_load_u16 v6, v35
	v_and_b32_e32 v8, 0xffff, v36
                                        ; implicit-def: $vgpr10
	s_wait_dscnt 0x1
	v_add_nc_u32_e32 v12, v5, v7
	s_wait_dscnt 0x0
	s_delay_alu instid0(VALU_DEP_2)
	v_add_nc_u32_e32 v11, v6, v8
                                        ; implicit-def: $vgpr7_vgpr8
	s_wait_alu 0xfffe
	s_cbranch_vccnz .LBB134_17
; %bb.30:                               ;   in Loop: Header=BB134_18 Depth=1
	v_lshlrev_b32_e32 v5, 2, v12
	s_delay_alu instid0(VALU_DEP_2)
	v_lshlrev_b32_e32 v6, 2, v11
	s_wait_loadcnt 0x0
	; wave barrier
	global_inv scope:SCOPE_SE
	v_add_nc_u32_e32 v32, 4, v32
	ds_store_b32 v5, v31
	ds_store_b32 v6, v29
	v_add_nc_u32_e32 v5, v5, v5
	v_add_nc_u32_e32 v6, v6, v6
	; wave barrier
	s_wait_loadcnt_dscnt 0x0
	global_inv scope:SCOPE_SE
	ds_load_b64 v[9:10], v26
	; wave barrier
	s_wait_loadcnt_dscnt 0x0
	global_inv scope:SCOPE_SE
	ds_store_b64 v5, v[19:20]
	ds_store_b64 v6, v[14:15]
	; wave barrier
	s_wait_loadcnt_dscnt 0x0
	global_inv scope:SCOPE_SE
	ds_load_b128 v[5:8], v25
	s_add_co_i32 s24, s21, -4
	s_mov_b32 s25, 0
	; wave barrier
	s_wait_loadcnt_dscnt 0x0
	global_inv scope:SCOPE_SE
	s_branch .LBB134_17
.LBB134_31:
                                        ; implicit-def: $vgpr10
                                        ; implicit-def: $vgpr9
                                        ; implicit-def: $vgpr7_vgpr8
	s_and_b32 vcc_lo, exec_lo, s21
	s_wait_alu 0xfffe
	s_cbranch_vccnz .LBB134_33
	s_branch .LBB134_49
.LBB134_32:
	v_lshlrev_b32_e32 v5, 2, v12
	v_lshlrev_b32_e32 v6, 2, v11
	s_wait_loadcnt 0x0
	; wave barrier
	global_inv scope:SCOPE_SE
	ds_store_b32 v5, v31
	ds_store_b32 v6, v29
	v_add_nc_u32_e32 v5, v5, v5
	v_add_nc_u32_e32 v6, v6, v6
	; wave barrier
	s_wait_loadcnt_dscnt 0x0
	global_inv scope:SCOPE_SE
	ds_load_b64 v[9:10], v26
	; wave barrier
	s_wait_loadcnt_dscnt 0x0
	global_inv scope:SCOPE_SE
	ds_store_b64 v5, v[19:20]
	ds_store_b64 v6, v[14:15]
	; wave barrier
	s_wait_loadcnt_dscnt 0x0
	global_inv scope:SCOPE_SE
	ds_load_b128 v[5:8], v25
	v_xor_b32_e32 v9, 0x80000000, v9
	v_xor_b32_e32 v10, 0x80000000, v10
	s_branch .LBB134_49
.LBB134_33:
	s_wait_dscnt 0x0
	v_mul_i32_i24_e32 v7, -12, v0
	v_xor_b32_e32 v5, 0x7fffffff, v17
	v_xor_b32_e32 v6, 0x7fffffff, v18
	v_cmp_gt_u32_e64 s8, 0x70, v0
	v_cmp_gt_u32_e64 s9, 0x60, v0
	;; [unrolled: 1-line block ×7, first 2 shown]
	v_mov_b32_e32 v15, 0
	v_add_nc_u32_e32 v17, v25, v7
	v_mov_b32_e32 v19, 0
	s_mov_b32 s21, 32
	s_branch .LBB134_35
.LBB134_34:                             ;   in Loop: Header=BB134_35 Depth=1
	s_wait_alu 0xfffe
	s_and_not1_b32 vcc_lo, exec_lo, s25
	s_mov_b32 s21, s24
	s_wait_alu 0xfffe
	s_cbranch_vccz .LBB134_48
.LBB134_35:                             ; =>This Inner Loop Header: Depth=1
	v_mov_b32_e32 v10, v4
	v_mov_b32_e32 v12, v2
	v_dual_mov_b32 v14, v6 :: v_dual_mov_b32 v9, v3
	v_dual_mov_b32 v18, v5 :: v_dual_mov_b32 v11, v1
	s_and_saveexec_b32 s24, s1
	s_cbranch_execz .LBB134_44
; %bb.36:                               ;   in Loop: Header=BB134_35 Depth=1
	ds_store_b32 v17, v15
	s_and_b32 exec_lo, exec_lo, s8
	s_cbranch_execz .LBB134_44
; %bb.37:                               ;   in Loop: Header=BB134_35 Depth=1
	ds_store_b32 v17, v15 offset:64
	s_and_b32 exec_lo, exec_lo, s9
	s_cbranch_execz .LBB134_44
; %bb.38:                               ;   in Loop: Header=BB134_35 Depth=1
	ds_store_b32 v17, v15 offset:128
	;; [unrolled: 4-line block ×6, first 2 shown]
	s_and_b32 exec_lo, exec_lo, s14
; %bb.43:                               ;   in Loop: Header=BB134_35 Depth=1
	ds_store_b32 v17, v15 offset:448
.LBB134_44:                             ;   in Loop: Header=BB134_35 Depth=1
	s_wait_alu 0xfffe
	s_or_b32 exec_lo, exec_lo, s24
	s_wait_kmcnt 0x0
	s_min_u32 s24, s15, s21
	v_lshrrev_b32_e32 v1, v19, v18
	s_wait_alu 0xfffe
	s_lshl_b32 s24, -1, s24
	s_wait_alu 0xfffe
	s_not_b32 s24, s24
	s_wait_alu 0xfffe
	v_and_b32_e32 v1, s24, v1
	s_delay_alu instid0(VALU_DEP_1) | instskip(SKIP_1) | instid1(VALU_DEP_2)
	v_lshlrev_b32_e32 v2, 4, v1
	v_lshrrev_b32_e32 v1, 2, v1
	v_and_or_b32 v2, 0x70, v2, v0
	s_delay_alu instid0(VALU_DEP_2) | instskip(NEXT) | instid1(VALU_DEP_1)
	v_and_b32_e32 v1, 0x1ffffffe, v1
	v_lshl_add_u32 v29, v2, 2, v1
	v_lshrrev_b32_e32 v1, v19, v14
	ds_load_u16 v20, v29
	v_and_b32_e32 v1, s24, v1
	s_delay_alu instid0(VALU_DEP_1) | instskip(SKIP_1) | instid1(VALU_DEP_2)
	v_lshlrev_b32_e32 v2, 4, v1
	v_lshrrev_b32_e32 v1, 2, v1
	v_and_or_b32 v2, 0x70, v2, v0
	s_delay_alu instid0(VALU_DEP_2) | instskip(NEXT) | instid1(VALU_DEP_1)
	v_and_b32_e32 v1, 0x1ffffffe, v1
	v_lshl_add_u32 v30, v2, 2, v1
	s_wait_dscnt 0x0
	v_add_nc_u16 v3, v20, 1
	ds_store_b16 v29, v3
	ds_load_u16 v31, v30
	s_wait_dscnt 0x0
	v_add_nc_u16 v1, v31, 1
	ds_store_b16 v30, v1
	; wave barrier
	s_wait_loadcnt_dscnt 0x0
	global_inv scope:SCOPE_SE
	ds_load_b128 v[5:8], v27
	ds_load_b128 v[1:4], v27 offset:16
	s_wait_dscnt 0x1
	v_add_nc_u32_e32 v32, v6, v5
	s_delay_alu instid0(VALU_DEP_1) | instskip(SKIP_1) | instid1(VALU_DEP_1)
	v_add3_u32 v32, v32, v7, v8
	s_wait_dscnt 0x0
	v_add3_u32 v32, v32, v1, v2
	s_delay_alu instid0(VALU_DEP_1) | instskip(NEXT) | instid1(VALU_DEP_1)
	v_add3_u32 v4, v32, v3, v4
	v_mov_b32_dpp v32, v4 row_shr:1 row_mask:0xf bank_mask:0xf
	s_delay_alu instid0(VALU_DEP_1) | instskip(NEXT) | instid1(VALU_DEP_1)
	v_cndmask_b32_e64 v32, v32, 0, s3
	v_add_nc_u32_e32 v4, v32, v4
	s_delay_alu instid0(VALU_DEP_1) | instskip(NEXT) | instid1(VALU_DEP_1)
	v_mov_b32_dpp v32, v4 row_shr:2 row_mask:0xf bank_mask:0xf
	v_cndmask_b32_e64 v32, 0, v32, s4
	s_delay_alu instid0(VALU_DEP_1) | instskip(NEXT) | instid1(VALU_DEP_1)
	v_add_nc_u32_e32 v4, v4, v32
	v_mov_b32_dpp v32, v4 row_shr:4 row_mask:0xf bank_mask:0xf
	s_delay_alu instid0(VALU_DEP_1) | instskip(NEXT) | instid1(VALU_DEP_1)
	v_cndmask_b32_e64 v32, 0, v32, s5
	v_add_nc_u32_e32 v4, v4, v32
	s_delay_alu instid0(VALU_DEP_1) | instskip(NEXT) | instid1(VALU_DEP_1)
	v_mov_b32_dpp v32, v4 row_shr:8 row_mask:0xf bank_mask:0xf
	v_cndmask_b32_e64 v32, 0, v32, s6
	s_delay_alu instid0(VALU_DEP_1)
	v_add_nc_u32_e32 v4, v4, v32
	s_and_saveexec_b32 s24, s7
; %bb.45:                               ;   in Loop: Header=BB134_35 Depth=1
	ds_store_b32 v15, v4 offset:512
; %bb.46:                               ;   in Loop: Header=BB134_35 Depth=1
	s_wait_alu 0xfffe
	s_or_b32 exec_lo, exec_lo, s24
	ds_bpermute_b32 v4, v28, v4
	; wave barrier
	s_wait_loadcnt_dscnt 0x0
	global_inv scope:SCOPE_SE
	ds_load_b32 v32, v15 offset:512
	v_cmp_lt_u32_e32 vcc_lo, 27, v19
	v_readfirstlane_b32 s24, v0
	s_mov_b32 s25, -1
	s_and_b32 vcc_lo, exec_lo, vcc_lo
	v_cndmask_b32_e64 v4, v4, 0, s19
	s_wait_dscnt 0x0
	s_delay_alu instid0(VALU_DEP_1) | instskip(NEXT) | instid1(VALU_DEP_1)
	v_lshl_add_u32 v4, v32, 16, v4
	v_add_nc_u32_e32 v5, v4, v5
	s_delay_alu instid0(VALU_DEP_1) | instskip(NEXT) | instid1(VALU_DEP_1)
	v_add_nc_u32_e32 v6, v5, v6
	v_add_nc_u32_e32 v7, v6, v7
	s_delay_alu instid0(VALU_DEP_1) | instskip(NEXT) | instid1(VALU_DEP_1)
	v_add_nc_u32_e32 v32, v7, v8
	;; [unrolled: 3-line block ×3, first 2 shown]
	v_add_nc_u32_e32 v35, v34, v3
	v_and_b32_e32 v3, 0xffff, v20
	ds_store_b128 v27, v[4:7]
	ds_store_b128 v27, v[32:35] offset:16
	; wave barrier
	s_wait_loadcnt_dscnt 0x0
	global_inv scope:SCOPE_SE
	ds_load_u16 v1, v29
	ds_load_u16 v2, v30
	v_and_b32_e32 v4, 0xffff, v31
                                        ; implicit-def: $vgpr6
	s_wait_dscnt 0x1
	v_add_nc_u32_e32 v8, v1, v3
	s_wait_dscnt 0x0
	s_delay_alu instid0(VALU_DEP_2)
	v_add_nc_u32_e32 v7, v2, v4
                                        ; implicit-def: $vgpr3_vgpr4
	s_wait_alu 0xfffe
	s_cbranch_vccnz .LBB134_34
; %bb.47:                               ;   in Loop: Header=BB134_35 Depth=1
	v_lshlrev_b32_e32 v1, 2, v8
	s_delay_alu instid0(VALU_DEP_2)
	v_lshlrev_b32_e32 v2, 2, v7
	s_wait_loadcnt 0x0
	; wave barrier
	global_inv scope:SCOPE_SE
	v_add_nc_u32_e32 v19, 4, v19
	ds_store_b32 v1, v18
	ds_store_b32 v2, v14
	v_add_nc_u32_e32 v1, v1, v1
	v_add_nc_u32_e32 v2, v2, v2
	; wave barrier
	s_wait_loadcnt_dscnt 0x0
	global_inv scope:SCOPE_SE
	ds_load_b64 v[5:6], v26
	; wave barrier
	s_wait_loadcnt_dscnt 0x0
	global_inv scope:SCOPE_SE
	ds_store_b64 v1, v[11:12]
	ds_store_b64 v2, v[9:10]
	; wave barrier
	s_wait_loadcnt_dscnt 0x0
	global_inv scope:SCOPE_SE
	ds_load_b128 v[1:4], v25
	s_add_co_i32 s24, s21, -4
	s_mov_b32 s25, 0
	; wave barrier
	s_wait_loadcnt_dscnt 0x0
	global_inv scope:SCOPE_SE
	s_branch .LBB134_34
.LBB134_48:
	v_lshlrev_b32_e32 v0, 2, v8
	v_lshlrev_b32_e32 v1, 2, v7
	s_wait_loadcnt 0x0
	; wave barrier
	global_inv scope:SCOPE_SE
	ds_store_b32 v0, v18
	ds_store_b32 v1, v14
	; wave barrier
	s_wait_loadcnt_dscnt 0x0
	global_inv scope:SCOPE_SE
	v_add_nc_u32_e32 v2, v0, v0
	v_add_nc_u32_e32 v3, v1, v1
	ds_load_b64 v[0:1], v26
	; wave barrier
	s_wait_loadcnt_dscnt 0x0
	global_inv scope:SCOPE_SE
	ds_store_b64 v2, v[11:12]
	ds_store_b64 v3, v[9:10]
	; wave barrier
	s_wait_loadcnt_dscnt 0x0
	global_inv scope:SCOPE_SE
	ds_load_b128 v[5:8], v25
	v_xor_b32_e32 v9, 0x7fffffff, v0
	v_xor_b32_e32 v10, 0x7fffffff, v1
.LBB134_49:
	; wave barrier
	s_wait_loadcnt_dscnt 0x0
	global_inv scope:SCOPE_SE
	ds_store_2addr_b32 v21, v9, v10 offset1:1
	; wave barrier
	s_wait_loadcnt_dscnt 0x0
	global_inv scope:SCOPE_SE
	ds_load_b32 v2, v22 offset:64
	v_mov_b32_e32 v17, 0
	s_delay_alu instid0(VALU_DEP_1) | instskip(NEXT) | instid1(VALU_DEP_1)
	v_lshlrev_b64_e32 v[0:1], 2, v[16:17]
	v_add_co_u32 v0, vcc_lo, s22, v0
	s_wait_alu 0xfffd
	s_delay_alu instid0(VALU_DEP_2)
	v_add_co_ci_u32_e64 v1, null, s23, v1, vcc_lo
	s_and_saveexec_b32 s1, s2
	s_cbranch_execz .LBB134_51
; %bb.50:
	ds_load_b32 v3, v22
	s_wait_dscnt 0x0
	global_store_b32 v[0:1], v3, off
.LBB134_51:
	s_or_b32 exec_lo, exec_lo, s1
	s_and_saveexec_b32 s1, s0
	s_cbranch_execz .LBB134_53
; %bb.52:
	s_lshl_b32 s4, s18, 4
	s_mov_b32 s5, 0
	s_wait_alu 0xfffe
	s_lshl_b64 s[4:5], s[4:5], 2
	s_wait_alu 0xfffe
	v_add_co_u32 v0, vcc_lo, v0, s4
	s_wait_alu 0xfffd
	v_add_co_ci_u32_e64 v1, null, s5, v1, vcc_lo
	s_wait_dscnt 0x0
	global_store_b32 v[0:1], v2, off
.LBB134_53:
	s_or_b32 exec_lo, exec_lo, s1
	s_wait_storecnt 0x0
	; wave barrier
	s_wait_loadcnt_dscnt 0x0
	global_inv scope:SCOPE_SE
	ds_store_2addr_b64 v24, v[5:6], v[7:8] offset1:1
	; wave barrier
	s_wait_loadcnt_dscnt 0x0
	global_inv scope:SCOPE_SE
	ds_load_b64 v[0:1], v21 offset:128
	v_mov_b32_e32 v14, 0
	s_delay_alu instid0(VALU_DEP_1) | instskip(NEXT) | instid1(VALU_DEP_1)
	v_lshlrev_b64_e32 v[2:3], 3, v[13:14]
	v_add_co_u32 v2, vcc_lo, s16, v2
	s_wait_alu 0xfffd
	s_delay_alu instid0(VALU_DEP_2)
	v_add_co_ci_u32_e64 v3, null, s17, v3, vcc_lo
	s_and_saveexec_b32 s1, s2
	s_cbranch_execz .LBB134_55
; %bb.54:
	ds_load_b64 v[4:5], v23
	s_wait_dscnt 0x0
	global_store_b64 v[2:3], v[4:5], off
.LBB134_55:
	s_or_b32 exec_lo, exec_lo, s1
	s_and_saveexec_b32 s1, s0
	s_cbranch_execz .LBB134_57
; %bb.56:
	s_lshl_b32 s0, s20, 4
	s_mov_b32 s1, 0
	s_delay_alu instid0(SALU_CYCLE_1) | instskip(NEXT) | instid1(SALU_CYCLE_1)
	s_lshl_b64 s[0:1], s[0:1], 3
	v_add_co_u32 v2, vcc_lo, v2, s0
	s_wait_alu 0xfffd
	v_add_co_ci_u32_e64 v3, null, s1, v3, vcc_lo
	s_wait_dscnt 0x0
	global_store_b64 v[2:3], v[0:1], off
.LBB134_57:
	s_endpgm
	.section	.rodata,"a",@progbits
	.p2align	6, 0x0
	.amdhsa_kernel _ZN2at6native18radixSortKVInPlaceILin1ELin1ELi16ELi2EiljEEvNS_4cuda6detail10TensorInfoIT3_T5_EES6_S6_S6_NS4_IT4_S6_EES6_b
		.amdhsa_group_segment_fixed_size 528
		.amdhsa_private_segment_fixed_size 0
		.amdhsa_kernarg_size 712
		.amdhsa_user_sgpr_count 2
		.amdhsa_user_sgpr_dispatch_ptr 0
		.amdhsa_user_sgpr_queue_ptr 0
		.amdhsa_user_sgpr_kernarg_segment_ptr 1
		.amdhsa_user_sgpr_dispatch_id 0
		.amdhsa_user_sgpr_private_segment_size 0
		.amdhsa_wavefront_size32 1
		.amdhsa_uses_dynamic_stack 0
		.amdhsa_enable_private_segment 0
		.amdhsa_system_sgpr_workgroup_id_x 1
		.amdhsa_system_sgpr_workgroup_id_y 1
		.amdhsa_system_sgpr_workgroup_id_z 1
		.amdhsa_system_sgpr_workgroup_info 0
		.amdhsa_system_vgpr_workitem_id 0
		.amdhsa_next_free_vgpr 41
		.amdhsa_next_free_sgpr 26
		.amdhsa_reserve_vcc 1
		.amdhsa_float_round_mode_32 0
		.amdhsa_float_round_mode_16_64 0
		.amdhsa_float_denorm_mode_32 3
		.amdhsa_float_denorm_mode_16_64 3
		.amdhsa_fp16_overflow 0
		.amdhsa_workgroup_processor_mode 1
		.amdhsa_memory_ordered 1
		.amdhsa_forward_progress 1
		.amdhsa_inst_pref_size 33
		.amdhsa_round_robin_scheduling 0
		.amdhsa_exception_fp_ieee_invalid_op 0
		.amdhsa_exception_fp_denorm_src 0
		.amdhsa_exception_fp_ieee_div_zero 0
		.amdhsa_exception_fp_ieee_overflow 0
		.amdhsa_exception_fp_ieee_underflow 0
		.amdhsa_exception_fp_ieee_inexact 0
		.amdhsa_exception_int_div_zero 0
	.end_amdhsa_kernel
	.section	.text._ZN2at6native18radixSortKVInPlaceILin1ELin1ELi16ELi2EiljEEvNS_4cuda6detail10TensorInfoIT3_T5_EES6_S6_S6_NS4_IT4_S6_EES6_b,"axG",@progbits,_ZN2at6native18radixSortKVInPlaceILin1ELin1ELi16ELi2EiljEEvNS_4cuda6detail10TensorInfoIT3_T5_EES6_S6_S6_NS4_IT4_S6_EES6_b,comdat
.Lfunc_end134:
	.size	_ZN2at6native18radixSortKVInPlaceILin1ELin1ELi16ELi2EiljEEvNS_4cuda6detail10TensorInfoIT3_T5_EES6_S6_S6_NS4_IT4_S6_EES6_b, .Lfunc_end134-_ZN2at6native18radixSortKVInPlaceILin1ELin1ELi16ELi2EiljEEvNS_4cuda6detail10TensorInfoIT3_T5_EES6_S6_S6_NS4_IT4_S6_EES6_b
                                        ; -- End function
	.set _ZN2at6native18radixSortKVInPlaceILin1ELin1ELi16ELi2EiljEEvNS_4cuda6detail10TensorInfoIT3_T5_EES6_S6_S6_NS4_IT4_S6_EES6_b.num_vgpr, 41
	.set _ZN2at6native18radixSortKVInPlaceILin1ELin1ELi16ELi2EiljEEvNS_4cuda6detail10TensorInfoIT3_T5_EES6_S6_S6_NS4_IT4_S6_EES6_b.num_agpr, 0
	.set _ZN2at6native18radixSortKVInPlaceILin1ELin1ELi16ELi2EiljEEvNS_4cuda6detail10TensorInfoIT3_T5_EES6_S6_S6_NS4_IT4_S6_EES6_b.numbered_sgpr, 26
	.set _ZN2at6native18radixSortKVInPlaceILin1ELin1ELi16ELi2EiljEEvNS_4cuda6detail10TensorInfoIT3_T5_EES6_S6_S6_NS4_IT4_S6_EES6_b.num_named_barrier, 0
	.set _ZN2at6native18radixSortKVInPlaceILin1ELin1ELi16ELi2EiljEEvNS_4cuda6detail10TensorInfoIT3_T5_EES6_S6_S6_NS4_IT4_S6_EES6_b.private_seg_size, 0
	.set _ZN2at6native18radixSortKVInPlaceILin1ELin1ELi16ELi2EiljEEvNS_4cuda6detail10TensorInfoIT3_T5_EES6_S6_S6_NS4_IT4_S6_EES6_b.uses_vcc, 1
	.set _ZN2at6native18radixSortKVInPlaceILin1ELin1ELi16ELi2EiljEEvNS_4cuda6detail10TensorInfoIT3_T5_EES6_S6_S6_NS4_IT4_S6_EES6_b.uses_flat_scratch, 0
	.set _ZN2at6native18radixSortKVInPlaceILin1ELin1ELi16ELi2EiljEEvNS_4cuda6detail10TensorInfoIT3_T5_EES6_S6_S6_NS4_IT4_S6_EES6_b.has_dyn_sized_stack, 0
	.set _ZN2at6native18radixSortKVInPlaceILin1ELin1ELi16ELi2EiljEEvNS_4cuda6detail10TensorInfoIT3_T5_EES6_S6_S6_NS4_IT4_S6_EES6_b.has_recursion, 0
	.set _ZN2at6native18radixSortKVInPlaceILin1ELin1ELi16ELi2EiljEEvNS_4cuda6detail10TensorInfoIT3_T5_EES6_S6_S6_NS4_IT4_S6_EES6_b.has_indirect_call, 0
	.section	.AMDGPU.csdata,"",@progbits
; Kernel info:
; codeLenInByte = 4116
; TotalNumSgprs: 28
; NumVgprs: 41
; ScratchSize: 0
; MemoryBound: 0
; FloatMode: 240
; IeeeMode: 1
; LDSByteSize: 528 bytes/workgroup (compile time only)
; SGPRBlocks: 0
; VGPRBlocks: 5
; NumSGPRsForWavesPerEU: 28
; NumVGPRsForWavesPerEU: 41
; Occupancy: 16
; WaveLimiterHint : 1
; COMPUTE_PGM_RSRC2:SCRATCH_EN: 0
; COMPUTE_PGM_RSRC2:USER_SGPR: 2
; COMPUTE_PGM_RSRC2:TRAP_HANDLER: 0
; COMPUTE_PGM_RSRC2:TGID_X_EN: 1
; COMPUTE_PGM_RSRC2:TGID_Y_EN: 1
; COMPUTE_PGM_RSRC2:TGID_Z_EN: 1
; COMPUTE_PGM_RSRC2:TIDIG_COMP_CNT: 0
	.section	.text._ZN2at6native18radixSortKVInPlaceILin1ELin1ELi512ELi8EilmEEvNS_4cuda6detail10TensorInfoIT3_T5_EES6_S6_S6_NS4_IT4_S6_EES6_b,"axG",@progbits,_ZN2at6native18radixSortKVInPlaceILin1ELin1ELi512ELi8EilmEEvNS_4cuda6detail10TensorInfoIT3_T5_EES6_S6_S6_NS4_IT4_S6_EES6_b,comdat
	.protected	_ZN2at6native18radixSortKVInPlaceILin1ELin1ELi512ELi8EilmEEvNS_4cuda6detail10TensorInfoIT3_T5_EES6_S6_S6_NS4_IT4_S6_EES6_b ; -- Begin function _ZN2at6native18radixSortKVInPlaceILin1ELin1ELi512ELi8EilmEEvNS_4cuda6detail10TensorInfoIT3_T5_EES6_S6_S6_NS4_IT4_S6_EES6_b
	.globl	_ZN2at6native18radixSortKVInPlaceILin1ELin1ELi512ELi8EilmEEvNS_4cuda6detail10TensorInfoIT3_T5_EES6_S6_S6_NS4_IT4_S6_EES6_b
	.p2align	8
	.type	_ZN2at6native18radixSortKVInPlaceILin1ELin1ELi512ELi8EilmEEvNS_4cuda6detail10TensorInfoIT3_T5_EES6_S6_S6_NS4_IT4_S6_EES6_b,@function
_ZN2at6native18radixSortKVInPlaceILin1ELin1ELi512ELi8EilmEEvNS_4cuda6detail10TensorInfoIT3_T5_EES6_S6_S6_NS4_IT4_S6_EES6_b: ; @_ZN2at6native18radixSortKVInPlaceILin1ELin1ELi512ELi8EilmEEvNS_4cuda6detail10TensorInfoIT3_T5_EES6_S6_S6_NS4_IT4_S6_EES6_b
; %bb.0:
	s_clause 0x1
	s_load_b64 s[2:3], s[0:1], 0x368
	s_load_b128 s[12:15], s[0:1], 0x1a0
	s_lshr_b32 s4, ttmp7, 16
	s_and_b32 s5, ttmp7, 0xffff
	s_wait_kmcnt 0x0
	s_mul_i32 s3, s3, s4
	s_delay_alu instid0(SALU_CYCLE_1) | instskip(NEXT) | instid1(SALU_CYCLE_1)
	s_add_co_i32 s3, s3, s5
	s_mul_i32 s2, s3, s2
	s_mov_b32 s3, 0
	s_add_co_i32 s2, s2, ttmp9
	s_delay_alu instid0(SALU_CYCLE_1)
	v_cmp_le_u64_e64 s4, s[12:13], s[2:3]
	s_and_b32 vcc_lo, exec_lo, s4
	s_cbranch_vccnz .LBB135_124
; %bb.1:
	s_clause 0x1
	s_load_b32 s7, s[0:1], 0x198
	s_load_b64 s[24:25], s[0:1], 0x1b0
	s_mov_b64 s[12:13], 0
	s_mov_b64 s[4:5], s[2:3]
	s_wait_kmcnt 0x0
	s_cmp_lt_i32 s7, 2
	s_cbranch_scc1 .LBB135_9
; %bb.2:
	s_mov_b32 s6, 0
	s_add_co_i32 s4, s7, -1
	s_mov_b32 s5, s6
	s_add_co_i32 s15, s7, 1
	s_lshl_b64 s[4:5], s[4:5], 3
	s_mov_b64 s[10:11], s[2:3]
	s_add_nc_u64 s[4:5], s[0:1], s[4:5]
	s_delay_alu instid0(SALU_CYCLE_1)
	s_add_nc_u64 s[8:9], s[4:5], 8
.LBB135_3:                              ; =>This Inner Loop Header: Depth=1
	s_load_b64 s[16:17], s[8:9], 0x0
	s_wait_kmcnt 0x0
	s_or_b64 s[4:5], s[10:11], s[16:17]
	s_wait_alu 0xfffe
	s_mov_b32 s7, s5
                                        ; implicit-def: $sgpr4_sgpr5
	s_delay_alu instid0(SALU_CYCLE_1)
	s_cmp_lg_u64 s[6:7], 0
	s_mov_b32 s7, -1
	s_cbranch_scc0 .LBB135_5
; %bb.4:                                ;   in Loop: Header=BB135_3 Depth=1
	s_cvt_f32_u32 s4, s16
	s_cvt_f32_u32 s5, s17
	s_sub_nc_u64 s[18:19], 0, s[16:17]
	s_mov_b32 s21, s6
	s_mov_b32 s27, s6
	s_wait_alu 0xfffe
	s_fmamk_f32 s4, s5, 0x4f800000, s4
	s_wait_alu 0xfffe
	s_delay_alu instid0(SALU_CYCLE_2) | instskip(NEXT) | instid1(TRANS32_DEP_1)
	v_s_rcp_f32 s4, s4
	s_mul_f32 s4, s4, 0x5f7ffffc
	s_wait_alu 0xfffe
	s_delay_alu instid0(SALU_CYCLE_2) | instskip(SKIP_1) | instid1(SALU_CYCLE_2)
	s_mul_f32 s5, s4, 0x2f800000
	s_wait_alu 0xfffe
	s_trunc_f32 s5, s5
	s_wait_alu 0xfffe
	s_delay_alu instid0(SALU_CYCLE_2) | instskip(SKIP_2) | instid1(SALU_CYCLE_1)
	s_fmamk_f32 s4, s5, 0xcf800000, s4
	s_cvt_u32_f32 s5, s5
	s_wait_alu 0xfffe
	s_cvt_u32_f32 s4, s4
	s_wait_alu 0xfffe
	s_delay_alu instid0(SALU_CYCLE_2) | instskip(NEXT) | instid1(SALU_CYCLE_1)
	s_mul_u64 s[22:23], s[18:19], s[4:5]
	s_mul_hi_u32 s29, s4, s23
	s_mul_i32 s28, s4, s23
	s_mul_hi_u32 s20, s4, s22
	s_mul_i32 s26, s5, s22
	s_add_nc_u64 s[20:21], s[20:21], s[28:29]
	s_mul_hi_u32 s7, s5, s22
	s_mul_hi_u32 s30, s5, s23
	s_add_co_u32 s20, s20, s26
	s_add_co_ci_u32 s26, s21, s7
	s_mul_i32 s22, s5, s23
	s_add_co_ci_u32 s23, s30, 0
	s_delay_alu instid0(SALU_CYCLE_1) | instskip(SKIP_3) | instid1(SALU_CYCLE_1)
	s_add_nc_u64 s[20:21], s[26:27], s[22:23]
	s_mov_b32 s23, s6
	s_add_co_u32 s4, s4, s20
	s_cselect_b32 s7, -1, 0
	s_cmp_lg_u32 s7, 0
	s_add_co_ci_u32 s5, s5, s21
	s_mov_b32 s21, s6
	s_wait_alu 0xfffe
	s_mul_u64 s[18:19], s[18:19], s[4:5]
	s_delay_alu instid0(SALU_CYCLE_1)
	s_mul_hi_u32 s27, s4, s19
	s_mul_i32 s26, s4, s19
	s_mul_hi_u32 s20, s4, s18
	s_mul_i32 s22, s5, s18
	s_add_nc_u64 s[20:21], s[20:21], s[26:27]
	s_mul_hi_u32 s7, s5, s18
	s_mul_hi_u32 s28, s5, s19
	s_mul_i32 s18, s5, s19
	s_add_co_u32 s19, s20, s22
	s_add_co_ci_u32 s22, s21, s7
	s_add_co_ci_u32 s19, s28, 0
	s_mov_b32 s21, s6
	s_add_nc_u64 s[18:19], s[22:23], s[18:19]
	s_delay_alu instid0(SALU_CYCLE_1)
	s_add_co_u32 s4, s4, s18
	s_cselect_b32 s7, -1, 0
	s_wait_alu 0xfffe
	s_mul_hi_u32 s20, s10, s4
	s_cmp_lg_u32 s7, 0
	s_mul_hi_u32 s7, s11, s4
	s_add_co_ci_u32 s18, s5, s19
	s_mul_i32 s19, s11, s4
	s_mul_hi_u32 s5, s10, s18
	s_mul_i32 s4, s10, s18
	s_mul_hi_u32 s26, s11, s18
	s_wait_alu 0xfffe
	s_add_nc_u64 s[4:5], s[20:21], s[4:5]
	s_mul_i32 s18, s11, s18
	s_wait_alu 0xfffe
	s_add_co_u32 s4, s4, s19
	s_add_co_ci_u32 s22, s5, s7
	s_add_co_ci_u32 s19, s26, 0
	s_delay_alu instid0(SALU_CYCLE_1) | instskip(SKIP_2) | instid1(SALU_CYCLE_1)
	s_add_nc_u64 s[4:5], s[22:23], s[18:19]
	s_wait_alu 0xfffe
	s_mul_u64 s[18:19], s[16:17], s[4:5]
	s_sub_co_u32 s7, s10, s18
	s_cselect_b32 s18, -1, 0
	s_sub_co_i32 s20, s11, s19
	s_cmp_lg_u32 s18, 0
	s_sub_co_ci_u32 s20, s20, s17
	s_sub_co_u32 s21, s7, s16
	s_cselect_b32 s22, -1, 0
	s_delay_alu instid0(SALU_CYCLE_1) | instskip(SKIP_1) | instid1(SALU_CYCLE_1)
	s_cmp_lg_u32 s22, 0
	s_sub_co_ci_u32 s20, s20, 0
	s_cmp_ge_u32 s20, s17
	s_cselect_b32 s22, -1, 0
	s_cmp_ge_u32 s21, s16
	s_cselect_b32 s23, -1, 0
	s_cmp_eq_u32 s20, s17
	s_add_nc_u64 s[20:21], s[4:5], 1
	s_cselect_b32 s26, s23, s22
	s_add_nc_u64 s[22:23], s[4:5], 2
	s_cmp_lg_u32 s26, 0
	s_cselect_b32 s20, s22, s20
	s_cselect_b32 s21, s23, s21
	s_cmp_lg_u32 s18, 0
	s_sub_co_ci_u32 s18, s11, s19
	s_delay_alu instid0(SALU_CYCLE_1)
	s_cmp_ge_u32 s18, s17
	s_cselect_b32 s19, -1, 0
	s_cmp_ge_u32 s7, s16
	s_cselect_b32 s7, -1, 0
	s_cmp_eq_u32 s18, s17
	s_cselect_b32 s7, s7, s19
	s_delay_alu instid0(SALU_CYCLE_1)
	s_cmp_lg_u32 s7, 0
	s_mov_b32 s7, 0
	s_cselect_b32 s5, s21, s5
	s_cselect_b32 s4, s20, s4
.LBB135_5:                              ;   in Loop: Header=BB135_3 Depth=1
	s_and_not1_b32 vcc_lo, exec_lo, s7
	s_cbranch_vccnz .LBB135_7
; %bb.6:                                ;   in Loop: Header=BB135_3 Depth=1
	v_cvt_f32_u32_e32 v1, s16
	s_sub_co_i32 s5, 0, s16
	s_delay_alu instid0(VALU_DEP_1) | instskip(NEXT) | instid1(TRANS32_DEP_1)
	v_rcp_iflag_f32_e32 v1, v1
	v_mul_f32_e32 v1, 0x4f7ffffe, v1
	s_delay_alu instid0(VALU_DEP_1) | instskip(NEXT) | instid1(VALU_DEP_1)
	v_cvt_u32_f32_e32 v1, v1
	v_readfirstlane_b32 s4, v1
	s_wait_alu 0xfffe
	s_mul_i32 s5, s5, s4
	s_wait_alu 0xfffe
	s_mul_hi_u32 s5, s4, s5
	s_wait_alu 0xfffe
	s_add_co_i32 s4, s4, s5
	s_wait_alu 0xfffe
	s_mul_hi_u32 s4, s10, s4
	s_wait_alu 0xfffe
	s_mul_i32 s5, s4, s16
	s_add_co_i32 s7, s4, 1
	s_wait_alu 0xfffe
	s_sub_co_i32 s5, s10, s5
	s_wait_alu 0xfffe
	s_sub_co_i32 s18, s5, s16
	s_cmp_ge_u32 s5, s16
	s_cselect_b32 s4, s7, s4
	s_cselect_b32 s5, s18, s5
	s_wait_alu 0xfffe
	s_add_co_i32 s7, s4, 1
	s_cmp_ge_u32 s5, s16
	s_mov_b32 s5, s6
	s_cselect_b32 s4, s7, s4
.LBB135_7:                              ;   in Loop: Header=BB135_3 Depth=1
	s_load_b64 s[18:19], s[8:9], 0xc8
	s_mul_u64 s[16:17], s[4:5], s[16:17]
	s_add_co_i32 s15, s15, -1
	s_wait_alu 0xfffe
	s_sub_nc_u64 s[10:11], s[10:11], s[16:17]
	s_cmp_gt_u32 s15, 2
	s_add_nc_u64 s[8:9], s[8:9], -8
	s_wait_kmcnt 0x0
	s_mul_u64 s[10:11], s[18:19], s[10:11]
	s_delay_alu instid0(SALU_CYCLE_1)
	s_add_nc_u64 s[12:13], s[10:11], s[12:13]
	s_cbranch_scc0 .LBB135_9
; %bb.8:                                ;   in Loop: Header=BB135_3 Depth=1
	s_mov_b64 s[10:11], s[4:5]
	s_branch .LBB135_3
.LBB135_9:
	s_load_b32 s7, s[0:1], 0x350
	s_add_nc_u64 s[34:35], s[0:1], 0x368
	s_mov_b64 s[16:17], 0
	s_wait_kmcnt 0x0
	s_cmp_lt_i32 s7, 2
	s_cbranch_scc1 .LBB135_17
; %bb.10:
	s_mov_b32 s6, 0
	s_add_co_i32 s8, s7, -1
	s_mov_b32 s9, s6
	s_add_co_i32 s15, s7, 1
	s_lshl_b64 s[8:9], s[8:9], 3
	s_delay_alu instid0(SALU_CYCLE_1) | instskip(NEXT) | instid1(SALU_CYCLE_1)
	s_add_nc_u64 s[8:9], s[0:1], s[8:9]
	s_add_nc_u64 s[8:9], s[8:9], 0x1c0
.LBB135_11:                             ; =>This Inner Loop Header: Depth=1
	s_load_b64 s[10:11], s[8:9], 0x0
	s_wait_kmcnt 0x0
	s_or_b64 s[18:19], s[2:3], s[10:11]
	s_delay_alu instid0(SALU_CYCLE_1)
	s_mov_b32 s7, s19
                                        ; implicit-def: $sgpr18_sgpr19
	s_wait_alu 0xfffe
	s_cmp_lg_u64 s[6:7], 0
	s_mov_b32 s7, -1
	s_cbranch_scc0 .LBB135_13
; %bb.12:                               ;   in Loop: Header=BB135_11 Depth=1
	s_cvt_f32_u32 s7, s10
	s_cvt_f32_u32 s18, s11
	s_sub_nc_u64 s[20:21], 0, s[10:11]
	s_mov_b32 s23, s6
	s_mov_b32 s29, s6
	s_wait_alu 0xfffe
	s_fmamk_f32 s7, s18, 0x4f800000, s7
	s_wait_alu 0xfffe
	s_delay_alu instid0(SALU_CYCLE_2) | instskip(NEXT) | instid1(TRANS32_DEP_1)
	v_s_rcp_f32 s7, s7
	s_mul_f32 s7, s7, 0x5f7ffffc
	s_wait_alu 0xfffe
	s_delay_alu instid0(SALU_CYCLE_2) | instskip(NEXT) | instid1(SALU_CYCLE_3)
	s_mul_f32 s18, s7, 0x2f800000
	s_trunc_f32 s18, s18
	s_delay_alu instid0(SALU_CYCLE_3) | instskip(SKIP_2) | instid1(SALU_CYCLE_1)
	s_fmamk_f32 s7, s18, 0xcf800000, s7
	s_cvt_u32_f32 s19, s18
	s_wait_alu 0xfffe
	s_cvt_u32_f32 s18, s7
	s_delay_alu instid0(SALU_CYCLE_3) | instskip(NEXT) | instid1(SALU_CYCLE_1)
	s_mul_u64 s[26:27], s[20:21], s[18:19]
	s_mul_hi_u32 s31, s18, s27
	s_mul_i32 s30, s18, s27
	s_mul_hi_u32 s22, s18, s26
	s_mul_i32 s28, s19, s26
	s_add_nc_u64 s[22:23], s[22:23], s[30:31]
	s_mul_hi_u32 s7, s19, s26
	s_mul_hi_u32 s33, s19, s27
	s_add_co_u32 s22, s22, s28
	s_wait_alu 0xfffe
	s_add_co_ci_u32 s28, s23, s7
	s_mul_i32 s26, s19, s27
	s_add_co_ci_u32 s27, s33, 0
	s_delay_alu instid0(SALU_CYCLE_1)
	s_add_nc_u64 s[22:23], s[28:29], s[26:27]
	s_mov_b32 s27, s6
	s_add_co_u32 s18, s18, s22
	s_cselect_b32 s7, -1, 0
	s_wait_alu 0xfffe
	s_cmp_lg_u32 s7, 0
	s_add_co_ci_u32 s19, s19, s23
	s_mov_b32 s23, s6
	s_mul_u64 s[20:21], s[20:21], s[18:19]
	s_delay_alu instid0(SALU_CYCLE_1)
	s_mul_hi_u32 s29, s18, s21
	s_mul_i32 s28, s18, s21
	s_mul_hi_u32 s22, s18, s20
	s_mul_i32 s26, s19, s20
	s_add_nc_u64 s[22:23], s[22:23], s[28:29]
	s_mul_hi_u32 s7, s19, s20
	s_mul_hi_u32 s30, s19, s21
	s_mul_i32 s20, s19, s21
	s_add_co_u32 s21, s22, s26
	s_wait_alu 0xfffe
	s_add_co_ci_u32 s26, s23, s7
	s_add_co_ci_u32 s21, s30, 0
	s_mov_b32 s23, s6
	s_add_nc_u64 s[20:21], s[26:27], s[20:21]
	s_delay_alu instid0(SALU_CYCLE_1)
	s_add_co_u32 s7, s18, s20
	s_cselect_b32 s18, -1, 0
	s_wait_alu 0xfffe
	s_mul_hi_u32 s22, s2, s7
	s_cmp_lg_u32 s18, 0
	s_mul_hi_u32 s26, s3, s7
	s_add_co_ci_u32 s20, s19, s21
	s_mul_i32 s7, s3, s7
	s_mul_hi_u32 s19, s2, s20
	s_mul_i32 s18, s2, s20
	s_mul_hi_u32 s21, s3, s20
	s_add_nc_u64 s[18:19], s[22:23], s[18:19]
	s_mul_i32 s20, s3, s20
	s_wait_alu 0xfffe
	s_add_co_u32 s7, s18, s7
	s_add_co_ci_u32 s26, s19, s26
	s_add_co_ci_u32 s21, s21, 0
	s_delay_alu instid0(SALU_CYCLE_1) | instskip(NEXT) | instid1(SALU_CYCLE_1)
	s_add_nc_u64 s[18:19], s[26:27], s[20:21]
	s_mul_u64 s[20:21], s[10:11], s[18:19]
	s_delay_alu instid0(SALU_CYCLE_1)
	s_sub_co_u32 s7, s2, s20
	s_cselect_b32 s20, -1, 0
	s_sub_co_i32 s22, s3, s21
	s_cmp_lg_u32 s20, 0
	s_sub_co_ci_u32 s22, s22, s11
	s_wait_alu 0xfffe
	s_sub_co_u32 s23, s7, s10
	s_cselect_b32 s26, -1, 0
	s_delay_alu instid0(SALU_CYCLE_1) | instskip(SKIP_1) | instid1(SALU_CYCLE_1)
	s_cmp_lg_u32 s26, 0
	s_sub_co_ci_u32 s22, s22, 0
	s_cmp_ge_u32 s22, s11
	s_cselect_b32 s26, -1, 0
	s_cmp_ge_u32 s23, s10
	s_cselect_b32 s27, -1, 0
	s_cmp_eq_u32 s22, s11
	s_add_nc_u64 s[22:23], s[18:19], 1
	s_cselect_b32 s28, s27, s26
	s_add_nc_u64 s[26:27], s[18:19], 2
	s_cmp_lg_u32 s28, 0
	s_cselect_b32 s22, s26, s22
	s_cselect_b32 s23, s27, s23
	s_cmp_lg_u32 s20, 0
	s_sub_co_ci_u32 s20, s3, s21
	s_delay_alu instid0(SALU_CYCLE_1)
	s_cmp_ge_u32 s20, s11
	s_cselect_b32 s21, -1, 0
	s_cmp_ge_u32 s7, s10
	s_cselect_b32 s7, -1, 0
	s_cmp_eq_u32 s20, s11
	s_wait_alu 0xfffe
	s_cselect_b32 s7, s7, s21
	s_wait_alu 0xfffe
	s_cmp_lg_u32 s7, 0
	s_mov_b32 s7, 0
	s_cselect_b32 s19, s23, s19
	s_cselect_b32 s18, s22, s18
.LBB135_13:                             ;   in Loop: Header=BB135_11 Depth=1
	s_wait_alu 0xfffe
	s_and_not1_b32 vcc_lo, exec_lo, s7
	s_cbranch_vccnz .LBB135_15
; %bb.14:                               ;   in Loop: Header=BB135_11 Depth=1
	v_cvt_f32_u32_e32 v1, s10
	s_sub_co_i32 s18, 0, s10
	s_delay_alu instid0(VALU_DEP_1) | instskip(NEXT) | instid1(TRANS32_DEP_1)
	v_rcp_iflag_f32_e32 v1, v1
	v_mul_f32_e32 v1, 0x4f7ffffe, v1
	s_delay_alu instid0(VALU_DEP_1) | instskip(NEXT) | instid1(VALU_DEP_1)
	v_cvt_u32_f32_e32 v1, v1
	v_readfirstlane_b32 s7, v1
	s_mul_i32 s18, s18, s7
	s_delay_alu instid0(SALU_CYCLE_1) | instskip(NEXT) | instid1(SALU_CYCLE_1)
	s_mul_hi_u32 s18, s7, s18
	s_add_co_i32 s7, s7, s18
	s_wait_alu 0xfffe
	s_mul_hi_u32 s7, s2, s7
	s_wait_alu 0xfffe
	s_mul_i32 s18, s7, s10
	s_add_co_i32 s19, s7, 1
	s_sub_co_i32 s18, s2, s18
	s_delay_alu instid0(SALU_CYCLE_1)
	s_sub_co_i32 s20, s18, s10
	s_cmp_ge_u32 s18, s10
	s_cselect_b32 s7, s19, s7
	s_cselect_b32 s18, s20, s18
	s_wait_alu 0xfffe
	s_add_co_i32 s19, s7, 1
	s_cmp_ge_u32 s18, s10
	s_cselect_b32 s18, s19, s7
	s_mov_b32 s19, s6
.LBB135_15:                             ;   in Loop: Header=BB135_11 Depth=1
	s_load_b64 s[20:21], s[8:9], 0xc8
	s_mul_u64 s[10:11], s[18:19], s[10:11]
	s_add_co_i32 s15, s15, -1
	s_wait_alu 0xfffe
	s_sub_nc_u64 s[2:3], s[2:3], s[10:11]
	s_cmp_gt_u32 s15, 2
	s_add_nc_u64 s[8:9], s[8:9], -8
	s_wait_kmcnt 0x0
	s_wait_alu 0xfffe
	s_mul_u64 s[2:3], s[20:21], s[2:3]
	s_wait_alu 0xfffe
	s_add_nc_u64 s[16:17], s[2:3], s[16:17]
	s_cbranch_scc0 .LBB135_18
; %bb.16:                               ;   in Loop: Header=BB135_11 Depth=1
	s_mov_b64 s[2:3], s[18:19]
	s_branch .LBB135_11
.LBB135_17:
	s_mov_b64 s[18:19], s[2:3]
.LBB135_18:
	s_clause 0x2
	s_load_b64 s[2:3], s[0:1], 0xd0
	s_load_b32 s8, s[0:1], 0x360
	s_load_b64 s[20:21], s[0:1], 0x0
	s_wait_kmcnt 0x0
	s_mul_u64 s[6:7], s[2:3], s[4:5]
	s_bitcmp1_b32 s8, 0
	s_brev_b32 s3, 1
	s_cselect_b32 s15, -1, 0
	s_delay_alu instid0(SALU_CYCLE_1)
	s_and_b32 s4, s15, exec_lo
	s_wait_alu 0xfffe
	s_cselect_b32 s4, s3, 0x7fffffff
	s_lshl_b64 s[22:23], s[6:7], 2
	s_wait_alu 0xfffe
	s_mov_b32 s5, s4
	s_mov_b32 s6, s4
	;; [unrolled: 1-line block ×7, first 2 shown]
	v_and_b32_e32 v37, 0x3ff, v0
	s_wait_alu 0xfffe
	v_dual_mov_b32 v1, s4 :: v_dual_mov_b32 v4, s7
	v_dual_mov_b32 v2, s5 :: v_dual_mov_b32 v3, s6
	v_mov_b32_e32 v6, s9
	v_cmp_gt_u32_e64 s2, s14, v37
	v_dual_mov_b32 v5, s8 :: v_dual_mov_b32 v8, s11
	v_mov_b32_e32 v7, s10
	v_mov_b32_e32 v9, s4
	s_add_nc_u64 s[20:21], s[20:21], s[22:23]
	s_lshl_b64 s[12:13], s[12:13], 2
	s_wait_alu 0xfffe
	s_add_nc_u64 s[28:29], s[20:21], s[12:13]
	s_and_saveexec_b32 s3, s2
	s_cbranch_execz .LBB135_20
; %bb.19:
	v_mad_co_u64_u32 v[1:2], null, s24, v37, 0
	s_delay_alu instid0(VALU_DEP_1) | instskip(NEXT) | instid1(VALU_DEP_1)
	v_mad_co_u64_u32 v[2:3], null, s25, v37, v[2:3]
	v_lshlrev_b64_e32 v[1:2], 2, v[1:2]
	s_delay_alu instid0(VALU_DEP_1) | instskip(NEXT) | instid1(VALU_DEP_1)
	v_add_co_u32 v1, vcc_lo, s28, v1
	v_add_co_ci_u32_e64 v2, null, s29, v2, vcc_lo
	global_load_b32 v9, v[1:2], off
	v_dual_mov_b32 v1, s4 :: v_dual_mov_b32 v2, s5
	v_dual_mov_b32 v3, s6 :: v_dual_mov_b32 v4, s7
	;; [unrolled: 1-line block ×4, first 2 shown]
.LBB135_20:
	s_wait_alu 0xfffe
	s_or_b32 exec_lo, exec_lo, s3
	v_add_nc_u32_e32 v19, 0x200, v37
	s_delay_alu instid0(VALU_DEP_1)
	v_cmp_gt_u32_e64 s3, s14, v19
	s_and_saveexec_b32 s4, s3
	s_cbranch_execz .LBB135_22
; %bb.21:
	v_mad_co_u64_u32 v[1:2], null, s24, v19, 0
	s_delay_alu instid0(VALU_DEP_1) | instskip(NEXT) | instid1(VALU_DEP_1)
	v_mad_co_u64_u32 v[10:11], null, s25, v19, v[2:3]
	v_mov_b32_e32 v2, v10
	s_delay_alu instid0(VALU_DEP_1) | instskip(NEXT) | instid1(VALU_DEP_1)
	v_lshlrev_b64_e32 v[1:2], 2, v[1:2]
	v_add_co_u32 v1, vcc_lo, s28, v1
	s_wait_alu 0xfffd
	s_delay_alu instid0(VALU_DEP_2)
	v_add_co_ci_u32_e64 v2, null, s29, v2, vcc_lo
	global_load_b32 v2, v[1:2], off
.LBB135_22:
	s_wait_alu 0xfffe
	s_or_b32 exec_lo, exec_lo, s4
	v_or_b32_e32 v20, 0x400, v37
	s_delay_alu instid0(VALU_DEP_1)
	v_cmp_gt_u32_e64 s4, s14, v20
	s_and_saveexec_b32 s5, s4
	s_cbranch_execz .LBB135_24
; %bb.23:
	v_mad_co_u64_u32 v[10:11], null, s24, v20, 0
	s_delay_alu instid0(VALU_DEP_1) | instskip(SKIP_1) | instid1(VALU_DEP_1)
	v_mov_b32_e32 v1, v11
	s_wait_loadcnt 0x0
	v_mad_co_u64_u32 v[11:12], null, s25, v20, v[1:2]
	s_delay_alu instid0(VALU_DEP_1) | instskip(NEXT) | instid1(VALU_DEP_1)
	v_lshlrev_b64_e32 v[10:11], 2, v[10:11]
	v_add_co_u32 v10, vcc_lo, s28, v10
	s_wait_alu 0xfffd
	s_delay_alu instid0(VALU_DEP_2)
	v_add_co_ci_u32_e64 v11, null, s29, v11, vcc_lo
	global_load_b32 v3, v[10:11], off
.LBB135_24:
	s_wait_alu 0xfffe
	s_or_b32 exec_lo, exec_lo, s5
	v_add_nc_u32_e32 v21, 0x600, v37
	s_delay_alu instid0(VALU_DEP_1)
	v_cmp_gt_u32_e64 s5, s14, v21
	s_and_saveexec_b32 s6, s5
	s_cbranch_execz .LBB135_26
; %bb.25:
	v_mad_co_u64_u32 v[10:11], null, s24, v21, 0
	s_delay_alu instid0(VALU_DEP_1) | instskip(SKIP_1) | instid1(VALU_DEP_1)
	v_mov_b32_e32 v1, v11
	s_wait_loadcnt 0x0
	v_mad_co_u64_u32 v[11:12], null, s25, v21, v[1:2]
	s_delay_alu instid0(VALU_DEP_1) | instskip(NEXT) | instid1(VALU_DEP_1)
	v_lshlrev_b64_e32 v[10:11], 2, v[10:11]
	v_add_co_u32 v10, vcc_lo, s28, v10
	s_wait_alu 0xfffd
	s_delay_alu instid0(VALU_DEP_2)
	v_add_co_ci_u32_e64 v11, null, s29, v11, vcc_lo
	global_load_b32 v4, v[10:11], off
.LBB135_26:
	s_wait_alu 0xfffe
	s_or_b32 exec_lo, exec_lo, s6
	v_or_b32_e32 v22, 0x800, v37
	s_delay_alu instid0(VALU_DEP_1)
	v_cmp_gt_u32_e64 s6, s14, v22
	s_and_saveexec_b32 s7, s6
	s_cbranch_execz .LBB135_28
; %bb.27:
	v_mad_co_u64_u32 v[10:11], null, s24, v22, 0
	s_delay_alu instid0(VALU_DEP_1) | instskip(SKIP_1) | instid1(VALU_DEP_1)
	v_mov_b32_e32 v1, v11
	s_wait_loadcnt 0x0
	v_mad_co_u64_u32 v[11:12], null, s25, v22, v[1:2]
	s_delay_alu instid0(VALU_DEP_1) | instskip(NEXT) | instid1(VALU_DEP_1)
	v_lshlrev_b64_e32 v[10:11], 2, v[10:11]
	v_add_co_u32 v10, vcc_lo, s28, v10
	s_wait_alu 0xfffd
	s_delay_alu instid0(VALU_DEP_2)
	v_add_co_ci_u32_e64 v11, null, s29, v11, vcc_lo
	global_load_b32 v5, v[10:11], off
.LBB135_28:
	s_wait_alu 0xfffe
	s_or_b32 exec_lo, exec_lo, s7
	v_add_nc_u32_e32 v23, 0xa00, v37
	s_delay_alu instid0(VALU_DEP_1)
	v_cmp_gt_u32_e64 s7, s14, v23
	s_and_saveexec_b32 s8, s7
	s_cbranch_execz .LBB135_30
; %bb.29:
	v_mad_co_u64_u32 v[10:11], null, s24, v23, 0
	s_delay_alu instid0(VALU_DEP_1) | instskip(SKIP_1) | instid1(VALU_DEP_1)
	v_mov_b32_e32 v1, v11
	s_wait_loadcnt 0x0
	v_mad_co_u64_u32 v[11:12], null, s25, v23, v[1:2]
	s_delay_alu instid0(VALU_DEP_1) | instskip(NEXT) | instid1(VALU_DEP_1)
	v_lshlrev_b64_e32 v[10:11], 2, v[10:11]
	v_add_co_u32 v10, vcc_lo, s28, v10
	s_wait_alu 0xfffd
	s_delay_alu instid0(VALU_DEP_2)
	v_add_co_ci_u32_e64 v11, null, s29, v11, vcc_lo
	global_load_b32 v6, v[10:11], off
.LBB135_30:
	s_wait_alu 0xfffe
	s_or_b32 exec_lo, exec_lo, s8
	v_or_b32_e32 v24, 0xc00, v37
	s_delay_alu instid0(VALU_DEP_1)
	v_cmp_gt_u32_e64 s8, s14, v24
	s_and_saveexec_b32 s9, s8
	s_cbranch_execz .LBB135_32
; %bb.31:
	v_mad_co_u64_u32 v[10:11], null, s24, v24, 0
	s_delay_alu instid0(VALU_DEP_1) | instskip(SKIP_1) | instid1(VALU_DEP_1)
	v_mov_b32_e32 v1, v11
	s_wait_loadcnt 0x0
	v_mad_co_u64_u32 v[11:12], null, s25, v24, v[1:2]
	s_delay_alu instid0(VALU_DEP_1) | instskip(NEXT) | instid1(VALU_DEP_1)
	v_lshlrev_b64_e32 v[10:11], 2, v[10:11]
	v_add_co_u32 v10, vcc_lo, s28, v10
	s_wait_alu 0xfffd
	s_delay_alu instid0(VALU_DEP_2)
	v_add_co_ci_u32_e64 v11, null, s29, v11, vcc_lo
	global_load_b32 v7, v[10:11], off
.LBB135_32:
	s_wait_alu 0xfffe
	s_or_b32 exec_lo, exec_lo, s9
	s_clause 0x1
	s_load_b64 s[12:13], s[0:1], 0x288
	s_load_b64 s[10:11], s[0:1], 0x1b8
	v_add_nc_u32_e32 v25, 0xe00, v37
	s_delay_alu instid0(VALU_DEP_1)
	v_cmp_gt_u32_e64 s9, s14, v25
	s_and_saveexec_b32 s14, s9
	s_cbranch_execz .LBB135_34
; %bb.33:
	v_mad_co_u64_u32 v[10:11], null, s24, v25, 0
	s_delay_alu instid0(VALU_DEP_1) | instskip(SKIP_1) | instid1(VALU_DEP_1)
	v_mov_b32_e32 v1, v11
	s_wait_loadcnt 0x0
	v_mad_co_u64_u32 v[11:12], null, s25, v25, v[1:2]
	s_delay_alu instid0(VALU_DEP_1) | instskip(NEXT) | instid1(VALU_DEP_1)
	v_lshlrev_b64_e32 v[10:11], 2, v[10:11]
	v_add_co_u32 v10, vcc_lo, s28, v10
	s_wait_alu 0xfffd
	s_delay_alu instid0(VALU_DEP_2)
	v_add_co_ci_u32_e64 v11, null, s29, v11, vcc_lo
	global_load_b32 v8, v[10:11], off
.LBB135_34:
	s_wait_alu 0xfffe
	s_or_b32 exec_lo, exec_lo, s14
	v_lshrrev_b32_e32 v1, 5, v19
	v_lshrrev_b32_e32 v17, 5, v37
	;; [unrolled: 1-line block ×3, first 2 shown]
	v_lshlrev_b32_e32 v18, 3, v37
	s_load_b64 s[26:27], s[0:1], 0x358
	v_add_nc_u32_e32 v28, v1, v37
	v_lshrrev_b32_e32 v1, 5, v21
	v_add_nc_u32_e32 v29, v17, v37
	s_wait_kmcnt 0x0
	s_mul_u64 s[12:13], s[12:13], s[18:19]
	v_mov_b32_e32 v13, 0
	s_wait_alu 0xfffe
	s_lshl_b64 s[12:13], s[12:13], 3
	v_add_nc_u32_e32 v27, v1, v37
	v_lshrrev_b32_e32 v1, 5, v22
	s_wait_alu 0xfffe
	s_add_nc_u64 s[10:11], s[10:11], s[12:13]
	s_lshl_b64 s[12:13], s[16:17], 3
	v_mov_b32_e32 v14, 0
	s_wait_alu 0xfffe
	s_add_nc_u64 s[30:31], s[10:11], s[12:13]
	v_add_nc_u32_e32 v30, v1, v37
	v_lshrrev_b32_e32 v1, 5, v23
	s_delay_alu instid0(VALU_DEP_1) | instskip(SKIP_1) | instid1(VALU_DEP_1)
	v_add_nc_u32_e32 v34, v1, v37
	v_lshrrev_b32_e32 v1, 2, v37
	v_add_nc_u32_e32 v33, v1, v18
	v_dual_mov_b32 v1, 0 :: v_dual_add_nc_u32 v26, v10, v37
	v_lshlrev_b32_e32 v70, 2, v29
	v_lshlrev_b32_e32 v71, 2, v28
	s_delay_alu instid0(VALU_DEP_3) | instskip(NEXT) | instid1(VALU_DEP_4)
	v_dual_mov_b32 v16, v1 :: v_dual_lshlrev_b32 v73, 2, v27
	v_dual_mov_b32 v15, v1 :: v_dual_lshlrev_b32 v72, 2, v26
	s_wait_loadcnt 0x0
	ds_store_b32 v70, v9
	ds_store_b32 v71, v2 offset:2048
	ds_store_b32 v72, v3 offset:4096
	v_lshrrev_b32_e32 v2, 5, v24
	v_lshrrev_b32_e32 v3, 5, v25
	v_lshlrev_b32_e32 v74, 2, v30
	v_lshlrev_b32_e32 v75, 2, v34
	;; [unrolled: 1-line block ×3, first 2 shown]
	v_dual_mov_b32 v9, v1 :: v_dual_add_nc_u32 v32, v2, v37
	v_add_nc_u32_e32 v31, v3, v37
	ds_store_b32 v73, v4 offset:6144
	v_mov_b32_e32 v4, v1
	v_lshlrev_b32_e32 v76, 2, v32
	ds_store_b32 v74, v5 offset:8192
	v_lshlrev_b32_e32 v77, 2, v31
	ds_store_b32 v75, v6 offset:10240
	ds_store_b32 v76, v7 offset:12288
	;; [unrolled: 1-line block ×3, first 2 shown]
	s_wait_dscnt 0x0
	s_barrier_signal -1
	s_barrier_wait -1
	global_inv scope:SCOPE_SE
	ds_load_2addr_b32 v[44:45], v78 offset1:1
	ds_load_2addr_b32 v[42:43], v78 offset0:2 offset1:3
	ds_load_2addr_b32 v[40:41], v78 offset0:4 offset1:5
	;; [unrolled: 1-line block ×3, first 2 shown]
	v_dual_mov_b32 v2, v1 :: v_dual_mov_b32 v3, v1
	v_dual_mov_b32 v5, v1 :: v_dual_mov_b32 v6, v1
	;; [unrolled: 1-line block ×4, first 2 shown]
	v_mov_b32_e32 v12, v1
	s_wait_loadcnt_dscnt 0x0
	s_barrier_signal -1
	s_barrier_wait -1
	global_inv scope:SCOPE_SE
	s_and_saveexec_b32 s0, s2
	s_cbranch_execnz .LBB135_70
; %bb.35:
	s_or_b32 exec_lo, exec_lo, s0
	s_and_saveexec_b32 s0, s3
	s_cbranch_execnz .LBB135_71
.LBB135_36:
	s_or_b32 exec_lo, exec_lo, s0
	s_and_saveexec_b32 s0, s4
	s_cbranch_execnz .LBB135_72
.LBB135_37:
	s_or_b32 exec_lo, exec_lo, s0
	s_and_saveexec_b32 s0, s5
	s_cbranch_execnz .LBB135_73
.LBB135_38:
	s_or_b32 exec_lo, exec_lo, s0
	s_and_saveexec_b32 s0, s6
	s_cbranch_execnz .LBB135_74
.LBB135_39:
	s_or_b32 exec_lo, exec_lo, s0
	s_and_saveexec_b32 s0, s7
	s_cbranch_execnz .LBB135_75
.LBB135_40:
	s_or_b32 exec_lo, exec_lo, s0
	s_and_saveexec_b32 s0, s8
	s_cbranch_execnz .LBB135_76
.LBB135_41:
	s_or_b32 exec_lo, exec_lo, s0
	s_xor_b32 s0, s15, -1
	s_and_saveexec_b32 s1, s9
	s_cbranch_execz .LBB135_43
.LBB135_42:
	v_mad_co_u64_u32 v[11:12], null, s26, v25, 0
	s_wait_loadcnt 0x0
	s_delay_alu instid0(VALU_DEP_1) | instskip(NEXT) | instid1(VALU_DEP_1)
	v_mad_co_u64_u32 v[19:20], null, s27, v25, v[12:13]
	v_mov_b32_e32 v12, v19
	s_delay_alu instid0(VALU_DEP_1) | instskip(NEXT) | instid1(VALU_DEP_1)
	v_lshlrev_b64_e32 v[11:12], 3, v[11:12]
	v_add_co_u32 v11, vcc_lo, s30, v11
	s_wait_alu 0xfffd
	s_delay_alu instid0(VALU_DEP_2)
	v_add_co_ci_u32_e64 v12, null, s31, v12, vcc_lo
	global_load_b64 v[11:12], v[11:12], off
.LBB135_43:
	s_or_b32 exec_lo, exec_lo, s1
	v_lshlrev_b32_e32 v79, 3, v29
	v_lshlrev_b32_e32 v82, 3, v27
	;; [unrolled: 1-line block ×9, first 2 shown]
	s_wait_loadcnt 0x0
	ds_store_b64 v79, v[13:14]
	ds_store_b64 v80, v[1:2] offset:4096
	ds_store_b64 v81, v[15:16] offset:8192
	;; [unrolled: 1-line block ×7, first 2 shown]
	s_wait_dscnt 0x0
	s_barrier_signal -1
	s_barrier_wait -1
	global_inv scope:SCOPE_SE
	ds_load_2addr_b64 v[5:8], v87 offset1:1
	ds_load_2addr_b64 v[1:4], v87 offset0:2 offset1:3
	v_mbcnt_lo_u32_b32 v91, -1, 0
	v_and_b32_e32 v20, 0x1f00, v18
	ds_load_2addr_b64 v[13:16], v87 offset0:4 offset1:5
	ds_load_2addr_b64 v[9:12], v87 offset0:6 offset1:7
	v_and_b32_e32 v19, 0x3e0, v37
	s_and_b32 vcc_lo, exec_lo, s0
	v_bfe_u32 v95, v0, 10, 10
	v_or_b32_e32 v20, v91, v20
	v_bfe_u32 v96, v0, 20, 10
	v_or_b32_e32 v21, v91, v19
	v_lshlrev_b32_e32 v88, 2, v18
	v_and_b32_e32 v0, 15, v91
	v_lshlrev_b32_e32 v89, 2, v20
	v_and_b32_e32 v93, 16, v91
	v_lshlrev_b32_e32 v98, 3, v21
	v_lshlrev_b32_e32 v99, 5, v21
	v_min_u32_e32 v94, 0x1e0, v19
	v_lshl_add_u32 v97, v20, 2, v89
	v_cmp_gt_u32_e64 s0, 16, v37
	v_cmp_lt_u32_e64 s1, 31, v37
	v_cmp_eq_u32_e64 s10, 0, v37
	v_lshlrev_b32_e32 v90, 2, v17
	v_mul_i32_i24_e32 v92, 0xffffffe4, v37
	s_mov_b32 s20, 0
	s_mov_b32 s11, -1
	s_wait_loadcnt_dscnt 0x0
	s_barrier_signal -1
	s_barrier_wait -1
	global_inv scope:SCOPE_SE
	s_wait_alu 0xfffe
	s_cbranch_vccz .LBB135_77
; %bb.44:
	v_xor_b32_e32 v17, 0x80000000, v44
	v_xor_b32_e32 v18, 0x80000000, v45
	;; [unrolled: 1-line block ×8, first 2 shown]
	ds_store_b128 v99, v[17:20]
	ds_store_b128 v99, v[21:24] offset:16
	v_lshlrev_b32_e32 v17, 3, v98
	; wave barrier
	ds_load_2addr_b32 v[62:63], v89 offset1:32
	ds_load_2addr_b32 v[64:65], v89 offset0:64 offset1:96
	ds_load_2addr_b32 v[66:67], v89 offset0:128 offset1:160
	;; [unrolled: 1-line block ×3, first 2 shown]
	s_wait_loadcnt_dscnt 0x0
	s_barrier_signal -1
	s_barrier_wait -1
	global_inv scope:SCOPE_SE
	ds_store_b128 v17, v[5:8]
	ds_store_b128 v17, v[1:4] offset:16
	ds_store_b128 v17, v[13:16] offset:32
	;; [unrolled: 1-line block ×3, first 2 shown]
	; wave barrier
	ds_load_2addr_b64 v[21:24], v97 offset1:32
	ds_load_2addr_b64 v[25:28], v97 offset0:64 offset1:96
	ds_load_2addr_b64 v[29:32], v97 offset0:128 offset1:160
	ds_load_2addr_b64 v[33:36], v97 offset0:192 offset1:224
	s_wait_loadcnt_dscnt 0x0
	s_barrier_signal -1
	s_barrier_wait -1
	global_inv scope:SCOPE_SE
	s_load_b32 s11, s[34:35], 0xc
	s_getpc_b64 s[12:13]
	s_wait_alu 0xfffe
	s_sext_i32_i16 s13, s13
	s_add_co_u32 s12, s12, _ZN7rocprim17ROCPRIM_400000_NS16block_radix_sortIiLj512ELj8ElLj1ELj1ELj0ELNS0_26block_radix_rank_algorithmE1ELNS0_18block_padding_hintE2ELNS0_4arch9wavefront6targetE0EE19radix_bits_per_passE@rel32@lo+12
	s_wait_alu 0xfffe
	s_add_co_ci_u32 s13, s13, _ZN7rocprim17ROCPRIM_400000_NS16block_radix_sortIiLj512ELj8ElLj1ELj1ELj0ELNS0_26block_radix_rank_algorithmE1ELNS0_18block_padding_hintE2ELNS0_4arch9wavefront6targetE0EE19radix_bits_per_passE@rel32@hi+24
	v_or_b32_e32 v19, 31, v94
	s_load_b32 s19, s[12:13], 0x0
	s_mov_b32 s21, s20
	s_mov_b32 s22, s20
	;; [unrolled: 1-line block ×3, first 2 shown]
	v_cmp_eq_u32_e64 s17, v37, v19
	v_cmp_eq_u32_e64 s12, 0, v0
	v_cmp_lt_u32_e64 s13, 1, v0
	v_cmp_lt_u32_e64 s15, 7, v0
	v_cmp_eq_u32_e64 s16, 0, v93
	v_add_nc_u32_e32 v101, -4, v90
	v_add_nc_u32_e32 v104, v88, v92
	v_add_nc_u32_e32 v105, v89, v89
	v_mov_b32_e32 v103, 0
	s_wait_kmcnt 0x0
	s_lshr_b32 s14, s11, 16
	s_and_b32 s11, s11, 0xffff
	s_wait_alu 0xfffe
	v_mad_u32_u24 v17, v96, s14, v95
	v_cmp_lt_u32_e64 s14, 3, v0
	s_delay_alu instid0(VALU_DEP_2) | instskip(SKIP_1) | instid1(VALU_DEP_1)
	v_mad_co_u64_u32 v[17:18], null, v17, s11, v[37:38]
	v_sub_co_u32 v18, s11, v91, 1
	v_cmp_gt_i32_e32 vcc_lo, 0, v18
	s_delay_alu instid0(VALU_DEP_3) | instskip(SKIP_2) | instid1(VALU_DEP_2)
	v_lshrrev_b32_e32 v17, 3, v17
	s_wait_alu 0xfffd
	v_cndmask_b32_e32 v18, v18, v91, vcc_lo
	v_and_b32_e32 v102, 0x1ffffffc, v17
	s_delay_alu instid0(VALU_DEP_2)
	v_dual_mov_b32 v17, s20 :: v_dual_lshlrev_b32 v100, 2, v18
	v_dual_mov_b32 v18, s21 :: v_dual_mov_b32 v19, s22
	v_mov_b32_e32 v20, s23
	s_mov_b32 s20, 32
	s_branch .LBB135_46
.LBB135_45:                             ;   in Loop: Header=BB135_46 Depth=1
	s_wait_alu 0xfffe
	s_and_not1_b32 vcc_lo, exec_lo, s21
	s_mov_b32 s20, s18
	s_wait_alu 0xfffe
	s_cbranch_vccz .LBB135_78
.LBB135_46:                             ; =>This Inner Loop Header: Depth=1
	v_dual_mov_b32 v106, v62 :: v_dual_mov_b32 v107, v69
	s_wait_alu 0xfffe
	s_min_u32 s18, s19, s20
	ds_store_b128 v88, v[17:20] offset:64
	ds_store_b128 v88, v[17:20] offset:80
	s_wait_alu 0xfffe
	s_lshl_b32 s18, -1, s18
	v_lshrrev_b32_e32 v46, v103, v106
	s_wait_alu 0xfffe
	s_not_b32 s21, s18
	s_wait_loadcnt_dscnt 0x0
	s_barrier_signal -1
	s_barrier_wait -1
	s_wait_alu 0xfffe
	v_dual_mov_b32 v109, v67 :: v_dual_and_b32 v62, s21, v46
	v_mov_b32_e32 v108, v68
	global_inv scope:SCOPE_SE
	v_dual_mov_b32 v111, v65 :: v_dual_and_b32 v46, 1, v62
	v_lshlrev_b32_e32 v47, 30, v62
	v_dual_mov_b32 v113, v63 :: v_dual_lshlrev_b32 v48, 29, v62
	s_delay_alu instid0(VALU_DEP_3)
	v_add_co_u32 v46, s18, v46, -1
	s_wait_alu 0xf1ff
	v_cndmask_b32_e64 v50, 0, 1, s18
	v_not_b32_e32 v54, v47
	v_dual_mov_b32 v110, v66 :: v_dual_lshlrev_b32 v49, 28, v62
	v_cmp_gt_i32_e64 s18, 0, v47
	s_delay_alu instid0(VALU_DEP_4)
	v_cmp_ne_u32_e32 vcc_lo, 0, v50
	v_not_b32_e32 v47, v48
	v_ashrrev_i32_e32 v54, 31, v54
	v_dual_mov_b32 v112, v64 :: v_dual_lshlrev_b32 v51, 27, v62
	s_wait_alu 0xfffd
	v_xor_b32_e32 v46, vcc_lo, v46
	v_cmp_gt_i32_e32 vcc_lo, 0, v48
	v_not_b32_e32 v48, v49
	v_ashrrev_i32_e32 v47, 31, v47
	s_wait_alu 0xf1ff
	v_xor_b32_e32 v54, s18, v54
	v_and_b32_e32 v46, exec_lo, v46
	v_lshlrev_b32_e32 v52, 26, v62
	v_cmp_gt_i32_e64 s18, 0, v49
	v_not_b32_e32 v49, v51
	v_ashrrev_i32_e32 v48, 31, v48
	s_wait_alu 0xfffd
	v_xor_b32_e32 v47, vcc_lo, v47
	v_and_b32_e32 v46, v46, v54
	v_lshlrev_b32_e32 v53, 25, v62
	v_cmp_gt_i32_e32 vcc_lo, 0, v51
	v_not_b32_e32 v51, v52
	v_ashrrev_i32_e32 v49, 31, v49
	s_wait_alu 0xf1ff
	v_xor_b32_e32 v48, s18, v48
	v_dual_mov_b32 v59, v24 :: v_dual_and_b32 v46, v46, v47
	v_lshlrev_b32_e32 v50, 24, v62
	v_cmp_gt_i32_e64 s18, 0, v52
	v_not_b32_e32 v47, v53
	v_ashrrev_i32_e32 v51, 31, v51
	s_wait_alu 0xfffd
	v_xor_b32_e32 v49, vcc_lo, v49
	v_and_b32_e32 v46, v46, v48
	v_cmp_gt_i32_e32 vcc_lo, 0, v53
	v_not_b32_e32 v48, v50
	v_ashrrev_i32_e32 v47, 31, v47
	s_wait_alu 0xf1ff
	v_xor_b32_e32 v51, s18, v51
	v_and_b32_e32 v46, v46, v49
	v_cmp_gt_i32_e64 s18, 0, v50
	v_ashrrev_i32_e32 v48, 31, v48
	s_wait_alu 0xfffd
	v_xor_b32_e32 v47, vcc_lo, v47
	v_mov_b32_e32 v53, v30
	v_dual_mov_b32 v51, v32 :: v_dual_and_b32 v46, v46, v51
	s_wait_alu 0xf1ff
	v_xor_b32_e32 v54, s18, v48
	v_dual_mov_b32 v49, v34 :: v_dual_mov_b32 v50, v31
	s_delay_alu instid0(VALU_DEP_3) | instskip(SKIP_2) | instid1(VALU_DEP_3)
	v_dual_mov_b32 v48, v33 :: v_dual_and_b32 v55, v46, v47
	v_dual_mov_b32 v52, v29 :: v_dual_mov_b32 v57, v26
	v_dual_mov_b32 v56, v25 :: v_dual_mov_b32 v61, v22
	v_and_b32_e32 v31, v55, v54
	v_dual_mov_b32 v55, v28 :: v_dual_mov_b32 v54, v27
	v_mov_b32_e32 v58, v23
	v_mov_b32_e32 v60, v21
	s_delay_alu instid0(VALU_DEP_4) | instskip(SKIP_3) | instid1(VALU_DEP_4)
	v_mbcnt_lo_u32_b32 v29, v31, 0
	v_lshlrev_b32_e32 v21, 6, v62
	v_cmp_ne_u32_e64 s18, 0, v31
	v_dual_mov_b32 v47, v36 :: v_dual_mov_b32 v46, v35
	v_cmp_eq_u32_e32 vcc_lo, 0, v29
	s_delay_alu instid0(VALU_DEP_4)
	v_add_nc_u32_e32 v30, v102, v21
	; wave barrier
	s_and_b32 s22, s18, vcc_lo
	s_wait_alu 0xfffe
	s_and_saveexec_b32 s18, s22
; %bb.47:                               ;   in Loop: Header=BB135_46 Depth=1
	v_bcnt_u32_b32 v21, v31, 0
	ds_store_b32 v30, v21 offset:64
; %bb.48:                               ;   in Loop: Header=BB135_46 Depth=1
	s_wait_alu 0xfffe
	s_or_b32 exec_lo, exec_lo, s18
	v_lshrrev_b32_e32 v21, v103, v113
	; wave barrier
	s_delay_alu instid0(VALU_DEP_1) | instskip(NEXT) | instid1(VALU_DEP_1)
	v_and_b32_e32 v21, s21, v21
	v_and_b32_e32 v22, 1, v21
	v_lshlrev_b32_e32 v23, 30, v21
	v_lshlrev_b32_e32 v24, 29, v21
	;; [unrolled: 1-line block ×4, first 2 shown]
	v_add_co_u32 v22, s18, v22, -1
	s_wait_alu 0xf1ff
	v_cndmask_b32_e64 v26, 0, 1, s18
	v_not_b32_e32 v32, v23
	v_cmp_gt_i32_e64 s18, 0, v23
	v_not_b32_e32 v23, v24
	v_lshlrev_b32_e32 v28, 26, v21
	v_cmp_ne_u32_e32 vcc_lo, 0, v26
	v_ashrrev_i32_e32 v32, 31, v32
	v_lshlrev_b32_e32 v31, 25, v21
	v_ashrrev_i32_e32 v23, 31, v23
	v_lshlrev_b32_e32 v26, 24, v21
	s_wait_alu 0xfffd
	v_xor_b32_e32 v22, vcc_lo, v22
	v_cmp_gt_i32_e32 vcc_lo, 0, v24
	v_not_b32_e32 v24, v25
	s_wait_alu 0xf1ff
	v_xor_b32_e32 v32, s18, v32
	v_cmp_gt_i32_e64 s18, 0, v25
	v_and_b32_e32 v22, exec_lo, v22
	v_not_b32_e32 v25, v27
	v_ashrrev_i32_e32 v24, 31, v24
	s_wait_alu 0xfffd
	v_xor_b32_e32 v23, vcc_lo, v23
	v_cmp_gt_i32_e32 vcc_lo, 0, v27
	v_and_b32_e32 v22, v22, v32
	v_not_b32_e32 v27, v28
	v_ashrrev_i32_e32 v25, 31, v25
	s_wait_alu 0xf1ff
	v_xor_b32_e32 v24, s18, v24
	v_cmp_gt_i32_e64 s18, 0, v28
	v_and_b32_e32 v22, v22, v23
	v_not_b32_e32 v23, v31
	v_ashrrev_i32_e32 v27, 31, v27
	s_wait_alu 0xfffd
	v_xor_b32_e32 v25, vcc_lo, v25
	v_cmp_gt_i32_e32 vcc_lo, 0, v31
	v_and_b32_e32 v22, v22, v24
	v_not_b32_e32 v24, v26
	v_ashrrev_i32_e32 v23, 31, v23
	s_wait_alu 0xf1ff
	v_xor_b32_e32 v27, s18, v27
	v_lshlrev_b32_e32 v21, 6, v21
	v_and_b32_e32 v22, v22, v25
	v_cmp_gt_i32_e64 s18, 0, v26
	v_ashrrev_i32_e32 v24, 31, v24
	s_wait_alu 0xfffd
	v_xor_b32_e32 v23, vcc_lo, v23
	v_add_nc_u32_e32 v33, v102, v21
	v_and_b32_e32 v22, v22, v27
	s_wait_alu 0xf1ff
	v_xor_b32_e32 v21, s18, v24
	ds_load_b32 v31, v33 offset:64
	v_and_b32_e32 v22, v22, v23
	; wave barrier
	s_delay_alu instid0(VALU_DEP_1) | instskip(NEXT) | instid1(VALU_DEP_1)
	v_and_b32_e32 v21, v22, v21
	v_mbcnt_lo_u32_b32 v32, v21, 0
	v_cmp_ne_u32_e64 s18, 0, v21
	s_delay_alu instid0(VALU_DEP_2)
	v_cmp_eq_u32_e32 vcc_lo, 0, v32
	s_and_b32 s22, s18, vcc_lo
	s_wait_alu 0xfffe
	s_and_saveexec_b32 s18, s22
	s_cbranch_execz .LBB135_50
; %bb.49:                               ;   in Loop: Header=BB135_46 Depth=1
	s_wait_dscnt 0x0
	v_bcnt_u32_b32 v21, v21, v31
	ds_store_b32 v33, v21 offset:64
.LBB135_50:                             ;   in Loop: Header=BB135_46 Depth=1
	s_wait_alu 0xfffe
	s_or_b32 exec_lo, exec_lo, s18
	v_lshrrev_b32_e32 v21, v103, v112
	; wave barrier
	s_delay_alu instid0(VALU_DEP_1) | instskip(NEXT) | instid1(VALU_DEP_1)
	v_and_b32_e32 v21, s21, v21
	v_and_b32_e32 v22, 1, v21
	v_lshlrev_b32_e32 v23, 30, v21
	v_lshlrev_b32_e32 v24, 29, v21
	;; [unrolled: 1-line block ×4, first 2 shown]
	v_add_co_u32 v22, s18, v22, -1
	s_wait_alu 0xf1ff
	v_cndmask_b32_e64 v26, 0, 1, s18
	v_not_b32_e32 v35, v23
	v_cmp_gt_i32_e64 s18, 0, v23
	v_not_b32_e32 v23, v24
	v_lshlrev_b32_e32 v28, 26, v21
	v_cmp_ne_u32_e32 vcc_lo, 0, v26
	v_ashrrev_i32_e32 v35, 31, v35
	v_lshlrev_b32_e32 v34, 25, v21
	v_ashrrev_i32_e32 v23, 31, v23
	v_lshlrev_b32_e32 v26, 24, v21
	s_wait_alu 0xfffd
	v_xor_b32_e32 v22, vcc_lo, v22
	v_cmp_gt_i32_e32 vcc_lo, 0, v24
	v_not_b32_e32 v24, v25
	s_wait_alu 0xf1ff
	v_xor_b32_e32 v35, s18, v35
	v_cmp_gt_i32_e64 s18, 0, v25
	v_and_b32_e32 v22, exec_lo, v22
	v_not_b32_e32 v25, v27
	v_ashrrev_i32_e32 v24, 31, v24
	s_wait_alu 0xfffd
	v_xor_b32_e32 v23, vcc_lo, v23
	v_cmp_gt_i32_e32 vcc_lo, 0, v27
	v_and_b32_e32 v22, v22, v35
	v_not_b32_e32 v27, v28
	v_ashrrev_i32_e32 v25, 31, v25
	s_wait_alu 0xf1ff
	v_xor_b32_e32 v24, s18, v24
	v_cmp_gt_i32_e64 s18, 0, v28
	v_and_b32_e32 v22, v22, v23
	v_not_b32_e32 v23, v34
	v_ashrrev_i32_e32 v27, 31, v27
	s_wait_alu 0xfffd
	v_xor_b32_e32 v25, vcc_lo, v25
	v_cmp_gt_i32_e32 vcc_lo, 0, v34
	v_and_b32_e32 v22, v22, v24
	v_not_b32_e32 v24, v26
	v_ashrrev_i32_e32 v23, 31, v23
	s_wait_alu 0xf1ff
	v_xor_b32_e32 v27, s18, v27
	v_lshlrev_b32_e32 v21, 6, v21
	v_and_b32_e32 v22, v22, v25
	v_cmp_gt_i32_e64 s18, 0, v26
	v_ashrrev_i32_e32 v24, 31, v24
	s_wait_alu 0xfffd
	v_xor_b32_e32 v23, vcc_lo, v23
	v_add_nc_u32_e32 v36, v102, v21
	v_and_b32_e32 v22, v22, v27
	s_wait_alu 0xf1ff
	v_xor_b32_e32 v21, s18, v24
	ds_load_b32 v34, v36 offset:64
	v_and_b32_e32 v22, v22, v23
	; wave barrier
	s_delay_alu instid0(VALU_DEP_1) | instskip(NEXT) | instid1(VALU_DEP_1)
	v_and_b32_e32 v21, v22, v21
	v_mbcnt_lo_u32_b32 v35, v21, 0
	v_cmp_ne_u32_e64 s18, 0, v21
	s_delay_alu instid0(VALU_DEP_2)
	v_cmp_eq_u32_e32 vcc_lo, 0, v35
	s_and_b32 s22, s18, vcc_lo
	s_wait_alu 0xfffe
	s_and_saveexec_b32 s18, s22
	s_cbranch_execz .LBB135_52
; %bb.51:                               ;   in Loop: Header=BB135_46 Depth=1
	s_wait_dscnt 0x0
	v_bcnt_u32_b32 v21, v21, v34
	ds_store_b32 v36, v21 offset:64
.LBB135_52:                             ;   in Loop: Header=BB135_46 Depth=1
	s_wait_alu 0xfffe
	s_or_b32 exec_lo, exec_lo, s18
	v_lshrrev_b32_e32 v21, v103, v111
	; wave barrier
	s_delay_alu instid0(VALU_DEP_1) | instskip(NEXT) | instid1(VALU_DEP_1)
	v_and_b32_e32 v21, s21, v21
	v_and_b32_e32 v22, 1, v21
	v_lshlrev_b32_e32 v23, 30, v21
	v_lshlrev_b32_e32 v24, 29, v21
	;; [unrolled: 1-line block ×4, first 2 shown]
	v_add_co_u32 v22, s18, v22, -1
	s_wait_alu 0xf1ff
	v_cndmask_b32_e64 v26, 0, 1, s18
	v_not_b32_e32 v63, v23
	v_cmp_gt_i32_e64 s18, 0, v23
	v_not_b32_e32 v23, v24
	v_lshlrev_b32_e32 v28, 26, v21
	v_cmp_ne_u32_e32 vcc_lo, 0, v26
	v_ashrrev_i32_e32 v63, 31, v63
	v_lshlrev_b32_e32 v62, 25, v21
	v_ashrrev_i32_e32 v23, 31, v23
	v_lshlrev_b32_e32 v26, 24, v21
	s_wait_alu 0xfffd
	v_xor_b32_e32 v22, vcc_lo, v22
	v_cmp_gt_i32_e32 vcc_lo, 0, v24
	v_not_b32_e32 v24, v25
	s_wait_alu 0xf1ff
	v_xor_b32_e32 v63, s18, v63
	v_cmp_gt_i32_e64 s18, 0, v25
	v_and_b32_e32 v22, exec_lo, v22
	v_not_b32_e32 v25, v27
	v_ashrrev_i32_e32 v24, 31, v24
	s_wait_alu 0xfffd
	v_xor_b32_e32 v23, vcc_lo, v23
	v_cmp_gt_i32_e32 vcc_lo, 0, v27
	v_and_b32_e32 v22, v22, v63
	v_not_b32_e32 v27, v28
	v_ashrrev_i32_e32 v25, 31, v25
	s_wait_alu 0xf1ff
	v_xor_b32_e32 v24, s18, v24
	v_cmp_gt_i32_e64 s18, 0, v28
	v_and_b32_e32 v22, v22, v23
	v_not_b32_e32 v23, v62
	v_ashrrev_i32_e32 v27, 31, v27
	s_wait_alu 0xfffd
	v_xor_b32_e32 v25, vcc_lo, v25
	v_cmp_gt_i32_e32 vcc_lo, 0, v62
	v_and_b32_e32 v22, v22, v24
	v_not_b32_e32 v24, v26
	v_ashrrev_i32_e32 v23, 31, v23
	s_wait_alu 0xf1ff
	v_xor_b32_e32 v27, s18, v27
	v_lshlrev_b32_e32 v21, 6, v21
	v_and_b32_e32 v22, v22, v25
	v_cmp_gt_i32_e64 s18, 0, v26
	v_ashrrev_i32_e32 v24, 31, v24
	s_wait_alu 0xfffd
	v_xor_b32_e32 v23, vcc_lo, v23
	v_add_nc_u32_e32 v64, v102, v21
	v_and_b32_e32 v22, v22, v27
	s_wait_alu 0xf1ff
	v_xor_b32_e32 v21, s18, v24
	ds_load_b32 v62, v64 offset:64
	v_and_b32_e32 v22, v22, v23
	; wave barrier
	s_delay_alu instid0(VALU_DEP_1) | instskip(NEXT) | instid1(VALU_DEP_1)
	v_and_b32_e32 v21, v22, v21
	v_mbcnt_lo_u32_b32 v63, v21, 0
	v_cmp_ne_u32_e64 s18, 0, v21
	s_delay_alu instid0(VALU_DEP_2)
	v_cmp_eq_u32_e32 vcc_lo, 0, v63
	s_and_b32 s22, s18, vcc_lo
	s_wait_alu 0xfffe
	s_and_saveexec_b32 s18, s22
	s_cbranch_execz .LBB135_54
; %bb.53:                               ;   in Loop: Header=BB135_46 Depth=1
	s_wait_dscnt 0x0
	v_bcnt_u32_b32 v21, v21, v62
	ds_store_b32 v64, v21 offset:64
.LBB135_54:                             ;   in Loop: Header=BB135_46 Depth=1
	s_wait_alu 0xfffe
	s_or_b32 exec_lo, exec_lo, s18
	v_lshrrev_b32_e32 v21, v103, v110
	; wave barrier
	s_delay_alu instid0(VALU_DEP_1) | instskip(NEXT) | instid1(VALU_DEP_1)
	v_and_b32_e32 v21, s21, v21
	v_and_b32_e32 v22, 1, v21
	v_lshlrev_b32_e32 v23, 30, v21
	v_lshlrev_b32_e32 v24, 29, v21
	;; [unrolled: 1-line block ×4, first 2 shown]
	v_add_co_u32 v22, s18, v22, -1
	s_wait_alu 0xf1ff
	v_cndmask_b32_e64 v26, 0, 1, s18
	v_not_b32_e32 v66, v23
	v_cmp_gt_i32_e64 s18, 0, v23
	v_not_b32_e32 v23, v24
	v_lshlrev_b32_e32 v28, 26, v21
	v_cmp_ne_u32_e32 vcc_lo, 0, v26
	v_ashrrev_i32_e32 v66, 31, v66
	v_lshlrev_b32_e32 v65, 25, v21
	v_ashrrev_i32_e32 v23, 31, v23
	v_lshlrev_b32_e32 v26, 24, v21
	s_wait_alu 0xfffd
	v_xor_b32_e32 v22, vcc_lo, v22
	v_cmp_gt_i32_e32 vcc_lo, 0, v24
	v_not_b32_e32 v24, v25
	s_wait_alu 0xf1ff
	v_xor_b32_e32 v66, s18, v66
	v_cmp_gt_i32_e64 s18, 0, v25
	v_and_b32_e32 v22, exec_lo, v22
	v_not_b32_e32 v25, v27
	v_ashrrev_i32_e32 v24, 31, v24
	s_wait_alu 0xfffd
	v_xor_b32_e32 v23, vcc_lo, v23
	v_cmp_gt_i32_e32 vcc_lo, 0, v27
	v_and_b32_e32 v22, v22, v66
	v_not_b32_e32 v27, v28
	v_ashrrev_i32_e32 v25, 31, v25
	s_wait_alu 0xf1ff
	v_xor_b32_e32 v24, s18, v24
	v_cmp_gt_i32_e64 s18, 0, v28
	v_and_b32_e32 v22, v22, v23
	v_not_b32_e32 v23, v65
	v_ashrrev_i32_e32 v27, 31, v27
	s_wait_alu 0xfffd
	v_xor_b32_e32 v25, vcc_lo, v25
	v_cmp_gt_i32_e32 vcc_lo, 0, v65
	v_and_b32_e32 v22, v22, v24
	v_not_b32_e32 v24, v26
	v_ashrrev_i32_e32 v23, 31, v23
	s_wait_alu 0xf1ff
	v_xor_b32_e32 v27, s18, v27
	v_lshlrev_b32_e32 v21, 6, v21
	v_and_b32_e32 v22, v22, v25
	v_cmp_gt_i32_e64 s18, 0, v26
	v_ashrrev_i32_e32 v24, 31, v24
	s_wait_alu 0xfffd
	v_xor_b32_e32 v23, vcc_lo, v23
	v_add_nc_u32_e32 v67, v102, v21
	v_and_b32_e32 v22, v22, v27
	s_wait_alu 0xf1ff
	v_xor_b32_e32 v21, s18, v24
	ds_load_b32 v65, v67 offset:64
	v_and_b32_e32 v22, v22, v23
	; wave barrier
	s_delay_alu instid0(VALU_DEP_1) | instskip(NEXT) | instid1(VALU_DEP_1)
	v_and_b32_e32 v21, v22, v21
	v_mbcnt_lo_u32_b32 v66, v21, 0
	v_cmp_ne_u32_e64 s18, 0, v21
	s_delay_alu instid0(VALU_DEP_2)
	v_cmp_eq_u32_e32 vcc_lo, 0, v66
	s_and_b32 s22, s18, vcc_lo
	s_wait_alu 0xfffe
	s_and_saveexec_b32 s18, s22
	s_cbranch_execz .LBB135_56
; %bb.55:                               ;   in Loop: Header=BB135_46 Depth=1
	s_wait_dscnt 0x0
	v_bcnt_u32_b32 v21, v21, v65
	ds_store_b32 v67, v21 offset:64
.LBB135_56:                             ;   in Loop: Header=BB135_46 Depth=1
	s_wait_alu 0xfffe
	s_or_b32 exec_lo, exec_lo, s18
	v_lshrrev_b32_e32 v21, v103, v109
	; wave barrier
	s_delay_alu instid0(VALU_DEP_1) | instskip(NEXT) | instid1(VALU_DEP_1)
	v_and_b32_e32 v21, s21, v21
	v_and_b32_e32 v22, 1, v21
	v_lshlrev_b32_e32 v23, 30, v21
	v_lshlrev_b32_e32 v24, 29, v21
	;; [unrolled: 1-line block ×4, first 2 shown]
	v_add_co_u32 v22, s18, v22, -1
	s_wait_alu 0xf1ff
	v_cndmask_b32_e64 v26, 0, 1, s18
	v_not_b32_e32 v69, v23
	v_cmp_gt_i32_e64 s18, 0, v23
	v_not_b32_e32 v23, v24
	v_lshlrev_b32_e32 v28, 26, v21
	v_cmp_ne_u32_e32 vcc_lo, 0, v26
	v_ashrrev_i32_e32 v69, 31, v69
	v_lshlrev_b32_e32 v68, 25, v21
	v_ashrrev_i32_e32 v23, 31, v23
	v_lshlrev_b32_e32 v26, 24, v21
	s_wait_alu 0xfffd
	v_xor_b32_e32 v22, vcc_lo, v22
	v_cmp_gt_i32_e32 vcc_lo, 0, v24
	v_not_b32_e32 v24, v25
	s_wait_alu 0xf1ff
	v_xor_b32_e32 v69, s18, v69
	v_cmp_gt_i32_e64 s18, 0, v25
	v_and_b32_e32 v22, exec_lo, v22
	v_not_b32_e32 v25, v27
	v_ashrrev_i32_e32 v24, 31, v24
	s_wait_alu 0xfffd
	v_xor_b32_e32 v23, vcc_lo, v23
	v_cmp_gt_i32_e32 vcc_lo, 0, v27
	v_and_b32_e32 v22, v22, v69
	v_not_b32_e32 v27, v28
	v_ashrrev_i32_e32 v25, 31, v25
	s_wait_alu 0xf1ff
	v_xor_b32_e32 v24, s18, v24
	v_cmp_gt_i32_e64 s18, 0, v28
	v_and_b32_e32 v22, v22, v23
	v_not_b32_e32 v23, v68
	v_ashrrev_i32_e32 v27, 31, v27
	s_wait_alu 0xfffd
	v_xor_b32_e32 v25, vcc_lo, v25
	v_cmp_gt_i32_e32 vcc_lo, 0, v68
	v_and_b32_e32 v22, v22, v24
	v_not_b32_e32 v24, v26
	v_ashrrev_i32_e32 v23, 31, v23
	s_wait_alu 0xf1ff
	v_xor_b32_e32 v27, s18, v27
	v_lshlrev_b32_e32 v21, 6, v21
	v_and_b32_e32 v22, v22, v25
	v_cmp_gt_i32_e64 s18, 0, v26
	v_ashrrev_i32_e32 v24, 31, v24
	s_wait_alu 0xfffd
	v_xor_b32_e32 v23, vcc_lo, v23
	v_add_nc_u32_e32 v114, v102, v21
	v_and_b32_e32 v22, v22, v27
	s_wait_alu 0xf1ff
	v_xor_b32_e32 v21, s18, v24
	ds_load_b32 v68, v114 offset:64
	v_and_b32_e32 v22, v22, v23
	; wave barrier
	s_delay_alu instid0(VALU_DEP_1) | instskip(NEXT) | instid1(VALU_DEP_1)
	v_and_b32_e32 v21, v22, v21
	v_mbcnt_lo_u32_b32 v69, v21, 0
	v_cmp_ne_u32_e64 s18, 0, v21
	s_delay_alu instid0(VALU_DEP_2)
	v_cmp_eq_u32_e32 vcc_lo, 0, v69
	s_and_b32 s22, s18, vcc_lo
	s_wait_alu 0xfffe
	s_and_saveexec_b32 s18, s22
	s_cbranch_execz .LBB135_58
; %bb.57:                               ;   in Loop: Header=BB135_46 Depth=1
	s_wait_dscnt 0x0
	v_bcnt_u32_b32 v21, v21, v68
	ds_store_b32 v114, v21 offset:64
.LBB135_58:                             ;   in Loop: Header=BB135_46 Depth=1
	s_wait_alu 0xfffe
	s_or_b32 exec_lo, exec_lo, s18
	v_lshrrev_b32_e32 v21, v103, v108
	; wave barrier
	s_delay_alu instid0(VALU_DEP_1) | instskip(NEXT) | instid1(VALU_DEP_1)
	v_and_b32_e32 v21, s21, v21
	v_and_b32_e32 v22, 1, v21
	v_lshlrev_b32_e32 v23, 30, v21
	v_lshlrev_b32_e32 v24, 29, v21
	;; [unrolled: 1-line block ×4, first 2 shown]
	v_add_co_u32 v22, s18, v22, -1
	s_wait_alu 0xf1ff
	v_cndmask_b32_e64 v26, 0, 1, s18
	v_not_b32_e32 v116, v23
	v_cmp_gt_i32_e64 s18, 0, v23
	v_not_b32_e32 v23, v24
	v_lshlrev_b32_e32 v28, 26, v21
	v_cmp_ne_u32_e32 vcc_lo, 0, v26
	v_ashrrev_i32_e32 v116, 31, v116
	v_lshlrev_b32_e32 v115, 25, v21
	v_ashrrev_i32_e32 v23, 31, v23
	v_lshlrev_b32_e32 v26, 24, v21
	s_wait_alu 0xfffd
	v_xor_b32_e32 v22, vcc_lo, v22
	v_cmp_gt_i32_e32 vcc_lo, 0, v24
	v_not_b32_e32 v24, v25
	s_wait_alu 0xf1ff
	v_xor_b32_e32 v116, s18, v116
	v_cmp_gt_i32_e64 s18, 0, v25
	v_and_b32_e32 v22, exec_lo, v22
	v_not_b32_e32 v25, v27
	v_ashrrev_i32_e32 v24, 31, v24
	s_wait_alu 0xfffd
	v_xor_b32_e32 v23, vcc_lo, v23
	v_cmp_gt_i32_e32 vcc_lo, 0, v27
	v_and_b32_e32 v22, v22, v116
	v_not_b32_e32 v27, v28
	v_ashrrev_i32_e32 v25, 31, v25
	s_wait_alu 0xf1ff
	v_xor_b32_e32 v24, s18, v24
	v_cmp_gt_i32_e64 s18, 0, v28
	v_and_b32_e32 v22, v22, v23
	v_not_b32_e32 v23, v115
	v_ashrrev_i32_e32 v27, 31, v27
	s_wait_alu 0xfffd
	v_xor_b32_e32 v25, vcc_lo, v25
	v_cmp_gt_i32_e32 vcc_lo, 0, v115
	v_and_b32_e32 v22, v22, v24
	v_not_b32_e32 v24, v26
	v_ashrrev_i32_e32 v23, 31, v23
	s_wait_alu 0xf1ff
	v_xor_b32_e32 v27, s18, v27
	v_lshlrev_b32_e32 v21, 6, v21
	v_and_b32_e32 v22, v22, v25
	v_cmp_gt_i32_e64 s18, 0, v26
	v_ashrrev_i32_e32 v24, 31, v24
	s_wait_alu 0xfffd
	v_xor_b32_e32 v23, vcc_lo, v23
	v_add_nc_u32_e32 v117, v102, v21
	v_and_b32_e32 v22, v22, v27
	s_wait_alu 0xf1ff
	v_xor_b32_e32 v21, s18, v24
	ds_load_b32 v115, v117 offset:64
	v_and_b32_e32 v22, v22, v23
	; wave barrier
	s_delay_alu instid0(VALU_DEP_1) | instskip(NEXT) | instid1(VALU_DEP_1)
	v_and_b32_e32 v21, v22, v21
	v_mbcnt_lo_u32_b32 v116, v21, 0
	v_cmp_ne_u32_e64 s18, 0, v21
	s_delay_alu instid0(VALU_DEP_2)
	v_cmp_eq_u32_e32 vcc_lo, 0, v116
	s_and_b32 s22, s18, vcc_lo
	s_wait_alu 0xfffe
	s_and_saveexec_b32 s18, s22
	s_cbranch_execz .LBB135_60
; %bb.59:                               ;   in Loop: Header=BB135_46 Depth=1
	s_wait_dscnt 0x0
	v_bcnt_u32_b32 v21, v21, v115
	ds_store_b32 v117, v21 offset:64
.LBB135_60:                             ;   in Loop: Header=BB135_46 Depth=1
	s_wait_alu 0xfffe
	s_or_b32 exec_lo, exec_lo, s18
	v_lshrrev_b32_e32 v21, v103, v107
	; wave barrier
	s_delay_alu instid0(VALU_DEP_1) | instskip(NEXT) | instid1(VALU_DEP_1)
	v_and_b32_e32 v21, s21, v21
	v_and_b32_e32 v22, 1, v21
	v_lshlrev_b32_e32 v23, 30, v21
	v_lshlrev_b32_e32 v24, 29, v21
	;; [unrolled: 1-line block ×4, first 2 shown]
	v_add_co_u32 v22, s18, v22, -1
	s_wait_alu 0xf1ff
	v_cndmask_b32_e64 v26, 0, 1, s18
	v_not_b32_e32 v119, v23
	v_cmp_gt_i32_e64 s18, 0, v23
	v_not_b32_e32 v23, v24
	v_lshlrev_b32_e32 v28, 26, v21
	v_cmp_ne_u32_e32 vcc_lo, 0, v26
	v_ashrrev_i32_e32 v119, 31, v119
	v_lshlrev_b32_e32 v118, 25, v21
	v_ashrrev_i32_e32 v23, 31, v23
	v_lshlrev_b32_e32 v26, 24, v21
	s_wait_alu 0xfffd
	v_xor_b32_e32 v22, vcc_lo, v22
	v_cmp_gt_i32_e32 vcc_lo, 0, v24
	v_not_b32_e32 v24, v25
	s_wait_alu 0xf1ff
	v_xor_b32_e32 v119, s18, v119
	v_cmp_gt_i32_e64 s18, 0, v25
	v_and_b32_e32 v22, exec_lo, v22
	v_not_b32_e32 v25, v27
	v_ashrrev_i32_e32 v24, 31, v24
	s_wait_alu 0xfffd
	v_xor_b32_e32 v23, vcc_lo, v23
	v_cmp_gt_i32_e32 vcc_lo, 0, v27
	v_and_b32_e32 v22, v22, v119
	v_not_b32_e32 v27, v28
	v_ashrrev_i32_e32 v25, 31, v25
	s_wait_alu 0xf1ff
	v_xor_b32_e32 v24, s18, v24
	v_cmp_gt_i32_e64 s18, 0, v28
	v_and_b32_e32 v22, v22, v23
	v_not_b32_e32 v23, v118
	v_ashrrev_i32_e32 v27, 31, v27
	s_wait_alu 0xfffd
	v_xor_b32_e32 v25, vcc_lo, v25
	v_cmp_gt_i32_e32 vcc_lo, 0, v118
	v_and_b32_e32 v22, v22, v24
	v_not_b32_e32 v24, v26
	v_ashrrev_i32_e32 v23, 31, v23
	s_wait_alu 0xf1ff
	v_xor_b32_e32 v27, s18, v27
	v_lshlrev_b32_e32 v21, 6, v21
	v_and_b32_e32 v22, v22, v25
	v_cmp_gt_i32_e64 s18, 0, v26
	v_ashrrev_i32_e32 v24, 31, v24
	s_wait_alu 0xfffd
	v_xor_b32_e32 v23, vcc_lo, v23
	v_add_nc_u32_e32 v118, v102, v21
	v_and_b32_e32 v22, v22, v27
	s_wait_alu 0xf1ff
	v_xor_b32_e32 v21, s18, v24
	ds_load_b32 v123, v118 offset:64
	v_and_b32_e32 v22, v22, v23
	; wave barrier
	s_delay_alu instid0(VALU_DEP_1) | instskip(NEXT) | instid1(VALU_DEP_1)
	v_and_b32_e32 v21, v22, v21
	v_mbcnt_lo_u32_b32 v124, v21, 0
	v_cmp_ne_u32_e64 s18, 0, v21
	s_delay_alu instid0(VALU_DEP_2)
	v_cmp_eq_u32_e32 vcc_lo, 0, v124
	s_and_b32 s21, s18, vcc_lo
	s_wait_alu 0xfffe
	s_and_saveexec_b32 s18, s21
	s_cbranch_execz .LBB135_62
; %bb.61:                               ;   in Loop: Header=BB135_46 Depth=1
	s_wait_dscnt 0x0
	v_bcnt_u32_b32 v21, v21, v123
	ds_store_b32 v118, v21 offset:64
.LBB135_62:                             ;   in Loop: Header=BB135_46 Depth=1
	s_wait_alu 0xfffe
	s_or_b32 exec_lo, exec_lo, s18
	; wave barrier
	s_wait_loadcnt_dscnt 0x0
	s_barrier_signal -1
	s_barrier_wait -1
	global_inv scope:SCOPE_SE
	ds_load_b128 v[25:28], v88 offset:64
	ds_load_b128 v[21:24], v88 offset:80
	s_wait_dscnt 0x1
	v_add_nc_u32_e32 v119, v26, v25
	s_delay_alu instid0(VALU_DEP_1) | instskip(SKIP_1) | instid1(VALU_DEP_1)
	v_add3_u32 v119, v119, v27, v28
	s_wait_dscnt 0x0
	v_add3_u32 v119, v119, v21, v22
	s_delay_alu instid0(VALU_DEP_1) | instskip(NEXT) | instid1(VALU_DEP_1)
	v_add3_u32 v24, v119, v23, v24
	v_mov_b32_dpp v119, v24 row_shr:1 row_mask:0xf bank_mask:0xf
	s_delay_alu instid0(VALU_DEP_1) | instskip(NEXT) | instid1(VALU_DEP_1)
	v_cndmask_b32_e64 v119, v119, 0, s12
	v_add_nc_u32_e32 v24, v119, v24
	s_delay_alu instid0(VALU_DEP_1) | instskip(NEXT) | instid1(VALU_DEP_1)
	v_mov_b32_dpp v119, v24 row_shr:2 row_mask:0xf bank_mask:0xf
	v_cndmask_b32_e64 v119, 0, v119, s13
	s_delay_alu instid0(VALU_DEP_1) | instskip(NEXT) | instid1(VALU_DEP_1)
	v_add_nc_u32_e32 v24, v24, v119
	v_mov_b32_dpp v119, v24 row_shr:4 row_mask:0xf bank_mask:0xf
	s_delay_alu instid0(VALU_DEP_1) | instskip(NEXT) | instid1(VALU_DEP_1)
	v_cndmask_b32_e64 v119, 0, v119, s14
	v_add_nc_u32_e32 v24, v24, v119
	s_delay_alu instid0(VALU_DEP_1) | instskip(NEXT) | instid1(VALU_DEP_1)
	v_mov_b32_dpp v119, v24 row_shr:8 row_mask:0xf bank_mask:0xf
	v_cndmask_b32_e64 v119, 0, v119, s15
	s_delay_alu instid0(VALU_DEP_1) | instskip(SKIP_3) | instid1(VALU_DEP_1)
	v_add_nc_u32_e32 v24, v24, v119
	ds_swizzle_b32 v119, v24 offset:swizzle(BROADCAST,32,15)
	s_wait_dscnt 0x0
	v_cndmask_b32_e64 v119, v119, 0, s16
	v_add_nc_u32_e32 v24, v24, v119
	s_and_saveexec_b32 s18, s17
; %bb.63:                               ;   in Loop: Header=BB135_46 Depth=1
	ds_store_b32 v90, v24
; %bb.64:                               ;   in Loop: Header=BB135_46 Depth=1
	s_wait_alu 0xfffe
	s_or_b32 exec_lo, exec_lo, s18
	s_wait_loadcnt_dscnt 0x0
	s_barrier_signal -1
	s_barrier_wait -1
	global_inv scope:SCOPE_SE
	s_and_saveexec_b32 s18, s0
	s_cbranch_execz .LBB135_66
; %bb.65:                               ;   in Loop: Header=BB135_46 Depth=1
	ds_load_b32 v119, v104
	s_wait_dscnt 0x0
	v_mov_b32_dpp v120, v119 row_shr:1 row_mask:0xf bank_mask:0xf
	s_delay_alu instid0(VALU_DEP_1) | instskip(NEXT) | instid1(VALU_DEP_1)
	v_cndmask_b32_e64 v120, v120, 0, s12
	v_add_nc_u32_e32 v119, v120, v119
	s_delay_alu instid0(VALU_DEP_1) | instskip(NEXT) | instid1(VALU_DEP_1)
	v_mov_b32_dpp v120, v119 row_shr:2 row_mask:0xf bank_mask:0xf
	v_cndmask_b32_e64 v120, 0, v120, s13
	s_delay_alu instid0(VALU_DEP_1) | instskip(NEXT) | instid1(VALU_DEP_1)
	v_add_nc_u32_e32 v119, v119, v120
	v_mov_b32_dpp v120, v119 row_shr:4 row_mask:0xf bank_mask:0xf
	s_delay_alu instid0(VALU_DEP_1) | instskip(NEXT) | instid1(VALU_DEP_1)
	v_cndmask_b32_e64 v120, 0, v120, s14
	v_add_nc_u32_e32 v119, v119, v120
	s_delay_alu instid0(VALU_DEP_1) | instskip(NEXT) | instid1(VALU_DEP_1)
	v_mov_b32_dpp v120, v119 row_shr:8 row_mask:0xf bank_mask:0xf
	v_cndmask_b32_e64 v120, 0, v120, s15
	s_delay_alu instid0(VALU_DEP_1)
	v_add_nc_u32_e32 v119, v119, v120
	ds_store_b32 v104, v119
.LBB135_66:                             ;   in Loop: Header=BB135_46 Depth=1
	s_wait_alu 0xfffe
	s_or_b32 exec_lo, exec_lo, s18
	v_mov_b32_e32 v119, 0
	s_wait_loadcnt_dscnt 0x0
	s_barrier_signal -1
	s_barrier_wait -1
	global_inv scope:SCOPE_SE
	s_and_saveexec_b32 s18, s1
; %bb.67:                               ;   in Loop: Header=BB135_46 Depth=1
	ds_load_b32 v119, v101
; %bb.68:                               ;   in Loop: Header=BB135_46 Depth=1
	s_wait_alu 0xfffe
	s_or_b32 exec_lo, exec_lo, s18
	s_wait_dscnt 0x0
	v_add_nc_u32_e32 v24, v119, v24
	v_cmp_lt_u32_e32 vcc_lo, 23, v103
	v_readfirstlane_b32 s18, v0
	s_mov_b32 s21, -1
	ds_bpermute_b32 v24, v100, v24
	s_and_b32 vcc_lo, exec_lo, vcc_lo
	s_wait_dscnt 0x0
	v_cndmask_b32_e64 v24, v24, v119, s11
	s_delay_alu instid0(VALU_DEP_1) | instskip(NEXT) | instid1(VALU_DEP_1)
	v_cndmask_b32_e64 v24, v24, 0, s10
	v_add_nc_u32_e32 v25, v24, v25
	s_delay_alu instid0(VALU_DEP_1) | instskip(NEXT) | instid1(VALU_DEP_1)
	v_add_nc_u32_e32 v26, v25, v26
	v_add_nc_u32_e32 v27, v26, v27
	s_delay_alu instid0(VALU_DEP_1) | instskip(NEXT) | instid1(VALU_DEP_1)
	v_add_nc_u32_e32 v119, v27, v28
	;; [unrolled: 3-line block ×3, first 2 shown]
	v_add_nc_u32_e32 v122, v121, v23
	ds_store_b128 v88, v[24:27] offset:64
	ds_store_b128 v88, v[119:122] offset:80
	s_wait_loadcnt_dscnt 0x0
	s_barrier_signal -1
	s_barrier_wait -1
	global_inv scope:SCOPE_SE
	ds_load_b32 v21, v30 offset:64
	ds_load_b32 v22, v33 offset:64
	;; [unrolled: 1-line block ×8, first 2 shown]
	s_wait_dscnt 0x7
	v_add_nc_u32_e32 v122, v21, v29
	s_wait_dscnt 0x6
	v_add3_u32 v121, v32, v31, v22
	s_wait_dscnt 0x5
	v_add3_u32 v120, v35, v34, v23
	;; [unrolled: 2-line block ×7, first 2 shown]
                                        ; implicit-def: $vgpr69
                                        ; implicit-def: $vgpr67
                                        ; implicit-def: $vgpr65
                                        ; implicit-def: $vgpr63
                                        ; implicit-def: $vgpr35_vgpr36
                                        ; implicit-def: $vgpr31_vgpr32
                                        ; implicit-def: $vgpr27_vgpr28
                                        ; implicit-def: $vgpr23_vgpr24
	s_wait_alu 0xfffe
	s_cbranch_vccnz .LBB135_45
; %bb.69:                               ;   in Loop: Header=BB135_46 Depth=1
	v_lshlrev_b32_e32 v21, 2, v122
	v_lshlrev_b32_e32 v22, 2, v121
	;; [unrolled: 1-line block ×3, first 2 shown]
	s_wait_loadcnt 0x0
	s_barrier_signal -1
	s_barrier_wait -1
	global_inv scope:SCOPE_SE
	ds_store_b32 v21, v106
	ds_store_b32 v22, v113
	;; [unrolled: 1-line block ×3, first 2 shown]
	v_lshlrev_b32_e32 v24, 2, v119
	v_add_nc_u32_e32 v21, v21, v21
	v_lshlrev_b32_e32 v25, 2, v118
	v_add_nc_u32_e32 v22, v22, v22
	;; [unrolled: 2-line block ×3, first 2 shown]
	v_lshlrev_b32_e32 v27, 2, v115
	v_lshlrev_b32_e32 v28, 2, v114
	ds_store_b32 v24, v111
	ds_store_b32 v25, v110
	;; [unrolled: 1-line block ×5, first 2 shown]
	s_wait_loadcnt_dscnt 0x0
	s_barrier_signal -1
	s_barrier_wait -1
	global_inv scope:SCOPE_SE
	ds_load_2addr_b32 v[62:63], v89 offset1:32
	ds_load_2addr_b32 v[64:65], v89 offset0:64 offset1:96
	ds_load_2addr_b32 v[66:67], v89 offset0:128 offset1:160
	;; [unrolled: 1-line block ×3, first 2 shown]
	s_wait_loadcnt_dscnt 0x0
	s_barrier_signal -1
	s_barrier_wait -1
	global_inv scope:SCOPE_SE
	ds_store_b64 v21, v[60:61]
	ds_store_b64 v22, v[58:59]
	ds_store_b64 v23, v[56:57]
	v_add_nc_u32_e32 v21, v24, v24
	v_add_nc_u32_e32 v22, v25, v25
	;; [unrolled: 1-line block ×5, first 2 shown]
	ds_store_b64 v21, v[54:55]
	ds_store_b64 v22, v[52:53]
	;; [unrolled: 1-line block ×5, first 2 shown]
	s_wait_loadcnt_dscnt 0x0
	s_barrier_signal -1
	s_barrier_wait -1
	global_inv scope:SCOPE_SE
	ds_load_2addr_b64 v[21:24], v105 offset1:32
	ds_load_2addr_b64 v[25:28], v105 offset0:64 offset1:96
	ds_load_2addr_b64 v[29:32], v105 offset0:128 offset1:160
	;; [unrolled: 1-line block ×3, first 2 shown]
	v_add_nc_u32_e32 v103, 8, v103
	s_add_co_i32 s18, s20, -8
	s_mov_b32 s21, 0
	s_wait_loadcnt_dscnt 0x0
	s_barrier_signal -1
	s_barrier_wait -1
	global_inv scope:SCOPE_SE
	s_branch .LBB135_45
.LBB135_70:
	v_mad_co_u64_u32 v[2:3], null, s26, v37, 0
	v_mov_b32_e32 v16, v1
	v_dual_mov_b32 v6, v1 :: v_dual_mov_b32 v7, v1
	v_dual_mov_b32 v8, v1 :: v_dual_mov_b32 v9, v1
	;; [unrolled: 1-line block ×3, first 2 shown]
	v_mad_co_u64_u32 v[3:4], null, s27, v37, v[3:4]
	v_dual_mov_b32 v4, v1 :: v_dual_mov_b32 v5, v1
	v_dual_mov_b32 v12, v1 :: v_dual_mov_b32 v15, v1
	s_delay_alu instid0(VALU_DEP_3) | instskip(NEXT) | instid1(VALU_DEP_1)
	v_lshlrev_b64_e32 v[2:3], 3, v[2:3]
	v_add_co_u32 v2, vcc_lo, s30, v2
	s_wait_alu 0xfffd
	s_delay_alu instid0(VALU_DEP_2)
	v_add_co_ci_u32_e64 v3, null, s31, v3, vcc_lo
	global_load_b64 v[13:14], v[2:3], off
	v_dual_mov_b32 v2, v1 :: v_dual_mov_b32 v3, v1
	s_or_b32 exec_lo, exec_lo, s0
	s_and_saveexec_b32 s0, s3
	s_cbranch_execz .LBB135_36
.LBB135_71:
	v_mad_co_u64_u32 v[1:2], null, s26, v19, 0
	s_delay_alu instid0(VALU_DEP_1) | instskip(NEXT) | instid1(VALU_DEP_1)
	v_mad_co_u64_u32 v[35:36], null, s27, v19, v[2:3]
	v_mov_b32_e32 v2, v35
	s_delay_alu instid0(VALU_DEP_1) | instskip(NEXT) | instid1(VALU_DEP_1)
	v_lshlrev_b64_e32 v[1:2], 3, v[1:2]
	v_add_co_u32 v1, vcc_lo, s30, v1
	s_wait_alu 0xfffd
	s_delay_alu instid0(VALU_DEP_2)
	v_add_co_ci_u32_e64 v2, null, s31, v2, vcc_lo
	global_load_b64 v[1:2], v[1:2], off
	s_or_b32 exec_lo, exec_lo, s0
	s_and_saveexec_b32 s0, s4
	s_cbranch_execz .LBB135_37
.LBB135_72:
	v_mad_co_u64_u32 v[15:16], null, s26, v20, 0
	s_delay_alu instid0(VALU_DEP_1) | instskip(NEXT) | instid1(VALU_DEP_1)
	v_mad_co_u64_u32 v[19:20], null, s27, v20, v[16:17]
	v_mov_b32_e32 v16, v19
	s_delay_alu instid0(VALU_DEP_1) | instskip(NEXT) | instid1(VALU_DEP_1)
	v_lshlrev_b64_e32 v[15:16], 3, v[15:16]
	v_add_co_u32 v15, vcc_lo, s30, v15
	s_wait_alu 0xfffd
	s_delay_alu instid0(VALU_DEP_2)
	v_add_co_ci_u32_e64 v16, null, s31, v16, vcc_lo
	global_load_b64 v[15:16], v[15:16], off
	s_or_b32 exec_lo, exec_lo, s0
	s_and_saveexec_b32 s0, s5
	s_cbranch_execz .LBB135_38
.LBB135_73:
	v_mad_co_u64_u32 v[3:4], null, s26, v21, 0
	s_delay_alu instid0(VALU_DEP_1) | instskip(NEXT) | instid1(VALU_DEP_1)
	v_mad_co_u64_u32 v[19:20], null, s27, v21, v[4:5]
	v_mov_b32_e32 v4, v19
	s_delay_alu instid0(VALU_DEP_1) | instskip(NEXT) | instid1(VALU_DEP_1)
	v_lshlrev_b64_e32 v[3:4], 3, v[3:4]
	v_add_co_u32 v3, vcc_lo, s30, v3
	s_wait_alu 0xfffd
	s_delay_alu instid0(VALU_DEP_2)
	v_add_co_ci_u32_e64 v4, null, s31, v4, vcc_lo
	global_load_b64 v[3:4], v[3:4], off
	s_or_b32 exec_lo, exec_lo, s0
	s_and_saveexec_b32 s0, s6
	s_cbranch_execz .LBB135_39
.LBB135_74:
	v_mad_co_u64_u32 v[5:6], null, s26, v22, 0
	s_delay_alu instid0(VALU_DEP_1) | instskip(NEXT) | instid1(VALU_DEP_1)
	v_mad_co_u64_u32 v[19:20], null, s27, v22, v[6:7]
	v_mov_b32_e32 v6, v19
	s_delay_alu instid0(VALU_DEP_1) | instskip(NEXT) | instid1(VALU_DEP_1)
	v_lshlrev_b64_e32 v[5:6], 3, v[5:6]
	v_add_co_u32 v5, vcc_lo, s30, v5
	s_wait_alu 0xfffd
	s_delay_alu instid0(VALU_DEP_2)
	v_add_co_ci_u32_e64 v6, null, s31, v6, vcc_lo
	global_load_b64 v[5:6], v[5:6], off
	s_or_b32 exec_lo, exec_lo, s0
	s_and_saveexec_b32 s0, s7
	s_cbranch_execz .LBB135_40
.LBB135_75:
	v_mad_co_u64_u32 v[7:8], null, s26, v23, 0
	s_delay_alu instid0(VALU_DEP_1) | instskip(NEXT) | instid1(VALU_DEP_1)
	v_mad_co_u64_u32 v[19:20], null, s27, v23, v[8:9]
	v_mov_b32_e32 v8, v19
	s_delay_alu instid0(VALU_DEP_1) | instskip(NEXT) | instid1(VALU_DEP_1)
	v_lshlrev_b64_e32 v[7:8], 3, v[7:8]
	v_add_co_u32 v7, vcc_lo, s30, v7
	s_wait_alu 0xfffd
	s_delay_alu instid0(VALU_DEP_2)
	v_add_co_ci_u32_e64 v8, null, s31, v8, vcc_lo
	global_load_b64 v[7:8], v[7:8], off
	s_or_b32 exec_lo, exec_lo, s0
	s_and_saveexec_b32 s0, s8
	s_cbranch_execz .LBB135_41
.LBB135_76:
	v_mad_co_u64_u32 v[9:10], null, s26, v24, 0
	s_delay_alu instid0(VALU_DEP_1) | instskip(NEXT) | instid1(VALU_DEP_1)
	v_mad_co_u64_u32 v[19:20], null, s27, v24, v[10:11]
	v_mov_b32_e32 v10, v19
	s_delay_alu instid0(VALU_DEP_1) | instskip(NEXT) | instid1(VALU_DEP_1)
	v_lshlrev_b64_e32 v[9:10], 3, v[9:10]
	v_add_co_u32 v9, vcc_lo, s30, v9
	s_wait_alu 0xfffd
	s_delay_alu instid0(VALU_DEP_2)
	v_add_co_ci_u32_e64 v10, null, s31, v10, vcc_lo
	global_load_b64 v[9:10], v[9:10], off
	s_or_b32 exec_lo, exec_lo, s0
	s_xor_b32 s0, s15, -1
	s_and_saveexec_b32 s1, s9
	s_cbranch_execnz .LBB135_42
	s_branch .LBB135_43
.LBB135_77:
                                        ; implicit-def: $vgpr49
                                        ; implicit-def: $vgpr47
                                        ; implicit-def: $vgpr48
                                        ; implicit-def: $vgpr36
                                        ; implicit-def: $vgpr46
                                        ; implicit-def: $vgpr34
                                        ; implicit-def: $vgpr35
                                        ; implicit-def: $vgpr33
                                        ; implicit-def: $vgpr19_vgpr20
                                        ; implicit-def: $vgpr23_vgpr24
                                        ; implicit-def: $vgpr27_vgpr28
                                        ; implicit-def: $vgpr31_vgpr32
	s_and_b32 vcc_lo, exec_lo, s11
	s_wait_alu 0xfffe
	s_cbranch_vccnz .LBB135_79
	s_branch .LBB135_106
.LBB135_78:
	v_lshlrev_b32_e32 v17, 2, v122
	v_lshlrev_b32_e32 v18, 2, v121
	;; [unrolled: 1-line block ×3, first 2 shown]
	s_wait_loadcnt 0x0
	s_barrier_signal -1
	s_barrier_wait -1
	global_inv scope:SCOPE_SE
	ds_store_b32 v17, v106
	ds_store_b32 v18, v113
	;; [unrolled: 1-line block ×3, first 2 shown]
	v_lshlrev_b32_e32 v20, 2, v119
	v_add_nc_u32_e32 v17, v17, v17
	v_lshlrev_b32_e32 v21, 2, v118
	v_add_nc_u32_e32 v18, v18, v18
	;; [unrolled: 2-line block ×3, first 2 shown]
	v_lshlrev_b32_e32 v23, 2, v115
	v_lshlrev_b32_e32 v24, 2, v114
	ds_store_b32 v20, v111
	ds_store_b32 v21, v110
	;; [unrolled: 1-line block ×5, first 2 shown]
	s_wait_loadcnt_dscnt 0x0
	s_barrier_signal -1
	s_barrier_wait -1
	global_inv scope:SCOPE_SE
	ds_load_b128 v[62:65], v88
	ds_load_b128 v[66:69], v88 offset:16
	s_wait_loadcnt_dscnt 0x0
	s_barrier_signal -1
	s_barrier_wait -1
	global_inv scope:SCOPE_SE
	ds_store_b64 v17, v[60:61]
	ds_store_b64 v18, v[58:59]
	ds_store_b64 v19, v[56:57]
	v_add_nc_u32_e32 v17, v20, v20
	v_add_nc_u32_e32 v18, v21, v21
	v_add_nc_u32_e32 v19, v22, v22
	v_add_nc_u32_e32 v20, v23, v23
	v_add_nc_u32_e32 v21, v24, v24
	ds_store_b64 v17, v[54:55]
	ds_store_b64 v18, v[52:53]
	;; [unrolled: 1-line block ×5, first 2 shown]
	v_lshl_add_u32 v17, v37, 5, v88
	s_wait_loadcnt_dscnt 0x0
	s_barrier_signal -1
	s_barrier_wait -1
	global_inv scope:SCOPE_SE
	ds_load_b128 v[29:32], v17
	ds_load_b128 v[25:28], v17 offset:16
	ds_load_b128 v[21:24], v17 offset:32
	;; [unrolled: 1-line block ×3, first 2 shown]
	v_xor_b32_e32 v33, 0x80000000, v62
	v_xor_b32_e32 v35, 0x80000000, v63
	;; [unrolled: 1-line block ×8, first 2 shown]
	s_branch .LBB135_106
.LBB135_79:
	s_wait_dscnt 0x0
	v_xor_b32_e32 v17, 0x7fffffff, v44
	v_xor_b32_e32 v18, 0x7fffffff, v45
	;; [unrolled: 1-line block ×8, first 2 shown]
	ds_store_b128 v99, v[17:20]
	ds_store_b128 v99, v[21:24] offset:16
	v_lshl_add_u32 v17, v98, 2, v99
	; wave barrier
	ds_load_2addr_b32 v[38:39], v89 offset1:32
	ds_load_2addr_b32 v[40:41], v89 offset0:64 offset1:96
	ds_load_2addr_b32 v[42:43], v89 offset0:128 offset1:160
	;; [unrolled: 1-line block ×3, first 2 shown]
	s_wait_loadcnt_dscnt 0x0
	s_barrier_signal -1
	s_barrier_wait -1
	global_inv scope:SCOPE_SE
	ds_store_b128 v17, v[5:8]
	ds_store_b128 v17, v[1:4] offset:16
	ds_store_b128 v17, v[13:16] offset:32
	;; [unrolled: 1-line block ×3, first 2 shown]
	; wave barrier
	ds_load_2addr_b64 v[4:7], v97 offset1:32
	ds_load_2addr_b64 v[8:11], v97 offset0:64 offset1:96
	ds_load_2addr_b64 v[12:15], v97 offset0:128 offset1:160
	;; [unrolled: 1-line block ×3, first 2 shown]
	s_wait_loadcnt_dscnt 0x0
	s_barrier_signal -1
	s_barrier_wait -1
	global_inv scope:SCOPE_SE
	s_load_b32 s10, s[34:35], 0xc
	s_getpc_b64 s[0:1]
	s_sext_i32_i16 s1, s1
	s_add_co_u32 s0, s0, _ZN7rocprim17ROCPRIM_400000_NS16block_radix_sortIiLj512ELj8ElLj1ELj1ELj0ELNS0_26block_radix_rank_algorithmE1ELNS0_18block_padding_hintE2ELNS0_4arch9wavefront6targetE0EE19radix_bits_per_passE@rel32@lo+8
	s_add_co_ci_u32 s1, s1, _ZN7rocprim17ROCPRIM_400000_NS16block_radix_sortIiLj512ELj8ElLj1ELj1ELj0ELNS0_26block_radix_rank_algorithmE1ELNS0_18block_padding_hintE2ELNS0_4arch9wavefront6targetE0EE19radix_bits_per_passE@rel32@hi+16
	v_or_b32_e32 v3, 31, v94
	s_load_b32 s19, s[0:1], 0x0
	v_cmp_lt_u32_e64 s1, 1, v0
	v_cmp_lt_u32_e64 s12, 7, v0
	s_mov_b32 s20, 0
	v_cmp_eq_u32_e64 s14, v37, v3
	s_mov_b32 s21, s20
	s_mov_b32 s22, s20
	;; [unrolled: 1-line block ×3, first 2 shown]
	v_cmp_eq_u32_e64 s13, 0, v93
	v_cmp_gt_u32_e64 s15, 16, v37
	v_cmp_lt_u32_e64 s16, 31, v37
	v_cmp_eq_u32_e64 s17, 0, v37
	v_add_nc_u32_e32 v46, -4, v90
	v_dual_mov_b32 v48, 0 :: v_dual_add_nc_u32 v49, v88, v92
	v_add_nc_u32_e32 v50, v89, v89
	s_wait_kmcnt 0x0
	s_lshr_b32 s11, s10, 16
	s_and_b32 s0, s10, 0xffff
	s_wait_alu 0xfffe
	v_mad_u32_u24 v1, v96, s11, v95
	v_cmp_lt_u32_e64 s11, 3, v0
	s_delay_alu instid0(VALU_DEP_2) | instskip(SKIP_2) | instid1(VALU_DEP_2)
	v_mad_co_u64_u32 v[1:2], null, v1, s0, v[37:38]
	v_sub_co_u32 v2, s10, v91, 1
	v_cmp_eq_u32_e64 s0, 0, v0
	v_cmp_gt_i32_e32 vcc_lo, 0, v2
	s_delay_alu instid0(VALU_DEP_4) | instskip(SKIP_1) | instid1(VALU_DEP_1)
	v_lshrrev_b32_e32 v1, 3, v1
	s_wait_alu 0xfffd
	v_dual_cndmask_b32 v0, v2, v91 :: v_dual_and_b32 v47, 0x1ffffffc, v1
	s_delay_alu instid0(VALU_DEP_1)
	v_lshlrev_b32_e32 v36, 2, v0
	v_dual_mov_b32 v0, s20 :: v_dual_mov_b32 v1, s21
	v_dual_mov_b32 v2, s22 :: v_dual_mov_b32 v3, s23
	s_mov_b32 s20, 32
	s_branch .LBB135_81
.LBB135_80:                             ;   in Loop: Header=BB135_81 Depth=1
	s_wait_alu 0xfffe
	s_and_not1_b32 vcc_lo, exec_lo, s21
	s_mov_b32 s20, s18
	s_wait_alu 0xfffe
	s_cbranch_vccz .LBB135_105
.LBB135_81:                             ; =>This Inner Loop Header: Depth=1
	s_wait_alu 0xfffe
	s_min_u32 s18, s19, s20
	v_dual_mov_b32 v52, v45 :: v_dual_mov_b32 v53, v44
	s_wait_alu 0xfffe
	s_lshl_b32 s18, -1, s18
	ds_store_b128 v88, v[0:3] offset:64
	ds_store_b128 v88, v[0:3] offset:80
	s_wait_alu 0xfffe
	s_not_b32 s21, s18
	v_mov_b32_e32 v51, v38
	s_wait_loadcnt_dscnt 0x0
	s_barrier_signal -1
	s_barrier_wait -1
	global_inv scope:SCOPE_SE
	v_lshrrev_b32_e32 v20, v48, v51
	; wave barrier
	v_mov_b32_e32 v55, v42
	s_wait_alu 0xfffe
	s_delay_alu instid0(VALU_DEP_2) | instskip(SKIP_3) | instid1(VALU_DEP_4)
	v_dual_mov_b32 v57, v40 :: v_dual_and_b32 v38, s21, v20
	v_mov_b32_e32 v54, v43
	v_mov_b32_e32 v56, v41
	v_dual_mov_b32 v58, v39 :: v_dual_mov_b32 v31, v9
	v_and_b32_e32 v20, 1, v38
	v_lshlrev_b32_e32 v21, 30, v38
	v_lshlrev_b32_e32 v22, 29, v38
	;; [unrolled: 1-line block ×4, first 2 shown]
	v_add_co_u32 v20, s18, v20, -1
	s_wait_alu 0xf1ff
	v_cndmask_b32_e64 v24, 0, 1, s18
	v_not_b32_e32 v28, v21
	v_cmp_gt_i32_e64 s18, 0, v21
	v_not_b32_e32 v21, v22
	v_lshlrev_b32_e32 v26, 26, v38
	v_cmp_ne_u32_e32 vcc_lo, 0, v24
	v_ashrrev_i32_e32 v28, 31, v28
	v_lshlrev_b32_e32 v27, 25, v38
	v_ashrrev_i32_e32 v21, 31, v21
	v_lshlrev_b32_e32 v24, 24, v38
	s_wait_alu 0xfffd
	v_xor_b32_e32 v20, vcc_lo, v20
	v_cmp_gt_i32_e32 vcc_lo, 0, v22
	v_not_b32_e32 v22, v23
	s_wait_alu 0xf1ff
	v_xor_b32_e32 v28, s18, v28
	v_cmp_gt_i32_e64 s18, 0, v23
	v_and_b32_e32 v20, exec_lo, v20
	v_not_b32_e32 v23, v25
	v_ashrrev_i32_e32 v22, 31, v22
	s_wait_alu 0xfffd
	v_xor_b32_e32 v21, vcc_lo, v21
	v_cmp_gt_i32_e32 vcc_lo, 0, v25
	v_and_b32_e32 v20, v20, v28
	v_not_b32_e32 v25, v26
	v_ashrrev_i32_e32 v23, 31, v23
	s_wait_alu 0xf1ff
	v_xor_b32_e32 v22, s18, v22
	v_cmp_gt_i32_e64 s18, 0, v26
	v_and_b32_e32 v20, v20, v21
	v_not_b32_e32 v21, v27
	v_ashrrev_i32_e32 v25, 31, v25
	s_wait_alu 0xfffd
	v_xor_b32_e32 v23, vcc_lo, v23
	v_cmp_gt_i32_e32 vcc_lo, 0, v27
	v_and_b32_e32 v20, v20, v22
	v_not_b32_e32 v22, v24
	v_ashrrev_i32_e32 v21, 31, v21
	s_wait_alu 0xf1ff
	v_xor_b32_e32 v25, s18, v25
	v_cmp_gt_i32_e64 s18, 0, v24
	v_dual_mov_b32 v33, v7 :: v_dual_and_b32 v20, v20, v23
	v_ashrrev_i32_e32 v22, 31, v22
	s_wait_alu 0xfffd
	v_xor_b32_e32 v21, vcc_lo, v21
	s_delay_alu instid0(VALU_DEP_3)
	v_dual_mov_b32 v35, v5 :: v_dual_and_b32 v20, v20, v25
	v_mov_b32_e32 v25, v15
	s_wait_alu 0xf1ff
	v_xor_b32_e32 v28, s18, v22
	v_dual_mov_b32 v24, v14 :: v_dual_mov_b32 v27, v13
	v_and_b32_e32 v29, v20, v21
	v_mov_b32_e32 v26, v12
	v_mov_b32_e32 v34, v4
	v_dual_mov_b32 v21, v19 :: v_dual_lshlrev_b32 v4, 6, v38
	s_delay_alu instid0(VALU_DEP_4) | instskip(SKIP_2) | instid1(VALU_DEP_4)
	v_and_b32_e32 v14, v29, v28
	v_mov_b32_e32 v23, v17
	v_dual_mov_b32 v29, v11 :: v_dual_mov_b32 v20, v18
	v_dual_mov_b32 v22, v16 :: v_dual_add_nc_u32 v13, v47, v4
	s_delay_alu instid0(VALU_DEP_4)
	v_mbcnt_lo_u32_b32 v12, v14, 0
	v_cmp_ne_u32_e64 s18, 0, v14
	v_mov_b32_e32 v28, v10
	v_mov_b32_e32 v30, v8
	;; [unrolled: 1-line block ×3, first 2 shown]
	v_cmp_eq_u32_e32 vcc_lo, 0, v12
	s_and_b32 s22, s18, vcc_lo
	s_wait_alu 0xfffe
	s_and_saveexec_b32 s18, s22
; %bb.82:                               ;   in Loop: Header=BB135_81 Depth=1
	v_bcnt_u32_b32 v4, v14, 0
	ds_store_b32 v13, v4 offset:64
; %bb.83:                               ;   in Loop: Header=BB135_81 Depth=1
	s_wait_alu 0xfffe
	s_or_b32 exec_lo, exec_lo, s18
	v_lshrrev_b32_e32 v4, v48, v58
	; wave barrier
	s_delay_alu instid0(VALU_DEP_1) | instskip(NEXT) | instid1(VALU_DEP_1)
	v_and_b32_e32 v4, s21, v4
	v_and_b32_e32 v5, 1, v4
	v_lshlrev_b32_e32 v6, 30, v4
	v_lshlrev_b32_e32 v7, 29, v4
	;; [unrolled: 1-line block ×4, first 2 shown]
	v_add_co_u32 v5, s18, v5, -1
	s_wait_alu 0xf1ff
	v_cndmask_b32_e64 v9, 0, 1, s18
	v_not_b32_e32 v15, v6
	v_cmp_gt_i32_e64 s18, 0, v6
	v_not_b32_e32 v6, v7
	v_lshlrev_b32_e32 v11, 26, v4
	v_cmp_ne_u32_e32 vcc_lo, 0, v9
	v_ashrrev_i32_e32 v15, 31, v15
	v_lshlrev_b32_e32 v14, 25, v4
	v_ashrrev_i32_e32 v6, 31, v6
	v_lshlrev_b32_e32 v9, 24, v4
	s_wait_alu 0xfffd
	v_xor_b32_e32 v5, vcc_lo, v5
	v_cmp_gt_i32_e32 vcc_lo, 0, v7
	v_not_b32_e32 v7, v8
	s_wait_alu 0xf1ff
	v_xor_b32_e32 v15, s18, v15
	v_cmp_gt_i32_e64 s18, 0, v8
	v_and_b32_e32 v5, exec_lo, v5
	v_not_b32_e32 v8, v10
	v_ashrrev_i32_e32 v7, 31, v7
	s_wait_alu 0xfffd
	v_xor_b32_e32 v6, vcc_lo, v6
	v_cmp_gt_i32_e32 vcc_lo, 0, v10
	v_and_b32_e32 v5, v5, v15
	v_not_b32_e32 v10, v11
	v_ashrrev_i32_e32 v8, 31, v8
	s_wait_alu 0xf1ff
	v_xor_b32_e32 v7, s18, v7
	v_cmp_gt_i32_e64 s18, 0, v11
	v_and_b32_e32 v5, v5, v6
	v_not_b32_e32 v6, v14
	v_ashrrev_i32_e32 v10, 31, v10
	s_wait_alu 0xfffd
	v_xor_b32_e32 v8, vcc_lo, v8
	v_cmp_gt_i32_e32 vcc_lo, 0, v14
	v_and_b32_e32 v5, v5, v7
	v_not_b32_e32 v7, v9
	v_ashrrev_i32_e32 v6, 31, v6
	s_wait_alu 0xf1ff
	v_xor_b32_e32 v10, s18, v10
	v_lshlrev_b32_e32 v4, 6, v4
	v_and_b32_e32 v5, v5, v8
	v_cmp_gt_i32_e64 s18, 0, v9
	v_ashrrev_i32_e32 v7, 31, v7
	s_wait_alu 0xfffd
	v_xor_b32_e32 v6, vcc_lo, v6
	v_add_nc_u32_e32 v16, v47, v4
	v_and_b32_e32 v5, v5, v10
	s_wait_alu 0xf1ff
	v_xor_b32_e32 v4, s18, v7
	ds_load_b32 v14, v16 offset:64
	v_and_b32_e32 v5, v5, v6
	; wave barrier
	s_delay_alu instid0(VALU_DEP_1) | instskip(NEXT) | instid1(VALU_DEP_1)
	v_and_b32_e32 v4, v5, v4
	v_mbcnt_lo_u32_b32 v15, v4, 0
	v_cmp_ne_u32_e64 s18, 0, v4
	s_delay_alu instid0(VALU_DEP_2)
	v_cmp_eq_u32_e32 vcc_lo, 0, v15
	s_and_b32 s22, s18, vcc_lo
	s_wait_alu 0xfffe
	s_and_saveexec_b32 s18, s22
	s_cbranch_execz .LBB135_85
; %bb.84:                               ;   in Loop: Header=BB135_81 Depth=1
	s_wait_dscnt 0x0
	v_bcnt_u32_b32 v4, v4, v14
	ds_store_b32 v16, v4 offset:64
.LBB135_85:                             ;   in Loop: Header=BB135_81 Depth=1
	s_wait_alu 0xfffe
	s_or_b32 exec_lo, exec_lo, s18
	v_lshrrev_b32_e32 v4, v48, v57
	; wave barrier
	s_delay_alu instid0(VALU_DEP_1) | instskip(NEXT) | instid1(VALU_DEP_1)
	v_and_b32_e32 v4, s21, v4
	v_and_b32_e32 v5, 1, v4
	v_lshlrev_b32_e32 v6, 30, v4
	v_lshlrev_b32_e32 v7, 29, v4
	;; [unrolled: 1-line block ×4, first 2 shown]
	v_add_co_u32 v5, s18, v5, -1
	s_wait_alu 0xf1ff
	v_cndmask_b32_e64 v9, 0, 1, s18
	v_not_b32_e32 v18, v6
	v_cmp_gt_i32_e64 s18, 0, v6
	v_not_b32_e32 v6, v7
	v_lshlrev_b32_e32 v11, 26, v4
	v_cmp_ne_u32_e32 vcc_lo, 0, v9
	v_ashrrev_i32_e32 v18, 31, v18
	v_lshlrev_b32_e32 v17, 25, v4
	v_ashrrev_i32_e32 v6, 31, v6
	v_lshlrev_b32_e32 v9, 24, v4
	s_wait_alu 0xfffd
	v_xor_b32_e32 v5, vcc_lo, v5
	v_cmp_gt_i32_e32 vcc_lo, 0, v7
	v_not_b32_e32 v7, v8
	s_wait_alu 0xf1ff
	v_xor_b32_e32 v18, s18, v18
	v_cmp_gt_i32_e64 s18, 0, v8
	v_and_b32_e32 v5, exec_lo, v5
	v_not_b32_e32 v8, v10
	v_ashrrev_i32_e32 v7, 31, v7
	s_wait_alu 0xfffd
	v_xor_b32_e32 v6, vcc_lo, v6
	v_cmp_gt_i32_e32 vcc_lo, 0, v10
	v_and_b32_e32 v5, v5, v18
	v_not_b32_e32 v10, v11
	v_ashrrev_i32_e32 v8, 31, v8
	s_wait_alu 0xf1ff
	v_xor_b32_e32 v7, s18, v7
	v_cmp_gt_i32_e64 s18, 0, v11
	v_and_b32_e32 v5, v5, v6
	v_not_b32_e32 v6, v17
	v_ashrrev_i32_e32 v10, 31, v10
	s_wait_alu 0xfffd
	v_xor_b32_e32 v8, vcc_lo, v8
	v_cmp_gt_i32_e32 vcc_lo, 0, v17
	v_and_b32_e32 v5, v5, v7
	v_not_b32_e32 v7, v9
	v_ashrrev_i32_e32 v6, 31, v6
	s_wait_alu 0xf1ff
	v_xor_b32_e32 v10, s18, v10
	v_lshlrev_b32_e32 v4, 6, v4
	v_and_b32_e32 v5, v5, v8
	v_cmp_gt_i32_e64 s18, 0, v9
	v_ashrrev_i32_e32 v7, 31, v7
	s_wait_alu 0xfffd
	v_xor_b32_e32 v6, vcc_lo, v6
	v_add_nc_u32_e32 v19, v47, v4
	v_and_b32_e32 v5, v5, v10
	s_wait_alu 0xf1ff
	v_xor_b32_e32 v4, s18, v7
	ds_load_b32 v17, v19 offset:64
	v_and_b32_e32 v5, v5, v6
	; wave barrier
	s_delay_alu instid0(VALU_DEP_1) | instskip(NEXT) | instid1(VALU_DEP_1)
	v_and_b32_e32 v4, v5, v4
	v_mbcnt_lo_u32_b32 v18, v4, 0
	v_cmp_ne_u32_e64 s18, 0, v4
	s_delay_alu instid0(VALU_DEP_2)
	v_cmp_eq_u32_e32 vcc_lo, 0, v18
	s_and_b32 s22, s18, vcc_lo
	s_wait_alu 0xfffe
	s_and_saveexec_b32 s18, s22
	s_cbranch_execz .LBB135_87
; %bb.86:                               ;   in Loop: Header=BB135_81 Depth=1
	s_wait_dscnt 0x0
	v_bcnt_u32_b32 v4, v4, v17
	ds_store_b32 v19, v4 offset:64
.LBB135_87:                             ;   in Loop: Header=BB135_81 Depth=1
	s_wait_alu 0xfffe
	s_or_b32 exec_lo, exec_lo, s18
	v_lshrrev_b32_e32 v4, v48, v56
	; wave barrier
	s_delay_alu instid0(VALU_DEP_1) | instskip(NEXT) | instid1(VALU_DEP_1)
	v_and_b32_e32 v4, s21, v4
	v_and_b32_e32 v5, 1, v4
	v_lshlrev_b32_e32 v6, 30, v4
	v_lshlrev_b32_e32 v7, 29, v4
	;; [unrolled: 1-line block ×4, first 2 shown]
	v_add_co_u32 v5, s18, v5, -1
	s_wait_alu 0xf1ff
	v_cndmask_b32_e64 v9, 0, 1, s18
	v_not_b32_e32 v39, v6
	v_cmp_gt_i32_e64 s18, 0, v6
	v_not_b32_e32 v6, v7
	v_lshlrev_b32_e32 v11, 26, v4
	v_cmp_ne_u32_e32 vcc_lo, 0, v9
	v_ashrrev_i32_e32 v39, 31, v39
	v_lshlrev_b32_e32 v38, 25, v4
	v_ashrrev_i32_e32 v6, 31, v6
	v_lshlrev_b32_e32 v9, 24, v4
	s_wait_alu 0xfffd
	v_xor_b32_e32 v5, vcc_lo, v5
	v_cmp_gt_i32_e32 vcc_lo, 0, v7
	v_not_b32_e32 v7, v8
	s_wait_alu 0xf1ff
	v_xor_b32_e32 v39, s18, v39
	v_cmp_gt_i32_e64 s18, 0, v8
	v_and_b32_e32 v5, exec_lo, v5
	v_not_b32_e32 v8, v10
	v_ashrrev_i32_e32 v7, 31, v7
	s_wait_alu 0xfffd
	v_xor_b32_e32 v6, vcc_lo, v6
	v_cmp_gt_i32_e32 vcc_lo, 0, v10
	v_and_b32_e32 v5, v5, v39
	v_not_b32_e32 v10, v11
	v_ashrrev_i32_e32 v8, 31, v8
	s_wait_alu 0xf1ff
	v_xor_b32_e32 v7, s18, v7
	v_cmp_gt_i32_e64 s18, 0, v11
	v_and_b32_e32 v5, v5, v6
	v_not_b32_e32 v6, v38
	v_ashrrev_i32_e32 v10, 31, v10
	s_wait_alu 0xfffd
	v_xor_b32_e32 v8, vcc_lo, v8
	v_cmp_gt_i32_e32 vcc_lo, 0, v38
	v_and_b32_e32 v5, v5, v7
	v_not_b32_e32 v7, v9
	v_ashrrev_i32_e32 v6, 31, v6
	s_wait_alu 0xf1ff
	v_xor_b32_e32 v10, s18, v10
	v_lshlrev_b32_e32 v4, 6, v4
	v_and_b32_e32 v5, v5, v8
	v_cmp_gt_i32_e64 s18, 0, v9
	v_ashrrev_i32_e32 v7, 31, v7
	s_wait_alu 0xfffd
	v_xor_b32_e32 v6, vcc_lo, v6
	v_add_nc_u32_e32 v40, v47, v4
	v_and_b32_e32 v5, v5, v10
	s_wait_alu 0xf1ff
	v_xor_b32_e32 v4, s18, v7
	ds_load_b32 v38, v40 offset:64
	v_and_b32_e32 v5, v5, v6
	; wave barrier
	s_delay_alu instid0(VALU_DEP_1) | instskip(NEXT) | instid1(VALU_DEP_1)
	v_and_b32_e32 v4, v5, v4
	v_mbcnt_lo_u32_b32 v39, v4, 0
	v_cmp_ne_u32_e64 s18, 0, v4
	s_delay_alu instid0(VALU_DEP_2)
	v_cmp_eq_u32_e32 vcc_lo, 0, v39
	s_and_b32 s22, s18, vcc_lo
	s_wait_alu 0xfffe
	s_and_saveexec_b32 s18, s22
	s_cbranch_execz .LBB135_89
; %bb.88:                               ;   in Loop: Header=BB135_81 Depth=1
	s_wait_dscnt 0x0
	v_bcnt_u32_b32 v4, v4, v38
	ds_store_b32 v40, v4 offset:64
.LBB135_89:                             ;   in Loop: Header=BB135_81 Depth=1
	s_wait_alu 0xfffe
	s_or_b32 exec_lo, exec_lo, s18
	v_lshrrev_b32_e32 v4, v48, v55
	; wave barrier
	s_delay_alu instid0(VALU_DEP_1) | instskip(NEXT) | instid1(VALU_DEP_1)
	v_and_b32_e32 v4, s21, v4
	v_and_b32_e32 v5, 1, v4
	v_lshlrev_b32_e32 v6, 30, v4
	v_lshlrev_b32_e32 v7, 29, v4
	;; [unrolled: 1-line block ×4, first 2 shown]
	v_add_co_u32 v5, s18, v5, -1
	s_wait_alu 0xf1ff
	v_cndmask_b32_e64 v9, 0, 1, s18
	v_not_b32_e32 v42, v6
	v_cmp_gt_i32_e64 s18, 0, v6
	v_not_b32_e32 v6, v7
	v_lshlrev_b32_e32 v11, 26, v4
	v_cmp_ne_u32_e32 vcc_lo, 0, v9
	v_ashrrev_i32_e32 v42, 31, v42
	v_lshlrev_b32_e32 v41, 25, v4
	v_ashrrev_i32_e32 v6, 31, v6
	v_lshlrev_b32_e32 v9, 24, v4
	s_wait_alu 0xfffd
	v_xor_b32_e32 v5, vcc_lo, v5
	v_cmp_gt_i32_e32 vcc_lo, 0, v7
	v_not_b32_e32 v7, v8
	s_wait_alu 0xf1ff
	v_xor_b32_e32 v42, s18, v42
	v_cmp_gt_i32_e64 s18, 0, v8
	v_and_b32_e32 v5, exec_lo, v5
	v_not_b32_e32 v8, v10
	v_ashrrev_i32_e32 v7, 31, v7
	s_wait_alu 0xfffd
	v_xor_b32_e32 v6, vcc_lo, v6
	v_cmp_gt_i32_e32 vcc_lo, 0, v10
	v_and_b32_e32 v5, v5, v42
	v_not_b32_e32 v10, v11
	v_ashrrev_i32_e32 v8, 31, v8
	s_wait_alu 0xf1ff
	v_xor_b32_e32 v7, s18, v7
	v_cmp_gt_i32_e64 s18, 0, v11
	v_and_b32_e32 v5, v5, v6
	v_not_b32_e32 v6, v41
	v_ashrrev_i32_e32 v10, 31, v10
	s_wait_alu 0xfffd
	v_xor_b32_e32 v8, vcc_lo, v8
	v_cmp_gt_i32_e32 vcc_lo, 0, v41
	v_and_b32_e32 v5, v5, v7
	v_not_b32_e32 v7, v9
	v_ashrrev_i32_e32 v6, 31, v6
	s_wait_alu 0xf1ff
	v_xor_b32_e32 v10, s18, v10
	v_lshlrev_b32_e32 v4, 6, v4
	v_and_b32_e32 v5, v5, v8
	v_cmp_gt_i32_e64 s18, 0, v9
	v_ashrrev_i32_e32 v7, 31, v7
	s_wait_alu 0xfffd
	v_xor_b32_e32 v6, vcc_lo, v6
	v_add_nc_u32_e32 v43, v47, v4
	v_and_b32_e32 v5, v5, v10
	s_wait_alu 0xf1ff
	v_xor_b32_e32 v4, s18, v7
	ds_load_b32 v41, v43 offset:64
	v_and_b32_e32 v5, v5, v6
	; wave barrier
	s_delay_alu instid0(VALU_DEP_1) | instskip(NEXT) | instid1(VALU_DEP_1)
	v_and_b32_e32 v4, v5, v4
	v_mbcnt_lo_u32_b32 v42, v4, 0
	v_cmp_ne_u32_e64 s18, 0, v4
	s_delay_alu instid0(VALU_DEP_2)
	v_cmp_eq_u32_e32 vcc_lo, 0, v42
	s_and_b32 s22, s18, vcc_lo
	s_wait_alu 0xfffe
	s_and_saveexec_b32 s18, s22
	s_cbranch_execz .LBB135_91
; %bb.90:                               ;   in Loop: Header=BB135_81 Depth=1
	s_wait_dscnt 0x0
	v_bcnt_u32_b32 v4, v4, v41
	ds_store_b32 v43, v4 offset:64
.LBB135_91:                             ;   in Loop: Header=BB135_81 Depth=1
	s_wait_alu 0xfffe
	s_or_b32 exec_lo, exec_lo, s18
	v_lshrrev_b32_e32 v4, v48, v54
	; wave barrier
	s_delay_alu instid0(VALU_DEP_1) | instskip(NEXT) | instid1(VALU_DEP_1)
	v_and_b32_e32 v4, s21, v4
	v_and_b32_e32 v5, 1, v4
	v_lshlrev_b32_e32 v6, 30, v4
	v_lshlrev_b32_e32 v7, 29, v4
	v_lshlrev_b32_e32 v8, 28, v4
	v_lshlrev_b32_e32 v10, 27, v4
	v_add_co_u32 v5, s18, v5, -1
	s_wait_alu 0xf1ff
	v_cndmask_b32_e64 v9, 0, 1, s18
	v_not_b32_e32 v45, v6
	v_cmp_gt_i32_e64 s18, 0, v6
	v_not_b32_e32 v6, v7
	v_lshlrev_b32_e32 v11, 26, v4
	v_cmp_ne_u32_e32 vcc_lo, 0, v9
	v_ashrrev_i32_e32 v45, 31, v45
	v_lshlrev_b32_e32 v44, 25, v4
	v_ashrrev_i32_e32 v6, 31, v6
	v_lshlrev_b32_e32 v9, 24, v4
	s_wait_alu 0xfffd
	v_xor_b32_e32 v5, vcc_lo, v5
	v_cmp_gt_i32_e32 vcc_lo, 0, v7
	v_not_b32_e32 v7, v8
	s_wait_alu 0xf1ff
	v_xor_b32_e32 v45, s18, v45
	v_cmp_gt_i32_e64 s18, 0, v8
	v_and_b32_e32 v5, exec_lo, v5
	v_not_b32_e32 v8, v10
	v_ashrrev_i32_e32 v7, 31, v7
	s_wait_alu 0xfffd
	v_xor_b32_e32 v6, vcc_lo, v6
	v_cmp_gt_i32_e32 vcc_lo, 0, v10
	v_and_b32_e32 v5, v5, v45
	v_not_b32_e32 v10, v11
	v_ashrrev_i32_e32 v8, 31, v8
	s_wait_alu 0xf1ff
	v_xor_b32_e32 v7, s18, v7
	v_cmp_gt_i32_e64 s18, 0, v11
	v_and_b32_e32 v5, v5, v6
	v_not_b32_e32 v6, v44
	v_ashrrev_i32_e32 v10, 31, v10
	s_wait_alu 0xfffd
	v_xor_b32_e32 v8, vcc_lo, v8
	v_cmp_gt_i32_e32 vcc_lo, 0, v44
	v_and_b32_e32 v5, v5, v7
	v_not_b32_e32 v7, v9
	v_ashrrev_i32_e32 v6, 31, v6
	s_wait_alu 0xf1ff
	v_xor_b32_e32 v10, s18, v10
	v_lshlrev_b32_e32 v4, 6, v4
	v_and_b32_e32 v5, v5, v8
	v_cmp_gt_i32_e64 s18, 0, v9
	v_ashrrev_i32_e32 v7, 31, v7
	s_wait_alu 0xfffd
	v_xor_b32_e32 v6, vcc_lo, v6
	v_add_nc_u32_e32 v59, v47, v4
	v_and_b32_e32 v5, v5, v10
	s_wait_alu 0xf1ff
	v_xor_b32_e32 v4, s18, v7
	ds_load_b32 v44, v59 offset:64
	v_and_b32_e32 v5, v5, v6
	; wave barrier
	s_delay_alu instid0(VALU_DEP_1) | instskip(NEXT) | instid1(VALU_DEP_1)
	v_and_b32_e32 v4, v5, v4
	v_mbcnt_lo_u32_b32 v45, v4, 0
	v_cmp_ne_u32_e64 s18, 0, v4
	s_delay_alu instid0(VALU_DEP_2)
	v_cmp_eq_u32_e32 vcc_lo, 0, v45
	s_and_b32 s22, s18, vcc_lo
	s_wait_alu 0xfffe
	s_and_saveexec_b32 s18, s22
	s_cbranch_execz .LBB135_93
; %bb.92:                               ;   in Loop: Header=BB135_81 Depth=1
	s_wait_dscnt 0x0
	v_bcnt_u32_b32 v4, v4, v44
	ds_store_b32 v59, v4 offset:64
.LBB135_93:                             ;   in Loop: Header=BB135_81 Depth=1
	s_wait_alu 0xfffe
	s_or_b32 exec_lo, exec_lo, s18
	v_lshrrev_b32_e32 v4, v48, v53
	; wave barrier
	s_delay_alu instid0(VALU_DEP_1) | instskip(NEXT) | instid1(VALU_DEP_1)
	v_and_b32_e32 v4, s21, v4
	v_and_b32_e32 v5, 1, v4
	v_lshlrev_b32_e32 v6, 30, v4
	v_lshlrev_b32_e32 v7, 29, v4
	;; [unrolled: 1-line block ×4, first 2 shown]
	v_add_co_u32 v5, s18, v5, -1
	s_wait_alu 0xf1ff
	v_cndmask_b32_e64 v9, 0, 1, s18
	v_not_b32_e32 v61, v6
	v_cmp_gt_i32_e64 s18, 0, v6
	v_not_b32_e32 v6, v7
	v_lshlrev_b32_e32 v11, 26, v4
	v_cmp_ne_u32_e32 vcc_lo, 0, v9
	v_ashrrev_i32_e32 v61, 31, v61
	v_lshlrev_b32_e32 v60, 25, v4
	v_ashrrev_i32_e32 v6, 31, v6
	v_lshlrev_b32_e32 v9, 24, v4
	s_wait_alu 0xfffd
	v_xor_b32_e32 v5, vcc_lo, v5
	v_cmp_gt_i32_e32 vcc_lo, 0, v7
	v_not_b32_e32 v7, v8
	s_wait_alu 0xf1ff
	v_xor_b32_e32 v61, s18, v61
	v_cmp_gt_i32_e64 s18, 0, v8
	v_and_b32_e32 v5, exec_lo, v5
	v_not_b32_e32 v8, v10
	v_ashrrev_i32_e32 v7, 31, v7
	s_wait_alu 0xfffd
	v_xor_b32_e32 v6, vcc_lo, v6
	v_cmp_gt_i32_e32 vcc_lo, 0, v10
	v_and_b32_e32 v5, v5, v61
	v_not_b32_e32 v10, v11
	v_ashrrev_i32_e32 v8, 31, v8
	s_wait_alu 0xf1ff
	v_xor_b32_e32 v7, s18, v7
	v_cmp_gt_i32_e64 s18, 0, v11
	v_and_b32_e32 v5, v5, v6
	v_not_b32_e32 v6, v60
	v_ashrrev_i32_e32 v10, 31, v10
	s_wait_alu 0xfffd
	v_xor_b32_e32 v8, vcc_lo, v8
	v_cmp_gt_i32_e32 vcc_lo, 0, v60
	v_and_b32_e32 v5, v5, v7
	v_not_b32_e32 v7, v9
	v_ashrrev_i32_e32 v6, 31, v6
	s_wait_alu 0xf1ff
	v_xor_b32_e32 v10, s18, v10
	v_lshlrev_b32_e32 v4, 6, v4
	v_and_b32_e32 v5, v5, v8
	v_cmp_gt_i32_e64 s18, 0, v9
	v_ashrrev_i32_e32 v7, 31, v7
	s_wait_alu 0xfffd
	v_xor_b32_e32 v6, vcc_lo, v6
	v_add_nc_u32_e32 v62, v47, v4
	v_and_b32_e32 v5, v5, v10
	s_wait_alu 0xf1ff
	v_xor_b32_e32 v4, s18, v7
	ds_load_b32 v60, v62 offset:64
	v_and_b32_e32 v5, v5, v6
	; wave barrier
	s_delay_alu instid0(VALU_DEP_1) | instskip(NEXT) | instid1(VALU_DEP_1)
	v_and_b32_e32 v4, v5, v4
	v_mbcnt_lo_u32_b32 v61, v4, 0
	v_cmp_ne_u32_e64 s18, 0, v4
	s_delay_alu instid0(VALU_DEP_2)
	v_cmp_eq_u32_e32 vcc_lo, 0, v61
	s_and_b32 s22, s18, vcc_lo
	s_wait_alu 0xfffe
	s_and_saveexec_b32 s18, s22
	s_cbranch_execz .LBB135_95
; %bb.94:                               ;   in Loop: Header=BB135_81 Depth=1
	s_wait_dscnt 0x0
	v_bcnt_u32_b32 v4, v4, v60
	ds_store_b32 v62, v4 offset:64
.LBB135_95:                             ;   in Loop: Header=BB135_81 Depth=1
	s_wait_alu 0xfffe
	s_or_b32 exec_lo, exec_lo, s18
	v_lshrrev_b32_e32 v4, v48, v52
	; wave barrier
	s_delay_alu instid0(VALU_DEP_1) | instskip(NEXT) | instid1(VALU_DEP_1)
	v_and_b32_e32 v4, s21, v4
	v_and_b32_e32 v5, 1, v4
	v_lshlrev_b32_e32 v6, 30, v4
	v_lshlrev_b32_e32 v7, 29, v4
	;; [unrolled: 1-line block ×4, first 2 shown]
	v_add_co_u32 v5, s18, v5, -1
	s_wait_alu 0xf1ff
	v_cndmask_b32_e64 v9, 0, 1, s18
	v_not_b32_e32 v64, v6
	v_cmp_gt_i32_e64 s18, 0, v6
	v_not_b32_e32 v6, v7
	v_lshlrev_b32_e32 v11, 26, v4
	v_cmp_ne_u32_e32 vcc_lo, 0, v9
	v_ashrrev_i32_e32 v64, 31, v64
	v_lshlrev_b32_e32 v63, 25, v4
	v_ashrrev_i32_e32 v6, 31, v6
	v_lshlrev_b32_e32 v9, 24, v4
	s_wait_alu 0xfffd
	v_xor_b32_e32 v5, vcc_lo, v5
	v_cmp_gt_i32_e32 vcc_lo, 0, v7
	v_not_b32_e32 v7, v8
	s_wait_alu 0xf1ff
	v_xor_b32_e32 v64, s18, v64
	v_cmp_gt_i32_e64 s18, 0, v8
	v_and_b32_e32 v5, exec_lo, v5
	v_not_b32_e32 v8, v10
	v_ashrrev_i32_e32 v7, 31, v7
	s_wait_alu 0xfffd
	v_xor_b32_e32 v6, vcc_lo, v6
	v_cmp_gt_i32_e32 vcc_lo, 0, v10
	v_and_b32_e32 v5, v5, v64
	v_not_b32_e32 v10, v11
	v_ashrrev_i32_e32 v8, 31, v8
	s_wait_alu 0xf1ff
	v_xor_b32_e32 v7, s18, v7
	v_cmp_gt_i32_e64 s18, 0, v11
	v_and_b32_e32 v5, v5, v6
	v_not_b32_e32 v6, v63
	v_ashrrev_i32_e32 v10, 31, v10
	s_wait_alu 0xfffd
	v_xor_b32_e32 v8, vcc_lo, v8
	v_cmp_gt_i32_e32 vcc_lo, 0, v63
	v_and_b32_e32 v5, v5, v7
	v_not_b32_e32 v7, v9
	v_ashrrev_i32_e32 v6, 31, v6
	s_wait_alu 0xf1ff
	v_xor_b32_e32 v10, s18, v10
	v_lshlrev_b32_e32 v4, 6, v4
	v_and_b32_e32 v5, v5, v8
	v_cmp_gt_i32_e64 s18, 0, v9
	v_ashrrev_i32_e32 v7, 31, v7
	s_wait_alu 0xfffd
	v_xor_b32_e32 v6, vcc_lo, v6
	v_add_nc_u32_e32 v63, v47, v4
	v_and_b32_e32 v5, v5, v10
	s_wait_alu 0xf1ff
	v_xor_b32_e32 v4, s18, v7
	ds_load_b32 v68, v63 offset:64
	v_and_b32_e32 v5, v5, v6
	; wave barrier
	s_delay_alu instid0(VALU_DEP_1) | instskip(NEXT) | instid1(VALU_DEP_1)
	v_and_b32_e32 v4, v5, v4
	v_mbcnt_lo_u32_b32 v69, v4, 0
	v_cmp_ne_u32_e64 s18, 0, v4
	s_delay_alu instid0(VALU_DEP_2)
	v_cmp_eq_u32_e32 vcc_lo, 0, v69
	s_and_b32 s21, s18, vcc_lo
	s_wait_alu 0xfffe
	s_and_saveexec_b32 s18, s21
	s_cbranch_execz .LBB135_97
; %bb.96:                               ;   in Loop: Header=BB135_81 Depth=1
	s_wait_dscnt 0x0
	v_bcnt_u32_b32 v4, v4, v68
	ds_store_b32 v63, v4 offset:64
.LBB135_97:                             ;   in Loop: Header=BB135_81 Depth=1
	s_wait_alu 0xfffe
	s_or_b32 exec_lo, exec_lo, s18
	; wave barrier
	s_wait_loadcnt_dscnt 0x0
	s_barrier_signal -1
	s_barrier_wait -1
	global_inv scope:SCOPE_SE
	ds_load_b128 v[8:11], v88 offset:64
	ds_load_b128 v[4:7], v88 offset:80
	s_wait_dscnt 0x1
	v_add_nc_u32_e32 v64, v9, v8
	s_delay_alu instid0(VALU_DEP_1) | instskip(SKIP_1) | instid1(VALU_DEP_1)
	v_add3_u32 v64, v64, v10, v11
	s_wait_dscnt 0x0
	v_add3_u32 v64, v64, v4, v5
	s_delay_alu instid0(VALU_DEP_1) | instskip(NEXT) | instid1(VALU_DEP_1)
	v_add3_u32 v7, v64, v6, v7
	v_mov_b32_dpp v64, v7 row_shr:1 row_mask:0xf bank_mask:0xf
	s_delay_alu instid0(VALU_DEP_1) | instskip(NEXT) | instid1(VALU_DEP_1)
	v_cndmask_b32_e64 v64, v64, 0, s0
	v_add_nc_u32_e32 v7, v64, v7
	s_delay_alu instid0(VALU_DEP_1) | instskip(NEXT) | instid1(VALU_DEP_1)
	v_mov_b32_dpp v64, v7 row_shr:2 row_mask:0xf bank_mask:0xf
	v_cndmask_b32_e64 v64, 0, v64, s1
	s_delay_alu instid0(VALU_DEP_1) | instskip(NEXT) | instid1(VALU_DEP_1)
	v_add_nc_u32_e32 v7, v7, v64
	v_mov_b32_dpp v64, v7 row_shr:4 row_mask:0xf bank_mask:0xf
	s_delay_alu instid0(VALU_DEP_1) | instskip(NEXT) | instid1(VALU_DEP_1)
	v_cndmask_b32_e64 v64, 0, v64, s11
	v_add_nc_u32_e32 v7, v7, v64
	s_delay_alu instid0(VALU_DEP_1) | instskip(NEXT) | instid1(VALU_DEP_1)
	v_mov_b32_dpp v64, v7 row_shr:8 row_mask:0xf bank_mask:0xf
	v_cndmask_b32_e64 v64, 0, v64, s12
	s_delay_alu instid0(VALU_DEP_1) | instskip(SKIP_3) | instid1(VALU_DEP_1)
	v_add_nc_u32_e32 v7, v7, v64
	ds_swizzle_b32 v64, v7 offset:swizzle(BROADCAST,32,15)
	s_wait_dscnt 0x0
	v_cndmask_b32_e64 v64, v64, 0, s13
	v_add_nc_u32_e32 v7, v7, v64
	s_and_saveexec_b32 s18, s14
; %bb.98:                               ;   in Loop: Header=BB135_81 Depth=1
	ds_store_b32 v90, v7
; %bb.99:                               ;   in Loop: Header=BB135_81 Depth=1
	s_wait_alu 0xfffe
	s_or_b32 exec_lo, exec_lo, s18
	s_wait_loadcnt_dscnt 0x0
	s_barrier_signal -1
	s_barrier_wait -1
	global_inv scope:SCOPE_SE
	s_and_saveexec_b32 s18, s15
	s_cbranch_execz .LBB135_101
; %bb.100:                              ;   in Loop: Header=BB135_81 Depth=1
	ds_load_b32 v64, v49
	s_wait_dscnt 0x0
	v_mov_b32_dpp v65, v64 row_shr:1 row_mask:0xf bank_mask:0xf
	s_delay_alu instid0(VALU_DEP_1) | instskip(NEXT) | instid1(VALU_DEP_1)
	v_cndmask_b32_e64 v65, v65, 0, s0
	v_add_nc_u32_e32 v64, v65, v64
	s_delay_alu instid0(VALU_DEP_1) | instskip(NEXT) | instid1(VALU_DEP_1)
	v_mov_b32_dpp v65, v64 row_shr:2 row_mask:0xf bank_mask:0xf
	v_cndmask_b32_e64 v65, 0, v65, s1
	s_delay_alu instid0(VALU_DEP_1) | instskip(NEXT) | instid1(VALU_DEP_1)
	v_add_nc_u32_e32 v64, v64, v65
	v_mov_b32_dpp v65, v64 row_shr:4 row_mask:0xf bank_mask:0xf
	s_delay_alu instid0(VALU_DEP_1) | instskip(NEXT) | instid1(VALU_DEP_1)
	v_cndmask_b32_e64 v65, 0, v65, s11
	v_add_nc_u32_e32 v64, v64, v65
	s_delay_alu instid0(VALU_DEP_1) | instskip(NEXT) | instid1(VALU_DEP_1)
	v_mov_b32_dpp v65, v64 row_shr:8 row_mask:0xf bank_mask:0xf
	v_cndmask_b32_e64 v65, 0, v65, s12
	s_delay_alu instid0(VALU_DEP_1)
	v_add_nc_u32_e32 v64, v64, v65
	ds_store_b32 v49, v64
.LBB135_101:                            ;   in Loop: Header=BB135_81 Depth=1
	s_wait_alu 0xfffe
	s_or_b32 exec_lo, exec_lo, s18
	v_mov_b32_e32 v64, 0
	s_wait_loadcnt_dscnt 0x0
	s_barrier_signal -1
	s_barrier_wait -1
	global_inv scope:SCOPE_SE
	s_and_saveexec_b32 s18, s16
; %bb.102:                              ;   in Loop: Header=BB135_81 Depth=1
	ds_load_b32 v64, v46
; %bb.103:                              ;   in Loop: Header=BB135_81 Depth=1
	s_wait_alu 0xfffe
	s_or_b32 exec_lo, exec_lo, s18
	s_wait_dscnt 0x0
	v_add_nc_u32_e32 v7, v64, v7
	v_cmp_lt_u32_e32 vcc_lo, 23, v48
	v_readfirstlane_b32 s18, v0
	s_mov_b32 s21, -1
	ds_bpermute_b32 v7, v36, v7
	s_and_b32 vcc_lo, exec_lo, vcc_lo
	s_wait_dscnt 0x0
	v_cndmask_b32_e64 v7, v7, v64, s10
	s_delay_alu instid0(VALU_DEP_1) | instskip(NEXT) | instid1(VALU_DEP_1)
	v_cndmask_b32_e64 v7, v7, 0, s17
	v_add_nc_u32_e32 v8, v7, v8
	s_delay_alu instid0(VALU_DEP_1) | instskip(NEXT) | instid1(VALU_DEP_1)
	v_add_nc_u32_e32 v9, v8, v9
	v_add_nc_u32_e32 v10, v9, v10
	s_delay_alu instid0(VALU_DEP_1) | instskip(NEXT) | instid1(VALU_DEP_1)
	v_add_nc_u32_e32 v64, v10, v11
	;; [unrolled: 3-line block ×3, first 2 shown]
	v_add_nc_u32_e32 v67, v66, v6
	ds_store_b128 v88, v[7:10] offset:64
	ds_store_b128 v88, v[64:67] offset:80
	s_wait_loadcnt_dscnt 0x0
	s_barrier_signal -1
	s_barrier_wait -1
	global_inv scope:SCOPE_SE
	ds_load_b32 v4, v13 offset:64
	ds_load_b32 v5, v16 offset:64
	;; [unrolled: 1-line block ×8, first 2 shown]
	s_wait_dscnt 0x7
	v_add_nc_u32_e32 v67, v4, v12
	s_wait_dscnt 0x6
	v_add3_u32 v66, v15, v14, v5
	s_wait_dscnt 0x5
	v_add3_u32 v65, v18, v17, v6
	;; [unrolled: 2-line block ×7, first 2 shown]
                                        ; implicit-def: $vgpr45
                                        ; implicit-def: $vgpr43
                                        ; implicit-def: $vgpr41
                                        ; implicit-def: $vgpr39
                                        ; implicit-def: $vgpr18_vgpr19
                                        ; implicit-def: $vgpr14_vgpr15
                                        ; implicit-def: $vgpr10_vgpr11
                                        ; implicit-def: $vgpr6_vgpr7
	s_wait_alu 0xfffe
	s_cbranch_vccnz .LBB135_80
; %bb.104:                              ;   in Loop: Header=BB135_81 Depth=1
	v_lshlrev_b32_e32 v4, 2, v67
	v_lshlrev_b32_e32 v5, 2, v66
	;; [unrolled: 1-line block ×3, first 2 shown]
	s_wait_loadcnt 0x0
	s_barrier_signal -1
	s_barrier_wait -1
	global_inv scope:SCOPE_SE
	ds_store_b32 v4, v51
	ds_store_b32 v5, v58
	;; [unrolled: 1-line block ×3, first 2 shown]
	v_lshlrev_b32_e32 v7, 2, v64
	v_add_nc_u32_e32 v4, v4, v4
	v_lshlrev_b32_e32 v8, 2, v63
	v_add_nc_u32_e32 v5, v5, v5
	;; [unrolled: 2-line block ×3, first 2 shown]
	v_lshlrev_b32_e32 v10, 2, v60
	v_lshlrev_b32_e32 v11, 2, v59
	ds_store_b32 v7, v56
	ds_store_b32 v8, v55
	;; [unrolled: 1-line block ×5, first 2 shown]
	s_wait_loadcnt_dscnt 0x0
	s_barrier_signal -1
	s_barrier_wait -1
	global_inv scope:SCOPE_SE
	ds_load_2addr_b32 v[38:39], v89 offset1:32
	ds_load_2addr_b32 v[40:41], v89 offset0:64 offset1:96
	ds_load_2addr_b32 v[42:43], v89 offset0:128 offset1:160
	;; [unrolled: 1-line block ×3, first 2 shown]
	s_wait_loadcnt_dscnt 0x0
	s_barrier_signal -1
	s_barrier_wait -1
	global_inv scope:SCOPE_SE
	ds_store_b64 v4, v[34:35]
	ds_store_b64 v5, v[32:33]
	ds_store_b64 v6, v[30:31]
	v_add_nc_u32_e32 v4, v7, v7
	v_add_nc_u32_e32 v5, v8, v8
	v_add_nc_u32_e32 v6, v9, v9
	v_add_nc_u32_e32 v7, v10, v10
	v_add_nc_u32_e32 v8, v11, v11
	ds_store_b64 v4, v[28:29]
	ds_store_b64 v5, v[26:27]
	;; [unrolled: 1-line block ×5, first 2 shown]
	s_wait_loadcnt_dscnt 0x0
	s_barrier_signal -1
	s_barrier_wait -1
	global_inv scope:SCOPE_SE
	ds_load_2addr_b64 v[4:7], v50 offset1:32
	ds_load_2addr_b64 v[8:11], v50 offset0:64 offset1:96
	ds_load_2addr_b64 v[12:15], v50 offset0:128 offset1:160
	;; [unrolled: 1-line block ×3, first 2 shown]
	v_add_nc_u32_e32 v48, 8, v48
	s_add_co_i32 s18, s20, -8
	s_mov_b32 s21, 0
	s_wait_loadcnt_dscnt 0x0
	s_barrier_signal -1
	s_barrier_wait -1
	global_inv scope:SCOPE_SE
	s_branch .LBB135_80
.LBB135_105:
	v_lshlrev_b32_e32 v8, 2, v67
	v_lshlrev_b32_e32 v9, 2, v66
	;; [unrolled: 1-line block ×3, first 2 shown]
	s_wait_loadcnt 0x0
	s_barrier_signal -1
	s_barrier_wait -1
	global_inv scope:SCOPE_SE
	ds_store_b32 v8, v51
	ds_store_b32 v9, v58
	;; [unrolled: 1-line block ×3, first 2 shown]
	v_lshlrev_b32_e32 v11, 2, v64
	v_add_nc_u32_e32 v8, v8, v8
	v_lshlrev_b32_e32 v12, 2, v63
	v_add_nc_u32_e32 v9, v9, v9
	;; [unrolled: 2-line block ×3, first 2 shown]
	v_lshlrev_b32_e32 v14, 2, v60
	v_lshlrev_b32_e32 v15, 2, v59
	ds_store_b32 v11, v56
	ds_store_b32 v12, v55
	;; [unrolled: 1-line block ×5, first 2 shown]
	s_wait_loadcnt_dscnt 0x0
	s_barrier_signal -1
	s_barrier_wait -1
	global_inv scope:SCOPE_SE
	ds_load_b128 v[0:3], v88
	ds_load_b128 v[4:7], v88 offset:16
	s_wait_loadcnt_dscnt 0x0
	s_barrier_signal -1
	s_barrier_wait -1
	global_inv scope:SCOPE_SE
	ds_store_b64 v8, v[34:35]
	ds_store_b64 v9, v[32:33]
	;; [unrolled: 1-line block ×3, first 2 shown]
	v_add_nc_u32_e32 v8, v11, v11
	v_add_nc_u32_e32 v9, v12, v12
	;; [unrolled: 1-line block ×5, first 2 shown]
	ds_store_b64 v8, v[28:29]
	ds_store_b64 v9, v[26:27]
	;; [unrolled: 1-line block ×5, first 2 shown]
	v_lshl_add_u32 v8, v37, 5, v88
	s_wait_loadcnt_dscnt 0x0
	s_barrier_signal -1
	s_barrier_wait -1
	global_inv scope:SCOPE_SE
	ds_load_b128 v[29:32], v8
	ds_load_b128 v[25:28], v8 offset:16
	ds_load_b128 v[21:24], v8 offset:32
	;; [unrolled: 1-line block ×3, first 2 shown]
	v_xor_b32_e32 v33, 0x7fffffff, v0
	v_xor_b32_e32 v35, 0x7fffffff, v1
	v_xor_b32_e32 v34, 0x7fffffff, v2
	v_xor_b32_e32 v46, 0x7fffffff, v3
	v_xor_b32_e32 v36, 0x7fffffff, v4
	v_xor_b32_e32 v48, 0x7fffffff, v5
	v_xor_b32_e32 v47, 0x7fffffff, v6
	v_xor_b32_e32 v49, 0x7fffffff, v7
.LBB135_106:
	v_mad_co_u64_u32 v[0:1], null, s24, v37, 0
	s_wait_loadcnt_dscnt 0x0
	s_barrier_signal -1
	s_barrier_wait -1
	global_inv scope:SCOPE_SE
	ds_store_2addr_b32 v78, v33, v35 offset1:1
	ds_store_2addr_b32 v78, v34, v46 offset0:2 offset1:3
	ds_store_2addr_b32 v78, v36, v48 offset0:4 offset1:5
	;; [unrolled: 1-line block ×3, first 2 shown]
	s_wait_loadcnt_dscnt 0x0
	v_mad_co_u64_u32 v[1:2], null, s25, v37, v[1:2]
	s_barrier_signal -1
	s_barrier_wait -1
	global_inv scope:SCOPE_SE
	ds_load_b32 v8, v71 offset:2048
	ds_load_b32 v7, v72 offset:4096
	;; [unrolled: 1-line block ×7, first 2 shown]
	v_lshlrev_b64_e32 v[0:1], 2, v[0:1]
	s_delay_alu instid0(VALU_DEP_1) | instskip(SKIP_1) | instid1(VALU_DEP_2)
	v_add_co_u32 v0, vcc_lo, s28, v0
	s_wait_alu 0xfffd
	v_add_co_ci_u32_e64 v1, null, s29, v1, vcc_lo
	s_and_saveexec_b32 s0, s2
	s_cbranch_execnz .LBB135_125
; %bb.107:
	s_wait_alu 0xfffe
	s_or_b32 exec_lo, exec_lo, s0
	s_and_saveexec_b32 s0, s3
	s_cbranch_execnz .LBB135_126
.LBB135_108:
	s_wait_alu 0xfffe
	s_or_b32 exec_lo, exec_lo, s0
	s_and_saveexec_b32 s0, s4
	s_cbranch_execnz .LBB135_127
.LBB135_109:
	s_wait_alu 0xfffe
	s_or_b32 exec_lo, exec_lo, s0
	s_and_saveexec_b32 s0, s5
	s_cbranch_execnz .LBB135_128
.LBB135_110:
	s_wait_alu 0xfffe
	s_or_b32 exec_lo, exec_lo, s0
	s_and_saveexec_b32 s0, s6
	s_cbranch_execnz .LBB135_129
.LBB135_111:
	s_wait_alu 0xfffe
	s_or_b32 exec_lo, exec_lo, s0
	s_and_saveexec_b32 s0, s7
	s_cbranch_execnz .LBB135_130
.LBB135_112:
	s_wait_alu 0xfffe
	s_or_b32 exec_lo, exec_lo, s0
	s_and_saveexec_b32 s0, s8
	s_cbranch_execnz .LBB135_131
.LBB135_113:
	s_wait_alu 0xfffe
	s_or_b32 exec_lo, exec_lo, s0
	s_and_saveexec_b32 s0, s9
	s_cbranch_execz .LBB135_115
.LBB135_114:
	v_mad_co_u64_u32 v[0:1], null, 0x3800, s24, v[0:1]
	s_wait_dscnt 0x0
	s_delay_alu instid0(VALU_DEP_1) | instskip(NEXT) | instid1(VALU_DEP_1)
	v_mad_co_u64_u32 v[3:4], null, 0x3800, s25, v[1:2]
	v_mov_b32_e32 v1, v3
	global_store_b32 v[0:1], v2, off
.LBB135_115:
	s_wait_alu 0xfffe
	s_or_b32 exec_lo, exec_lo, s0
	s_wait_dscnt 0x0
	v_mad_co_u64_u32 v[2:3], null, s26, v37, 0
	s_wait_loadcnt 0x0
	s_wait_storecnt 0x0
	s_barrier_signal -1
	s_barrier_wait -1
	global_inv scope:SCOPE_SE
	ds_store_2addr_b64 v87, v[29:30], v[31:32] offset1:1
	ds_store_2addr_b64 v87, v[25:26], v[27:28] offset0:2 offset1:3
	ds_store_2addr_b64 v87, v[21:22], v[23:24] offset0:4 offset1:5
	;; [unrolled: 1-line block ×3, first 2 shown]
	s_wait_loadcnt_dscnt 0x0
	v_mov_b32_e32 v0, v3
	s_barrier_signal -1
	s_barrier_wait -1
	global_inv scope:SCOPE_SE
	v_mad_co_u64_u32 v[3:4], null, s27, v37, v[0:1]
	ds_load_b64 v[14:15], v80 offset:4096
	ds_load_b64 v[12:13], v81 offset:8192
	;; [unrolled: 1-line block ×7, first 2 shown]
	v_lshlrev_b64_e32 v[2:3], 3, v[2:3]
	s_delay_alu instid0(VALU_DEP_1) | instskip(SKIP_1) | instid1(VALU_DEP_2)
	v_add_co_u32 v2, vcc_lo, s30, v2
	s_wait_alu 0xfffd
	v_add_co_ci_u32_e64 v3, null, s31, v3, vcc_lo
	s_and_saveexec_b32 s0, s2
	s_cbranch_execnz .LBB135_132
; %bb.116:
	s_wait_alu 0xfffe
	s_or_b32 exec_lo, exec_lo, s0
	s_and_saveexec_b32 s0, s3
	s_cbranch_execnz .LBB135_133
.LBB135_117:
	s_wait_alu 0xfffe
	s_or_b32 exec_lo, exec_lo, s0
	s_and_saveexec_b32 s0, s4
	s_cbranch_execnz .LBB135_134
.LBB135_118:
	s_wait_alu 0xfffe
	s_or_b32 exec_lo, exec_lo, s0
	s_and_saveexec_b32 s0, s5
	s_cbranch_execnz .LBB135_135
.LBB135_119:
	s_wait_alu 0xfffe
	s_or_b32 exec_lo, exec_lo, s0
	s_and_saveexec_b32 s0, s6
	s_cbranch_execnz .LBB135_136
.LBB135_120:
	s_wait_alu 0xfffe
	s_or_b32 exec_lo, exec_lo, s0
	s_and_saveexec_b32 s0, s7
	s_cbranch_execnz .LBB135_137
.LBB135_121:
	s_wait_alu 0xfffe
	s_or_b32 exec_lo, exec_lo, s0
	s_and_saveexec_b32 s0, s8
	s_cbranch_execnz .LBB135_138
.LBB135_122:
	s_wait_alu 0xfffe
	s_or_b32 exec_lo, exec_lo, s0
	s_and_saveexec_b32 s0, s9
	s_cbranch_execz .LBB135_124
.LBB135_123:
	v_mad_co_u64_u32 v[2:3], null, 0x7000, s26, v[2:3]
	s_wait_dscnt 0x1
	s_delay_alu instid0(VALU_DEP_1)
	v_mad_co_u64_u32 v[3:4], null, 0x7000, s27, v[3:4]
	s_wait_dscnt 0x0
	global_store_b64 v[2:3], v[0:1], off
.LBB135_124:
	s_nop 0
	s_sendmsg sendmsg(MSG_DEALLOC_VGPRS)
	s_endpgm
.LBB135_125:
	ds_load_b32 v9, v70
	s_wait_dscnt 0x0
	global_store_b32 v[0:1], v9, off
	s_wait_alu 0xfffe
	s_or_b32 exec_lo, exec_lo, s0
	s_and_saveexec_b32 s0, s3
	s_cbranch_execz .LBB135_108
.LBB135_126:
	s_lshl_b64 s[10:11], s[24:25], 11
	s_wait_alu 0xfffe
	v_add_co_u32 v9, vcc_lo, v0, s10
	s_wait_alu 0xfffd
	v_add_co_ci_u32_e64 v10, null, s11, v1, vcc_lo
	s_wait_dscnt 0x6
	global_store_b32 v[9:10], v8, off
	s_or_b32 exec_lo, exec_lo, s0
	s_and_saveexec_b32 s0, s4
	s_cbranch_execz .LBB135_109
.LBB135_127:
	s_lshl_b64 s[10:11], s[24:25], 12
	s_wait_dscnt 0x6
	s_wait_alu 0xfffe
	v_add_co_u32 v8, vcc_lo, v0, s10
	s_wait_alu 0xfffd
	v_add_co_ci_u32_e64 v9, null, s11, v1, vcc_lo
	s_wait_dscnt 0x5
	global_store_b32 v[8:9], v7, off
	s_or_b32 exec_lo, exec_lo, s0
	s_and_saveexec_b32 s0, s5
	s_cbranch_execz .LBB135_110
.LBB135_128:
	s_wait_dscnt 0x5
	v_mad_co_u64_u32 v[7:8], null, 0x1800, s24, v[0:1]
	s_delay_alu instid0(VALU_DEP_1)
	v_mad_co_u64_u32 v[8:9], null, 0x1800, s25, v[8:9]
	s_wait_dscnt 0x4
	global_store_b32 v[7:8], v6, off
	s_wait_alu 0xfffe
	s_or_b32 exec_lo, exec_lo, s0
	s_and_saveexec_b32 s0, s6
	s_cbranch_execz .LBB135_111
.LBB135_129:
	s_lshl_b64 s[10:11], s[24:25], 13
	s_wait_dscnt 0x4
	s_wait_alu 0xfffe
	v_add_co_u32 v6, vcc_lo, v0, s10
	s_wait_alu 0xfffd
	v_add_co_ci_u32_e64 v7, null, s11, v1, vcc_lo
	s_wait_dscnt 0x3
	global_store_b32 v[6:7], v5, off
	s_or_b32 exec_lo, exec_lo, s0
	s_and_saveexec_b32 s0, s7
	s_cbranch_execz .LBB135_112
.LBB135_130:
	s_wait_dscnt 0x3
	v_mad_co_u64_u32 v[5:6], null, 0x2800, s24, v[0:1]
	s_delay_alu instid0(VALU_DEP_1)
	v_mad_co_u64_u32 v[6:7], null, 0x2800, s25, v[6:7]
	s_wait_dscnt 0x2
	global_store_b32 v[5:6], v4, off
	s_wait_alu 0xfffe
	s_or_b32 exec_lo, exec_lo, s0
	s_and_saveexec_b32 s0, s8
	s_cbranch_execz .LBB135_113
.LBB135_131:
	s_wait_dscnt 0x2
	v_mad_co_u64_u32 v[4:5], null, 0x3000, s24, v[0:1]
	s_delay_alu instid0(VALU_DEP_1)
	v_mad_co_u64_u32 v[5:6], null, 0x3000, s25, v[5:6]
	s_wait_dscnt 0x1
	global_store_b32 v[4:5], v3, off
	s_wait_alu 0xfffe
	s_or_b32 exec_lo, exec_lo, s0
	s_and_saveexec_b32 s0, s9
	s_cbranch_execnz .LBB135_114
	s_branch .LBB135_115
.LBB135_132:
	ds_load_b64 v[16:17], v79
	s_wait_dscnt 0x0
	global_store_b64 v[2:3], v[16:17], off
	s_wait_alu 0xfffe
	s_or_b32 exec_lo, exec_lo, s0
	s_and_saveexec_b32 s0, s3
	s_cbranch_execz .LBB135_117
.LBB135_133:
	s_lshl_b64 s[2:3], s[26:27], 12
	s_wait_alu 0xfffe
	v_add_co_u32 v16, vcc_lo, v2, s2
	s_wait_alu 0xfffd
	v_add_co_ci_u32_e64 v17, null, s3, v3, vcc_lo
	s_wait_dscnt 0x6
	global_store_b64 v[16:17], v[14:15], off
	s_or_b32 exec_lo, exec_lo, s0
	s_and_saveexec_b32 s0, s4
	s_cbranch_execz .LBB135_118
.LBB135_134:
	s_lshl_b64 s[2:3], s[26:27], 13
	s_wait_dscnt 0x6
	s_wait_alu 0xfffe
	v_add_co_u32 v14, vcc_lo, v2, s2
	s_wait_alu 0xfffd
	v_add_co_ci_u32_e64 v15, null, s3, v3, vcc_lo
	s_wait_dscnt 0x5
	global_store_b64 v[14:15], v[12:13], off
	s_or_b32 exec_lo, exec_lo, s0
	s_and_saveexec_b32 s0, s5
	s_cbranch_execz .LBB135_119
.LBB135_135:
	s_wait_dscnt 0x5
	v_mad_co_u64_u32 v[12:13], null, 0x3000, s26, v[2:3]
	s_delay_alu instid0(VALU_DEP_1)
	v_mad_co_u64_u32 v[13:14], null, 0x3000, s27, v[13:14]
	s_wait_dscnt 0x4
	global_store_b64 v[12:13], v[10:11], off
	s_wait_alu 0xfffe
	s_or_b32 exec_lo, exec_lo, s0
	s_and_saveexec_b32 s0, s6
	s_cbranch_execz .LBB135_120
.LBB135_136:
	s_lshl_b64 s[2:3], s[26:27], 14
	s_wait_dscnt 0x4
	s_wait_alu 0xfffe
	v_add_co_u32 v10, vcc_lo, v2, s2
	s_wait_alu 0xfffd
	v_add_co_ci_u32_e64 v11, null, s3, v3, vcc_lo
	s_wait_dscnt 0x3
	global_store_b64 v[10:11], v[8:9], off
	s_or_b32 exec_lo, exec_lo, s0
	s_and_saveexec_b32 s0, s7
	s_cbranch_execz .LBB135_121
.LBB135_137:
	s_wait_dscnt 0x3
	v_mad_co_u64_u32 v[8:9], null, 0x5000, s26, v[2:3]
	s_delay_alu instid0(VALU_DEP_1)
	v_mad_co_u64_u32 v[9:10], null, 0x5000, s27, v[9:10]
	s_wait_dscnt 0x2
	global_store_b64 v[8:9], v[6:7], off
	s_wait_alu 0xfffe
	s_or_b32 exec_lo, exec_lo, s0
	s_and_saveexec_b32 s0, s8
	s_cbranch_execz .LBB135_122
.LBB135_138:
	s_wait_dscnt 0x2
	v_mad_co_u64_u32 v[6:7], null, 0x6000, s26, v[2:3]
	s_delay_alu instid0(VALU_DEP_1)
	v_mad_co_u64_u32 v[7:8], null, 0x6000, s27, v[7:8]
	s_wait_dscnt 0x1
	global_store_b64 v[6:7], v[4:5], off
	s_wait_alu 0xfffe
	s_or_b32 exec_lo, exec_lo, s0
	s_and_saveexec_b32 s0, s9
	s_cbranch_execnz .LBB135_123
	s_branch .LBB135_124
	.section	.rodata,"a",@progbits
	.p2align	6, 0x0
	.amdhsa_kernel _ZN2at6native18radixSortKVInPlaceILin1ELin1ELi512ELi8EilmEEvNS_4cuda6detail10TensorInfoIT3_T5_EES6_S6_S6_NS4_IT4_S6_EES6_b
		.amdhsa_group_segment_fixed_size 33792
		.amdhsa_private_segment_fixed_size 0
		.amdhsa_kernarg_size 1128
		.amdhsa_user_sgpr_count 2
		.amdhsa_user_sgpr_dispatch_ptr 0
		.amdhsa_user_sgpr_queue_ptr 0
		.amdhsa_user_sgpr_kernarg_segment_ptr 1
		.amdhsa_user_sgpr_dispatch_id 0
		.amdhsa_user_sgpr_private_segment_size 0
		.amdhsa_wavefront_size32 1
		.amdhsa_uses_dynamic_stack 0
		.amdhsa_enable_private_segment 0
		.amdhsa_system_sgpr_workgroup_id_x 1
		.amdhsa_system_sgpr_workgroup_id_y 1
		.amdhsa_system_sgpr_workgroup_id_z 1
		.amdhsa_system_sgpr_workgroup_info 0
		.amdhsa_system_vgpr_workitem_id 2
		.amdhsa_next_free_vgpr 125
		.amdhsa_next_free_sgpr 36
		.amdhsa_reserve_vcc 1
		.amdhsa_float_round_mode_32 0
		.amdhsa_float_round_mode_16_64 0
		.amdhsa_float_denorm_mode_32 3
		.amdhsa_float_denorm_mode_16_64 3
		.amdhsa_fp16_overflow 0
		.amdhsa_workgroup_processor_mode 1
		.amdhsa_memory_ordered 1
		.amdhsa_forward_progress 1
		.amdhsa_inst_pref_size 124
		.amdhsa_round_robin_scheduling 0
		.amdhsa_exception_fp_ieee_invalid_op 0
		.amdhsa_exception_fp_denorm_src 0
		.amdhsa_exception_fp_ieee_div_zero 0
		.amdhsa_exception_fp_ieee_overflow 0
		.amdhsa_exception_fp_ieee_underflow 0
		.amdhsa_exception_fp_ieee_inexact 0
		.amdhsa_exception_int_div_zero 0
	.end_amdhsa_kernel
	.section	.text._ZN2at6native18radixSortKVInPlaceILin1ELin1ELi512ELi8EilmEEvNS_4cuda6detail10TensorInfoIT3_T5_EES6_S6_S6_NS4_IT4_S6_EES6_b,"axG",@progbits,_ZN2at6native18radixSortKVInPlaceILin1ELin1ELi512ELi8EilmEEvNS_4cuda6detail10TensorInfoIT3_T5_EES6_S6_S6_NS4_IT4_S6_EES6_b,comdat
.Lfunc_end135:
	.size	_ZN2at6native18radixSortKVInPlaceILin1ELin1ELi512ELi8EilmEEvNS_4cuda6detail10TensorInfoIT3_T5_EES6_S6_S6_NS4_IT4_S6_EES6_b, .Lfunc_end135-_ZN2at6native18radixSortKVInPlaceILin1ELin1ELi512ELi8EilmEEvNS_4cuda6detail10TensorInfoIT3_T5_EES6_S6_S6_NS4_IT4_S6_EES6_b
                                        ; -- End function
	.set _ZN2at6native18radixSortKVInPlaceILin1ELin1ELi512ELi8EilmEEvNS_4cuda6detail10TensorInfoIT3_T5_EES6_S6_S6_NS4_IT4_S6_EES6_b.num_vgpr, 125
	.set _ZN2at6native18radixSortKVInPlaceILin1ELin1ELi512ELi8EilmEEvNS_4cuda6detail10TensorInfoIT3_T5_EES6_S6_S6_NS4_IT4_S6_EES6_b.num_agpr, 0
	.set _ZN2at6native18radixSortKVInPlaceILin1ELin1ELi512ELi8EilmEEvNS_4cuda6detail10TensorInfoIT3_T5_EES6_S6_S6_NS4_IT4_S6_EES6_b.numbered_sgpr, 36
	.set _ZN2at6native18radixSortKVInPlaceILin1ELin1ELi512ELi8EilmEEvNS_4cuda6detail10TensorInfoIT3_T5_EES6_S6_S6_NS4_IT4_S6_EES6_b.num_named_barrier, 0
	.set _ZN2at6native18radixSortKVInPlaceILin1ELin1ELi512ELi8EilmEEvNS_4cuda6detail10TensorInfoIT3_T5_EES6_S6_S6_NS4_IT4_S6_EES6_b.private_seg_size, 0
	.set _ZN2at6native18radixSortKVInPlaceILin1ELin1ELi512ELi8EilmEEvNS_4cuda6detail10TensorInfoIT3_T5_EES6_S6_S6_NS4_IT4_S6_EES6_b.uses_vcc, 1
	.set _ZN2at6native18radixSortKVInPlaceILin1ELin1ELi512ELi8EilmEEvNS_4cuda6detail10TensorInfoIT3_T5_EES6_S6_S6_NS4_IT4_S6_EES6_b.uses_flat_scratch, 0
	.set _ZN2at6native18radixSortKVInPlaceILin1ELin1ELi512ELi8EilmEEvNS_4cuda6detail10TensorInfoIT3_T5_EES6_S6_S6_NS4_IT4_S6_EES6_b.has_dyn_sized_stack, 0
	.set _ZN2at6native18radixSortKVInPlaceILin1ELin1ELi512ELi8EilmEEvNS_4cuda6detail10TensorInfoIT3_T5_EES6_S6_S6_NS4_IT4_S6_EES6_b.has_recursion, 0
	.set _ZN2at6native18radixSortKVInPlaceILin1ELin1ELi512ELi8EilmEEvNS_4cuda6detail10TensorInfoIT3_T5_EES6_S6_S6_NS4_IT4_S6_EES6_b.has_indirect_call, 0
	.section	.AMDGPU.csdata,"",@progbits
; Kernel info:
; codeLenInByte = 15816
; TotalNumSgprs: 38
; NumVgprs: 125
; ScratchSize: 0
; MemoryBound: 0
; FloatMode: 240
; IeeeMode: 1
; LDSByteSize: 33792 bytes/workgroup (compile time only)
; SGPRBlocks: 0
; VGPRBlocks: 15
; NumSGPRsForWavesPerEU: 38
; NumVGPRsForWavesPerEU: 125
; Occupancy: 10
; WaveLimiterHint : 1
; COMPUTE_PGM_RSRC2:SCRATCH_EN: 0
; COMPUTE_PGM_RSRC2:USER_SGPR: 2
; COMPUTE_PGM_RSRC2:TRAP_HANDLER: 0
; COMPUTE_PGM_RSRC2:TGID_X_EN: 1
; COMPUTE_PGM_RSRC2:TGID_Y_EN: 1
; COMPUTE_PGM_RSRC2:TGID_Z_EN: 1
; COMPUTE_PGM_RSRC2:TIDIG_COMP_CNT: 2
	.section	.text._ZN2at6native18radixSortKVInPlaceILin1ELin1ELi256ELi8EilmEEvNS_4cuda6detail10TensorInfoIT3_T5_EES6_S6_S6_NS4_IT4_S6_EES6_b,"axG",@progbits,_ZN2at6native18radixSortKVInPlaceILin1ELin1ELi256ELi8EilmEEvNS_4cuda6detail10TensorInfoIT3_T5_EES6_S6_S6_NS4_IT4_S6_EES6_b,comdat
	.protected	_ZN2at6native18radixSortKVInPlaceILin1ELin1ELi256ELi8EilmEEvNS_4cuda6detail10TensorInfoIT3_T5_EES6_S6_S6_NS4_IT4_S6_EES6_b ; -- Begin function _ZN2at6native18radixSortKVInPlaceILin1ELin1ELi256ELi8EilmEEvNS_4cuda6detail10TensorInfoIT3_T5_EES6_S6_S6_NS4_IT4_S6_EES6_b
	.globl	_ZN2at6native18radixSortKVInPlaceILin1ELin1ELi256ELi8EilmEEvNS_4cuda6detail10TensorInfoIT3_T5_EES6_S6_S6_NS4_IT4_S6_EES6_b
	.p2align	8
	.type	_ZN2at6native18radixSortKVInPlaceILin1ELin1ELi256ELi8EilmEEvNS_4cuda6detail10TensorInfoIT3_T5_EES6_S6_S6_NS4_IT4_S6_EES6_b,@function
_ZN2at6native18radixSortKVInPlaceILin1ELin1ELi256ELi8EilmEEvNS_4cuda6detail10TensorInfoIT3_T5_EES6_S6_S6_NS4_IT4_S6_EES6_b: ; @_ZN2at6native18radixSortKVInPlaceILin1ELin1ELi256ELi8EilmEEvNS_4cuda6detail10TensorInfoIT3_T5_EES6_S6_S6_NS4_IT4_S6_EES6_b
; %bb.0:
	s_clause 0x1
	s_load_b64 s[2:3], s[0:1], 0x368
	s_load_b128 s[12:15], s[0:1], 0x1a0
	s_lshr_b32 s4, ttmp7, 16
	s_and_b32 s5, ttmp7, 0xffff
	s_wait_kmcnt 0x0
	s_mul_i32 s3, s3, s4
	s_delay_alu instid0(SALU_CYCLE_1) | instskip(NEXT) | instid1(SALU_CYCLE_1)
	s_add_co_i32 s3, s3, s5
	s_mul_i32 s2, s3, s2
	s_mov_b32 s3, 0
	s_add_co_i32 s2, s2, ttmp9
	s_delay_alu instid0(SALU_CYCLE_1)
	v_cmp_le_u64_e64 s4, s[12:13], s[2:3]
	s_and_b32 vcc_lo, exec_lo, s4
	s_cbranch_vccnz .LBB136_124
; %bb.1:
	s_clause 0x1
	s_load_b32 s7, s[0:1], 0x198
	s_load_b64 s[22:23], s[0:1], 0x1b0
	s_mov_b64 s[12:13], 0
	s_mov_b64 s[4:5], s[2:3]
	s_wait_kmcnt 0x0
	s_cmp_lt_i32 s7, 2
	s_cbranch_scc1 .LBB136_9
; %bb.2:
	s_mov_b32 s6, 0
	s_add_co_i32 s4, s7, -1
	s_mov_b32 s5, s6
	s_add_co_i32 s15, s7, 1
	s_lshl_b64 s[4:5], s[4:5], 3
	s_mov_b64 s[10:11], s[2:3]
	s_add_nc_u64 s[4:5], s[0:1], s[4:5]
	s_delay_alu instid0(SALU_CYCLE_1)
	s_add_nc_u64 s[8:9], s[4:5], 8
.LBB136_3:                              ; =>This Inner Loop Header: Depth=1
	s_load_b64 s[16:17], s[8:9], 0x0
	s_wait_kmcnt 0x0
	s_or_b64 s[4:5], s[10:11], s[16:17]
	s_wait_alu 0xfffe
	s_mov_b32 s7, s5
                                        ; implicit-def: $sgpr4_sgpr5
	s_delay_alu instid0(SALU_CYCLE_1)
	s_cmp_lg_u64 s[6:7], 0
	s_mov_b32 s7, -1
	s_cbranch_scc0 .LBB136_5
; %bb.4:                                ;   in Loop: Header=BB136_3 Depth=1
	s_cvt_f32_u32 s4, s16
	s_cvt_f32_u32 s5, s17
	s_sub_nc_u64 s[18:19], 0, s[16:17]
	s_mov_b32 s21, s6
	s_mov_b32 s27, s6
	s_wait_alu 0xfffe
	s_fmamk_f32 s4, s5, 0x4f800000, s4
	s_wait_alu 0xfffe
	s_delay_alu instid0(SALU_CYCLE_2) | instskip(NEXT) | instid1(TRANS32_DEP_1)
	v_s_rcp_f32 s4, s4
	s_mul_f32 s4, s4, 0x5f7ffffc
	s_wait_alu 0xfffe
	s_delay_alu instid0(SALU_CYCLE_2) | instskip(SKIP_1) | instid1(SALU_CYCLE_2)
	s_mul_f32 s5, s4, 0x2f800000
	s_wait_alu 0xfffe
	s_trunc_f32 s5, s5
	s_wait_alu 0xfffe
	s_delay_alu instid0(SALU_CYCLE_2) | instskip(SKIP_2) | instid1(SALU_CYCLE_1)
	s_fmamk_f32 s4, s5, 0xcf800000, s4
	s_cvt_u32_f32 s5, s5
	s_wait_alu 0xfffe
	s_cvt_u32_f32 s4, s4
	s_wait_alu 0xfffe
	s_delay_alu instid0(SALU_CYCLE_2) | instskip(NEXT) | instid1(SALU_CYCLE_1)
	s_mul_u64 s[24:25], s[18:19], s[4:5]
	s_mul_hi_u32 s29, s4, s25
	s_mul_i32 s28, s4, s25
	s_mul_hi_u32 s20, s4, s24
	s_mul_i32 s26, s5, s24
	s_add_nc_u64 s[20:21], s[20:21], s[28:29]
	s_mul_hi_u32 s7, s5, s24
	s_mul_hi_u32 s30, s5, s25
	s_add_co_u32 s20, s20, s26
	s_add_co_ci_u32 s26, s21, s7
	s_mul_i32 s24, s5, s25
	s_add_co_ci_u32 s25, s30, 0
	s_delay_alu instid0(SALU_CYCLE_1) | instskip(SKIP_3) | instid1(SALU_CYCLE_1)
	s_add_nc_u64 s[20:21], s[26:27], s[24:25]
	s_mov_b32 s25, s6
	s_add_co_u32 s4, s4, s20
	s_cselect_b32 s7, -1, 0
	s_cmp_lg_u32 s7, 0
	s_add_co_ci_u32 s5, s5, s21
	s_mov_b32 s21, s6
	s_wait_alu 0xfffe
	s_mul_u64 s[18:19], s[18:19], s[4:5]
	s_delay_alu instid0(SALU_CYCLE_1)
	s_mul_hi_u32 s27, s4, s19
	s_mul_i32 s26, s4, s19
	s_mul_hi_u32 s20, s4, s18
	s_mul_i32 s24, s5, s18
	s_add_nc_u64 s[20:21], s[20:21], s[26:27]
	s_mul_hi_u32 s7, s5, s18
	s_mul_hi_u32 s28, s5, s19
	s_mul_i32 s18, s5, s19
	s_add_co_u32 s19, s20, s24
	s_add_co_ci_u32 s24, s21, s7
	s_add_co_ci_u32 s19, s28, 0
	s_mov_b32 s21, s6
	s_add_nc_u64 s[18:19], s[24:25], s[18:19]
	s_delay_alu instid0(SALU_CYCLE_1)
	s_add_co_u32 s4, s4, s18
	s_cselect_b32 s7, -1, 0
	s_wait_alu 0xfffe
	s_mul_hi_u32 s20, s10, s4
	s_cmp_lg_u32 s7, 0
	s_mul_hi_u32 s7, s11, s4
	s_add_co_ci_u32 s18, s5, s19
	s_mul_i32 s19, s11, s4
	s_mul_hi_u32 s5, s10, s18
	s_mul_i32 s4, s10, s18
	s_mul_hi_u32 s26, s11, s18
	s_wait_alu 0xfffe
	s_add_nc_u64 s[4:5], s[20:21], s[4:5]
	s_mul_i32 s18, s11, s18
	s_wait_alu 0xfffe
	s_add_co_u32 s4, s4, s19
	s_add_co_ci_u32 s24, s5, s7
	s_add_co_ci_u32 s19, s26, 0
	s_delay_alu instid0(SALU_CYCLE_1) | instskip(SKIP_2) | instid1(SALU_CYCLE_1)
	s_add_nc_u64 s[4:5], s[24:25], s[18:19]
	s_wait_alu 0xfffe
	s_mul_u64 s[18:19], s[16:17], s[4:5]
	s_sub_co_u32 s7, s10, s18
	s_cselect_b32 s18, -1, 0
	s_sub_co_i32 s20, s11, s19
	s_cmp_lg_u32 s18, 0
	s_sub_co_ci_u32 s20, s20, s17
	s_sub_co_u32 s21, s7, s16
	s_cselect_b32 s24, -1, 0
	s_delay_alu instid0(SALU_CYCLE_1) | instskip(SKIP_1) | instid1(SALU_CYCLE_1)
	s_cmp_lg_u32 s24, 0
	s_sub_co_ci_u32 s20, s20, 0
	s_cmp_ge_u32 s20, s17
	s_cselect_b32 s24, -1, 0
	s_cmp_ge_u32 s21, s16
	s_cselect_b32 s25, -1, 0
	s_cmp_eq_u32 s20, s17
	s_add_nc_u64 s[20:21], s[4:5], 1
	s_cselect_b32 s26, s25, s24
	s_add_nc_u64 s[24:25], s[4:5], 2
	s_cmp_lg_u32 s26, 0
	s_cselect_b32 s20, s24, s20
	s_cselect_b32 s21, s25, s21
	s_cmp_lg_u32 s18, 0
	s_sub_co_ci_u32 s18, s11, s19
	s_delay_alu instid0(SALU_CYCLE_1)
	s_cmp_ge_u32 s18, s17
	s_cselect_b32 s19, -1, 0
	s_cmp_ge_u32 s7, s16
	s_cselect_b32 s7, -1, 0
	s_cmp_eq_u32 s18, s17
	s_cselect_b32 s7, s7, s19
	s_delay_alu instid0(SALU_CYCLE_1)
	s_cmp_lg_u32 s7, 0
	s_mov_b32 s7, 0
	s_cselect_b32 s5, s21, s5
	s_cselect_b32 s4, s20, s4
.LBB136_5:                              ;   in Loop: Header=BB136_3 Depth=1
	s_and_not1_b32 vcc_lo, exec_lo, s7
	s_cbranch_vccnz .LBB136_7
; %bb.6:                                ;   in Loop: Header=BB136_3 Depth=1
	v_cvt_f32_u32_e32 v1, s16
	s_sub_co_i32 s5, 0, s16
	s_delay_alu instid0(VALU_DEP_1) | instskip(NEXT) | instid1(TRANS32_DEP_1)
	v_rcp_iflag_f32_e32 v1, v1
	v_mul_f32_e32 v1, 0x4f7ffffe, v1
	s_delay_alu instid0(VALU_DEP_1) | instskip(NEXT) | instid1(VALU_DEP_1)
	v_cvt_u32_f32_e32 v1, v1
	v_readfirstlane_b32 s4, v1
	s_wait_alu 0xfffe
	s_mul_i32 s5, s5, s4
	s_wait_alu 0xfffe
	s_mul_hi_u32 s5, s4, s5
	s_wait_alu 0xfffe
	s_add_co_i32 s4, s4, s5
	s_wait_alu 0xfffe
	s_mul_hi_u32 s4, s10, s4
	s_wait_alu 0xfffe
	s_mul_i32 s5, s4, s16
	s_add_co_i32 s7, s4, 1
	s_wait_alu 0xfffe
	s_sub_co_i32 s5, s10, s5
	s_wait_alu 0xfffe
	s_sub_co_i32 s18, s5, s16
	s_cmp_ge_u32 s5, s16
	s_cselect_b32 s4, s7, s4
	s_cselect_b32 s5, s18, s5
	s_wait_alu 0xfffe
	s_add_co_i32 s7, s4, 1
	s_cmp_ge_u32 s5, s16
	s_mov_b32 s5, s6
	s_cselect_b32 s4, s7, s4
.LBB136_7:                              ;   in Loop: Header=BB136_3 Depth=1
	s_load_b64 s[18:19], s[8:9], 0xc8
	s_mul_u64 s[16:17], s[4:5], s[16:17]
	s_add_co_i32 s15, s15, -1
	s_wait_alu 0xfffe
	s_sub_nc_u64 s[10:11], s[10:11], s[16:17]
	s_cmp_gt_u32 s15, 2
	s_add_nc_u64 s[8:9], s[8:9], -8
	s_wait_kmcnt 0x0
	s_mul_u64 s[10:11], s[18:19], s[10:11]
	s_delay_alu instid0(SALU_CYCLE_1)
	s_add_nc_u64 s[12:13], s[10:11], s[12:13]
	s_cbranch_scc0 .LBB136_9
; %bb.8:                                ;   in Loop: Header=BB136_3 Depth=1
	s_mov_b64 s[10:11], s[4:5]
	s_branch .LBB136_3
.LBB136_9:
	s_load_b32 s7, s[0:1], 0x350
	s_add_nc_u64 s[36:37], s[0:1], 0x368
	s_mov_b64 s[16:17], 0
	s_wait_kmcnt 0x0
	s_cmp_lt_i32 s7, 2
	s_cbranch_scc1 .LBB136_17
; %bb.10:
	s_mov_b32 s6, 0
	s_add_co_i32 s8, s7, -1
	s_mov_b32 s9, s6
	s_add_co_i32 s15, s7, 1
	s_lshl_b64 s[8:9], s[8:9], 3
	s_delay_alu instid0(SALU_CYCLE_1) | instskip(NEXT) | instid1(SALU_CYCLE_1)
	s_add_nc_u64 s[8:9], s[0:1], s[8:9]
	s_add_nc_u64 s[8:9], s[8:9], 0x1c0
.LBB136_11:                             ; =>This Inner Loop Header: Depth=1
	s_load_b64 s[10:11], s[8:9], 0x0
	s_wait_kmcnt 0x0
	s_or_b64 s[18:19], s[2:3], s[10:11]
	s_delay_alu instid0(SALU_CYCLE_1)
	s_mov_b32 s7, s19
                                        ; implicit-def: $sgpr18_sgpr19
	s_wait_alu 0xfffe
	s_cmp_lg_u64 s[6:7], 0
	s_mov_b32 s7, -1
	s_cbranch_scc0 .LBB136_13
; %bb.12:                               ;   in Loop: Header=BB136_11 Depth=1
	s_cvt_f32_u32 s7, s10
	s_cvt_f32_u32 s18, s11
	s_sub_nc_u64 s[20:21], 0, s[10:11]
	s_mov_b32 s25, s6
	s_mov_b32 s29, s6
	s_wait_alu 0xfffe
	s_fmamk_f32 s7, s18, 0x4f800000, s7
	s_wait_alu 0xfffe
	s_delay_alu instid0(SALU_CYCLE_2) | instskip(NEXT) | instid1(TRANS32_DEP_1)
	v_s_rcp_f32 s7, s7
	s_mul_f32 s7, s7, 0x5f7ffffc
	s_wait_alu 0xfffe
	s_delay_alu instid0(SALU_CYCLE_2) | instskip(NEXT) | instid1(SALU_CYCLE_3)
	s_mul_f32 s18, s7, 0x2f800000
	s_trunc_f32 s18, s18
	s_delay_alu instid0(SALU_CYCLE_3) | instskip(SKIP_2) | instid1(SALU_CYCLE_1)
	s_fmamk_f32 s7, s18, 0xcf800000, s7
	s_cvt_u32_f32 s19, s18
	s_wait_alu 0xfffe
	s_cvt_u32_f32 s18, s7
	s_delay_alu instid0(SALU_CYCLE_3) | instskip(NEXT) | instid1(SALU_CYCLE_1)
	s_mul_u64 s[26:27], s[20:21], s[18:19]
	s_mul_hi_u32 s31, s18, s27
	s_mul_i32 s30, s18, s27
	s_mul_hi_u32 s24, s18, s26
	s_mul_i32 s28, s19, s26
	s_add_nc_u64 s[24:25], s[24:25], s[30:31]
	s_mul_hi_u32 s7, s19, s26
	s_mul_hi_u32 s33, s19, s27
	s_add_co_u32 s24, s24, s28
	s_wait_alu 0xfffe
	s_add_co_ci_u32 s28, s25, s7
	s_mul_i32 s26, s19, s27
	s_add_co_ci_u32 s27, s33, 0
	s_delay_alu instid0(SALU_CYCLE_1)
	s_add_nc_u64 s[24:25], s[28:29], s[26:27]
	s_mov_b32 s27, s6
	s_add_co_u32 s18, s18, s24
	s_cselect_b32 s7, -1, 0
	s_wait_alu 0xfffe
	s_cmp_lg_u32 s7, 0
	s_add_co_ci_u32 s19, s19, s25
	s_mov_b32 s25, s6
	s_mul_u64 s[20:21], s[20:21], s[18:19]
	s_delay_alu instid0(SALU_CYCLE_1)
	s_mul_hi_u32 s29, s18, s21
	s_mul_i32 s28, s18, s21
	s_mul_hi_u32 s24, s18, s20
	s_mul_i32 s26, s19, s20
	s_add_nc_u64 s[24:25], s[24:25], s[28:29]
	s_mul_hi_u32 s7, s19, s20
	s_mul_hi_u32 s30, s19, s21
	s_mul_i32 s20, s19, s21
	s_add_co_u32 s21, s24, s26
	s_wait_alu 0xfffe
	s_add_co_ci_u32 s26, s25, s7
	s_add_co_ci_u32 s21, s30, 0
	s_mov_b32 s25, s6
	s_add_nc_u64 s[20:21], s[26:27], s[20:21]
	s_delay_alu instid0(SALU_CYCLE_1)
	s_add_co_u32 s7, s18, s20
	s_cselect_b32 s18, -1, 0
	s_wait_alu 0xfffe
	s_mul_hi_u32 s24, s2, s7
	s_cmp_lg_u32 s18, 0
	s_mul_hi_u32 s26, s3, s7
	s_add_co_ci_u32 s20, s19, s21
	s_mul_i32 s7, s3, s7
	s_mul_hi_u32 s19, s2, s20
	s_mul_i32 s18, s2, s20
	s_mul_hi_u32 s21, s3, s20
	s_add_nc_u64 s[18:19], s[24:25], s[18:19]
	s_mul_i32 s20, s3, s20
	s_wait_alu 0xfffe
	s_add_co_u32 s7, s18, s7
	s_add_co_ci_u32 s26, s19, s26
	s_add_co_ci_u32 s21, s21, 0
	s_delay_alu instid0(SALU_CYCLE_1) | instskip(NEXT) | instid1(SALU_CYCLE_1)
	s_add_nc_u64 s[18:19], s[26:27], s[20:21]
	s_mul_u64 s[20:21], s[10:11], s[18:19]
	s_delay_alu instid0(SALU_CYCLE_1)
	s_sub_co_u32 s7, s2, s20
	s_cselect_b32 s20, -1, 0
	s_sub_co_i32 s24, s3, s21
	s_cmp_lg_u32 s20, 0
	s_sub_co_ci_u32 s24, s24, s11
	s_wait_alu 0xfffe
	s_sub_co_u32 s25, s7, s10
	s_cselect_b32 s26, -1, 0
	s_delay_alu instid0(SALU_CYCLE_1) | instskip(SKIP_1) | instid1(SALU_CYCLE_1)
	s_cmp_lg_u32 s26, 0
	s_sub_co_ci_u32 s24, s24, 0
	s_cmp_ge_u32 s24, s11
	s_cselect_b32 s26, -1, 0
	s_cmp_ge_u32 s25, s10
	s_cselect_b32 s27, -1, 0
	s_cmp_eq_u32 s24, s11
	s_add_nc_u64 s[24:25], s[18:19], 1
	s_cselect_b32 s28, s27, s26
	s_add_nc_u64 s[26:27], s[18:19], 2
	s_cmp_lg_u32 s28, 0
	s_cselect_b32 s24, s26, s24
	s_cselect_b32 s25, s27, s25
	s_cmp_lg_u32 s20, 0
	s_sub_co_ci_u32 s20, s3, s21
	s_delay_alu instid0(SALU_CYCLE_1)
	s_cmp_ge_u32 s20, s11
	s_cselect_b32 s21, -1, 0
	s_cmp_ge_u32 s7, s10
	s_cselect_b32 s7, -1, 0
	s_cmp_eq_u32 s20, s11
	s_wait_alu 0xfffe
	s_cselect_b32 s7, s7, s21
	s_wait_alu 0xfffe
	s_cmp_lg_u32 s7, 0
	s_mov_b32 s7, 0
	s_cselect_b32 s19, s25, s19
	s_cselect_b32 s18, s24, s18
.LBB136_13:                             ;   in Loop: Header=BB136_11 Depth=1
	s_wait_alu 0xfffe
	s_and_not1_b32 vcc_lo, exec_lo, s7
	s_cbranch_vccnz .LBB136_15
; %bb.14:                               ;   in Loop: Header=BB136_11 Depth=1
	v_cvt_f32_u32_e32 v1, s10
	s_sub_co_i32 s18, 0, s10
	s_delay_alu instid0(VALU_DEP_1) | instskip(NEXT) | instid1(TRANS32_DEP_1)
	v_rcp_iflag_f32_e32 v1, v1
	v_mul_f32_e32 v1, 0x4f7ffffe, v1
	s_delay_alu instid0(VALU_DEP_1) | instskip(NEXT) | instid1(VALU_DEP_1)
	v_cvt_u32_f32_e32 v1, v1
	v_readfirstlane_b32 s7, v1
	s_mul_i32 s18, s18, s7
	s_delay_alu instid0(SALU_CYCLE_1) | instskip(NEXT) | instid1(SALU_CYCLE_1)
	s_mul_hi_u32 s18, s7, s18
	s_add_co_i32 s7, s7, s18
	s_wait_alu 0xfffe
	s_mul_hi_u32 s7, s2, s7
	s_wait_alu 0xfffe
	s_mul_i32 s18, s7, s10
	s_add_co_i32 s19, s7, 1
	s_sub_co_i32 s18, s2, s18
	s_delay_alu instid0(SALU_CYCLE_1)
	s_sub_co_i32 s20, s18, s10
	s_cmp_ge_u32 s18, s10
	s_cselect_b32 s7, s19, s7
	s_cselect_b32 s18, s20, s18
	s_wait_alu 0xfffe
	s_add_co_i32 s19, s7, 1
	s_cmp_ge_u32 s18, s10
	s_cselect_b32 s18, s19, s7
	s_mov_b32 s19, s6
.LBB136_15:                             ;   in Loop: Header=BB136_11 Depth=1
	s_load_b64 s[20:21], s[8:9], 0xc8
	s_mul_u64 s[10:11], s[18:19], s[10:11]
	s_add_co_i32 s15, s15, -1
	s_wait_alu 0xfffe
	s_sub_nc_u64 s[2:3], s[2:3], s[10:11]
	s_cmp_gt_u32 s15, 2
	s_add_nc_u64 s[8:9], s[8:9], -8
	s_wait_kmcnt 0x0
	s_wait_alu 0xfffe
	s_mul_u64 s[2:3], s[20:21], s[2:3]
	s_wait_alu 0xfffe
	s_add_nc_u64 s[16:17], s[2:3], s[16:17]
	s_cbranch_scc0 .LBB136_18
; %bb.16:                               ;   in Loop: Header=BB136_11 Depth=1
	s_mov_b64 s[2:3], s[18:19]
	s_branch .LBB136_11
.LBB136_17:
	s_mov_b64 s[18:19], s[2:3]
.LBB136_18:
	s_clause 0x2
	s_load_b64 s[2:3], s[0:1], 0xd0
	s_load_b32 s8, s[0:1], 0x360
	s_load_b64 s[20:21], s[0:1], 0x0
	s_wait_kmcnt 0x0
	s_mul_u64 s[6:7], s[2:3], s[4:5]
	s_bitcmp1_b32 s8, 0
	s_brev_b32 s3, 1
	s_cselect_b32 s15, -1, 0
	s_delay_alu instid0(SALU_CYCLE_1)
	s_and_b32 s4, s15, exec_lo
	s_wait_alu 0xfffe
	s_cselect_b32 s4, s3, 0x7fffffff
	s_lshl_b64 s[24:25], s[6:7], 2
	s_wait_alu 0xfffe
	s_mov_b32 s5, s4
	s_mov_b32 s6, s4
	;; [unrolled: 1-line block ×7, first 2 shown]
	v_and_b32_e32 v37, 0x3ff, v0
	s_wait_alu 0xfffe
	v_dual_mov_b32 v1, s4 :: v_dual_mov_b32 v4, s7
	v_dual_mov_b32 v2, s5 :: v_dual_mov_b32 v3, s6
	v_mov_b32_e32 v6, s9
	v_cmp_gt_u32_e64 s2, s14, v37
	v_dual_mov_b32 v5, s8 :: v_dual_mov_b32 v8, s11
	v_mov_b32_e32 v7, s10
	v_mov_b32_e32 v9, s4
	s_add_nc_u64 s[20:21], s[20:21], s[24:25]
	s_lshl_b64 s[12:13], s[12:13], 2
	s_wait_alu 0xfffe
	s_add_nc_u64 s[30:31], s[20:21], s[12:13]
	s_and_saveexec_b32 s3, s2
	s_cbranch_execz .LBB136_20
; %bb.19:
	v_mad_co_u64_u32 v[1:2], null, s22, v37, 0
	s_delay_alu instid0(VALU_DEP_1) | instskip(NEXT) | instid1(VALU_DEP_1)
	v_mad_co_u64_u32 v[2:3], null, s23, v37, v[2:3]
	v_lshlrev_b64_e32 v[1:2], 2, v[1:2]
	s_delay_alu instid0(VALU_DEP_1) | instskip(NEXT) | instid1(VALU_DEP_1)
	v_add_co_u32 v1, vcc_lo, s30, v1
	v_add_co_ci_u32_e64 v2, null, s31, v2, vcc_lo
	global_load_b32 v9, v[1:2], off
	v_dual_mov_b32 v1, s4 :: v_dual_mov_b32 v2, s5
	v_dual_mov_b32 v3, s6 :: v_dual_mov_b32 v4, s7
	;; [unrolled: 1-line block ×4, first 2 shown]
.LBB136_20:
	s_wait_alu 0xfffe
	s_or_b32 exec_lo, exec_lo, s3
	v_add_nc_u32_e32 v19, 0x100, v37
	s_delay_alu instid0(VALU_DEP_1)
	v_cmp_gt_u32_e64 s3, s14, v19
	s_and_saveexec_b32 s4, s3
	s_cbranch_execz .LBB136_22
; %bb.21:
	v_mad_co_u64_u32 v[1:2], null, s22, v19, 0
	s_delay_alu instid0(VALU_DEP_1) | instskip(NEXT) | instid1(VALU_DEP_1)
	v_mad_co_u64_u32 v[10:11], null, s23, v19, v[2:3]
	v_mov_b32_e32 v2, v10
	s_delay_alu instid0(VALU_DEP_1) | instskip(NEXT) | instid1(VALU_DEP_1)
	v_lshlrev_b64_e32 v[1:2], 2, v[1:2]
	v_add_co_u32 v1, vcc_lo, s30, v1
	s_wait_alu 0xfffd
	s_delay_alu instid0(VALU_DEP_2)
	v_add_co_ci_u32_e64 v2, null, s31, v2, vcc_lo
	global_load_b32 v2, v[1:2], off
.LBB136_22:
	s_wait_alu 0xfffe
	s_or_b32 exec_lo, exec_lo, s4
	v_add_nc_u32_e32 v20, 0x200, v37
	s_delay_alu instid0(VALU_DEP_1)
	v_cmp_gt_u32_e64 s4, s14, v20
	s_and_saveexec_b32 s5, s4
	s_cbranch_execz .LBB136_24
; %bb.23:
	v_mad_co_u64_u32 v[10:11], null, s22, v20, 0
	s_delay_alu instid0(VALU_DEP_1) | instskip(SKIP_1) | instid1(VALU_DEP_1)
	v_mov_b32_e32 v1, v11
	s_wait_loadcnt 0x0
	v_mad_co_u64_u32 v[11:12], null, s23, v20, v[1:2]
	s_delay_alu instid0(VALU_DEP_1) | instskip(NEXT) | instid1(VALU_DEP_1)
	v_lshlrev_b64_e32 v[10:11], 2, v[10:11]
	v_add_co_u32 v10, vcc_lo, s30, v10
	s_wait_alu 0xfffd
	s_delay_alu instid0(VALU_DEP_2)
	v_add_co_ci_u32_e64 v11, null, s31, v11, vcc_lo
	global_load_b32 v3, v[10:11], off
.LBB136_24:
	s_wait_alu 0xfffe
	s_or_b32 exec_lo, exec_lo, s5
	v_add_nc_u32_e32 v21, 0x300, v37
	s_delay_alu instid0(VALU_DEP_1)
	v_cmp_gt_u32_e64 s5, s14, v21
	s_and_saveexec_b32 s6, s5
	s_cbranch_execz .LBB136_26
; %bb.25:
	v_mad_co_u64_u32 v[10:11], null, s22, v21, 0
	s_delay_alu instid0(VALU_DEP_1) | instskip(SKIP_1) | instid1(VALU_DEP_1)
	v_mov_b32_e32 v1, v11
	s_wait_loadcnt 0x0
	v_mad_co_u64_u32 v[11:12], null, s23, v21, v[1:2]
	s_delay_alu instid0(VALU_DEP_1) | instskip(NEXT) | instid1(VALU_DEP_1)
	v_lshlrev_b64_e32 v[10:11], 2, v[10:11]
	v_add_co_u32 v10, vcc_lo, s30, v10
	s_wait_alu 0xfffd
	s_delay_alu instid0(VALU_DEP_2)
	v_add_co_ci_u32_e64 v11, null, s31, v11, vcc_lo
	global_load_b32 v4, v[10:11], off
.LBB136_26:
	s_wait_alu 0xfffe
	s_or_b32 exec_lo, exec_lo, s6
	v_or_b32_e32 v22, 0x400, v37
	s_delay_alu instid0(VALU_DEP_1)
	v_cmp_gt_u32_e64 s6, s14, v22
	s_and_saveexec_b32 s7, s6
	s_cbranch_execz .LBB136_28
; %bb.27:
	v_mad_co_u64_u32 v[10:11], null, s22, v22, 0
	s_delay_alu instid0(VALU_DEP_1) | instskip(SKIP_1) | instid1(VALU_DEP_1)
	v_mov_b32_e32 v1, v11
	s_wait_loadcnt 0x0
	v_mad_co_u64_u32 v[11:12], null, s23, v22, v[1:2]
	s_delay_alu instid0(VALU_DEP_1) | instskip(NEXT) | instid1(VALU_DEP_1)
	v_lshlrev_b64_e32 v[10:11], 2, v[10:11]
	v_add_co_u32 v10, vcc_lo, s30, v10
	s_wait_alu 0xfffd
	s_delay_alu instid0(VALU_DEP_2)
	v_add_co_ci_u32_e64 v11, null, s31, v11, vcc_lo
	global_load_b32 v5, v[10:11], off
.LBB136_28:
	s_wait_alu 0xfffe
	s_or_b32 exec_lo, exec_lo, s7
	v_add_nc_u32_e32 v23, 0x500, v37
	s_delay_alu instid0(VALU_DEP_1)
	v_cmp_gt_u32_e64 s7, s14, v23
	s_and_saveexec_b32 s8, s7
	s_cbranch_execz .LBB136_30
; %bb.29:
	v_mad_co_u64_u32 v[10:11], null, s22, v23, 0
	s_delay_alu instid0(VALU_DEP_1) | instskip(SKIP_1) | instid1(VALU_DEP_1)
	v_mov_b32_e32 v1, v11
	s_wait_loadcnt 0x0
	v_mad_co_u64_u32 v[11:12], null, s23, v23, v[1:2]
	s_delay_alu instid0(VALU_DEP_1) | instskip(NEXT) | instid1(VALU_DEP_1)
	v_lshlrev_b64_e32 v[10:11], 2, v[10:11]
	v_add_co_u32 v10, vcc_lo, s30, v10
	s_wait_alu 0xfffd
	s_delay_alu instid0(VALU_DEP_2)
	v_add_co_ci_u32_e64 v11, null, s31, v11, vcc_lo
	global_load_b32 v6, v[10:11], off
.LBB136_30:
	s_wait_alu 0xfffe
	s_or_b32 exec_lo, exec_lo, s8
	v_add_nc_u32_e32 v24, 0x600, v37
	s_delay_alu instid0(VALU_DEP_1)
	v_cmp_gt_u32_e64 s8, s14, v24
	s_and_saveexec_b32 s9, s8
	s_cbranch_execz .LBB136_32
; %bb.31:
	v_mad_co_u64_u32 v[10:11], null, s22, v24, 0
	s_delay_alu instid0(VALU_DEP_1) | instskip(SKIP_1) | instid1(VALU_DEP_1)
	v_mov_b32_e32 v1, v11
	s_wait_loadcnt 0x0
	v_mad_co_u64_u32 v[11:12], null, s23, v24, v[1:2]
	s_delay_alu instid0(VALU_DEP_1) | instskip(NEXT) | instid1(VALU_DEP_1)
	v_lshlrev_b64_e32 v[10:11], 2, v[10:11]
	v_add_co_u32 v10, vcc_lo, s30, v10
	s_wait_alu 0xfffd
	s_delay_alu instid0(VALU_DEP_2)
	v_add_co_ci_u32_e64 v11, null, s31, v11, vcc_lo
	global_load_b32 v7, v[10:11], off
.LBB136_32:
	s_wait_alu 0xfffe
	s_or_b32 exec_lo, exec_lo, s9
	s_clause 0x1
	s_load_b64 s[12:13], s[0:1], 0x288
	s_load_b64 s[10:11], s[0:1], 0x1b8
	v_add_nc_u32_e32 v25, 0x700, v37
	s_delay_alu instid0(VALU_DEP_1)
	v_cmp_gt_u32_e64 s9, s14, v25
	s_and_saveexec_b32 s14, s9
	s_cbranch_execz .LBB136_34
; %bb.33:
	v_mad_co_u64_u32 v[10:11], null, s22, v25, 0
	s_delay_alu instid0(VALU_DEP_1) | instskip(SKIP_1) | instid1(VALU_DEP_1)
	v_mov_b32_e32 v1, v11
	s_wait_loadcnt 0x0
	v_mad_co_u64_u32 v[11:12], null, s23, v25, v[1:2]
	s_delay_alu instid0(VALU_DEP_1) | instskip(NEXT) | instid1(VALU_DEP_1)
	v_lshlrev_b64_e32 v[10:11], 2, v[10:11]
	v_add_co_u32 v10, vcc_lo, s30, v10
	s_wait_alu 0xfffd
	s_delay_alu instid0(VALU_DEP_2)
	v_add_co_ci_u32_e64 v11, null, s31, v11, vcc_lo
	global_load_b32 v8, v[10:11], off
.LBB136_34:
	s_wait_alu 0xfffe
	s_or_b32 exec_lo, exec_lo, s14
	v_lshrrev_b32_e32 v1, 5, v19
	v_lshrrev_b32_e32 v17, 5, v37
	;; [unrolled: 1-line block ×3, first 2 shown]
	v_lshlrev_b32_e32 v18, 3, v37
	s_load_b64 s[28:29], s[0:1], 0x358
	v_add_nc_u32_e32 v28, v1, v37
	v_lshrrev_b32_e32 v1, 5, v21
	v_add_nc_u32_e32 v29, v17, v37
	s_wait_kmcnt 0x0
	s_mul_u64 s[12:13], s[12:13], s[18:19]
	v_mov_b32_e32 v13, 0
	s_wait_alu 0xfffe
	s_lshl_b64 s[12:13], s[12:13], 3
	v_add_nc_u32_e32 v27, v1, v37
	v_lshrrev_b32_e32 v1, 5, v22
	s_wait_alu 0xfffe
	s_add_nc_u64 s[10:11], s[10:11], s[12:13]
	s_lshl_b64 s[12:13], s[16:17], 3
	v_mov_b32_e32 v14, 0
	s_wait_alu 0xfffe
	s_add_nc_u64 s[34:35], s[10:11], s[12:13]
	v_add_nc_u32_e32 v30, v1, v37
	v_lshrrev_b32_e32 v1, 5, v23
	s_delay_alu instid0(VALU_DEP_1) | instskip(SKIP_1) | instid1(VALU_DEP_1)
	v_add_nc_u32_e32 v34, v1, v37
	v_lshrrev_b32_e32 v1, 2, v37
	v_add_nc_u32_e32 v33, v1, v18
	v_dual_mov_b32 v1, 0 :: v_dual_add_nc_u32 v26, v10, v37
	v_lshlrev_b32_e32 v70, 2, v29
	v_lshlrev_b32_e32 v71, 2, v28
	s_delay_alu instid0(VALU_DEP_3) | instskip(NEXT) | instid1(VALU_DEP_4)
	v_dual_mov_b32 v16, v1 :: v_dual_lshlrev_b32 v73, 2, v27
	v_dual_mov_b32 v15, v1 :: v_dual_lshlrev_b32 v72, 2, v26
	s_wait_loadcnt 0x0
	ds_store_b32 v70, v9
	ds_store_b32 v71, v2 offset:1024
	ds_store_b32 v72, v3 offset:2048
	v_lshrrev_b32_e32 v2, 5, v24
	v_lshrrev_b32_e32 v3, 5, v25
	v_lshlrev_b32_e32 v74, 2, v30
	v_lshlrev_b32_e32 v75, 2, v34
	;; [unrolled: 1-line block ×3, first 2 shown]
	v_dual_mov_b32 v9, v1 :: v_dual_add_nc_u32 v32, v2, v37
	v_add_nc_u32_e32 v31, v3, v37
	ds_store_b32 v73, v4 offset:3072
	v_mov_b32_e32 v4, v1
	v_lshlrev_b32_e32 v76, 2, v32
	ds_store_b32 v74, v5 offset:4096
	v_lshlrev_b32_e32 v77, 2, v31
	ds_store_b32 v75, v6 offset:5120
	ds_store_b32 v76, v7 offset:6144
	;; [unrolled: 1-line block ×3, first 2 shown]
	s_wait_dscnt 0x0
	s_barrier_signal -1
	s_barrier_wait -1
	global_inv scope:SCOPE_SE
	ds_load_2addr_b32 v[44:45], v78 offset1:1
	ds_load_2addr_b32 v[42:43], v78 offset0:2 offset1:3
	ds_load_2addr_b32 v[40:41], v78 offset0:4 offset1:5
	;; [unrolled: 1-line block ×3, first 2 shown]
	v_dual_mov_b32 v2, v1 :: v_dual_mov_b32 v3, v1
	v_dual_mov_b32 v5, v1 :: v_dual_mov_b32 v6, v1
	;; [unrolled: 1-line block ×4, first 2 shown]
	v_mov_b32_e32 v12, v1
	s_wait_loadcnt_dscnt 0x0
	s_barrier_signal -1
	s_barrier_wait -1
	global_inv scope:SCOPE_SE
	s_and_saveexec_b32 s0, s2
	s_cbranch_execnz .LBB136_70
; %bb.35:
	s_or_b32 exec_lo, exec_lo, s0
	s_and_saveexec_b32 s0, s3
	s_cbranch_execnz .LBB136_71
.LBB136_36:
	s_or_b32 exec_lo, exec_lo, s0
	s_and_saveexec_b32 s0, s4
	s_cbranch_execnz .LBB136_72
.LBB136_37:
	s_or_b32 exec_lo, exec_lo, s0
	s_and_saveexec_b32 s0, s5
	s_cbranch_execnz .LBB136_73
.LBB136_38:
	s_or_b32 exec_lo, exec_lo, s0
	s_and_saveexec_b32 s0, s6
	s_cbranch_execnz .LBB136_74
.LBB136_39:
	s_or_b32 exec_lo, exec_lo, s0
	s_and_saveexec_b32 s0, s7
	s_cbranch_execnz .LBB136_75
.LBB136_40:
	s_or_b32 exec_lo, exec_lo, s0
	s_and_saveexec_b32 s0, s8
	s_cbranch_execnz .LBB136_76
.LBB136_41:
	s_or_b32 exec_lo, exec_lo, s0
	s_xor_b32 s0, s15, -1
	s_and_saveexec_b32 s1, s9
	s_cbranch_execz .LBB136_43
.LBB136_42:
	v_mad_co_u64_u32 v[11:12], null, s28, v25, 0
	s_wait_loadcnt 0x0
	s_delay_alu instid0(VALU_DEP_1) | instskip(NEXT) | instid1(VALU_DEP_1)
	v_mad_co_u64_u32 v[19:20], null, s29, v25, v[12:13]
	v_mov_b32_e32 v12, v19
	s_delay_alu instid0(VALU_DEP_1) | instskip(NEXT) | instid1(VALU_DEP_1)
	v_lshlrev_b64_e32 v[11:12], 3, v[11:12]
	v_add_co_u32 v11, vcc_lo, s34, v11
	s_wait_alu 0xfffd
	s_delay_alu instid0(VALU_DEP_2)
	v_add_co_ci_u32_e64 v12, null, s35, v12, vcc_lo
	global_load_b64 v[11:12], v[11:12], off
.LBB136_43:
	s_or_b32 exec_lo, exec_lo, s1
	v_lshlrev_b32_e32 v79, 3, v29
	v_lshlrev_b32_e32 v82, 3, v27
	v_lshlrev_b32_e32 v87, 3, v33
	v_lshlrev_b32_e32 v80, 3, v28
	v_lshlrev_b32_e32 v83, 3, v30
	v_lshlrev_b32_e32 v81, 3, v26
	v_lshlrev_b32_e32 v84, 3, v34
	v_lshlrev_b32_e32 v85, 3, v32
	v_lshlrev_b32_e32 v86, 3, v31
	s_wait_loadcnt 0x0
	ds_store_b64 v79, v[13:14]
	ds_store_b64 v80, v[1:2] offset:2048
	ds_store_b64 v81, v[15:16] offset:4096
	;; [unrolled: 1-line block ×7, first 2 shown]
	s_wait_dscnt 0x0
	s_barrier_signal -1
	s_barrier_wait -1
	global_inv scope:SCOPE_SE
	ds_load_2addr_b64 v[5:8], v87 offset1:1
	ds_load_2addr_b64 v[1:4], v87 offset0:2 offset1:3
	v_mbcnt_lo_u32_b32 v91, -1, 0
	v_and_b32_e32 v20, 0x1f00, v18
	ds_load_2addr_b64 v[13:16], v87 offset0:4 offset1:5
	ds_load_2addr_b64 v[9:12], v87 offset0:6 offset1:7
	v_and_b32_e32 v19, 0x3e0, v37
	s_and_b32 vcc_lo, exec_lo, s0
	v_bfe_u32 v96, v0, 10, 10
	v_or_b32_e32 v20, v91, v20
	v_bfe_u32 v97, v0, 20, 10
	v_or_b32_e32 v21, v91, v19
	v_lshlrev_b32_e32 v88, 2, v18
	v_and_b32_e32 v94, 15, v91
	v_lshlrev_b32_e32 v89, 2, v20
	v_and_b32_e32 v93, 16, v91
	v_lshlrev_b32_e32 v99, 3, v21
	v_lshlrev_b32_e32 v100, 5, v21
	v_min_u32_e32 v95, 0xe0, v19
	v_lshl_add_u32 v98, v20, 2, v89
	v_cmp_gt_u32_e64 s0, 8, v37
	v_cmp_lt_u32_e64 s1, 31, v37
	v_cmp_eq_u32_e64 s10, 0, v37
	v_lshlrev_b32_e32 v90, 2, v17
	v_mul_i32_i24_e32 v92, 0xffffffe4, v37
	v_and_b32_e32 v0, 7, v91
	s_mov_b32 s24, 0
	s_mov_b32 s11, -1
	s_wait_loadcnt_dscnt 0x0
	s_barrier_signal -1
	s_barrier_wait -1
	global_inv scope:SCOPE_SE
	s_wait_alu 0xfffe
	s_cbranch_vccz .LBB136_77
; %bb.44:
	v_xor_b32_e32 v17, 0x80000000, v44
	v_xor_b32_e32 v18, 0x80000000, v45
	;; [unrolled: 1-line block ×8, first 2 shown]
	ds_store_b128 v100, v[17:20]
	ds_store_b128 v100, v[21:24] offset:16
	v_dual_mov_b32 v104, 0 :: v_dual_lshlrev_b32 v17, 3, v99
	; wave barrier
	ds_load_2addr_b32 v[62:63], v89 offset1:32
	ds_load_2addr_b32 v[64:65], v89 offset0:64 offset1:96
	ds_load_2addr_b32 v[66:67], v89 offset0:128 offset1:160
	;; [unrolled: 1-line block ×3, first 2 shown]
	s_wait_loadcnt_dscnt 0x0
	s_barrier_signal -1
	s_barrier_wait -1
	global_inv scope:SCOPE_SE
	ds_store_b128 v17, v[5:8]
	ds_store_b128 v17, v[1:4] offset:16
	ds_store_b128 v17, v[13:16] offset:32
	;; [unrolled: 1-line block ×3, first 2 shown]
	; wave barrier
	ds_load_2addr_b64 v[21:24], v98 offset1:32
	ds_load_2addr_b64 v[25:28], v98 offset0:64 offset1:96
	ds_load_2addr_b64 v[29:32], v98 offset0:128 offset1:160
	ds_load_2addr_b64 v[33:36], v98 offset0:192 offset1:224
	s_wait_loadcnt_dscnt 0x0
	s_barrier_signal -1
	s_barrier_wait -1
	global_inv scope:SCOPE_SE
	s_load_b32 s11, s[36:37], 0xc
	s_getpc_b64 s[12:13]
	s_wait_alu 0xfffe
	s_sext_i32_i16 s13, s13
	s_add_co_u32 s12, s12, _ZN7rocprim17ROCPRIM_400000_NS16block_radix_sortIiLj256ELj8ElLj1ELj1ELj0ELNS0_26block_radix_rank_algorithmE1ELNS0_18block_padding_hintE2ELNS0_4arch9wavefront6targetE0EE19radix_bits_per_passE@rel32@lo+12
	s_wait_alu 0xfffe
	s_add_co_ci_u32 s13, s13, _ZN7rocprim17ROCPRIM_400000_NS16block_radix_sortIiLj256ELj8ElLj1ELj1ELj0ELNS0_26block_radix_rank_algorithmE1ELNS0_18block_padding_hintE2ELNS0_4arch9wavefront6targetE0EE19radix_bits_per_passE@rel32@hi+24
	s_mov_b32 s25, s24
	s_load_b32 s33, s[12:13], 0x0
	s_mov_b32 s26, s24
	s_mov_b32 s27, s24
	v_cmp_lt_u32_e64 s13, 1, v94
	v_cmp_lt_u32_e64 s15, 7, v94
	v_cmp_eq_u32_e64 s16, 0, v93
	v_cmp_eq_u32_e64 s18, 0, v0
	v_cmp_lt_u32_e64 s19, 1, v0
	v_add_nc_u32_e32 v102, -4, v90
	v_cmp_lt_u32_e64 s20, 3, v0
	v_add_nc_u32_e32 v105, v88, v92
	v_add_nc_u32_e32 v106, v89, v89
	s_wait_kmcnt 0x0
	s_lshr_b32 s14, s11, 16
	s_and_b32 s12, s11, 0xffff
	s_wait_alu 0xfffe
	v_mad_u32_u24 v17, v97, s14, v96
	v_sub_co_u32 v19, s11, v91, 1
	v_cmp_lt_u32_e64 s14, 3, v94
	s_delay_alu instid0(VALU_DEP_3) | instskip(NEXT) | instid1(VALU_DEP_3)
	v_mad_co_u64_u32 v[17:18], null, v17, s12, v[37:38]
	v_cmp_gt_i32_e32 vcc_lo, 0, v19
	v_or_b32_e32 v18, 31, v95
	v_cmp_eq_u32_e64 s12, 0, v94
	s_wait_alu 0xfffd
	v_cndmask_b32_e32 v19, v19, v91, vcc_lo
	v_lshrrev_b32_e32 v17, 3, v17
	v_cmp_eq_u32_e64 s17, v37, v18
	s_delay_alu instid0(VALU_DEP_3) | instskip(NEXT) | instid1(VALU_DEP_3)
	v_lshlrev_b32_e32 v101, 2, v19
	v_and_b32_e32 v103, 0x1ffffffc, v17
	v_dual_mov_b32 v17, s24 :: v_dual_mov_b32 v18, s25
	v_dual_mov_b32 v19, s26 :: v_dual_mov_b32 v20, s27
	s_mov_b32 s24, 32
	s_branch .LBB136_46
.LBB136_45:                             ;   in Loop: Header=BB136_46 Depth=1
	s_wait_alu 0xfffe
	s_and_not1_b32 vcc_lo, exec_lo, s25
	s_mov_b32 s24, s21
	s_wait_alu 0xfffe
	s_cbranch_vccz .LBB136_78
.LBB136_46:                             ; =>This Inner Loop Header: Depth=1
	s_wait_alu 0xfffe
	s_min_u32 s21, s33, s24
	v_dual_mov_b32 v108, v69 :: v_dual_mov_b32 v109, v68
	s_wait_alu 0xfffe
	s_lshl_b32 s21, -1, s21
	ds_store_b128 v88, v[17:20] offset:32
	ds_store_b128 v88, v[17:20] offset:48
	s_wait_alu 0xfffe
	s_not_b32 s25, s21
	v_mov_b32_e32 v107, v62
	s_wait_loadcnt_dscnt 0x0
	s_barrier_signal -1
	s_barrier_wait -1
	global_inv scope:SCOPE_SE
	v_lshrrev_b32_e32 v46, v104, v107
	; wave barrier
	v_mov_b32_e32 v111, v66
	s_wait_alu 0xfffe
	s_delay_alu instid0(VALU_DEP_2) | instskip(SKIP_3) | instid1(VALU_DEP_4)
	v_dual_mov_b32 v113, v64 :: v_dual_and_b32 v62, s25, v46
	v_mov_b32_e32 v110, v67
	v_mov_b32_e32 v112, v65
	v_dual_mov_b32 v114, v63 :: v_dual_mov_b32 v59, v24
	v_and_b32_e32 v46, 1, v62
	v_lshlrev_b32_e32 v47, 30, v62
	v_lshlrev_b32_e32 v48, 29, v62
	;; [unrolled: 1-line block ×4, first 2 shown]
	v_add_co_u32 v46, s21, v46, -1
	s_wait_alu 0xf1ff
	v_cndmask_b32_e64 v50, 0, 1, s21
	v_not_b32_e32 v54, v47
	v_cmp_gt_i32_e64 s21, 0, v47
	v_not_b32_e32 v47, v48
	v_lshlrev_b32_e32 v52, 26, v62
	v_cmp_ne_u32_e32 vcc_lo, 0, v50
	v_ashrrev_i32_e32 v54, 31, v54
	v_lshlrev_b32_e32 v53, 25, v62
	v_ashrrev_i32_e32 v47, 31, v47
	v_lshlrev_b32_e32 v50, 24, v62
	s_wait_alu 0xfffd
	v_xor_b32_e32 v46, vcc_lo, v46
	v_cmp_gt_i32_e32 vcc_lo, 0, v48
	v_not_b32_e32 v48, v49
	s_wait_alu 0xf1ff
	v_xor_b32_e32 v54, s21, v54
	v_cmp_gt_i32_e64 s21, 0, v49
	v_and_b32_e32 v46, exec_lo, v46
	v_not_b32_e32 v49, v51
	v_ashrrev_i32_e32 v48, 31, v48
	s_wait_alu 0xfffd
	v_xor_b32_e32 v47, vcc_lo, v47
	v_cmp_gt_i32_e32 vcc_lo, 0, v51
	v_and_b32_e32 v46, v46, v54
	v_not_b32_e32 v51, v52
	v_ashrrev_i32_e32 v49, 31, v49
	s_wait_alu 0xf1ff
	v_xor_b32_e32 v48, s21, v48
	v_cmp_gt_i32_e64 s21, 0, v52
	v_and_b32_e32 v46, v46, v47
	v_not_b32_e32 v47, v53
	v_ashrrev_i32_e32 v51, 31, v51
	s_wait_alu 0xfffd
	v_xor_b32_e32 v49, vcc_lo, v49
	v_cmp_gt_i32_e32 vcc_lo, 0, v53
	v_and_b32_e32 v46, v46, v48
	v_not_b32_e32 v48, v50
	v_ashrrev_i32_e32 v47, 31, v47
	s_wait_alu 0xf1ff
	v_xor_b32_e32 v51, s21, v51
	v_cmp_gt_i32_e64 s21, 0, v50
	v_and_b32_e32 v46, v46, v49
	v_ashrrev_i32_e32 v48, 31, v48
	s_wait_alu 0xfffd
	v_xor_b32_e32 v47, vcc_lo, v47
	v_dual_mov_b32 v58, v23 :: v_dual_mov_b32 v53, v30
	v_and_b32_e32 v46, v46, v51
	s_wait_alu 0xf1ff
	v_xor_b32_e32 v54, s21, v48
	v_mov_b32_e32 v51, v32
	v_dual_mov_b32 v49, v34 :: v_dual_mov_b32 v50, v31
	v_dual_mov_b32 v48, v33 :: v_dual_and_b32 v55, v46, v47
	v_dual_mov_b32 v52, v29 :: v_dual_mov_b32 v47, v36
	v_mov_b32_e32 v57, v26
	s_delay_alu instid0(VALU_DEP_3) | instskip(SKIP_2) | instid1(VALU_DEP_3)
	v_and_b32_e32 v31, v55, v54
	v_dual_mov_b32 v55, v28 :: v_dual_mov_b32 v54, v27
	v_dual_mov_b32 v56, v25 :: v_dual_mov_b32 v61, v22
	v_mbcnt_lo_u32_b32 v29, v31, 0
	v_dual_mov_b32 v60, v21 :: v_dual_lshlrev_b32 v21, 5, v62
	v_cmp_ne_u32_e64 s21, 0, v31
	v_mov_b32_e32 v46, v35
	s_delay_alu instid0(VALU_DEP_4) | instskip(NEXT) | instid1(VALU_DEP_4)
	v_cmp_eq_u32_e32 vcc_lo, 0, v29
	v_add_nc_u32_e32 v30, v103, v21
	s_and_b32 s26, s21, vcc_lo
	s_wait_alu 0xfffe
	s_and_saveexec_b32 s21, s26
; %bb.47:                               ;   in Loop: Header=BB136_46 Depth=1
	v_bcnt_u32_b32 v21, v31, 0
	ds_store_b32 v30, v21 offset:32
; %bb.48:                               ;   in Loop: Header=BB136_46 Depth=1
	s_wait_alu 0xfffe
	s_or_b32 exec_lo, exec_lo, s21
	v_lshrrev_b32_e32 v21, v104, v114
	; wave barrier
	s_delay_alu instid0(VALU_DEP_1) | instskip(NEXT) | instid1(VALU_DEP_1)
	v_and_b32_e32 v21, s25, v21
	v_and_b32_e32 v22, 1, v21
	v_lshlrev_b32_e32 v23, 30, v21
	v_lshlrev_b32_e32 v24, 29, v21
	;; [unrolled: 1-line block ×4, first 2 shown]
	v_add_co_u32 v22, s21, v22, -1
	s_wait_alu 0xf1ff
	v_cndmask_b32_e64 v26, 0, 1, s21
	v_not_b32_e32 v32, v23
	v_cmp_gt_i32_e64 s21, 0, v23
	v_not_b32_e32 v23, v24
	v_lshlrev_b32_e32 v28, 26, v21
	v_cmp_ne_u32_e32 vcc_lo, 0, v26
	v_ashrrev_i32_e32 v32, 31, v32
	v_lshlrev_b32_e32 v31, 25, v21
	v_ashrrev_i32_e32 v23, 31, v23
	v_lshlrev_b32_e32 v26, 24, v21
	s_wait_alu 0xfffd
	v_xor_b32_e32 v22, vcc_lo, v22
	v_cmp_gt_i32_e32 vcc_lo, 0, v24
	v_not_b32_e32 v24, v25
	s_wait_alu 0xf1ff
	v_xor_b32_e32 v32, s21, v32
	v_cmp_gt_i32_e64 s21, 0, v25
	v_and_b32_e32 v22, exec_lo, v22
	v_not_b32_e32 v25, v27
	v_ashrrev_i32_e32 v24, 31, v24
	s_wait_alu 0xfffd
	v_xor_b32_e32 v23, vcc_lo, v23
	v_cmp_gt_i32_e32 vcc_lo, 0, v27
	v_and_b32_e32 v22, v22, v32
	v_not_b32_e32 v27, v28
	v_ashrrev_i32_e32 v25, 31, v25
	s_wait_alu 0xf1ff
	v_xor_b32_e32 v24, s21, v24
	v_cmp_gt_i32_e64 s21, 0, v28
	v_and_b32_e32 v22, v22, v23
	v_not_b32_e32 v23, v31
	v_ashrrev_i32_e32 v27, 31, v27
	s_wait_alu 0xfffd
	v_xor_b32_e32 v25, vcc_lo, v25
	v_cmp_gt_i32_e32 vcc_lo, 0, v31
	v_and_b32_e32 v22, v22, v24
	v_not_b32_e32 v24, v26
	v_ashrrev_i32_e32 v23, 31, v23
	s_wait_alu 0xf1ff
	v_xor_b32_e32 v27, s21, v27
	v_lshlrev_b32_e32 v21, 5, v21
	v_and_b32_e32 v22, v22, v25
	v_cmp_gt_i32_e64 s21, 0, v26
	v_ashrrev_i32_e32 v24, 31, v24
	s_wait_alu 0xfffd
	v_xor_b32_e32 v23, vcc_lo, v23
	v_add_nc_u32_e32 v33, v103, v21
	v_and_b32_e32 v22, v22, v27
	s_wait_alu 0xf1ff
	v_xor_b32_e32 v21, s21, v24
	ds_load_b32 v31, v33 offset:32
	v_and_b32_e32 v22, v22, v23
	; wave barrier
	s_delay_alu instid0(VALU_DEP_1) | instskip(NEXT) | instid1(VALU_DEP_1)
	v_and_b32_e32 v21, v22, v21
	v_mbcnt_lo_u32_b32 v32, v21, 0
	v_cmp_ne_u32_e64 s21, 0, v21
	s_delay_alu instid0(VALU_DEP_2)
	v_cmp_eq_u32_e32 vcc_lo, 0, v32
	s_and_b32 s26, s21, vcc_lo
	s_wait_alu 0xfffe
	s_and_saveexec_b32 s21, s26
	s_cbranch_execz .LBB136_50
; %bb.49:                               ;   in Loop: Header=BB136_46 Depth=1
	s_wait_dscnt 0x0
	v_bcnt_u32_b32 v21, v21, v31
	ds_store_b32 v33, v21 offset:32
.LBB136_50:                             ;   in Loop: Header=BB136_46 Depth=1
	s_wait_alu 0xfffe
	s_or_b32 exec_lo, exec_lo, s21
	v_lshrrev_b32_e32 v21, v104, v113
	; wave barrier
	s_delay_alu instid0(VALU_DEP_1) | instskip(NEXT) | instid1(VALU_DEP_1)
	v_and_b32_e32 v21, s25, v21
	v_and_b32_e32 v22, 1, v21
	v_lshlrev_b32_e32 v23, 30, v21
	v_lshlrev_b32_e32 v24, 29, v21
	;; [unrolled: 1-line block ×4, first 2 shown]
	v_add_co_u32 v22, s21, v22, -1
	s_wait_alu 0xf1ff
	v_cndmask_b32_e64 v26, 0, 1, s21
	v_not_b32_e32 v35, v23
	v_cmp_gt_i32_e64 s21, 0, v23
	v_not_b32_e32 v23, v24
	v_lshlrev_b32_e32 v28, 26, v21
	v_cmp_ne_u32_e32 vcc_lo, 0, v26
	v_ashrrev_i32_e32 v35, 31, v35
	v_lshlrev_b32_e32 v34, 25, v21
	v_ashrrev_i32_e32 v23, 31, v23
	v_lshlrev_b32_e32 v26, 24, v21
	s_wait_alu 0xfffd
	v_xor_b32_e32 v22, vcc_lo, v22
	v_cmp_gt_i32_e32 vcc_lo, 0, v24
	v_not_b32_e32 v24, v25
	s_wait_alu 0xf1ff
	v_xor_b32_e32 v35, s21, v35
	v_cmp_gt_i32_e64 s21, 0, v25
	v_and_b32_e32 v22, exec_lo, v22
	v_not_b32_e32 v25, v27
	v_ashrrev_i32_e32 v24, 31, v24
	s_wait_alu 0xfffd
	v_xor_b32_e32 v23, vcc_lo, v23
	v_cmp_gt_i32_e32 vcc_lo, 0, v27
	v_and_b32_e32 v22, v22, v35
	v_not_b32_e32 v27, v28
	v_ashrrev_i32_e32 v25, 31, v25
	s_wait_alu 0xf1ff
	v_xor_b32_e32 v24, s21, v24
	v_cmp_gt_i32_e64 s21, 0, v28
	v_and_b32_e32 v22, v22, v23
	v_not_b32_e32 v23, v34
	v_ashrrev_i32_e32 v27, 31, v27
	s_wait_alu 0xfffd
	v_xor_b32_e32 v25, vcc_lo, v25
	v_cmp_gt_i32_e32 vcc_lo, 0, v34
	v_and_b32_e32 v22, v22, v24
	v_not_b32_e32 v24, v26
	v_ashrrev_i32_e32 v23, 31, v23
	s_wait_alu 0xf1ff
	v_xor_b32_e32 v27, s21, v27
	v_lshlrev_b32_e32 v21, 5, v21
	v_and_b32_e32 v22, v22, v25
	v_cmp_gt_i32_e64 s21, 0, v26
	v_ashrrev_i32_e32 v24, 31, v24
	s_wait_alu 0xfffd
	v_xor_b32_e32 v23, vcc_lo, v23
	v_add_nc_u32_e32 v36, v103, v21
	v_and_b32_e32 v22, v22, v27
	s_wait_alu 0xf1ff
	v_xor_b32_e32 v21, s21, v24
	ds_load_b32 v34, v36 offset:32
	v_and_b32_e32 v22, v22, v23
	; wave barrier
	s_delay_alu instid0(VALU_DEP_1) | instskip(NEXT) | instid1(VALU_DEP_1)
	v_and_b32_e32 v21, v22, v21
	v_mbcnt_lo_u32_b32 v35, v21, 0
	v_cmp_ne_u32_e64 s21, 0, v21
	s_delay_alu instid0(VALU_DEP_2)
	v_cmp_eq_u32_e32 vcc_lo, 0, v35
	s_and_b32 s26, s21, vcc_lo
	s_wait_alu 0xfffe
	s_and_saveexec_b32 s21, s26
	s_cbranch_execz .LBB136_52
; %bb.51:                               ;   in Loop: Header=BB136_46 Depth=1
	s_wait_dscnt 0x0
	v_bcnt_u32_b32 v21, v21, v34
	ds_store_b32 v36, v21 offset:32
.LBB136_52:                             ;   in Loop: Header=BB136_46 Depth=1
	s_wait_alu 0xfffe
	s_or_b32 exec_lo, exec_lo, s21
	v_lshrrev_b32_e32 v21, v104, v112
	; wave barrier
	s_delay_alu instid0(VALU_DEP_1) | instskip(NEXT) | instid1(VALU_DEP_1)
	v_and_b32_e32 v21, s25, v21
	v_and_b32_e32 v22, 1, v21
	v_lshlrev_b32_e32 v23, 30, v21
	v_lshlrev_b32_e32 v24, 29, v21
	;; [unrolled: 1-line block ×4, first 2 shown]
	v_add_co_u32 v22, s21, v22, -1
	s_wait_alu 0xf1ff
	v_cndmask_b32_e64 v26, 0, 1, s21
	v_not_b32_e32 v63, v23
	v_cmp_gt_i32_e64 s21, 0, v23
	v_not_b32_e32 v23, v24
	v_lshlrev_b32_e32 v28, 26, v21
	v_cmp_ne_u32_e32 vcc_lo, 0, v26
	v_ashrrev_i32_e32 v63, 31, v63
	v_lshlrev_b32_e32 v62, 25, v21
	v_ashrrev_i32_e32 v23, 31, v23
	v_lshlrev_b32_e32 v26, 24, v21
	s_wait_alu 0xfffd
	v_xor_b32_e32 v22, vcc_lo, v22
	v_cmp_gt_i32_e32 vcc_lo, 0, v24
	v_not_b32_e32 v24, v25
	s_wait_alu 0xf1ff
	v_xor_b32_e32 v63, s21, v63
	v_cmp_gt_i32_e64 s21, 0, v25
	v_and_b32_e32 v22, exec_lo, v22
	v_not_b32_e32 v25, v27
	v_ashrrev_i32_e32 v24, 31, v24
	s_wait_alu 0xfffd
	v_xor_b32_e32 v23, vcc_lo, v23
	v_cmp_gt_i32_e32 vcc_lo, 0, v27
	v_and_b32_e32 v22, v22, v63
	v_not_b32_e32 v27, v28
	v_ashrrev_i32_e32 v25, 31, v25
	s_wait_alu 0xf1ff
	v_xor_b32_e32 v24, s21, v24
	v_cmp_gt_i32_e64 s21, 0, v28
	v_and_b32_e32 v22, v22, v23
	v_not_b32_e32 v23, v62
	v_ashrrev_i32_e32 v27, 31, v27
	s_wait_alu 0xfffd
	v_xor_b32_e32 v25, vcc_lo, v25
	v_cmp_gt_i32_e32 vcc_lo, 0, v62
	v_and_b32_e32 v22, v22, v24
	v_not_b32_e32 v24, v26
	v_ashrrev_i32_e32 v23, 31, v23
	s_wait_alu 0xf1ff
	v_xor_b32_e32 v27, s21, v27
	v_lshlrev_b32_e32 v21, 5, v21
	v_and_b32_e32 v22, v22, v25
	v_cmp_gt_i32_e64 s21, 0, v26
	v_ashrrev_i32_e32 v24, 31, v24
	s_wait_alu 0xfffd
	v_xor_b32_e32 v23, vcc_lo, v23
	v_add_nc_u32_e32 v64, v103, v21
	v_and_b32_e32 v22, v22, v27
	s_wait_alu 0xf1ff
	v_xor_b32_e32 v21, s21, v24
	ds_load_b32 v62, v64 offset:32
	v_and_b32_e32 v22, v22, v23
	; wave barrier
	s_delay_alu instid0(VALU_DEP_1) | instskip(NEXT) | instid1(VALU_DEP_1)
	v_and_b32_e32 v21, v22, v21
	v_mbcnt_lo_u32_b32 v63, v21, 0
	v_cmp_ne_u32_e64 s21, 0, v21
	s_delay_alu instid0(VALU_DEP_2)
	v_cmp_eq_u32_e32 vcc_lo, 0, v63
	s_and_b32 s26, s21, vcc_lo
	s_wait_alu 0xfffe
	s_and_saveexec_b32 s21, s26
	s_cbranch_execz .LBB136_54
; %bb.53:                               ;   in Loop: Header=BB136_46 Depth=1
	s_wait_dscnt 0x0
	v_bcnt_u32_b32 v21, v21, v62
	ds_store_b32 v64, v21 offset:32
.LBB136_54:                             ;   in Loop: Header=BB136_46 Depth=1
	s_wait_alu 0xfffe
	s_or_b32 exec_lo, exec_lo, s21
	v_lshrrev_b32_e32 v21, v104, v111
	; wave barrier
	s_delay_alu instid0(VALU_DEP_1) | instskip(NEXT) | instid1(VALU_DEP_1)
	v_and_b32_e32 v21, s25, v21
	v_and_b32_e32 v22, 1, v21
	v_lshlrev_b32_e32 v23, 30, v21
	v_lshlrev_b32_e32 v24, 29, v21
	v_lshlrev_b32_e32 v25, 28, v21
	v_lshlrev_b32_e32 v27, 27, v21
	v_add_co_u32 v22, s21, v22, -1
	s_wait_alu 0xf1ff
	v_cndmask_b32_e64 v26, 0, 1, s21
	v_not_b32_e32 v66, v23
	v_cmp_gt_i32_e64 s21, 0, v23
	v_not_b32_e32 v23, v24
	v_lshlrev_b32_e32 v28, 26, v21
	v_cmp_ne_u32_e32 vcc_lo, 0, v26
	v_ashrrev_i32_e32 v66, 31, v66
	v_lshlrev_b32_e32 v65, 25, v21
	v_ashrrev_i32_e32 v23, 31, v23
	v_lshlrev_b32_e32 v26, 24, v21
	s_wait_alu 0xfffd
	v_xor_b32_e32 v22, vcc_lo, v22
	v_cmp_gt_i32_e32 vcc_lo, 0, v24
	v_not_b32_e32 v24, v25
	s_wait_alu 0xf1ff
	v_xor_b32_e32 v66, s21, v66
	v_cmp_gt_i32_e64 s21, 0, v25
	v_and_b32_e32 v22, exec_lo, v22
	v_not_b32_e32 v25, v27
	v_ashrrev_i32_e32 v24, 31, v24
	s_wait_alu 0xfffd
	v_xor_b32_e32 v23, vcc_lo, v23
	v_cmp_gt_i32_e32 vcc_lo, 0, v27
	v_and_b32_e32 v22, v22, v66
	v_not_b32_e32 v27, v28
	v_ashrrev_i32_e32 v25, 31, v25
	s_wait_alu 0xf1ff
	v_xor_b32_e32 v24, s21, v24
	v_cmp_gt_i32_e64 s21, 0, v28
	v_and_b32_e32 v22, v22, v23
	v_not_b32_e32 v23, v65
	v_ashrrev_i32_e32 v27, 31, v27
	s_wait_alu 0xfffd
	v_xor_b32_e32 v25, vcc_lo, v25
	v_cmp_gt_i32_e32 vcc_lo, 0, v65
	v_and_b32_e32 v22, v22, v24
	v_not_b32_e32 v24, v26
	v_ashrrev_i32_e32 v23, 31, v23
	s_wait_alu 0xf1ff
	v_xor_b32_e32 v27, s21, v27
	v_lshlrev_b32_e32 v21, 5, v21
	v_and_b32_e32 v22, v22, v25
	v_cmp_gt_i32_e64 s21, 0, v26
	v_ashrrev_i32_e32 v24, 31, v24
	s_wait_alu 0xfffd
	v_xor_b32_e32 v23, vcc_lo, v23
	v_add_nc_u32_e32 v67, v103, v21
	v_and_b32_e32 v22, v22, v27
	s_wait_alu 0xf1ff
	v_xor_b32_e32 v21, s21, v24
	ds_load_b32 v65, v67 offset:32
	v_and_b32_e32 v22, v22, v23
	; wave barrier
	s_delay_alu instid0(VALU_DEP_1) | instskip(NEXT) | instid1(VALU_DEP_1)
	v_and_b32_e32 v21, v22, v21
	v_mbcnt_lo_u32_b32 v66, v21, 0
	v_cmp_ne_u32_e64 s21, 0, v21
	s_delay_alu instid0(VALU_DEP_2)
	v_cmp_eq_u32_e32 vcc_lo, 0, v66
	s_and_b32 s26, s21, vcc_lo
	s_wait_alu 0xfffe
	s_and_saveexec_b32 s21, s26
	s_cbranch_execz .LBB136_56
; %bb.55:                               ;   in Loop: Header=BB136_46 Depth=1
	s_wait_dscnt 0x0
	v_bcnt_u32_b32 v21, v21, v65
	ds_store_b32 v67, v21 offset:32
.LBB136_56:                             ;   in Loop: Header=BB136_46 Depth=1
	s_wait_alu 0xfffe
	s_or_b32 exec_lo, exec_lo, s21
	v_lshrrev_b32_e32 v21, v104, v110
	; wave barrier
	s_delay_alu instid0(VALU_DEP_1) | instskip(NEXT) | instid1(VALU_DEP_1)
	v_and_b32_e32 v21, s25, v21
	v_and_b32_e32 v22, 1, v21
	v_lshlrev_b32_e32 v23, 30, v21
	v_lshlrev_b32_e32 v24, 29, v21
	;; [unrolled: 1-line block ×4, first 2 shown]
	v_add_co_u32 v22, s21, v22, -1
	s_wait_alu 0xf1ff
	v_cndmask_b32_e64 v26, 0, 1, s21
	v_not_b32_e32 v69, v23
	v_cmp_gt_i32_e64 s21, 0, v23
	v_not_b32_e32 v23, v24
	v_lshlrev_b32_e32 v28, 26, v21
	v_cmp_ne_u32_e32 vcc_lo, 0, v26
	v_ashrrev_i32_e32 v69, 31, v69
	v_lshlrev_b32_e32 v68, 25, v21
	v_ashrrev_i32_e32 v23, 31, v23
	v_lshlrev_b32_e32 v26, 24, v21
	s_wait_alu 0xfffd
	v_xor_b32_e32 v22, vcc_lo, v22
	v_cmp_gt_i32_e32 vcc_lo, 0, v24
	v_not_b32_e32 v24, v25
	s_wait_alu 0xf1ff
	v_xor_b32_e32 v69, s21, v69
	v_cmp_gt_i32_e64 s21, 0, v25
	v_and_b32_e32 v22, exec_lo, v22
	v_not_b32_e32 v25, v27
	v_ashrrev_i32_e32 v24, 31, v24
	s_wait_alu 0xfffd
	v_xor_b32_e32 v23, vcc_lo, v23
	v_cmp_gt_i32_e32 vcc_lo, 0, v27
	v_and_b32_e32 v22, v22, v69
	v_not_b32_e32 v27, v28
	v_ashrrev_i32_e32 v25, 31, v25
	s_wait_alu 0xf1ff
	v_xor_b32_e32 v24, s21, v24
	v_cmp_gt_i32_e64 s21, 0, v28
	v_and_b32_e32 v22, v22, v23
	v_not_b32_e32 v23, v68
	v_ashrrev_i32_e32 v27, 31, v27
	s_wait_alu 0xfffd
	v_xor_b32_e32 v25, vcc_lo, v25
	v_cmp_gt_i32_e32 vcc_lo, 0, v68
	v_and_b32_e32 v22, v22, v24
	v_not_b32_e32 v24, v26
	v_ashrrev_i32_e32 v23, 31, v23
	s_wait_alu 0xf1ff
	v_xor_b32_e32 v27, s21, v27
	v_lshlrev_b32_e32 v21, 5, v21
	v_and_b32_e32 v22, v22, v25
	v_cmp_gt_i32_e64 s21, 0, v26
	v_ashrrev_i32_e32 v24, 31, v24
	s_wait_alu 0xfffd
	v_xor_b32_e32 v23, vcc_lo, v23
	v_add_nc_u32_e32 v115, v103, v21
	v_and_b32_e32 v22, v22, v27
	s_wait_alu 0xf1ff
	v_xor_b32_e32 v21, s21, v24
	ds_load_b32 v68, v115 offset:32
	v_and_b32_e32 v22, v22, v23
	; wave barrier
	s_delay_alu instid0(VALU_DEP_1) | instskip(NEXT) | instid1(VALU_DEP_1)
	v_and_b32_e32 v21, v22, v21
	v_mbcnt_lo_u32_b32 v69, v21, 0
	v_cmp_ne_u32_e64 s21, 0, v21
	s_delay_alu instid0(VALU_DEP_2)
	v_cmp_eq_u32_e32 vcc_lo, 0, v69
	s_and_b32 s26, s21, vcc_lo
	s_wait_alu 0xfffe
	s_and_saveexec_b32 s21, s26
	s_cbranch_execz .LBB136_58
; %bb.57:                               ;   in Loop: Header=BB136_46 Depth=1
	s_wait_dscnt 0x0
	v_bcnt_u32_b32 v21, v21, v68
	ds_store_b32 v115, v21 offset:32
.LBB136_58:                             ;   in Loop: Header=BB136_46 Depth=1
	s_wait_alu 0xfffe
	s_or_b32 exec_lo, exec_lo, s21
	v_lshrrev_b32_e32 v21, v104, v109
	; wave barrier
	s_delay_alu instid0(VALU_DEP_1) | instskip(NEXT) | instid1(VALU_DEP_1)
	v_and_b32_e32 v21, s25, v21
	v_and_b32_e32 v22, 1, v21
	v_lshlrev_b32_e32 v23, 30, v21
	v_lshlrev_b32_e32 v24, 29, v21
	;; [unrolled: 1-line block ×4, first 2 shown]
	v_add_co_u32 v22, s21, v22, -1
	s_wait_alu 0xf1ff
	v_cndmask_b32_e64 v26, 0, 1, s21
	v_not_b32_e32 v117, v23
	v_cmp_gt_i32_e64 s21, 0, v23
	v_not_b32_e32 v23, v24
	v_lshlrev_b32_e32 v28, 26, v21
	v_cmp_ne_u32_e32 vcc_lo, 0, v26
	v_ashrrev_i32_e32 v117, 31, v117
	v_lshlrev_b32_e32 v116, 25, v21
	v_ashrrev_i32_e32 v23, 31, v23
	v_lshlrev_b32_e32 v26, 24, v21
	s_wait_alu 0xfffd
	v_xor_b32_e32 v22, vcc_lo, v22
	v_cmp_gt_i32_e32 vcc_lo, 0, v24
	v_not_b32_e32 v24, v25
	s_wait_alu 0xf1ff
	v_xor_b32_e32 v117, s21, v117
	v_cmp_gt_i32_e64 s21, 0, v25
	v_and_b32_e32 v22, exec_lo, v22
	v_not_b32_e32 v25, v27
	v_ashrrev_i32_e32 v24, 31, v24
	s_wait_alu 0xfffd
	v_xor_b32_e32 v23, vcc_lo, v23
	v_cmp_gt_i32_e32 vcc_lo, 0, v27
	v_and_b32_e32 v22, v22, v117
	v_not_b32_e32 v27, v28
	v_ashrrev_i32_e32 v25, 31, v25
	s_wait_alu 0xf1ff
	v_xor_b32_e32 v24, s21, v24
	v_cmp_gt_i32_e64 s21, 0, v28
	v_and_b32_e32 v22, v22, v23
	v_not_b32_e32 v23, v116
	v_ashrrev_i32_e32 v27, 31, v27
	s_wait_alu 0xfffd
	v_xor_b32_e32 v25, vcc_lo, v25
	v_cmp_gt_i32_e32 vcc_lo, 0, v116
	v_and_b32_e32 v22, v22, v24
	v_not_b32_e32 v24, v26
	v_ashrrev_i32_e32 v23, 31, v23
	s_wait_alu 0xf1ff
	v_xor_b32_e32 v27, s21, v27
	v_lshlrev_b32_e32 v21, 5, v21
	v_and_b32_e32 v22, v22, v25
	v_cmp_gt_i32_e64 s21, 0, v26
	v_ashrrev_i32_e32 v24, 31, v24
	s_wait_alu 0xfffd
	v_xor_b32_e32 v23, vcc_lo, v23
	v_add_nc_u32_e32 v118, v103, v21
	v_and_b32_e32 v22, v22, v27
	s_wait_alu 0xf1ff
	v_xor_b32_e32 v21, s21, v24
	ds_load_b32 v116, v118 offset:32
	v_and_b32_e32 v22, v22, v23
	; wave barrier
	s_delay_alu instid0(VALU_DEP_1) | instskip(NEXT) | instid1(VALU_DEP_1)
	v_and_b32_e32 v21, v22, v21
	v_mbcnt_lo_u32_b32 v117, v21, 0
	v_cmp_ne_u32_e64 s21, 0, v21
	s_delay_alu instid0(VALU_DEP_2)
	v_cmp_eq_u32_e32 vcc_lo, 0, v117
	s_and_b32 s26, s21, vcc_lo
	s_wait_alu 0xfffe
	s_and_saveexec_b32 s21, s26
	s_cbranch_execz .LBB136_60
; %bb.59:                               ;   in Loop: Header=BB136_46 Depth=1
	s_wait_dscnt 0x0
	v_bcnt_u32_b32 v21, v21, v116
	ds_store_b32 v118, v21 offset:32
.LBB136_60:                             ;   in Loop: Header=BB136_46 Depth=1
	s_wait_alu 0xfffe
	s_or_b32 exec_lo, exec_lo, s21
	v_lshrrev_b32_e32 v21, v104, v108
	; wave barrier
	s_delay_alu instid0(VALU_DEP_1) | instskip(NEXT) | instid1(VALU_DEP_1)
	v_and_b32_e32 v21, s25, v21
	v_and_b32_e32 v22, 1, v21
	v_lshlrev_b32_e32 v23, 30, v21
	v_lshlrev_b32_e32 v24, 29, v21
	;; [unrolled: 1-line block ×4, first 2 shown]
	v_add_co_u32 v22, s21, v22, -1
	s_wait_alu 0xf1ff
	v_cndmask_b32_e64 v26, 0, 1, s21
	v_not_b32_e32 v120, v23
	v_cmp_gt_i32_e64 s21, 0, v23
	v_not_b32_e32 v23, v24
	v_lshlrev_b32_e32 v28, 26, v21
	v_cmp_ne_u32_e32 vcc_lo, 0, v26
	v_ashrrev_i32_e32 v120, 31, v120
	v_lshlrev_b32_e32 v119, 25, v21
	v_ashrrev_i32_e32 v23, 31, v23
	v_lshlrev_b32_e32 v26, 24, v21
	s_wait_alu 0xfffd
	v_xor_b32_e32 v22, vcc_lo, v22
	v_cmp_gt_i32_e32 vcc_lo, 0, v24
	v_not_b32_e32 v24, v25
	s_wait_alu 0xf1ff
	v_xor_b32_e32 v120, s21, v120
	v_cmp_gt_i32_e64 s21, 0, v25
	v_and_b32_e32 v22, exec_lo, v22
	v_not_b32_e32 v25, v27
	v_ashrrev_i32_e32 v24, 31, v24
	s_wait_alu 0xfffd
	v_xor_b32_e32 v23, vcc_lo, v23
	v_cmp_gt_i32_e32 vcc_lo, 0, v27
	v_and_b32_e32 v22, v22, v120
	v_not_b32_e32 v27, v28
	v_ashrrev_i32_e32 v25, 31, v25
	s_wait_alu 0xf1ff
	v_xor_b32_e32 v24, s21, v24
	v_cmp_gt_i32_e64 s21, 0, v28
	v_and_b32_e32 v22, v22, v23
	v_not_b32_e32 v23, v119
	v_ashrrev_i32_e32 v27, 31, v27
	s_wait_alu 0xfffd
	v_xor_b32_e32 v25, vcc_lo, v25
	v_cmp_gt_i32_e32 vcc_lo, 0, v119
	v_and_b32_e32 v22, v22, v24
	v_not_b32_e32 v24, v26
	v_ashrrev_i32_e32 v23, 31, v23
	s_wait_alu 0xf1ff
	v_xor_b32_e32 v27, s21, v27
	v_lshlrev_b32_e32 v21, 5, v21
	v_and_b32_e32 v22, v22, v25
	v_cmp_gt_i32_e64 s21, 0, v26
	v_ashrrev_i32_e32 v24, 31, v24
	s_wait_alu 0xfffd
	v_xor_b32_e32 v23, vcc_lo, v23
	v_add_nc_u32_e32 v119, v103, v21
	v_and_b32_e32 v22, v22, v27
	s_wait_alu 0xf1ff
	v_xor_b32_e32 v21, s21, v24
	ds_load_b32 v124, v119 offset:32
	v_and_b32_e32 v22, v22, v23
	; wave barrier
	s_delay_alu instid0(VALU_DEP_1) | instskip(NEXT) | instid1(VALU_DEP_1)
	v_and_b32_e32 v21, v22, v21
	v_mbcnt_lo_u32_b32 v125, v21, 0
	v_cmp_ne_u32_e64 s21, 0, v21
	s_delay_alu instid0(VALU_DEP_2)
	v_cmp_eq_u32_e32 vcc_lo, 0, v125
	s_and_b32 s25, s21, vcc_lo
	s_wait_alu 0xfffe
	s_and_saveexec_b32 s21, s25
	s_cbranch_execz .LBB136_62
; %bb.61:                               ;   in Loop: Header=BB136_46 Depth=1
	s_wait_dscnt 0x0
	v_bcnt_u32_b32 v21, v21, v124
	ds_store_b32 v119, v21 offset:32
.LBB136_62:                             ;   in Loop: Header=BB136_46 Depth=1
	s_wait_alu 0xfffe
	s_or_b32 exec_lo, exec_lo, s21
	; wave barrier
	s_wait_loadcnt_dscnt 0x0
	s_barrier_signal -1
	s_barrier_wait -1
	global_inv scope:SCOPE_SE
	ds_load_b128 v[25:28], v88 offset:32
	ds_load_b128 v[21:24], v88 offset:48
	s_wait_dscnt 0x1
	v_add_nc_u32_e32 v120, v26, v25
	s_delay_alu instid0(VALU_DEP_1) | instskip(SKIP_1) | instid1(VALU_DEP_1)
	v_add3_u32 v120, v120, v27, v28
	s_wait_dscnt 0x0
	v_add3_u32 v120, v120, v21, v22
	s_delay_alu instid0(VALU_DEP_1) | instskip(NEXT) | instid1(VALU_DEP_1)
	v_add3_u32 v24, v120, v23, v24
	v_mov_b32_dpp v120, v24 row_shr:1 row_mask:0xf bank_mask:0xf
	s_delay_alu instid0(VALU_DEP_1) | instskip(NEXT) | instid1(VALU_DEP_1)
	v_cndmask_b32_e64 v120, v120, 0, s12
	v_add_nc_u32_e32 v24, v120, v24
	s_delay_alu instid0(VALU_DEP_1) | instskip(NEXT) | instid1(VALU_DEP_1)
	v_mov_b32_dpp v120, v24 row_shr:2 row_mask:0xf bank_mask:0xf
	v_cndmask_b32_e64 v120, 0, v120, s13
	s_delay_alu instid0(VALU_DEP_1) | instskip(NEXT) | instid1(VALU_DEP_1)
	v_add_nc_u32_e32 v24, v24, v120
	v_mov_b32_dpp v120, v24 row_shr:4 row_mask:0xf bank_mask:0xf
	s_delay_alu instid0(VALU_DEP_1) | instskip(NEXT) | instid1(VALU_DEP_1)
	v_cndmask_b32_e64 v120, 0, v120, s14
	v_add_nc_u32_e32 v24, v24, v120
	s_delay_alu instid0(VALU_DEP_1) | instskip(NEXT) | instid1(VALU_DEP_1)
	v_mov_b32_dpp v120, v24 row_shr:8 row_mask:0xf bank_mask:0xf
	v_cndmask_b32_e64 v120, 0, v120, s15
	s_delay_alu instid0(VALU_DEP_1) | instskip(SKIP_3) | instid1(VALU_DEP_1)
	v_add_nc_u32_e32 v24, v24, v120
	ds_swizzle_b32 v120, v24 offset:swizzle(BROADCAST,32,15)
	s_wait_dscnt 0x0
	v_cndmask_b32_e64 v120, v120, 0, s16
	v_add_nc_u32_e32 v24, v24, v120
	s_and_saveexec_b32 s21, s17
; %bb.63:                               ;   in Loop: Header=BB136_46 Depth=1
	ds_store_b32 v90, v24
; %bb.64:                               ;   in Loop: Header=BB136_46 Depth=1
	s_wait_alu 0xfffe
	s_or_b32 exec_lo, exec_lo, s21
	s_wait_loadcnt_dscnt 0x0
	s_barrier_signal -1
	s_barrier_wait -1
	global_inv scope:SCOPE_SE
	s_and_saveexec_b32 s21, s0
	s_cbranch_execz .LBB136_66
; %bb.65:                               ;   in Loop: Header=BB136_46 Depth=1
	ds_load_b32 v120, v105
	s_wait_dscnt 0x0
	v_mov_b32_dpp v121, v120 row_shr:1 row_mask:0xf bank_mask:0xf
	s_delay_alu instid0(VALU_DEP_1) | instskip(NEXT) | instid1(VALU_DEP_1)
	v_cndmask_b32_e64 v121, v121, 0, s18
	v_add_nc_u32_e32 v120, v121, v120
	s_delay_alu instid0(VALU_DEP_1) | instskip(NEXT) | instid1(VALU_DEP_1)
	v_mov_b32_dpp v121, v120 row_shr:2 row_mask:0xf bank_mask:0xf
	v_cndmask_b32_e64 v121, 0, v121, s19
	s_delay_alu instid0(VALU_DEP_1) | instskip(NEXT) | instid1(VALU_DEP_1)
	v_add_nc_u32_e32 v120, v120, v121
	v_mov_b32_dpp v121, v120 row_shr:4 row_mask:0xf bank_mask:0xf
	s_delay_alu instid0(VALU_DEP_1) | instskip(NEXT) | instid1(VALU_DEP_1)
	v_cndmask_b32_e64 v121, 0, v121, s20
	v_add_nc_u32_e32 v120, v120, v121
	ds_store_b32 v105, v120
.LBB136_66:                             ;   in Loop: Header=BB136_46 Depth=1
	s_wait_alu 0xfffe
	s_or_b32 exec_lo, exec_lo, s21
	v_mov_b32_e32 v120, 0
	s_wait_loadcnt_dscnt 0x0
	s_barrier_signal -1
	s_barrier_wait -1
	global_inv scope:SCOPE_SE
	s_and_saveexec_b32 s21, s1
; %bb.67:                               ;   in Loop: Header=BB136_46 Depth=1
	ds_load_b32 v120, v102
; %bb.68:                               ;   in Loop: Header=BB136_46 Depth=1
	s_wait_alu 0xfffe
	s_or_b32 exec_lo, exec_lo, s21
	s_wait_dscnt 0x0
	v_add_nc_u32_e32 v24, v120, v24
	v_cmp_lt_u32_e32 vcc_lo, 23, v104
	v_readfirstlane_b32 s21, v0
	s_mov_b32 s25, -1
	ds_bpermute_b32 v24, v101, v24
	s_and_b32 vcc_lo, exec_lo, vcc_lo
	s_wait_dscnt 0x0
	v_cndmask_b32_e64 v24, v24, v120, s11
	s_delay_alu instid0(VALU_DEP_1) | instskip(NEXT) | instid1(VALU_DEP_1)
	v_cndmask_b32_e64 v24, v24, 0, s10
	v_add_nc_u32_e32 v25, v24, v25
	s_delay_alu instid0(VALU_DEP_1) | instskip(NEXT) | instid1(VALU_DEP_1)
	v_add_nc_u32_e32 v26, v25, v26
	v_add_nc_u32_e32 v27, v26, v27
	s_delay_alu instid0(VALU_DEP_1) | instskip(NEXT) | instid1(VALU_DEP_1)
	v_add_nc_u32_e32 v120, v27, v28
	;; [unrolled: 3-line block ×3, first 2 shown]
	v_add_nc_u32_e32 v123, v122, v23
	ds_store_b128 v88, v[24:27] offset:32
	ds_store_b128 v88, v[120:123] offset:48
	s_wait_loadcnt_dscnt 0x0
	s_barrier_signal -1
	s_barrier_wait -1
	global_inv scope:SCOPE_SE
	ds_load_b32 v21, v30 offset:32
	ds_load_b32 v22, v33 offset:32
	ds_load_b32 v23, v36 offset:32
	ds_load_b32 v24, v64 offset:32
	ds_load_b32 v25, v67 offset:32
	ds_load_b32 v26, v115 offset:32
	ds_load_b32 v27, v118 offset:32
	ds_load_b32 v28, v119 offset:32
	s_wait_dscnt 0x7
	v_add_nc_u32_e32 v123, v21, v29
	s_wait_dscnt 0x6
	v_add3_u32 v122, v32, v31, v22
	s_wait_dscnt 0x5
	v_add3_u32 v121, v35, v34, v23
	;; [unrolled: 2-line block ×7, first 2 shown]
                                        ; implicit-def: $vgpr69
                                        ; implicit-def: $vgpr67
                                        ; implicit-def: $vgpr65
                                        ; implicit-def: $vgpr63
                                        ; implicit-def: $vgpr35_vgpr36
                                        ; implicit-def: $vgpr31_vgpr32
                                        ; implicit-def: $vgpr27_vgpr28
                                        ; implicit-def: $vgpr23_vgpr24
	s_wait_alu 0xfffe
	s_cbranch_vccnz .LBB136_45
; %bb.69:                               ;   in Loop: Header=BB136_46 Depth=1
	v_lshlrev_b32_e32 v21, 2, v123
	v_lshlrev_b32_e32 v22, 2, v122
	v_lshlrev_b32_e32 v23, 2, v121
	s_wait_loadcnt 0x0
	s_barrier_signal -1
	s_barrier_wait -1
	global_inv scope:SCOPE_SE
	ds_store_b32 v21, v107
	ds_store_b32 v22, v114
	;; [unrolled: 1-line block ×3, first 2 shown]
	v_lshlrev_b32_e32 v24, 2, v120
	v_add_nc_u32_e32 v21, v21, v21
	v_lshlrev_b32_e32 v25, 2, v119
	v_add_nc_u32_e32 v22, v22, v22
	;; [unrolled: 2-line block ×3, first 2 shown]
	v_lshlrev_b32_e32 v27, 2, v116
	v_lshlrev_b32_e32 v28, 2, v115
	ds_store_b32 v24, v112
	ds_store_b32 v25, v111
	;; [unrolled: 1-line block ×5, first 2 shown]
	s_wait_loadcnt_dscnt 0x0
	s_barrier_signal -1
	s_barrier_wait -1
	global_inv scope:SCOPE_SE
	ds_load_2addr_b32 v[62:63], v89 offset1:32
	ds_load_2addr_b32 v[64:65], v89 offset0:64 offset1:96
	ds_load_2addr_b32 v[66:67], v89 offset0:128 offset1:160
	;; [unrolled: 1-line block ×3, first 2 shown]
	s_wait_loadcnt_dscnt 0x0
	s_barrier_signal -1
	s_barrier_wait -1
	global_inv scope:SCOPE_SE
	ds_store_b64 v21, v[60:61]
	ds_store_b64 v22, v[58:59]
	;; [unrolled: 1-line block ×3, first 2 shown]
	v_add_nc_u32_e32 v21, v24, v24
	v_add_nc_u32_e32 v22, v25, v25
	;; [unrolled: 1-line block ×5, first 2 shown]
	ds_store_b64 v21, v[54:55]
	ds_store_b64 v22, v[52:53]
	;; [unrolled: 1-line block ×5, first 2 shown]
	s_wait_loadcnt_dscnt 0x0
	s_barrier_signal -1
	s_barrier_wait -1
	global_inv scope:SCOPE_SE
	ds_load_2addr_b64 v[21:24], v106 offset1:32
	ds_load_2addr_b64 v[25:28], v106 offset0:64 offset1:96
	ds_load_2addr_b64 v[29:32], v106 offset0:128 offset1:160
	;; [unrolled: 1-line block ×3, first 2 shown]
	v_add_nc_u32_e32 v104, 8, v104
	s_add_co_i32 s21, s24, -8
	s_mov_b32 s25, 0
	s_wait_loadcnt_dscnt 0x0
	s_barrier_signal -1
	s_barrier_wait -1
	global_inv scope:SCOPE_SE
	s_branch .LBB136_45
.LBB136_70:
	v_mad_co_u64_u32 v[2:3], null, s28, v37, 0
	v_mov_b32_e32 v16, v1
	v_dual_mov_b32 v6, v1 :: v_dual_mov_b32 v7, v1
	v_dual_mov_b32 v8, v1 :: v_dual_mov_b32 v9, v1
	;; [unrolled: 1-line block ×3, first 2 shown]
	v_mad_co_u64_u32 v[3:4], null, s29, v37, v[3:4]
	v_dual_mov_b32 v4, v1 :: v_dual_mov_b32 v5, v1
	v_dual_mov_b32 v12, v1 :: v_dual_mov_b32 v15, v1
	s_delay_alu instid0(VALU_DEP_3) | instskip(NEXT) | instid1(VALU_DEP_1)
	v_lshlrev_b64_e32 v[2:3], 3, v[2:3]
	v_add_co_u32 v2, vcc_lo, s34, v2
	s_wait_alu 0xfffd
	s_delay_alu instid0(VALU_DEP_2)
	v_add_co_ci_u32_e64 v3, null, s35, v3, vcc_lo
	global_load_b64 v[13:14], v[2:3], off
	v_dual_mov_b32 v2, v1 :: v_dual_mov_b32 v3, v1
	s_or_b32 exec_lo, exec_lo, s0
	s_and_saveexec_b32 s0, s3
	s_cbranch_execz .LBB136_36
.LBB136_71:
	v_mad_co_u64_u32 v[1:2], null, s28, v19, 0
	s_delay_alu instid0(VALU_DEP_1) | instskip(NEXT) | instid1(VALU_DEP_1)
	v_mad_co_u64_u32 v[35:36], null, s29, v19, v[2:3]
	v_mov_b32_e32 v2, v35
	s_delay_alu instid0(VALU_DEP_1) | instskip(NEXT) | instid1(VALU_DEP_1)
	v_lshlrev_b64_e32 v[1:2], 3, v[1:2]
	v_add_co_u32 v1, vcc_lo, s34, v1
	s_wait_alu 0xfffd
	s_delay_alu instid0(VALU_DEP_2)
	v_add_co_ci_u32_e64 v2, null, s35, v2, vcc_lo
	global_load_b64 v[1:2], v[1:2], off
	s_or_b32 exec_lo, exec_lo, s0
	s_and_saveexec_b32 s0, s4
	s_cbranch_execz .LBB136_37
.LBB136_72:
	v_mad_co_u64_u32 v[15:16], null, s28, v20, 0
	s_delay_alu instid0(VALU_DEP_1) | instskip(NEXT) | instid1(VALU_DEP_1)
	v_mad_co_u64_u32 v[19:20], null, s29, v20, v[16:17]
	v_mov_b32_e32 v16, v19
	s_delay_alu instid0(VALU_DEP_1) | instskip(NEXT) | instid1(VALU_DEP_1)
	v_lshlrev_b64_e32 v[15:16], 3, v[15:16]
	v_add_co_u32 v15, vcc_lo, s34, v15
	s_wait_alu 0xfffd
	s_delay_alu instid0(VALU_DEP_2)
	v_add_co_ci_u32_e64 v16, null, s35, v16, vcc_lo
	global_load_b64 v[15:16], v[15:16], off
	s_or_b32 exec_lo, exec_lo, s0
	s_and_saveexec_b32 s0, s5
	s_cbranch_execz .LBB136_38
.LBB136_73:
	v_mad_co_u64_u32 v[3:4], null, s28, v21, 0
	s_delay_alu instid0(VALU_DEP_1) | instskip(NEXT) | instid1(VALU_DEP_1)
	v_mad_co_u64_u32 v[19:20], null, s29, v21, v[4:5]
	v_mov_b32_e32 v4, v19
	s_delay_alu instid0(VALU_DEP_1) | instskip(NEXT) | instid1(VALU_DEP_1)
	v_lshlrev_b64_e32 v[3:4], 3, v[3:4]
	v_add_co_u32 v3, vcc_lo, s34, v3
	s_wait_alu 0xfffd
	s_delay_alu instid0(VALU_DEP_2)
	v_add_co_ci_u32_e64 v4, null, s35, v4, vcc_lo
	global_load_b64 v[3:4], v[3:4], off
	s_or_b32 exec_lo, exec_lo, s0
	s_and_saveexec_b32 s0, s6
	s_cbranch_execz .LBB136_39
.LBB136_74:
	v_mad_co_u64_u32 v[5:6], null, s28, v22, 0
	s_delay_alu instid0(VALU_DEP_1) | instskip(NEXT) | instid1(VALU_DEP_1)
	v_mad_co_u64_u32 v[19:20], null, s29, v22, v[6:7]
	v_mov_b32_e32 v6, v19
	s_delay_alu instid0(VALU_DEP_1) | instskip(NEXT) | instid1(VALU_DEP_1)
	v_lshlrev_b64_e32 v[5:6], 3, v[5:6]
	v_add_co_u32 v5, vcc_lo, s34, v5
	s_wait_alu 0xfffd
	s_delay_alu instid0(VALU_DEP_2)
	v_add_co_ci_u32_e64 v6, null, s35, v6, vcc_lo
	global_load_b64 v[5:6], v[5:6], off
	s_or_b32 exec_lo, exec_lo, s0
	s_and_saveexec_b32 s0, s7
	s_cbranch_execz .LBB136_40
.LBB136_75:
	v_mad_co_u64_u32 v[7:8], null, s28, v23, 0
	s_delay_alu instid0(VALU_DEP_1) | instskip(NEXT) | instid1(VALU_DEP_1)
	v_mad_co_u64_u32 v[19:20], null, s29, v23, v[8:9]
	v_mov_b32_e32 v8, v19
	s_delay_alu instid0(VALU_DEP_1) | instskip(NEXT) | instid1(VALU_DEP_1)
	v_lshlrev_b64_e32 v[7:8], 3, v[7:8]
	v_add_co_u32 v7, vcc_lo, s34, v7
	s_wait_alu 0xfffd
	s_delay_alu instid0(VALU_DEP_2)
	v_add_co_ci_u32_e64 v8, null, s35, v8, vcc_lo
	global_load_b64 v[7:8], v[7:8], off
	s_or_b32 exec_lo, exec_lo, s0
	s_and_saveexec_b32 s0, s8
	s_cbranch_execz .LBB136_41
.LBB136_76:
	v_mad_co_u64_u32 v[9:10], null, s28, v24, 0
	s_delay_alu instid0(VALU_DEP_1) | instskip(NEXT) | instid1(VALU_DEP_1)
	v_mad_co_u64_u32 v[19:20], null, s29, v24, v[10:11]
	v_mov_b32_e32 v10, v19
	s_delay_alu instid0(VALU_DEP_1) | instskip(NEXT) | instid1(VALU_DEP_1)
	v_lshlrev_b64_e32 v[9:10], 3, v[9:10]
	v_add_co_u32 v9, vcc_lo, s34, v9
	s_wait_alu 0xfffd
	s_delay_alu instid0(VALU_DEP_2)
	v_add_co_ci_u32_e64 v10, null, s35, v10, vcc_lo
	global_load_b64 v[9:10], v[9:10], off
	s_or_b32 exec_lo, exec_lo, s0
	s_xor_b32 s0, s15, -1
	s_and_saveexec_b32 s1, s9
	s_cbranch_execnz .LBB136_42
	s_branch .LBB136_43
.LBB136_77:
                                        ; implicit-def: $vgpr49
                                        ; implicit-def: $vgpr47
                                        ; implicit-def: $vgpr48
                                        ; implicit-def: $vgpr36
                                        ; implicit-def: $vgpr46
                                        ; implicit-def: $vgpr34
                                        ; implicit-def: $vgpr35
                                        ; implicit-def: $vgpr33
                                        ; implicit-def: $vgpr19_vgpr20
                                        ; implicit-def: $vgpr23_vgpr24
                                        ; implicit-def: $vgpr27_vgpr28
                                        ; implicit-def: $vgpr31_vgpr32
	s_and_b32 vcc_lo, exec_lo, s11
	s_wait_alu 0xfffe
	s_cbranch_vccnz .LBB136_79
	s_branch .LBB136_106
.LBB136_78:
	v_lshlrev_b32_e32 v17, 2, v123
	v_lshlrev_b32_e32 v18, 2, v122
	;; [unrolled: 1-line block ×3, first 2 shown]
	s_wait_loadcnt 0x0
	s_barrier_signal -1
	s_barrier_wait -1
	global_inv scope:SCOPE_SE
	ds_store_b32 v17, v107
	ds_store_b32 v18, v114
	;; [unrolled: 1-line block ×3, first 2 shown]
	v_lshlrev_b32_e32 v20, 2, v120
	v_add_nc_u32_e32 v17, v17, v17
	v_lshlrev_b32_e32 v21, 2, v119
	v_add_nc_u32_e32 v18, v18, v18
	;; [unrolled: 2-line block ×3, first 2 shown]
	v_lshlrev_b32_e32 v23, 2, v116
	v_lshlrev_b32_e32 v24, 2, v115
	ds_store_b32 v20, v112
	ds_store_b32 v21, v111
	;; [unrolled: 1-line block ×5, first 2 shown]
	s_wait_loadcnt_dscnt 0x0
	s_barrier_signal -1
	s_barrier_wait -1
	global_inv scope:SCOPE_SE
	ds_load_b128 v[62:65], v88
	ds_load_b128 v[66:69], v88 offset:16
	s_wait_loadcnt_dscnt 0x0
	s_barrier_signal -1
	s_barrier_wait -1
	global_inv scope:SCOPE_SE
	ds_store_b64 v17, v[60:61]
	ds_store_b64 v18, v[58:59]
	;; [unrolled: 1-line block ×3, first 2 shown]
	v_add_nc_u32_e32 v17, v20, v20
	v_add_nc_u32_e32 v18, v21, v21
	;; [unrolled: 1-line block ×5, first 2 shown]
	ds_store_b64 v17, v[54:55]
	ds_store_b64 v18, v[52:53]
	;; [unrolled: 1-line block ×5, first 2 shown]
	v_lshl_add_u32 v17, v37, 5, v88
	s_wait_loadcnt_dscnt 0x0
	s_barrier_signal -1
	s_barrier_wait -1
	global_inv scope:SCOPE_SE
	ds_load_b128 v[29:32], v17
	ds_load_b128 v[25:28], v17 offset:16
	ds_load_b128 v[21:24], v17 offset:32
	;; [unrolled: 1-line block ×3, first 2 shown]
	v_xor_b32_e32 v33, 0x80000000, v62
	v_xor_b32_e32 v35, 0x80000000, v63
	;; [unrolled: 1-line block ×8, first 2 shown]
	s_branch .LBB136_106
.LBB136_79:
	s_wait_dscnt 0x0
	v_xor_b32_e32 v17, 0x7fffffff, v44
	v_xor_b32_e32 v18, 0x7fffffff, v45
	v_xor_b32_e32 v19, 0x7fffffff, v42
	v_xor_b32_e32 v20, 0x7fffffff, v43
	v_xor_b32_e32 v21, 0x7fffffff, v40
	v_xor_b32_e32 v22, 0x7fffffff, v41
	v_xor_b32_e32 v23, 0x7fffffff, v38
	v_xor_b32_e32 v24, 0x7fffffff, v39
	ds_store_b128 v100, v[17:20]
	ds_store_b128 v100, v[21:24] offset:16
	v_lshl_add_u32 v17, v99, 2, v100
	; wave barrier
	ds_load_2addr_b32 v[38:39], v89 offset1:32
	ds_load_2addr_b32 v[40:41], v89 offset0:64 offset1:96
	ds_load_2addr_b32 v[42:43], v89 offset0:128 offset1:160
	ds_load_2addr_b32 v[44:45], v89 offset0:192 offset1:224
	s_wait_loadcnt_dscnt 0x0
	s_barrier_signal -1
	s_barrier_wait -1
	global_inv scope:SCOPE_SE
	ds_store_b128 v17, v[5:8]
	ds_store_b128 v17, v[1:4] offset:16
	ds_store_b128 v17, v[13:16] offset:32
	;; [unrolled: 1-line block ×3, first 2 shown]
	; wave barrier
	ds_load_2addr_b64 v[4:7], v98 offset1:32
	ds_load_2addr_b64 v[8:11], v98 offset0:64 offset1:96
	ds_load_2addr_b64 v[12:15], v98 offset0:128 offset1:160
	;; [unrolled: 1-line block ×3, first 2 shown]
	s_wait_loadcnt_dscnt 0x0
	s_barrier_signal -1
	s_barrier_wait -1
	global_inv scope:SCOPE_SE
	s_load_b32 s10, s[36:37], 0xc
	s_getpc_b64 s[0:1]
	s_sext_i32_i16 s1, s1
	s_add_co_u32 s0, s0, _ZN7rocprim17ROCPRIM_400000_NS16block_radix_sortIiLj256ELj8ElLj1ELj1ELj0ELNS0_26block_radix_rank_algorithmE1ELNS0_18block_padding_hintE2ELNS0_4arch9wavefront6targetE0EE19radix_bits_per_passE@rel32@lo+8
	s_add_co_ci_u32 s1, s1, _ZN7rocprim17ROCPRIM_400000_NS16block_radix_sortIiLj256ELj8ElLj1ELj1ELj0ELNS0_26block_radix_rank_algorithmE1ELNS0_18block_padding_hintE2ELNS0_4arch9wavefront6targetE0EE19radix_bits_per_passE@rel32@hi+16
	v_or_b32_e32 v3, 31, v95
	s_load_b32 s24, s[0:1], 0x0
	s_mov_b32 s36, 0
	v_cmp_eq_u32_e64 s18, 0, v0
	s_mov_b32 s37, s36
	s_mov_b32 s38, s36
	;; [unrolled: 1-line block ×3, first 2 shown]
	v_cmp_eq_u32_e64 s14, v37, v3
	v_cmp_lt_u32_e64 s19, 1, v0
	v_cmp_lt_u32_e64 s20, 3, v0
	;; [unrolled: 1-line block ×3, first 2 shown]
	v_cmp_eq_u32_e64 s13, 0, v93
	v_cmp_gt_u32_e64 s15, 8, v37
	v_cmp_lt_u32_e64 s16, 31, v37
	v_cmp_eq_u32_e64 s17, 0, v37
	v_add_nc_u32_e32 v46, -4, v90
	v_dual_mov_b32 v48, 0 :: v_dual_add_nc_u32 v49, v88, v92
	s_wait_kmcnt 0x0
	s_lshr_b32 s11, s10, 16
	s_and_b32 s0, s10, 0xffff
	s_wait_alu 0xfffe
	v_mad_u32_u24 v1, v97, s11, v96
	v_cmp_lt_u32_e64 s10, 1, v94
	v_cmp_lt_u32_e64 s11, 3, v94
	v_add_nc_u32_e32 v50, v89, v89
	s_mov_b32 s25, 32
	v_mad_co_u64_u32 v[1:2], null, v1, s0, v[37:38]
	v_sub_co_u32 v2, s1, v91, 1
	v_cmp_eq_u32_e64 s0, 0, v94
	s_delay_alu instid0(VALU_DEP_2) | instskip(NEXT) | instid1(VALU_DEP_4)
	v_cmp_gt_i32_e32 vcc_lo, 0, v2
	v_lshrrev_b32_e32 v1, 3, v1
	s_wait_alu 0xfffd
	s_delay_alu instid0(VALU_DEP_1) | instskip(NEXT) | instid1(VALU_DEP_1)
	v_dual_cndmask_b32 v2, v2, v91 :: v_dual_and_b32 v47, 0x1ffffffc, v1
	v_lshlrev_b32_e32 v36, 2, v2
	v_dual_mov_b32 v0, s36 :: v_dual_mov_b32 v1, s37
	v_dual_mov_b32 v2, s38 :: v_dual_mov_b32 v3, s39
	s_branch .LBB136_81
.LBB136_80:                             ;   in Loop: Header=BB136_81 Depth=1
	s_wait_alu 0xfffe
	s_and_not1_b32 vcc_lo, exec_lo, s26
	s_mov_b32 s25, s21
	s_wait_alu 0xfffe
	s_cbranch_vccz .LBB136_105
.LBB136_81:                             ; =>This Inner Loop Header: Depth=1
	s_min_u32 s21, s24, s25
	v_dual_mov_b32 v52, v45 :: v_dual_mov_b32 v53, v44
	s_wait_alu 0xfffe
	s_lshl_b32 s21, -1, s21
	ds_store_b128 v88, v[0:3] offset:32
	ds_store_b128 v88, v[0:3] offset:48
	s_wait_alu 0xfffe
	s_not_b32 s26, s21
	v_mov_b32_e32 v51, v38
	s_wait_loadcnt_dscnt 0x0
	s_barrier_signal -1
	s_barrier_wait -1
	global_inv scope:SCOPE_SE
	v_lshrrev_b32_e32 v20, v48, v51
	; wave barrier
	v_mov_b32_e32 v55, v42
	s_wait_alu 0xfffe
	s_delay_alu instid0(VALU_DEP_2) | instskip(SKIP_3) | instid1(VALU_DEP_4)
	v_dual_mov_b32 v57, v40 :: v_dual_and_b32 v38, s26, v20
	v_mov_b32_e32 v54, v43
	v_mov_b32_e32 v56, v41
	v_dual_mov_b32 v58, v39 :: v_dual_mov_b32 v31, v9
	v_and_b32_e32 v20, 1, v38
	v_lshlrev_b32_e32 v21, 30, v38
	v_lshlrev_b32_e32 v22, 29, v38
	;; [unrolled: 1-line block ×4, first 2 shown]
	v_add_co_u32 v20, s21, v20, -1
	s_wait_alu 0xf1ff
	v_cndmask_b32_e64 v24, 0, 1, s21
	v_not_b32_e32 v28, v21
	v_cmp_gt_i32_e64 s21, 0, v21
	v_not_b32_e32 v21, v22
	v_lshlrev_b32_e32 v26, 26, v38
	v_cmp_ne_u32_e32 vcc_lo, 0, v24
	v_ashrrev_i32_e32 v28, 31, v28
	v_lshlrev_b32_e32 v27, 25, v38
	v_ashrrev_i32_e32 v21, 31, v21
	v_lshlrev_b32_e32 v24, 24, v38
	s_wait_alu 0xfffd
	v_xor_b32_e32 v20, vcc_lo, v20
	v_cmp_gt_i32_e32 vcc_lo, 0, v22
	v_not_b32_e32 v22, v23
	s_wait_alu 0xf1ff
	v_xor_b32_e32 v28, s21, v28
	v_cmp_gt_i32_e64 s21, 0, v23
	v_and_b32_e32 v20, exec_lo, v20
	v_not_b32_e32 v23, v25
	v_ashrrev_i32_e32 v22, 31, v22
	s_wait_alu 0xfffd
	v_xor_b32_e32 v21, vcc_lo, v21
	v_cmp_gt_i32_e32 vcc_lo, 0, v25
	v_and_b32_e32 v20, v20, v28
	v_not_b32_e32 v25, v26
	v_ashrrev_i32_e32 v23, 31, v23
	s_wait_alu 0xf1ff
	v_xor_b32_e32 v22, s21, v22
	v_cmp_gt_i32_e64 s21, 0, v26
	v_and_b32_e32 v20, v20, v21
	v_not_b32_e32 v21, v27
	v_ashrrev_i32_e32 v25, 31, v25
	s_wait_alu 0xfffd
	v_xor_b32_e32 v23, vcc_lo, v23
	v_cmp_gt_i32_e32 vcc_lo, 0, v27
	v_and_b32_e32 v20, v20, v22
	v_not_b32_e32 v22, v24
	v_ashrrev_i32_e32 v21, 31, v21
	s_wait_alu 0xf1ff
	v_xor_b32_e32 v25, s21, v25
	v_cmp_gt_i32_e64 s21, 0, v24
	v_dual_mov_b32 v33, v7 :: v_dual_and_b32 v20, v20, v23
	v_ashrrev_i32_e32 v22, 31, v22
	s_wait_alu 0xfffd
	v_xor_b32_e32 v21, vcc_lo, v21
	s_delay_alu instid0(VALU_DEP_3)
	v_dual_mov_b32 v35, v5 :: v_dual_and_b32 v20, v20, v25
	v_mov_b32_e32 v25, v15
	s_wait_alu 0xf1ff
	v_xor_b32_e32 v28, s21, v22
	v_dual_mov_b32 v24, v14 :: v_dual_mov_b32 v27, v13
	v_and_b32_e32 v29, v20, v21
	v_mov_b32_e32 v26, v12
	v_mov_b32_e32 v34, v4
	v_dual_mov_b32 v21, v19 :: v_dual_lshlrev_b32 v4, 5, v38
	s_delay_alu instid0(VALU_DEP_4) | instskip(SKIP_2) | instid1(VALU_DEP_4)
	v_and_b32_e32 v14, v29, v28
	v_mov_b32_e32 v23, v17
	v_dual_mov_b32 v29, v11 :: v_dual_mov_b32 v20, v18
	v_dual_mov_b32 v22, v16 :: v_dual_add_nc_u32 v13, v47, v4
	s_delay_alu instid0(VALU_DEP_4)
	v_mbcnt_lo_u32_b32 v12, v14, 0
	v_cmp_ne_u32_e64 s21, 0, v14
	v_mov_b32_e32 v28, v10
	v_mov_b32_e32 v30, v8
	;; [unrolled: 1-line block ×3, first 2 shown]
	v_cmp_eq_u32_e32 vcc_lo, 0, v12
	s_and_b32 s27, s21, vcc_lo
	s_wait_alu 0xfffe
	s_and_saveexec_b32 s21, s27
; %bb.82:                               ;   in Loop: Header=BB136_81 Depth=1
	v_bcnt_u32_b32 v4, v14, 0
	ds_store_b32 v13, v4 offset:32
; %bb.83:                               ;   in Loop: Header=BB136_81 Depth=1
	s_wait_alu 0xfffe
	s_or_b32 exec_lo, exec_lo, s21
	v_lshrrev_b32_e32 v4, v48, v58
	; wave barrier
	s_delay_alu instid0(VALU_DEP_1) | instskip(NEXT) | instid1(VALU_DEP_1)
	v_and_b32_e32 v4, s26, v4
	v_and_b32_e32 v5, 1, v4
	v_lshlrev_b32_e32 v6, 30, v4
	v_lshlrev_b32_e32 v7, 29, v4
	;; [unrolled: 1-line block ×4, first 2 shown]
	v_add_co_u32 v5, s21, v5, -1
	s_wait_alu 0xf1ff
	v_cndmask_b32_e64 v9, 0, 1, s21
	v_not_b32_e32 v15, v6
	v_cmp_gt_i32_e64 s21, 0, v6
	v_not_b32_e32 v6, v7
	v_lshlrev_b32_e32 v11, 26, v4
	v_cmp_ne_u32_e32 vcc_lo, 0, v9
	v_ashrrev_i32_e32 v15, 31, v15
	v_lshlrev_b32_e32 v14, 25, v4
	v_ashrrev_i32_e32 v6, 31, v6
	v_lshlrev_b32_e32 v9, 24, v4
	s_wait_alu 0xfffd
	v_xor_b32_e32 v5, vcc_lo, v5
	v_cmp_gt_i32_e32 vcc_lo, 0, v7
	v_not_b32_e32 v7, v8
	s_wait_alu 0xf1ff
	v_xor_b32_e32 v15, s21, v15
	v_cmp_gt_i32_e64 s21, 0, v8
	v_and_b32_e32 v5, exec_lo, v5
	v_not_b32_e32 v8, v10
	v_ashrrev_i32_e32 v7, 31, v7
	s_wait_alu 0xfffd
	v_xor_b32_e32 v6, vcc_lo, v6
	v_cmp_gt_i32_e32 vcc_lo, 0, v10
	v_and_b32_e32 v5, v5, v15
	v_not_b32_e32 v10, v11
	v_ashrrev_i32_e32 v8, 31, v8
	s_wait_alu 0xf1ff
	v_xor_b32_e32 v7, s21, v7
	v_cmp_gt_i32_e64 s21, 0, v11
	v_and_b32_e32 v5, v5, v6
	v_not_b32_e32 v6, v14
	v_ashrrev_i32_e32 v10, 31, v10
	s_wait_alu 0xfffd
	v_xor_b32_e32 v8, vcc_lo, v8
	v_cmp_gt_i32_e32 vcc_lo, 0, v14
	v_and_b32_e32 v5, v5, v7
	v_not_b32_e32 v7, v9
	v_ashrrev_i32_e32 v6, 31, v6
	s_wait_alu 0xf1ff
	v_xor_b32_e32 v10, s21, v10
	v_lshlrev_b32_e32 v4, 5, v4
	v_and_b32_e32 v5, v5, v8
	v_cmp_gt_i32_e64 s21, 0, v9
	v_ashrrev_i32_e32 v7, 31, v7
	s_wait_alu 0xfffd
	v_xor_b32_e32 v6, vcc_lo, v6
	v_add_nc_u32_e32 v16, v47, v4
	v_and_b32_e32 v5, v5, v10
	s_wait_alu 0xf1ff
	v_xor_b32_e32 v4, s21, v7
	ds_load_b32 v14, v16 offset:32
	v_and_b32_e32 v5, v5, v6
	; wave barrier
	s_delay_alu instid0(VALU_DEP_1) | instskip(NEXT) | instid1(VALU_DEP_1)
	v_and_b32_e32 v4, v5, v4
	v_mbcnt_lo_u32_b32 v15, v4, 0
	v_cmp_ne_u32_e64 s21, 0, v4
	s_delay_alu instid0(VALU_DEP_2)
	v_cmp_eq_u32_e32 vcc_lo, 0, v15
	s_and_b32 s27, s21, vcc_lo
	s_wait_alu 0xfffe
	s_and_saveexec_b32 s21, s27
	s_cbranch_execz .LBB136_85
; %bb.84:                               ;   in Loop: Header=BB136_81 Depth=1
	s_wait_dscnt 0x0
	v_bcnt_u32_b32 v4, v4, v14
	ds_store_b32 v16, v4 offset:32
.LBB136_85:                             ;   in Loop: Header=BB136_81 Depth=1
	s_wait_alu 0xfffe
	s_or_b32 exec_lo, exec_lo, s21
	v_lshrrev_b32_e32 v4, v48, v57
	; wave barrier
	s_delay_alu instid0(VALU_DEP_1) | instskip(NEXT) | instid1(VALU_DEP_1)
	v_and_b32_e32 v4, s26, v4
	v_and_b32_e32 v5, 1, v4
	v_lshlrev_b32_e32 v6, 30, v4
	v_lshlrev_b32_e32 v7, 29, v4
	;; [unrolled: 1-line block ×4, first 2 shown]
	v_add_co_u32 v5, s21, v5, -1
	s_wait_alu 0xf1ff
	v_cndmask_b32_e64 v9, 0, 1, s21
	v_not_b32_e32 v18, v6
	v_cmp_gt_i32_e64 s21, 0, v6
	v_not_b32_e32 v6, v7
	v_lshlrev_b32_e32 v11, 26, v4
	v_cmp_ne_u32_e32 vcc_lo, 0, v9
	v_ashrrev_i32_e32 v18, 31, v18
	v_lshlrev_b32_e32 v17, 25, v4
	v_ashrrev_i32_e32 v6, 31, v6
	v_lshlrev_b32_e32 v9, 24, v4
	s_wait_alu 0xfffd
	v_xor_b32_e32 v5, vcc_lo, v5
	v_cmp_gt_i32_e32 vcc_lo, 0, v7
	v_not_b32_e32 v7, v8
	s_wait_alu 0xf1ff
	v_xor_b32_e32 v18, s21, v18
	v_cmp_gt_i32_e64 s21, 0, v8
	v_and_b32_e32 v5, exec_lo, v5
	v_not_b32_e32 v8, v10
	v_ashrrev_i32_e32 v7, 31, v7
	s_wait_alu 0xfffd
	v_xor_b32_e32 v6, vcc_lo, v6
	v_cmp_gt_i32_e32 vcc_lo, 0, v10
	v_and_b32_e32 v5, v5, v18
	v_not_b32_e32 v10, v11
	v_ashrrev_i32_e32 v8, 31, v8
	s_wait_alu 0xf1ff
	v_xor_b32_e32 v7, s21, v7
	v_cmp_gt_i32_e64 s21, 0, v11
	v_and_b32_e32 v5, v5, v6
	v_not_b32_e32 v6, v17
	v_ashrrev_i32_e32 v10, 31, v10
	s_wait_alu 0xfffd
	v_xor_b32_e32 v8, vcc_lo, v8
	v_cmp_gt_i32_e32 vcc_lo, 0, v17
	v_and_b32_e32 v5, v5, v7
	v_not_b32_e32 v7, v9
	v_ashrrev_i32_e32 v6, 31, v6
	s_wait_alu 0xf1ff
	v_xor_b32_e32 v10, s21, v10
	v_lshlrev_b32_e32 v4, 5, v4
	v_and_b32_e32 v5, v5, v8
	v_cmp_gt_i32_e64 s21, 0, v9
	v_ashrrev_i32_e32 v7, 31, v7
	s_wait_alu 0xfffd
	v_xor_b32_e32 v6, vcc_lo, v6
	v_add_nc_u32_e32 v19, v47, v4
	v_and_b32_e32 v5, v5, v10
	s_wait_alu 0xf1ff
	v_xor_b32_e32 v4, s21, v7
	ds_load_b32 v17, v19 offset:32
	v_and_b32_e32 v5, v5, v6
	; wave barrier
	s_delay_alu instid0(VALU_DEP_1) | instskip(NEXT) | instid1(VALU_DEP_1)
	v_and_b32_e32 v4, v5, v4
	v_mbcnt_lo_u32_b32 v18, v4, 0
	v_cmp_ne_u32_e64 s21, 0, v4
	s_delay_alu instid0(VALU_DEP_2)
	v_cmp_eq_u32_e32 vcc_lo, 0, v18
	s_and_b32 s27, s21, vcc_lo
	s_wait_alu 0xfffe
	s_and_saveexec_b32 s21, s27
	s_cbranch_execz .LBB136_87
; %bb.86:                               ;   in Loop: Header=BB136_81 Depth=1
	s_wait_dscnt 0x0
	v_bcnt_u32_b32 v4, v4, v17
	ds_store_b32 v19, v4 offset:32
.LBB136_87:                             ;   in Loop: Header=BB136_81 Depth=1
	s_wait_alu 0xfffe
	s_or_b32 exec_lo, exec_lo, s21
	v_lshrrev_b32_e32 v4, v48, v56
	; wave barrier
	s_delay_alu instid0(VALU_DEP_1) | instskip(NEXT) | instid1(VALU_DEP_1)
	v_and_b32_e32 v4, s26, v4
	v_and_b32_e32 v5, 1, v4
	v_lshlrev_b32_e32 v6, 30, v4
	v_lshlrev_b32_e32 v7, 29, v4
	;; [unrolled: 1-line block ×4, first 2 shown]
	v_add_co_u32 v5, s21, v5, -1
	s_wait_alu 0xf1ff
	v_cndmask_b32_e64 v9, 0, 1, s21
	v_not_b32_e32 v39, v6
	v_cmp_gt_i32_e64 s21, 0, v6
	v_not_b32_e32 v6, v7
	v_lshlrev_b32_e32 v11, 26, v4
	v_cmp_ne_u32_e32 vcc_lo, 0, v9
	v_ashrrev_i32_e32 v39, 31, v39
	v_lshlrev_b32_e32 v38, 25, v4
	v_ashrrev_i32_e32 v6, 31, v6
	v_lshlrev_b32_e32 v9, 24, v4
	s_wait_alu 0xfffd
	v_xor_b32_e32 v5, vcc_lo, v5
	v_cmp_gt_i32_e32 vcc_lo, 0, v7
	v_not_b32_e32 v7, v8
	s_wait_alu 0xf1ff
	v_xor_b32_e32 v39, s21, v39
	v_cmp_gt_i32_e64 s21, 0, v8
	v_and_b32_e32 v5, exec_lo, v5
	v_not_b32_e32 v8, v10
	v_ashrrev_i32_e32 v7, 31, v7
	s_wait_alu 0xfffd
	v_xor_b32_e32 v6, vcc_lo, v6
	v_cmp_gt_i32_e32 vcc_lo, 0, v10
	v_and_b32_e32 v5, v5, v39
	v_not_b32_e32 v10, v11
	v_ashrrev_i32_e32 v8, 31, v8
	s_wait_alu 0xf1ff
	v_xor_b32_e32 v7, s21, v7
	v_cmp_gt_i32_e64 s21, 0, v11
	v_and_b32_e32 v5, v5, v6
	v_not_b32_e32 v6, v38
	v_ashrrev_i32_e32 v10, 31, v10
	s_wait_alu 0xfffd
	v_xor_b32_e32 v8, vcc_lo, v8
	v_cmp_gt_i32_e32 vcc_lo, 0, v38
	v_and_b32_e32 v5, v5, v7
	v_not_b32_e32 v7, v9
	v_ashrrev_i32_e32 v6, 31, v6
	s_wait_alu 0xf1ff
	v_xor_b32_e32 v10, s21, v10
	v_lshlrev_b32_e32 v4, 5, v4
	v_and_b32_e32 v5, v5, v8
	v_cmp_gt_i32_e64 s21, 0, v9
	v_ashrrev_i32_e32 v7, 31, v7
	s_wait_alu 0xfffd
	v_xor_b32_e32 v6, vcc_lo, v6
	v_add_nc_u32_e32 v40, v47, v4
	v_and_b32_e32 v5, v5, v10
	s_wait_alu 0xf1ff
	v_xor_b32_e32 v4, s21, v7
	ds_load_b32 v38, v40 offset:32
	v_and_b32_e32 v5, v5, v6
	; wave barrier
	s_delay_alu instid0(VALU_DEP_1) | instskip(NEXT) | instid1(VALU_DEP_1)
	v_and_b32_e32 v4, v5, v4
	v_mbcnt_lo_u32_b32 v39, v4, 0
	v_cmp_ne_u32_e64 s21, 0, v4
	s_delay_alu instid0(VALU_DEP_2)
	v_cmp_eq_u32_e32 vcc_lo, 0, v39
	s_and_b32 s27, s21, vcc_lo
	s_wait_alu 0xfffe
	s_and_saveexec_b32 s21, s27
	s_cbranch_execz .LBB136_89
; %bb.88:                               ;   in Loop: Header=BB136_81 Depth=1
	s_wait_dscnt 0x0
	v_bcnt_u32_b32 v4, v4, v38
	ds_store_b32 v40, v4 offset:32
.LBB136_89:                             ;   in Loop: Header=BB136_81 Depth=1
	s_wait_alu 0xfffe
	s_or_b32 exec_lo, exec_lo, s21
	v_lshrrev_b32_e32 v4, v48, v55
	; wave barrier
	s_delay_alu instid0(VALU_DEP_1) | instskip(NEXT) | instid1(VALU_DEP_1)
	v_and_b32_e32 v4, s26, v4
	v_and_b32_e32 v5, 1, v4
	v_lshlrev_b32_e32 v6, 30, v4
	v_lshlrev_b32_e32 v7, 29, v4
	;; [unrolled: 1-line block ×4, first 2 shown]
	v_add_co_u32 v5, s21, v5, -1
	s_wait_alu 0xf1ff
	v_cndmask_b32_e64 v9, 0, 1, s21
	v_not_b32_e32 v42, v6
	v_cmp_gt_i32_e64 s21, 0, v6
	v_not_b32_e32 v6, v7
	v_lshlrev_b32_e32 v11, 26, v4
	v_cmp_ne_u32_e32 vcc_lo, 0, v9
	v_ashrrev_i32_e32 v42, 31, v42
	v_lshlrev_b32_e32 v41, 25, v4
	v_ashrrev_i32_e32 v6, 31, v6
	v_lshlrev_b32_e32 v9, 24, v4
	s_wait_alu 0xfffd
	v_xor_b32_e32 v5, vcc_lo, v5
	v_cmp_gt_i32_e32 vcc_lo, 0, v7
	v_not_b32_e32 v7, v8
	s_wait_alu 0xf1ff
	v_xor_b32_e32 v42, s21, v42
	v_cmp_gt_i32_e64 s21, 0, v8
	v_and_b32_e32 v5, exec_lo, v5
	v_not_b32_e32 v8, v10
	v_ashrrev_i32_e32 v7, 31, v7
	s_wait_alu 0xfffd
	v_xor_b32_e32 v6, vcc_lo, v6
	v_cmp_gt_i32_e32 vcc_lo, 0, v10
	v_and_b32_e32 v5, v5, v42
	v_not_b32_e32 v10, v11
	v_ashrrev_i32_e32 v8, 31, v8
	s_wait_alu 0xf1ff
	v_xor_b32_e32 v7, s21, v7
	v_cmp_gt_i32_e64 s21, 0, v11
	v_and_b32_e32 v5, v5, v6
	v_not_b32_e32 v6, v41
	v_ashrrev_i32_e32 v10, 31, v10
	s_wait_alu 0xfffd
	v_xor_b32_e32 v8, vcc_lo, v8
	v_cmp_gt_i32_e32 vcc_lo, 0, v41
	v_and_b32_e32 v5, v5, v7
	v_not_b32_e32 v7, v9
	v_ashrrev_i32_e32 v6, 31, v6
	s_wait_alu 0xf1ff
	v_xor_b32_e32 v10, s21, v10
	v_lshlrev_b32_e32 v4, 5, v4
	v_and_b32_e32 v5, v5, v8
	v_cmp_gt_i32_e64 s21, 0, v9
	v_ashrrev_i32_e32 v7, 31, v7
	s_wait_alu 0xfffd
	v_xor_b32_e32 v6, vcc_lo, v6
	v_add_nc_u32_e32 v43, v47, v4
	v_and_b32_e32 v5, v5, v10
	s_wait_alu 0xf1ff
	v_xor_b32_e32 v4, s21, v7
	ds_load_b32 v41, v43 offset:32
	v_and_b32_e32 v5, v5, v6
	; wave barrier
	s_delay_alu instid0(VALU_DEP_1) | instskip(NEXT) | instid1(VALU_DEP_1)
	v_and_b32_e32 v4, v5, v4
	v_mbcnt_lo_u32_b32 v42, v4, 0
	v_cmp_ne_u32_e64 s21, 0, v4
	s_delay_alu instid0(VALU_DEP_2)
	v_cmp_eq_u32_e32 vcc_lo, 0, v42
	s_and_b32 s27, s21, vcc_lo
	s_wait_alu 0xfffe
	s_and_saveexec_b32 s21, s27
	s_cbranch_execz .LBB136_91
; %bb.90:                               ;   in Loop: Header=BB136_81 Depth=1
	s_wait_dscnt 0x0
	v_bcnt_u32_b32 v4, v4, v41
	ds_store_b32 v43, v4 offset:32
.LBB136_91:                             ;   in Loop: Header=BB136_81 Depth=1
	s_wait_alu 0xfffe
	s_or_b32 exec_lo, exec_lo, s21
	v_lshrrev_b32_e32 v4, v48, v54
	; wave barrier
	s_delay_alu instid0(VALU_DEP_1) | instskip(NEXT) | instid1(VALU_DEP_1)
	v_and_b32_e32 v4, s26, v4
	v_and_b32_e32 v5, 1, v4
	v_lshlrev_b32_e32 v6, 30, v4
	v_lshlrev_b32_e32 v7, 29, v4
	;; [unrolled: 1-line block ×4, first 2 shown]
	v_add_co_u32 v5, s21, v5, -1
	s_wait_alu 0xf1ff
	v_cndmask_b32_e64 v9, 0, 1, s21
	v_not_b32_e32 v45, v6
	v_cmp_gt_i32_e64 s21, 0, v6
	v_not_b32_e32 v6, v7
	v_lshlrev_b32_e32 v11, 26, v4
	v_cmp_ne_u32_e32 vcc_lo, 0, v9
	v_ashrrev_i32_e32 v45, 31, v45
	v_lshlrev_b32_e32 v44, 25, v4
	v_ashrrev_i32_e32 v6, 31, v6
	v_lshlrev_b32_e32 v9, 24, v4
	s_wait_alu 0xfffd
	v_xor_b32_e32 v5, vcc_lo, v5
	v_cmp_gt_i32_e32 vcc_lo, 0, v7
	v_not_b32_e32 v7, v8
	s_wait_alu 0xf1ff
	v_xor_b32_e32 v45, s21, v45
	v_cmp_gt_i32_e64 s21, 0, v8
	v_and_b32_e32 v5, exec_lo, v5
	v_not_b32_e32 v8, v10
	v_ashrrev_i32_e32 v7, 31, v7
	s_wait_alu 0xfffd
	v_xor_b32_e32 v6, vcc_lo, v6
	v_cmp_gt_i32_e32 vcc_lo, 0, v10
	v_and_b32_e32 v5, v5, v45
	v_not_b32_e32 v10, v11
	v_ashrrev_i32_e32 v8, 31, v8
	s_wait_alu 0xf1ff
	v_xor_b32_e32 v7, s21, v7
	v_cmp_gt_i32_e64 s21, 0, v11
	v_and_b32_e32 v5, v5, v6
	v_not_b32_e32 v6, v44
	v_ashrrev_i32_e32 v10, 31, v10
	s_wait_alu 0xfffd
	v_xor_b32_e32 v8, vcc_lo, v8
	v_cmp_gt_i32_e32 vcc_lo, 0, v44
	v_and_b32_e32 v5, v5, v7
	v_not_b32_e32 v7, v9
	v_ashrrev_i32_e32 v6, 31, v6
	s_wait_alu 0xf1ff
	v_xor_b32_e32 v10, s21, v10
	v_lshlrev_b32_e32 v4, 5, v4
	v_and_b32_e32 v5, v5, v8
	v_cmp_gt_i32_e64 s21, 0, v9
	v_ashrrev_i32_e32 v7, 31, v7
	s_wait_alu 0xfffd
	v_xor_b32_e32 v6, vcc_lo, v6
	v_add_nc_u32_e32 v59, v47, v4
	v_and_b32_e32 v5, v5, v10
	s_wait_alu 0xf1ff
	v_xor_b32_e32 v4, s21, v7
	ds_load_b32 v44, v59 offset:32
	v_and_b32_e32 v5, v5, v6
	; wave barrier
	s_delay_alu instid0(VALU_DEP_1) | instskip(NEXT) | instid1(VALU_DEP_1)
	v_and_b32_e32 v4, v5, v4
	v_mbcnt_lo_u32_b32 v45, v4, 0
	v_cmp_ne_u32_e64 s21, 0, v4
	s_delay_alu instid0(VALU_DEP_2)
	v_cmp_eq_u32_e32 vcc_lo, 0, v45
	s_and_b32 s27, s21, vcc_lo
	s_wait_alu 0xfffe
	s_and_saveexec_b32 s21, s27
	s_cbranch_execz .LBB136_93
; %bb.92:                               ;   in Loop: Header=BB136_81 Depth=1
	s_wait_dscnt 0x0
	v_bcnt_u32_b32 v4, v4, v44
	ds_store_b32 v59, v4 offset:32
.LBB136_93:                             ;   in Loop: Header=BB136_81 Depth=1
	s_wait_alu 0xfffe
	s_or_b32 exec_lo, exec_lo, s21
	v_lshrrev_b32_e32 v4, v48, v53
	; wave barrier
	s_delay_alu instid0(VALU_DEP_1) | instskip(NEXT) | instid1(VALU_DEP_1)
	v_and_b32_e32 v4, s26, v4
	v_and_b32_e32 v5, 1, v4
	v_lshlrev_b32_e32 v6, 30, v4
	v_lshlrev_b32_e32 v7, 29, v4
	;; [unrolled: 1-line block ×4, first 2 shown]
	v_add_co_u32 v5, s21, v5, -1
	s_wait_alu 0xf1ff
	v_cndmask_b32_e64 v9, 0, 1, s21
	v_not_b32_e32 v61, v6
	v_cmp_gt_i32_e64 s21, 0, v6
	v_not_b32_e32 v6, v7
	v_lshlrev_b32_e32 v11, 26, v4
	v_cmp_ne_u32_e32 vcc_lo, 0, v9
	v_ashrrev_i32_e32 v61, 31, v61
	v_lshlrev_b32_e32 v60, 25, v4
	v_ashrrev_i32_e32 v6, 31, v6
	v_lshlrev_b32_e32 v9, 24, v4
	s_wait_alu 0xfffd
	v_xor_b32_e32 v5, vcc_lo, v5
	v_cmp_gt_i32_e32 vcc_lo, 0, v7
	v_not_b32_e32 v7, v8
	s_wait_alu 0xf1ff
	v_xor_b32_e32 v61, s21, v61
	v_cmp_gt_i32_e64 s21, 0, v8
	v_and_b32_e32 v5, exec_lo, v5
	v_not_b32_e32 v8, v10
	v_ashrrev_i32_e32 v7, 31, v7
	s_wait_alu 0xfffd
	v_xor_b32_e32 v6, vcc_lo, v6
	v_cmp_gt_i32_e32 vcc_lo, 0, v10
	v_and_b32_e32 v5, v5, v61
	v_not_b32_e32 v10, v11
	v_ashrrev_i32_e32 v8, 31, v8
	s_wait_alu 0xf1ff
	v_xor_b32_e32 v7, s21, v7
	v_cmp_gt_i32_e64 s21, 0, v11
	v_and_b32_e32 v5, v5, v6
	v_not_b32_e32 v6, v60
	v_ashrrev_i32_e32 v10, 31, v10
	s_wait_alu 0xfffd
	v_xor_b32_e32 v8, vcc_lo, v8
	v_cmp_gt_i32_e32 vcc_lo, 0, v60
	v_and_b32_e32 v5, v5, v7
	v_not_b32_e32 v7, v9
	v_ashrrev_i32_e32 v6, 31, v6
	s_wait_alu 0xf1ff
	v_xor_b32_e32 v10, s21, v10
	v_lshlrev_b32_e32 v4, 5, v4
	v_and_b32_e32 v5, v5, v8
	v_cmp_gt_i32_e64 s21, 0, v9
	v_ashrrev_i32_e32 v7, 31, v7
	s_wait_alu 0xfffd
	v_xor_b32_e32 v6, vcc_lo, v6
	v_add_nc_u32_e32 v62, v47, v4
	v_and_b32_e32 v5, v5, v10
	s_wait_alu 0xf1ff
	v_xor_b32_e32 v4, s21, v7
	ds_load_b32 v60, v62 offset:32
	v_and_b32_e32 v5, v5, v6
	; wave barrier
	s_delay_alu instid0(VALU_DEP_1) | instskip(NEXT) | instid1(VALU_DEP_1)
	v_and_b32_e32 v4, v5, v4
	v_mbcnt_lo_u32_b32 v61, v4, 0
	v_cmp_ne_u32_e64 s21, 0, v4
	s_delay_alu instid0(VALU_DEP_2)
	v_cmp_eq_u32_e32 vcc_lo, 0, v61
	s_and_b32 s27, s21, vcc_lo
	s_wait_alu 0xfffe
	s_and_saveexec_b32 s21, s27
	s_cbranch_execz .LBB136_95
; %bb.94:                               ;   in Loop: Header=BB136_81 Depth=1
	s_wait_dscnt 0x0
	v_bcnt_u32_b32 v4, v4, v60
	ds_store_b32 v62, v4 offset:32
.LBB136_95:                             ;   in Loop: Header=BB136_81 Depth=1
	s_wait_alu 0xfffe
	s_or_b32 exec_lo, exec_lo, s21
	v_lshrrev_b32_e32 v4, v48, v52
	; wave barrier
	s_delay_alu instid0(VALU_DEP_1) | instskip(NEXT) | instid1(VALU_DEP_1)
	v_and_b32_e32 v4, s26, v4
	v_and_b32_e32 v5, 1, v4
	v_lshlrev_b32_e32 v6, 30, v4
	v_lshlrev_b32_e32 v7, 29, v4
	;; [unrolled: 1-line block ×4, first 2 shown]
	v_add_co_u32 v5, s21, v5, -1
	s_wait_alu 0xf1ff
	v_cndmask_b32_e64 v9, 0, 1, s21
	v_not_b32_e32 v64, v6
	v_cmp_gt_i32_e64 s21, 0, v6
	v_not_b32_e32 v6, v7
	v_lshlrev_b32_e32 v11, 26, v4
	v_cmp_ne_u32_e32 vcc_lo, 0, v9
	v_ashrrev_i32_e32 v64, 31, v64
	v_lshlrev_b32_e32 v63, 25, v4
	v_ashrrev_i32_e32 v6, 31, v6
	v_lshlrev_b32_e32 v9, 24, v4
	s_wait_alu 0xfffd
	v_xor_b32_e32 v5, vcc_lo, v5
	v_cmp_gt_i32_e32 vcc_lo, 0, v7
	v_not_b32_e32 v7, v8
	s_wait_alu 0xf1ff
	v_xor_b32_e32 v64, s21, v64
	v_cmp_gt_i32_e64 s21, 0, v8
	v_and_b32_e32 v5, exec_lo, v5
	v_not_b32_e32 v8, v10
	v_ashrrev_i32_e32 v7, 31, v7
	s_wait_alu 0xfffd
	v_xor_b32_e32 v6, vcc_lo, v6
	v_cmp_gt_i32_e32 vcc_lo, 0, v10
	v_and_b32_e32 v5, v5, v64
	v_not_b32_e32 v10, v11
	v_ashrrev_i32_e32 v8, 31, v8
	s_wait_alu 0xf1ff
	v_xor_b32_e32 v7, s21, v7
	v_cmp_gt_i32_e64 s21, 0, v11
	v_and_b32_e32 v5, v5, v6
	v_not_b32_e32 v6, v63
	v_ashrrev_i32_e32 v10, 31, v10
	s_wait_alu 0xfffd
	v_xor_b32_e32 v8, vcc_lo, v8
	v_cmp_gt_i32_e32 vcc_lo, 0, v63
	v_and_b32_e32 v5, v5, v7
	v_not_b32_e32 v7, v9
	v_ashrrev_i32_e32 v6, 31, v6
	s_wait_alu 0xf1ff
	v_xor_b32_e32 v10, s21, v10
	v_lshlrev_b32_e32 v4, 5, v4
	v_and_b32_e32 v5, v5, v8
	v_cmp_gt_i32_e64 s21, 0, v9
	v_ashrrev_i32_e32 v7, 31, v7
	s_wait_alu 0xfffd
	v_xor_b32_e32 v6, vcc_lo, v6
	v_add_nc_u32_e32 v63, v47, v4
	v_and_b32_e32 v5, v5, v10
	s_wait_alu 0xf1ff
	v_xor_b32_e32 v4, s21, v7
	ds_load_b32 v68, v63 offset:32
	v_and_b32_e32 v5, v5, v6
	; wave barrier
	s_delay_alu instid0(VALU_DEP_1) | instskip(NEXT) | instid1(VALU_DEP_1)
	v_and_b32_e32 v4, v5, v4
	v_mbcnt_lo_u32_b32 v69, v4, 0
	v_cmp_ne_u32_e64 s21, 0, v4
	s_delay_alu instid0(VALU_DEP_2)
	v_cmp_eq_u32_e32 vcc_lo, 0, v69
	s_and_b32 s26, s21, vcc_lo
	s_wait_alu 0xfffe
	s_and_saveexec_b32 s21, s26
	s_cbranch_execz .LBB136_97
; %bb.96:                               ;   in Loop: Header=BB136_81 Depth=1
	s_wait_dscnt 0x0
	v_bcnt_u32_b32 v4, v4, v68
	ds_store_b32 v63, v4 offset:32
.LBB136_97:                             ;   in Loop: Header=BB136_81 Depth=1
	s_wait_alu 0xfffe
	s_or_b32 exec_lo, exec_lo, s21
	; wave barrier
	s_wait_loadcnt_dscnt 0x0
	s_barrier_signal -1
	s_barrier_wait -1
	global_inv scope:SCOPE_SE
	ds_load_b128 v[8:11], v88 offset:32
	ds_load_b128 v[4:7], v88 offset:48
	s_wait_dscnt 0x1
	v_add_nc_u32_e32 v64, v9, v8
	s_delay_alu instid0(VALU_DEP_1) | instskip(SKIP_1) | instid1(VALU_DEP_1)
	v_add3_u32 v64, v64, v10, v11
	s_wait_dscnt 0x0
	v_add3_u32 v64, v64, v4, v5
	s_delay_alu instid0(VALU_DEP_1) | instskip(NEXT) | instid1(VALU_DEP_1)
	v_add3_u32 v7, v64, v6, v7
	v_mov_b32_dpp v64, v7 row_shr:1 row_mask:0xf bank_mask:0xf
	s_delay_alu instid0(VALU_DEP_1) | instskip(NEXT) | instid1(VALU_DEP_1)
	v_cndmask_b32_e64 v64, v64, 0, s0
	v_add_nc_u32_e32 v7, v64, v7
	s_delay_alu instid0(VALU_DEP_1) | instskip(NEXT) | instid1(VALU_DEP_1)
	v_mov_b32_dpp v64, v7 row_shr:2 row_mask:0xf bank_mask:0xf
	v_cndmask_b32_e64 v64, 0, v64, s10
	s_delay_alu instid0(VALU_DEP_1) | instskip(NEXT) | instid1(VALU_DEP_1)
	v_add_nc_u32_e32 v7, v7, v64
	v_mov_b32_dpp v64, v7 row_shr:4 row_mask:0xf bank_mask:0xf
	s_delay_alu instid0(VALU_DEP_1) | instskip(NEXT) | instid1(VALU_DEP_1)
	v_cndmask_b32_e64 v64, 0, v64, s11
	v_add_nc_u32_e32 v7, v7, v64
	s_delay_alu instid0(VALU_DEP_1) | instskip(NEXT) | instid1(VALU_DEP_1)
	v_mov_b32_dpp v64, v7 row_shr:8 row_mask:0xf bank_mask:0xf
	v_cndmask_b32_e64 v64, 0, v64, s12
	s_delay_alu instid0(VALU_DEP_1) | instskip(SKIP_3) | instid1(VALU_DEP_1)
	v_add_nc_u32_e32 v7, v7, v64
	ds_swizzle_b32 v64, v7 offset:swizzle(BROADCAST,32,15)
	s_wait_dscnt 0x0
	v_cndmask_b32_e64 v64, v64, 0, s13
	v_add_nc_u32_e32 v7, v7, v64
	s_and_saveexec_b32 s21, s14
; %bb.98:                               ;   in Loop: Header=BB136_81 Depth=1
	ds_store_b32 v90, v7
; %bb.99:                               ;   in Loop: Header=BB136_81 Depth=1
	s_wait_alu 0xfffe
	s_or_b32 exec_lo, exec_lo, s21
	s_wait_loadcnt_dscnt 0x0
	s_barrier_signal -1
	s_barrier_wait -1
	global_inv scope:SCOPE_SE
	s_and_saveexec_b32 s21, s15
	s_cbranch_execz .LBB136_101
; %bb.100:                              ;   in Loop: Header=BB136_81 Depth=1
	ds_load_b32 v64, v49
	s_wait_dscnt 0x0
	v_mov_b32_dpp v65, v64 row_shr:1 row_mask:0xf bank_mask:0xf
	s_delay_alu instid0(VALU_DEP_1) | instskip(NEXT) | instid1(VALU_DEP_1)
	v_cndmask_b32_e64 v65, v65, 0, s18
	v_add_nc_u32_e32 v64, v65, v64
	s_delay_alu instid0(VALU_DEP_1) | instskip(NEXT) | instid1(VALU_DEP_1)
	v_mov_b32_dpp v65, v64 row_shr:2 row_mask:0xf bank_mask:0xf
	v_cndmask_b32_e64 v65, 0, v65, s19
	s_delay_alu instid0(VALU_DEP_1) | instskip(NEXT) | instid1(VALU_DEP_1)
	v_add_nc_u32_e32 v64, v64, v65
	v_mov_b32_dpp v65, v64 row_shr:4 row_mask:0xf bank_mask:0xf
	s_delay_alu instid0(VALU_DEP_1) | instskip(NEXT) | instid1(VALU_DEP_1)
	v_cndmask_b32_e64 v65, 0, v65, s20
	v_add_nc_u32_e32 v64, v64, v65
	ds_store_b32 v49, v64
.LBB136_101:                            ;   in Loop: Header=BB136_81 Depth=1
	s_wait_alu 0xfffe
	s_or_b32 exec_lo, exec_lo, s21
	v_mov_b32_e32 v64, 0
	s_wait_loadcnt_dscnt 0x0
	s_barrier_signal -1
	s_barrier_wait -1
	global_inv scope:SCOPE_SE
	s_and_saveexec_b32 s21, s16
; %bb.102:                              ;   in Loop: Header=BB136_81 Depth=1
	ds_load_b32 v64, v46
; %bb.103:                              ;   in Loop: Header=BB136_81 Depth=1
	s_wait_alu 0xfffe
	s_or_b32 exec_lo, exec_lo, s21
	s_wait_dscnt 0x0
	v_add_nc_u32_e32 v7, v64, v7
	v_cmp_lt_u32_e32 vcc_lo, 23, v48
	v_readfirstlane_b32 s21, v0
	s_mov_b32 s26, -1
	ds_bpermute_b32 v7, v36, v7
	s_and_b32 vcc_lo, exec_lo, vcc_lo
	s_wait_dscnt 0x0
	v_cndmask_b32_e64 v7, v7, v64, s1
	s_delay_alu instid0(VALU_DEP_1) | instskip(NEXT) | instid1(VALU_DEP_1)
	v_cndmask_b32_e64 v7, v7, 0, s17
	v_add_nc_u32_e32 v8, v7, v8
	s_delay_alu instid0(VALU_DEP_1) | instskip(NEXT) | instid1(VALU_DEP_1)
	v_add_nc_u32_e32 v9, v8, v9
	v_add_nc_u32_e32 v10, v9, v10
	s_delay_alu instid0(VALU_DEP_1) | instskip(NEXT) | instid1(VALU_DEP_1)
	v_add_nc_u32_e32 v64, v10, v11
	;; [unrolled: 3-line block ×3, first 2 shown]
	v_add_nc_u32_e32 v67, v66, v6
	ds_store_b128 v88, v[7:10] offset:32
	ds_store_b128 v88, v[64:67] offset:48
	s_wait_loadcnt_dscnt 0x0
	s_barrier_signal -1
	s_barrier_wait -1
	global_inv scope:SCOPE_SE
	ds_load_b32 v4, v13 offset:32
	ds_load_b32 v5, v16 offset:32
	;; [unrolled: 1-line block ×8, first 2 shown]
	s_wait_dscnt 0x7
	v_add_nc_u32_e32 v67, v4, v12
	s_wait_dscnt 0x6
	v_add3_u32 v66, v15, v14, v5
	s_wait_dscnt 0x5
	v_add3_u32 v65, v18, v17, v6
	;; [unrolled: 2-line block ×7, first 2 shown]
                                        ; implicit-def: $vgpr45
                                        ; implicit-def: $vgpr43
                                        ; implicit-def: $vgpr41
                                        ; implicit-def: $vgpr39
                                        ; implicit-def: $vgpr18_vgpr19
                                        ; implicit-def: $vgpr14_vgpr15
                                        ; implicit-def: $vgpr10_vgpr11
                                        ; implicit-def: $vgpr6_vgpr7
	s_wait_alu 0xfffe
	s_cbranch_vccnz .LBB136_80
; %bb.104:                              ;   in Loop: Header=BB136_81 Depth=1
	v_lshlrev_b32_e32 v4, 2, v67
	v_lshlrev_b32_e32 v5, 2, v66
	;; [unrolled: 1-line block ×3, first 2 shown]
	s_wait_loadcnt 0x0
	s_barrier_signal -1
	s_barrier_wait -1
	global_inv scope:SCOPE_SE
	ds_store_b32 v4, v51
	ds_store_b32 v5, v58
	;; [unrolled: 1-line block ×3, first 2 shown]
	v_lshlrev_b32_e32 v7, 2, v64
	v_add_nc_u32_e32 v4, v4, v4
	v_lshlrev_b32_e32 v8, 2, v63
	v_add_nc_u32_e32 v5, v5, v5
	;; [unrolled: 2-line block ×3, first 2 shown]
	v_lshlrev_b32_e32 v10, 2, v60
	v_lshlrev_b32_e32 v11, 2, v59
	ds_store_b32 v7, v56
	ds_store_b32 v8, v55
	;; [unrolled: 1-line block ×5, first 2 shown]
	s_wait_loadcnt_dscnt 0x0
	s_barrier_signal -1
	s_barrier_wait -1
	global_inv scope:SCOPE_SE
	ds_load_2addr_b32 v[38:39], v89 offset1:32
	ds_load_2addr_b32 v[40:41], v89 offset0:64 offset1:96
	ds_load_2addr_b32 v[42:43], v89 offset0:128 offset1:160
	;; [unrolled: 1-line block ×3, first 2 shown]
	s_wait_loadcnt_dscnt 0x0
	s_barrier_signal -1
	s_barrier_wait -1
	global_inv scope:SCOPE_SE
	ds_store_b64 v4, v[34:35]
	ds_store_b64 v5, v[32:33]
	;; [unrolled: 1-line block ×3, first 2 shown]
	v_add_nc_u32_e32 v4, v7, v7
	v_add_nc_u32_e32 v5, v8, v8
	;; [unrolled: 1-line block ×5, first 2 shown]
	ds_store_b64 v4, v[28:29]
	ds_store_b64 v5, v[26:27]
	;; [unrolled: 1-line block ×5, first 2 shown]
	s_wait_loadcnt_dscnt 0x0
	s_barrier_signal -1
	s_barrier_wait -1
	global_inv scope:SCOPE_SE
	ds_load_2addr_b64 v[4:7], v50 offset1:32
	ds_load_2addr_b64 v[8:11], v50 offset0:64 offset1:96
	ds_load_2addr_b64 v[12:15], v50 offset0:128 offset1:160
	;; [unrolled: 1-line block ×3, first 2 shown]
	v_add_nc_u32_e32 v48, 8, v48
	s_add_co_i32 s21, s25, -8
	s_mov_b32 s26, 0
	s_wait_loadcnt_dscnt 0x0
	s_barrier_signal -1
	s_barrier_wait -1
	global_inv scope:SCOPE_SE
	s_branch .LBB136_80
.LBB136_105:
	v_lshlrev_b32_e32 v8, 2, v67
	v_lshlrev_b32_e32 v9, 2, v66
	;; [unrolled: 1-line block ×3, first 2 shown]
	s_wait_loadcnt 0x0
	s_barrier_signal -1
	s_barrier_wait -1
	global_inv scope:SCOPE_SE
	ds_store_b32 v8, v51
	ds_store_b32 v9, v58
	;; [unrolled: 1-line block ×3, first 2 shown]
	v_lshlrev_b32_e32 v11, 2, v64
	v_add_nc_u32_e32 v8, v8, v8
	v_lshlrev_b32_e32 v12, 2, v63
	v_add_nc_u32_e32 v9, v9, v9
	;; [unrolled: 2-line block ×3, first 2 shown]
	v_lshlrev_b32_e32 v14, 2, v60
	v_lshlrev_b32_e32 v15, 2, v59
	ds_store_b32 v11, v56
	ds_store_b32 v12, v55
	;; [unrolled: 1-line block ×5, first 2 shown]
	s_wait_loadcnt_dscnt 0x0
	s_barrier_signal -1
	s_barrier_wait -1
	global_inv scope:SCOPE_SE
	ds_load_b128 v[0:3], v88
	ds_load_b128 v[4:7], v88 offset:16
	s_wait_loadcnt_dscnt 0x0
	s_barrier_signal -1
	s_barrier_wait -1
	global_inv scope:SCOPE_SE
	ds_store_b64 v8, v[34:35]
	ds_store_b64 v9, v[32:33]
	;; [unrolled: 1-line block ×3, first 2 shown]
	v_add_nc_u32_e32 v8, v11, v11
	v_add_nc_u32_e32 v9, v12, v12
	v_add_nc_u32_e32 v10, v13, v13
	v_add_nc_u32_e32 v11, v14, v14
	v_add_nc_u32_e32 v12, v15, v15
	ds_store_b64 v8, v[28:29]
	ds_store_b64 v9, v[26:27]
	;; [unrolled: 1-line block ×5, first 2 shown]
	v_lshl_add_u32 v8, v37, 5, v88
	s_wait_loadcnt_dscnt 0x0
	s_barrier_signal -1
	s_barrier_wait -1
	global_inv scope:SCOPE_SE
	ds_load_b128 v[29:32], v8
	ds_load_b128 v[25:28], v8 offset:16
	ds_load_b128 v[21:24], v8 offset:32
	ds_load_b128 v[17:20], v8 offset:48
	v_xor_b32_e32 v33, 0x7fffffff, v0
	v_xor_b32_e32 v35, 0x7fffffff, v1
	;; [unrolled: 1-line block ×8, first 2 shown]
.LBB136_106:
	v_mad_co_u64_u32 v[0:1], null, s22, v37, 0
	s_wait_loadcnt_dscnt 0x0
	s_barrier_signal -1
	s_barrier_wait -1
	global_inv scope:SCOPE_SE
	ds_store_2addr_b32 v78, v33, v35 offset1:1
	ds_store_2addr_b32 v78, v34, v46 offset0:2 offset1:3
	ds_store_2addr_b32 v78, v36, v48 offset0:4 offset1:5
	;; [unrolled: 1-line block ×3, first 2 shown]
	s_wait_loadcnt_dscnt 0x0
	v_mad_co_u64_u32 v[1:2], null, s23, v37, v[1:2]
	s_barrier_signal -1
	s_barrier_wait -1
	global_inv scope:SCOPE_SE
	ds_load_b32 v8, v71 offset:1024
	ds_load_b32 v7, v72 offset:2048
	;; [unrolled: 1-line block ×7, first 2 shown]
	v_lshlrev_b64_e32 v[0:1], 2, v[0:1]
	s_delay_alu instid0(VALU_DEP_1) | instskip(SKIP_1) | instid1(VALU_DEP_2)
	v_add_co_u32 v0, vcc_lo, s30, v0
	s_wait_alu 0xfffd
	v_add_co_ci_u32_e64 v1, null, s31, v1, vcc_lo
	s_and_saveexec_b32 s0, s2
	s_cbranch_execnz .LBB136_125
; %bb.107:
	s_wait_alu 0xfffe
	s_or_b32 exec_lo, exec_lo, s0
	s_and_saveexec_b32 s0, s3
	s_cbranch_execnz .LBB136_126
.LBB136_108:
	s_wait_alu 0xfffe
	s_or_b32 exec_lo, exec_lo, s0
	s_and_saveexec_b32 s0, s4
	s_cbranch_execnz .LBB136_127
.LBB136_109:
	s_wait_alu 0xfffe
	s_or_b32 exec_lo, exec_lo, s0
	s_and_saveexec_b32 s0, s5
	s_cbranch_execnz .LBB136_128
.LBB136_110:
	s_wait_alu 0xfffe
	s_or_b32 exec_lo, exec_lo, s0
	s_and_saveexec_b32 s0, s6
	s_cbranch_execnz .LBB136_129
.LBB136_111:
	s_wait_alu 0xfffe
	s_or_b32 exec_lo, exec_lo, s0
	s_and_saveexec_b32 s0, s7
	s_cbranch_execnz .LBB136_130
.LBB136_112:
	s_wait_alu 0xfffe
	s_or_b32 exec_lo, exec_lo, s0
	s_and_saveexec_b32 s0, s8
	s_cbranch_execnz .LBB136_131
.LBB136_113:
	s_wait_alu 0xfffe
	s_or_b32 exec_lo, exec_lo, s0
	s_and_saveexec_b32 s0, s9
	s_cbranch_execz .LBB136_115
.LBB136_114:
	v_mad_co_u64_u32 v[0:1], null, 0x1c00, s22, v[0:1]
	s_wait_dscnt 0x0
	s_delay_alu instid0(VALU_DEP_1) | instskip(NEXT) | instid1(VALU_DEP_1)
	v_mad_co_u64_u32 v[3:4], null, 0x1c00, s23, v[1:2]
	v_mov_b32_e32 v1, v3
	global_store_b32 v[0:1], v2, off
.LBB136_115:
	s_wait_alu 0xfffe
	s_or_b32 exec_lo, exec_lo, s0
	s_wait_dscnt 0x0
	v_mad_co_u64_u32 v[2:3], null, s28, v37, 0
	s_wait_loadcnt 0x0
	s_wait_storecnt 0x0
	s_barrier_signal -1
	s_barrier_wait -1
	global_inv scope:SCOPE_SE
	ds_store_2addr_b64 v87, v[29:30], v[31:32] offset1:1
	ds_store_2addr_b64 v87, v[25:26], v[27:28] offset0:2 offset1:3
	ds_store_2addr_b64 v87, v[21:22], v[23:24] offset0:4 offset1:5
	;; [unrolled: 1-line block ×3, first 2 shown]
	s_wait_loadcnt_dscnt 0x0
	v_mov_b32_e32 v0, v3
	s_barrier_signal -1
	s_barrier_wait -1
	global_inv scope:SCOPE_SE
	v_mad_co_u64_u32 v[3:4], null, s29, v37, v[0:1]
	ds_load_b64 v[14:15], v80 offset:2048
	ds_load_b64 v[12:13], v81 offset:4096
	;; [unrolled: 1-line block ×7, first 2 shown]
	v_lshlrev_b64_e32 v[2:3], 3, v[2:3]
	s_delay_alu instid0(VALU_DEP_1) | instskip(SKIP_1) | instid1(VALU_DEP_2)
	v_add_co_u32 v2, vcc_lo, s34, v2
	s_wait_alu 0xfffd
	v_add_co_ci_u32_e64 v3, null, s35, v3, vcc_lo
	s_and_saveexec_b32 s0, s2
	s_cbranch_execnz .LBB136_132
; %bb.116:
	s_wait_alu 0xfffe
	s_or_b32 exec_lo, exec_lo, s0
	s_and_saveexec_b32 s0, s3
	s_cbranch_execnz .LBB136_133
.LBB136_117:
	s_wait_alu 0xfffe
	s_or_b32 exec_lo, exec_lo, s0
	s_and_saveexec_b32 s0, s4
	s_cbranch_execnz .LBB136_134
.LBB136_118:
	s_wait_alu 0xfffe
	s_or_b32 exec_lo, exec_lo, s0
	s_and_saveexec_b32 s0, s5
	s_cbranch_execnz .LBB136_135
.LBB136_119:
	s_wait_alu 0xfffe
	s_or_b32 exec_lo, exec_lo, s0
	s_and_saveexec_b32 s0, s6
	s_cbranch_execnz .LBB136_136
.LBB136_120:
	s_wait_alu 0xfffe
	s_or_b32 exec_lo, exec_lo, s0
	s_and_saveexec_b32 s0, s7
	s_cbranch_execnz .LBB136_137
.LBB136_121:
	s_wait_alu 0xfffe
	s_or_b32 exec_lo, exec_lo, s0
	s_and_saveexec_b32 s0, s8
	s_cbranch_execnz .LBB136_138
.LBB136_122:
	s_wait_alu 0xfffe
	s_or_b32 exec_lo, exec_lo, s0
	s_and_saveexec_b32 s0, s9
	s_cbranch_execz .LBB136_124
.LBB136_123:
	v_mad_co_u64_u32 v[2:3], null, 0x3800, s28, v[2:3]
	s_wait_dscnt 0x1
	s_delay_alu instid0(VALU_DEP_1)
	v_mad_co_u64_u32 v[3:4], null, 0x3800, s29, v[3:4]
	s_wait_dscnt 0x0
	global_store_b64 v[2:3], v[0:1], off
.LBB136_124:
	s_nop 0
	s_sendmsg sendmsg(MSG_DEALLOC_VGPRS)
	s_endpgm
.LBB136_125:
	ds_load_b32 v9, v70
	s_wait_dscnt 0x0
	global_store_b32 v[0:1], v9, off
	s_wait_alu 0xfffe
	s_or_b32 exec_lo, exec_lo, s0
	s_and_saveexec_b32 s0, s3
	s_cbranch_execz .LBB136_108
.LBB136_126:
	s_lshl_b64 s[10:11], s[22:23], 10
	s_wait_alu 0xfffe
	v_add_co_u32 v9, vcc_lo, v0, s10
	s_wait_alu 0xfffd
	v_add_co_ci_u32_e64 v10, null, s11, v1, vcc_lo
	s_wait_dscnt 0x6
	global_store_b32 v[9:10], v8, off
	s_or_b32 exec_lo, exec_lo, s0
	s_and_saveexec_b32 s0, s4
	s_cbranch_execz .LBB136_109
.LBB136_127:
	s_lshl_b64 s[10:11], s[22:23], 11
	s_wait_dscnt 0x6
	s_wait_alu 0xfffe
	v_add_co_u32 v8, vcc_lo, v0, s10
	s_wait_alu 0xfffd
	v_add_co_ci_u32_e64 v9, null, s11, v1, vcc_lo
	s_wait_dscnt 0x5
	global_store_b32 v[8:9], v7, off
	s_or_b32 exec_lo, exec_lo, s0
	s_and_saveexec_b32 s0, s5
	s_cbranch_execz .LBB136_110
.LBB136_128:
	s_wait_dscnt 0x5
	v_mad_co_u64_u32 v[7:8], null, 0xc00, s22, v[0:1]
	s_delay_alu instid0(VALU_DEP_1)
	v_mad_co_u64_u32 v[8:9], null, 0xc00, s23, v[8:9]
	s_wait_dscnt 0x4
	global_store_b32 v[7:8], v6, off
	s_wait_alu 0xfffe
	s_or_b32 exec_lo, exec_lo, s0
	s_and_saveexec_b32 s0, s6
	s_cbranch_execz .LBB136_111
.LBB136_129:
	s_lshl_b64 s[10:11], s[22:23], 12
	s_wait_dscnt 0x4
	s_wait_alu 0xfffe
	v_add_co_u32 v6, vcc_lo, v0, s10
	s_wait_alu 0xfffd
	v_add_co_ci_u32_e64 v7, null, s11, v1, vcc_lo
	s_wait_dscnt 0x3
	global_store_b32 v[6:7], v5, off
	s_or_b32 exec_lo, exec_lo, s0
	s_and_saveexec_b32 s0, s7
	s_cbranch_execz .LBB136_112
.LBB136_130:
	s_wait_dscnt 0x3
	v_mad_co_u64_u32 v[5:6], null, 0x1400, s22, v[0:1]
	s_delay_alu instid0(VALU_DEP_1)
	v_mad_co_u64_u32 v[6:7], null, 0x1400, s23, v[6:7]
	s_wait_dscnt 0x2
	global_store_b32 v[5:6], v4, off
	s_wait_alu 0xfffe
	s_or_b32 exec_lo, exec_lo, s0
	s_and_saveexec_b32 s0, s8
	s_cbranch_execz .LBB136_113
.LBB136_131:
	s_wait_dscnt 0x2
	v_mad_co_u64_u32 v[4:5], null, 0x1800, s22, v[0:1]
	s_delay_alu instid0(VALU_DEP_1)
	v_mad_co_u64_u32 v[5:6], null, 0x1800, s23, v[5:6]
	s_wait_dscnt 0x1
	global_store_b32 v[4:5], v3, off
	s_wait_alu 0xfffe
	s_or_b32 exec_lo, exec_lo, s0
	s_and_saveexec_b32 s0, s9
	s_cbranch_execnz .LBB136_114
	s_branch .LBB136_115
.LBB136_132:
	ds_load_b64 v[16:17], v79
	s_wait_dscnt 0x0
	global_store_b64 v[2:3], v[16:17], off
	s_wait_alu 0xfffe
	s_or_b32 exec_lo, exec_lo, s0
	s_and_saveexec_b32 s0, s3
	s_cbranch_execz .LBB136_117
.LBB136_133:
	s_lshl_b64 s[2:3], s[28:29], 11
	s_wait_alu 0xfffe
	v_add_co_u32 v16, vcc_lo, v2, s2
	s_wait_alu 0xfffd
	v_add_co_ci_u32_e64 v17, null, s3, v3, vcc_lo
	s_wait_dscnt 0x6
	global_store_b64 v[16:17], v[14:15], off
	s_or_b32 exec_lo, exec_lo, s0
	s_and_saveexec_b32 s0, s4
	s_cbranch_execz .LBB136_118
.LBB136_134:
	s_lshl_b64 s[2:3], s[28:29], 12
	s_wait_dscnt 0x6
	s_wait_alu 0xfffe
	v_add_co_u32 v14, vcc_lo, v2, s2
	s_wait_alu 0xfffd
	v_add_co_ci_u32_e64 v15, null, s3, v3, vcc_lo
	s_wait_dscnt 0x5
	global_store_b64 v[14:15], v[12:13], off
	s_or_b32 exec_lo, exec_lo, s0
	s_and_saveexec_b32 s0, s5
	s_cbranch_execz .LBB136_119
.LBB136_135:
	s_wait_dscnt 0x5
	v_mad_co_u64_u32 v[12:13], null, 0x1800, s28, v[2:3]
	s_delay_alu instid0(VALU_DEP_1)
	v_mad_co_u64_u32 v[13:14], null, 0x1800, s29, v[13:14]
	s_wait_dscnt 0x4
	global_store_b64 v[12:13], v[10:11], off
	s_wait_alu 0xfffe
	s_or_b32 exec_lo, exec_lo, s0
	s_and_saveexec_b32 s0, s6
	s_cbranch_execz .LBB136_120
.LBB136_136:
	s_lshl_b64 s[2:3], s[28:29], 13
	s_wait_dscnt 0x4
	s_wait_alu 0xfffe
	v_add_co_u32 v10, vcc_lo, v2, s2
	s_wait_alu 0xfffd
	v_add_co_ci_u32_e64 v11, null, s3, v3, vcc_lo
	s_wait_dscnt 0x3
	global_store_b64 v[10:11], v[8:9], off
	s_or_b32 exec_lo, exec_lo, s0
	s_and_saveexec_b32 s0, s7
	s_cbranch_execz .LBB136_121
.LBB136_137:
	s_wait_dscnt 0x3
	v_mad_co_u64_u32 v[8:9], null, 0x2800, s28, v[2:3]
	s_delay_alu instid0(VALU_DEP_1)
	v_mad_co_u64_u32 v[9:10], null, 0x2800, s29, v[9:10]
	s_wait_dscnt 0x2
	global_store_b64 v[8:9], v[6:7], off
	s_wait_alu 0xfffe
	s_or_b32 exec_lo, exec_lo, s0
	s_and_saveexec_b32 s0, s8
	s_cbranch_execz .LBB136_122
.LBB136_138:
	s_wait_dscnt 0x2
	v_mad_co_u64_u32 v[6:7], null, 0x3000, s28, v[2:3]
	s_delay_alu instid0(VALU_DEP_1)
	v_mad_co_u64_u32 v[7:8], null, 0x3000, s29, v[7:8]
	s_wait_dscnt 0x1
	global_store_b64 v[6:7], v[4:5], off
	s_wait_alu 0xfffe
	s_or_b32 exec_lo, exec_lo, s0
	s_and_saveexec_b32 s0, s9
	s_cbranch_execnz .LBB136_123
	s_branch .LBB136_124
	.section	.rodata,"a",@progbits
	.p2align	6, 0x0
	.amdhsa_kernel _ZN2at6native18radixSortKVInPlaceILin1ELin1ELi256ELi8EilmEEvNS_4cuda6detail10TensorInfoIT3_T5_EES6_S6_S6_NS4_IT4_S6_EES6_b
		.amdhsa_group_segment_fixed_size 16896
		.amdhsa_private_segment_fixed_size 0
		.amdhsa_kernarg_size 1128
		.amdhsa_user_sgpr_count 2
		.amdhsa_user_sgpr_dispatch_ptr 0
		.amdhsa_user_sgpr_queue_ptr 0
		.amdhsa_user_sgpr_kernarg_segment_ptr 1
		.amdhsa_user_sgpr_dispatch_id 0
		.amdhsa_user_sgpr_private_segment_size 0
		.amdhsa_wavefront_size32 1
		.amdhsa_uses_dynamic_stack 0
		.amdhsa_enable_private_segment 0
		.amdhsa_system_sgpr_workgroup_id_x 1
		.amdhsa_system_sgpr_workgroup_id_y 1
		.amdhsa_system_sgpr_workgroup_id_z 1
		.amdhsa_system_sgpr_workgroup_info 0
		.amdhsa_system_vgpr_workitem_id 2
		.amdhsa_next_free_vgpr 126
		.amdhsa_next_free_sgpr 40
		.amdhsa_reserve_vcc 1
		.amdhsa_float_round_mode_32 0
		.amdhsa_float_round_mode_16_64 0
		.amdhsa_float_denorm_mode_32 3
		.amdhsa_float_denorm_mode_16_64 3
		.amdhsa_fp16_overflow 0
		.amdhsa_workgroup_processor_mode 1
		.amdhsa_memory_ordered 1
		.amdhsa_forward_progress 1
		.amdhsa_inst_pref_size 124
		.amdhsa_round_robin_scheduling 0
		.amdhsa_exception_fp_ieee_invalid_op 0
		.amdhsa_exception_fp_denorm_src 0
		.amdhsa_exception_fp_ieee_div_zero 0
		.amdhsa_exception_fp_ieee_overflow 0
		.amdhsa_exception_fp_ieee_underflow 0
		.amdhsa_exception_fp_ieee_inexact 0
		.amdhsa_exception_int_div_zero 0
	.end_amdhsa_kernel
	.section	.text._ZN2at6native18radixSortKVInPlaceILin1ELin1ELi256ELi8EilmEEvNS_4cuda6detail10TensorInfoIT3_T5_EES6_S6_S6_NS4_IT4_S6_EES6_b,"axG",@progbits,_ZN2at6native18radixSortKVInPlaceILin1ELin1ELi256ELi8EilmEEvNS_4cuda6detail10TensorInfoIT3_T5_EES6_S6_S6_NS4_IT4_S6_EES6_b,comdat
.Lfunc_end136:
	.size	_ZN2at6native18radixSortKVInPlaceILin1ELin1ELi256ELi8EilmEEvNS_4cuda6detail10TensorInfoIT3_T5_EES6_S6_S6_NS4_IT4_S6_EES6_b, .Lfunc_end136-_ZN2at6native18radixSortKVInPlaceILin1ELin1ELi256ELi8EilmEEvNS_4cuda6detail10TensorInfoIT3_T5_EES6_S6_S6_NS4_IT4_S6_EES6_b
                                        ; -- End function
	.set _ZN2at6native18radixSortKVInPlaceILin1ELin1ELi256ELi8EilmEEvNS_4cuda6detail10TensorInfoIT3_T5_EES6_S6_S6_NS4_IT4_S6_EES6_b.num_vgpr, 126
	.set _ZN2at6native18radixSortKVInPlaceILin1ELin1ELi256ELi8EilmEEvNS_4cuda6detail10TensorInfoIT3_T5_EES6_S6_S6_NS4_IT4_S6_EES6_b.num_agpr, 0
	.set _ZN2at6native18radixSortKVInPlaceILin1ELin1ELi256ELi8EilmEEvNS_4cuda6detail10TensorInfoIT3_T5_EES6_S6_S6_NS4_IT4_S6_EES6_b.numbered_sgpr, 40
	.set _ZN2at6native18radixSortKVInPlaceILin1ELin1ELi256ELi8EilmEEvNS_4cuda6detail10TensorInfoIT3_T5_EES6_S6_S6_NS4_IT4_S6_EES6_b.num_named_barrier, 0
	.set _ZN2at6native18radixSortKVInPlaceILin1ELin1ELi256ELi8EilmEEvNS_4cuda6detail10TensorInfoIT3_T5_EES6_S6_S6_NS4_IT4_S6_EES6_b.private_seg_size, 0
	.set _ZN2at6native18radixSortKVInPlaceILin1ELin1ELi256ELi8EilmEEvNS_4cuda6detail10TensorInfoIT3_T5_EES6_S6_S6_NS4_IT4_S6_EES6_b.uses_vcc, 1
	.set _ZN2at6native18radixSortKVInPlaceILin1ELin1ELi256ELi8EilmEEvNS_4cuda6detail10TensorInfoIT3_T5_EES6_S6_S6_NS4_IT4_S6_EES6_b.uses_flat_scratch, 0
	.set _ZN2at6native18radixSortKVInPlaceILin1ELin1ELi256ELi8EilmEEvNS_4cuda6detail10TensorInfoIT3_T5_EES6_S6_S6_NS4_IT4_S6_EES6_b.has_dyn_sized_stack, 0
	.set _ZN2at6native18radixSortKVInPlaceILin1ELin1ELi256ELi8EilmEEvNS_4cuda6detail10TensorInfoIT3_T5_EES6_S6_S6_NS4_IT4_S6_EES6_b.has_recursion, 0
	.set _ZN2at6native18radixSortKVInPlaceILin1ELin1ELi256ELi8EilmEEvNS_4cuda6detail10TensorInfoIT3_T5_EES6_S6_S6_NS4_IT4_S6_EES6_b.has_indirect_call, 0
	.section	.AMDGPU.csdata,"",@progbits
; Kernel info:
; codeLenInByte = 15792
; TotalNumSgprs: 42
; NumVgprs: 126
; ScratchSize: 0
; MemoryBound: 0
; FloatMode: 240
; IeeeMode: 1
; LDSByteSize: 16896 bytes/workgroup (compile time only)
; SGPRBlocks: 0
; VGPRBlocks: 15
; NumSGPRsForWavesPerEU: 42
; NumVGPRsForWavesPerEU: 126
; Occupancy: 10
; WaveLimiterHint : 1
; COMPUTE_PGM_RSRC2:SCRATCH_EN: 0
; COMPUTE_PGM_RSRC2:USER_SGPR: 2
; COMPUTE_PGM_RSRC2:TRAP_HANDLER: 0
; COMPUTE_PGM_RSRC2:TGID_X_EN: 1
; COMPUTE_PGM_RSRC2:TGID_Y_EN: 1
; COMPUTE_PGM_RSRC2:TGID_Z_EN: 1
; COMPUTE_PGM_RSRC2:TIDIG_COMP_CNT: 2
	.section	.text._ZN2at6native18radixSortKVInPlaceILin1ELin1ELi128ELi8EilmEEvNS_4cuda6detail10TensorInfoIT3_T5_EES6_S6_S6_NS4_IT4_S6_EES6_b,"axG",@progbits,_ZN2at6native18radixSortKVInPlaceILin1ELin1ELi128ELi8EilmEEvNS_4cuda6detail10TensorInfoIT3_T5_EES6_S6_S6_NS4_IT4_S6_EES6_b,comdat
	.protected	_ZN2at6native18radixSortKVInPlaceILin1ELin1ELi128ELi8EilmEEvNS_4cuda6detail10TensorInfoIT3_T5_EES6_S6_S6_NS4_IT4_S6_EES6_b ; -- Begin function _ZN2at6native18radixSortKVInPlaceILin1ELin1ELi128ELi8EilmEEvNS_4cuda6detail10TensorInfoIT3_T5_EES6_S6_S6_NS4_IT4_S6_EES6_b
	.globl	_ZN2at6native18radixSortKVInPlaceILin1ELin1ELi128ELi8EilmEEvNS_4cuda6detail10TensorInfoIT3_T5_EES6_S6_S6_NS4_IT4_S6_EES6_b
	.p2align	8
	.type	_ZN2at6native18radixSortKVInPlaceILin1ELin1ELi128ELi8EilmEEvNS_4cuda6detail10TensorInfoIT3_T5_EES6_S6_S6_NS4_IT4_S6_EES6_b,@function
_ZN2at6native18radixSortKVInPlaceILin1ELin1ELi128ELi8EilmEEvNS_4cuda6detail10TensorInfoIT3_T5_EES6_S6_S6_NS4_IT4_S6_EES6_b: ; @_ZN2at6native18radixSortKVInPlaceILin1ELin1ELi128ELi8EilmEEvNS_4cuda6detail10TensorInfoIT3_T5_EES6_S6_S6_NS4_IT4_S6_EES6_b
; %bb.0:
	s_clause 0x1
	s_load_b64 s[2:3], s[0:1], 0x368
	s_load_b128 s[12:15], s[0:1], 0x1a0
	s_lshr_b32 s4, ttmp7, 16
	s_and_b32 s5, ttmp7, 0xffff
	s_wait_kmcnt 0x0
	s_mul_i32 s3, s3, s4
	s_delay_alu instid0(SALU_CYCLE_1) | instskip(NEXT) | instid1(SALU_CYCLE_1)
	s_add_co_i32 s3, s3, s5
	s_mul_i32 s2, s3, s2
	s_mov_b32 s3, 0
	s_add_co_i32 s2, s2, ttmp9
	s_delay_alu instid0(SALU_CYCLE_1)
	v_cmp_le_u64_e64 s4, s[12:13], s[2:3]
	s_and_b32 vcc_lo, exec_lo, s4
	s_cbranch_vccnz .LBB137_124
; %bb.1:
	s_clause 0x1
	s_load_b32 s7, s[0:1], 0x198
	s_load_b64 s[24:25], s[0:1], 0x1b0
	s_mov_b64 s[12:13], 0
	s_mov_b64 s[4:5], s[2:3]
	s_wait_kmcnt 0x0
	s_cmp_lt_i32 s7, 2
	s_cbranch_scc1 .LBB137_9
; %bb.2:
	s_mov_b32 s6, 0
	s_add_co_i32 s4, s7, -1
	s_mov_b32 s5, s6
	s_add_co_i32 s15, s7, 1
	s_lshl_b64 s[4:5], s[4:5], 3
	s_mov_b64 s[10:11], s[2:3]
	s_add_nc_u64 s[4:5], s[0:1], s[4:5]
	s_delay_alu instid0(SALU_CYCLE_1)
	s_add_nc_u64 s[8:9], s[4:5], 8
.LBB137_3:                              ; =>This Inner Loop Header: Depth=1
	s_load_b64 s[16:17], s[8:9], 0x0
	s_wait_kmcnt 0x0
	s_or_b64 s[4:5], s[10:11], s[16:17]
	s_wait_alu 0xfffe
	s_mov_b32 s7, s5
                                        ; implicit-def: $sgpr4_sgpr5
	s_delay_alu instid0(SALU_CYCLE_1)
	s_cmp_lg_u64 s[6:7], 0
	s_mov_b32 s7, -1
	s_cbranch_scc0 .LBB137_5
; %bb.4:                                ;   in Loop: Header=BB137_3 Depth=1
	s_cvt_f32_u32 s4, s16
	s_cvt_f32_u32 s5, s17
	s_sub_nc_u64 s[18:19], 0, s[16:17]
	s_mov_b32 s21, s6
	s_mov_b32 s27, s6
	s_wait_alu 0xfffe
	s_fmamk_f32 s4, s5, 0x4f800000, s4
	s_wait_alu 0xfffe
	s_delay_alu instid0(SALU_CYCLE_2) | instskip(NEXT) | instid1(TRANS32_DEP_1)
	v_s_rcp_f32 s4, s4
	s_mul_f32 s4, s4, 0x5f7ffffc
	s_wait_alu 0xfffe
	s_delay_alu instid0(SALU_CYCLE_2) | instskip(SKIP_1) | instid1(SALU_CYCLE_2)
	s_mul_f32 s5, s4, 0x2f800000
	s_wait_alu 0xfffe
	s_trunc_f32 s5, s5
	s_wait_alu 0xfffe
	s_delay_alu instid0(SALU_CYCLE_2) | instskip(SKIP_2) | instid1(SALU_CYCLE_1)
	s_fmamk_f32 s4, s5, 0xcf800000, s4
	s_cvt_u32_f32 s5, s5
	s_wait_alu 0xfffe
	s_cvt_u32_f32 s4, s4
	s_wait_alu 0xfffe
	s_delay_alu instid0(SALU_CYCLE_2) | instskip(NEXT) | instid1(SALU_CYCLE_1)
	s_mul_u64 s[22:23], s[18:19], s[4:5]
	s_mul_hi_u32 s29, s4, s23
	s_mul_i32 s28, s4, s23
	s_mul_hi_u32 s20, s4, s22
	s_mul_i32 s26, s5, s22
	s_add_nc_u64 s[20:21], s[20:21], s[28:29]
	s_mul_hi_u32 s7, s5, s22
	s_mul_hi_u32 s30, s5, s23
	s_add_co_u32 s20, s20, s26
	s_add_co_ci_u32 s26, s21, s7
	s_mul_i32 s22, s5, s23
	s_add_co_ci_u32 s23, s30, 0
	s_delay_alu instid0(SALU_CYCLE_1) | instskip(SKIP_3) | instid1(SALU_CYCLE_1)
	s_add_nc_u64 s[20:21], s[26:27], s[22:23]
	s_mov_b32 s23, s6
	s_add_co_u32 s4, s4, s20
	s_cselect_b32 s7, -1, 0
	s_cmp_lg_u32 s7, 0
	s_add_co_ci_u32 s5, s5, s21
	s_mov_b32 s21, s6
	s_wait_alu 0xfffe
	s_mul_u64 s[18:19], s[18:19], s[4:5]
	s_delay_alu instid0(SALU_CYCLE_1)
	s_mul_hi_u32 s27, s4, s19
	s_mul_i32 s26, s4, s19
	s_mul_hi_u32 s20, s4, s18
	s_mul_i32 s22, s5, s18
	s_add_nc_u64 s[20:21], s[20:21], s[26:27]
	s_mul_hi_u32 s7, s5, s18
	s_mul_hi_u32 s28, s5, s19
	s_mul_i32 s18, s5, s19
	s_add_co_u32 s19, s20, s22
	s_add_co_ci_u32 s22, s21, s7
	s_add_co_ci_u32 s19, s28, 0
	s_mov_b32 s21, s6
	s_add_nc_u64 s[18:19], s[22:23], s[18:19]
	s_delay_alu instid0(SALU_CYCLE_1)
	s_add_co_u32 s4, s4, s18
	s_cselect_b32 s7, -1, 0
	s_wait_alu 0xfffe
	s_mul_hi_u32 s20, s10, s4
	s_cmp_lg_u32 s7, 0
	s_mul_hi_u32 s7, s11, s4
	s_add_co_ci_u32 s18, s5, s19
	s_mul_i32 s19, s11, s4
	s_mul_hi_u32 s5, s10, s18
	s_mul_i32 s4, s10, s18
	s_mul_hi_u32 s26, s11, s18
	s_wait_alu 0xfffe
	s_add_nc_u64 s[4:5], s[20:21], s[4:5]
	s_mul_i32 s18, s11, s18
	s_wait_alu 0xfffe
	s_add_co_u32 s4, s4, s19
	s_add_co_ci_u32 s22, s5, s7
	s_add_co_ci_u32 s19, s26, 0
	s_delay_alu instid0(SALU_CYCLE_1) | instskip(SKIP_2) | instid1(SALU_CYCLE_1)
	s_add_nc_u64 s[4:5], s[22:23], s[18:19]
	s_wait_alu 0xfffe
	s_mul_u64 s[18:19], s[16:17], s[4:5]
	s_sub_co_u32 s7, s10, s18
	s_cselect_b32 s18, -1, 0
	s_sub_co_i32 s20, s11, s19
	s_cmp_lg_u32 s18, 0
	s_sub_co_ci_u32 s20, s20, s17
	s_sub_co_u32 s21, s7, s16
	s_cselect_b32 s22, -1, 0
	s_delay_alu instid0(SALU_CYCLE_1) | instskip(SKIP_1) | instid1(SALU_CYCLE_1)
	s_cmp_lg_u32 s22, 0
	s_sub_co_ci_u32 s20, s20, 0
	s_cmp_ge_u32 s20, s17
	s_cselect_b32 s22, -1, 0
	s_cmp_ge_u32 s21, s16
	s_cselect_b32 s23, -1, 0
	s_cmp_eq_u32 s20, s17
	s_add_nc_u64 s[20:21], s[4:5], 1
	s_cselect_b32 s26, s23, s22
	s_add_nc_u64 s[22:23], s[4:5], 2
	s_cmp_lg_u32 s26, 0
	s_cselect_b32 s20, s22, s20
	s_cselect_b32 s21, s23, s21
	s_cmp_lg_u32 s18, 0
	s_sub_co_ci_u32 s18, s11, s19
	s_delay_alu instid0(SALU_CYCLE_1)
	s_cmp_ge_u32 s18, s17
	s_cselect_b32 s19, -1, 0
	s_cmp_ge_u32 s7, s16
	s_cselect_b32 s7, -1, 0
	s_cmp_eq_u32 s18, s17
	s_cselect_b32 s7, s7, s19
	s_delay_alu instid0(SALU_CYCLE_1)
	s_cmp_lg_u32 s7, 0
	s_mov_b32 s7, 0
	s_cselect_b32 s5, s21, s5
	s_cselect_b32 s4, s20, s4
.LBB137_5:                              ;   in Loop: Header=BB137_3 Depth=1
	s_and_not1_b32 vcc_lo, exec_lo, s7
	s_cbranch_vccnz .LBB137_7
; %bb.6:                                ;   in Loop: Header=BB137_3 Depth=1
	v_cvt_f32_u32_e32 v1, s16
	s_sub_co_i32 s5, 0, s16
	s_delay_alu instid0(VALU_DEP_1) | instskip(NEXT) | instid1(TRANS32_DEP_1)
	v_rcp_iflag_f32_e32 v1, v1
	v_mul_f32_e32 v1, 0x4f7ffffe, v1
	s_delay_alu instid0(VALU_DEP_1) | instskip(NEXT) | instid1(VALU_DEP_1)
	v_cvt_u32_f32_e32 v1, v1
	v_readfirstlane_b32 s4, v1
	s_wait_alu 0xfffe
	s_mul_i32 s5, s5, s4
	s_wait_alu 0xfffe
	s_mul_hi_u32 s5, s4, s5
	s_wait_alu 0xfffe
	s_add_co_i32 s4, s4, s5
	s_wait_alu 0xfffe
	s_mul_hi_u32 s4, s10, s4
	s_wait_alu 0xfffe
	s_mul_i32 s5, s4, s16
	s_add_co_i32 s7, s4, 1
	s_wait_alu 0xfffe
	s_sub_co_i32 s5, s10, s5
	s_wait_alu 0xfffe
	s_sub_co_i32 s18, s5, s16
	s_cmp_ge_u32 s5, s16
	s_cselect_b32 s4, s7, s4
	s_cselect_b32 s5, s18, s5
	s_wait_alu 0xfffe
	s_add_co_i32 s7, s4, 1
	s_cmp_ge_u32 s5, s16
	s_mov_b32 s5, s6
	s_cselect_b32 s4, s7, s4
.LBB137_7:                              ;   in Loop: Header=BB137_3 Depth=1
	s_load_b64 s[18:19], s[8:9], 0xc8
	s_mul_u64 s[16:17], s[4:5], s[16:17]
	s_add_co_i32 s15, s15, -1
	s_wait_alu 0xfffe
	s_sub_nc_u64 s[10:11], s[10:11], s[16:17]
	s_cmp_gt_u32 s15, 2
	s_add_nc_u64 s[8:9], s[8:9], -8
	s_wait_kmcnt 0x0
	s_mul_u64 s[10:11], s[18:19], s[10:11]
	s_delay_alu instid0(SALU_CYCLE_1)
	s_add_nc_u64 s[12:13], s[10:11], s[12:13]
	s_cbranch_scc0 .LBB137_9
; %bb.8:                                ;   in Loop: Header=BB137_3 Depth=1
	s_mov_b64 s[10:11], s[4:5]
	s_branch .LBB137_3
.LBB137_9:
	s_load_b32 s7, s[0:1], 0x350
	s_add_nc_u64 s[34:35], s[0:1], 0x368
	s_mov_b64 s[16:17], 0
	s_wait_kmcnt 0x0
	s_cmp_lt_i32 s7, 2
	s_cbranch_scc1 .LBB137_17
; %bb.10:
	s_mov_b32 s6, 0
	s_add_co_i32 s8, s7, -1
	s_mov_b32 s9, s6
	s_add_co_i32 s15, s7, 1
	s_lshl_b64 s[8:9], s[8:9], 3
	s_delay_alu instid0(SALU_CYCLE_1) | instskip(NEXT) | instid1(SALU_CYCLE_1)
	s_add_nc_u64 s[8:9], s[0:1], s[8:9]
	s_add_nc_u64 s[8:9], s[8:9], 0x1c0
.LBB137_11:                             ; =>This Inner Loop Header: Depth=1
	s_load_b64 s[10:11], s[8:9], 0x0
	s_wait_kmcnt 0x0
	s_or_b64 s[18:19], s[2:3], s[10:11]
	s_delay_alu instid0(SALU_CYCLE_1)
	s_mov_b32 s7, s19
                                        ; implicit-def: $sgpr18_sgpr19
	s_wait_alu 0xfffe
	s_cmp_lg_u64 s[6:7], 0
	s_mov_b32 s7, -1
	s_cbranch_scc0 .LBB137_13
; %bb.12:                               ;   in Loop: Header=BB137_11 Depth=1
	s_cvt_f32_u32 s7, s10
	s_cvt_f32_u32 s18, s11
	s_sub_nc_u64 s[20:21], 0, s[10:11]
	s_mov_b32 s23, s6
	s_mov_b32 s29, s6
	s_wait_alu 0xfffe
	s_fmamk_f32 s7, s18, 0x4f800000, s7
	s_wait_alu 0xfffe
	s_delay_alu instid0(SALU_CYCLE_2) | instskip(NEXT) | instid1(TRANS32_DEP_1)
	v_s_rcp_f32 s7, s7
	s_mul_f32 s7, s7, 0x5f7ffffc
	s_wait_alu 0xfffe
	s_delay_alu instid0(SALU_CYCLE_2) | instskip(NEXT) | instid1(SALU_CYCLE_3)
	s_mul_f32 s18, s7, 0x2f800000
	s_trunc_f32 s18, s18
	s_delay_alu instid0(SALU_CYCLE_3) | instskip(SKIP_2) | instid1(SALU_CYCLE_1)
	s_fmamk_f32 s7, s18, 0xcf800000, s7
	s_cvt_u32_f32 s19, s18
	s_wait_alu 0xfffe
	s_cvt_u32_f32 s18, s7
	s_delay_alu instid0(SALU_CYCLE_3) | instskip(NEXT) | instid1(SALU_CYCLE_1)
	s_mul_u64 s[26:27], s[20:21], s[18:19]
	s_mul_hi_u32 s31, s18, s27
	s_mul_i32 s30, s18, s27
	s_mul_hi_u32 s22, s18, s26
	s_mul_i32 s28, s19, s26
	s_add_nc_u64 s[22:23], s[22:23], s[30:31]
	s_mul_hi_u32 s7, s19, s26
	s_mul_hi_u32 s33, s19, s27
	s_add_co_u32 s22, s22, s28
	s_wait_alu 0xfffe
	s_add_co_ci_u32 s28, s23, s7
	s_mul_i32 s26, s19, s27
	s_add_co_ci_u32 s27, s33, 0
	s_delay_alu instid0(SALU_CYCLE_1)
	s_add_nc_u64 s[22:23], s[28:29], s[26:27]
	s_mov_b32 s27, s6
	s_add_co_u32 s18, s18, s22
	s_cselect_b32 s7, -1, 0
	s_wait_alu 0xfffe
	s_cmp_lg_u32 s7, 0
	s_add_co_ci_u32 s19, s19, s23
	s_mov_b32 s23, s6
	s_mul_u64 s[20:21], s[20:21], s[18:19]
	s_delay_alu instid0(SALU_CYCLE_1)
	s_mul_hi_u32 s29, s18, s21
	s_mul_i32 s28, s18, s21
	s_mul_hi_u32 s22, s18, s20
	s_mul_i32 s26, s19, s20
	s_add_nc_u64 s[22:23], s[22:23], s[28:29]
	s_mul_hi_u32 s7, s19, s20
	s_mul_hi_u32 s30, s19, s21
	s_mul_i32 s20, s19, s21
	s_add_co_u32 s21, s22, s26
	s_wait_alu 0xfffe
	s_add_co_ci_u32 s26, s23, s7
	s_add_co_ci_u32 s21, s30, 0
	s_mov_b32 s23, s6
	s_add_nc_u64 s[20:21], s[26:27], s[20:21]
	s_delay_alu instid0(SALU_CYCLE_1)
	s_add_co_u32 s7, s18, s20
	s_cselect_b32 s18, -1, 0
	s_wait_alu 0xfffe
	s_mul_hi_u32 s22, s2, s7
	s_cmp_lg_u32 s18, 0
	s_mul_hi_u32 s26, s3, s7
	s_add_co_ci_u32 s20, s19, s21
	s_mul_i32 s7, s3, s7
	s_mul_hi_u32 s19, s2, s20
	s_mul_i32 s18, s2, s20
	s_mul_hi_u32 s21, s3, s20
	s_add_nc_u64 s[18:19], s[22:23], s[18:19]
	s_mul_i32 s20, s3, s20
	s_wait_alu 0xfffe
	s_add_co_u32 s7, s18, s7
	s_add_co_ci_u32 s26, s19, s26
	s_add_co_ci_u32 s21, s21, 0
	s_delay_alu instid0(SALU_CYCLE_1) | instskip(NEXT) | instid1(SALU_CYCLE_1)
	s_add_nc_u64 s[18:19], s[26:27], s[20:21]
	s_mul_u64 s[20:21], s[10:11], s[18:19]
	s_delay_alu instid0(SALU_CYCLE_1)
	s_sub_co_u32 s7, s2, s20
	s_cselect_b32 s20, -1, 0
	s_sub_co_i32 s22, s3, s21
	s_cmp_lg_u32 s20, 0
	s_sub_co_ci_u32 s22, s22, s11
	s_wait_alu 0xfffe
	s_sub_co_u32 s23, s7, s10
	s_cselect_b32 s26, -1, 0
	s_delay_alu instid0(SALU_CYCLE_1) | instskip(SKIP_1) | instid1(SALU_CYCLE_1)
	s_cmp_lg_u32 s26, 0
	s_sub_co_ci_u32 s22, s22, 0
	s_cmp_ge_u32 s22, s11
	s_cselect_b32 s26, -1, 0
	s_cmp_ge_u32 s23, s10
	s_cselect_b32 s27, -1, 0
	s_cmp_eq_u32 s22, s11
	s_add_nc_u64 s[22:23], s[18:19], 1
	s_cselect_b32 s28, s27, s26
	s_add_nc_u64 s[26:27], s[18:19], 2
	s_cmp_lg_u32 s28, 0
	s_cselect_b32 s22, s26, s22
	s_cselect_b32 s23, s27, s23
	s_cmp_lg_u32 s20, 0
	s_sub_co_ci_u32 s20, s3, s21
	s_delay_alu instid0(SALU_CYCLE_1)
	s_cmp_ge_u32 s20, s11
	s_cselect_b32 s21, -1, 0
	s_cmp_ge_u32 s7, s10
	s_cselect_b32 s7, -1, 0
	s_cmp_eq_u32 s20, s11
	s_wait_alu 0xfffe
	s_cselect_b32 s7, s7, s21
	s_wait_alu 0xfffe
	s_cmp_lg_u32 s7, 0
	s_mov_b32 s7, 0
	s_cselect_b32 s19, s23, s19
	s_cselect_b32 s18, s22, s18
.LBB137_13:                             ;   in Loop: Header=BB137_11 Depth=1
	s_wait_alu 0xfffe
	s_and_not1_b32 vcc_lo, exec_lo, s7
	s_cbranch_vccnz .LBB137_15
; %bb.14:                               ;   in Loop: Header=BB137_11 Depth=1
	v_cvt_f32_u32_e32 v1, s10
	s_sub_co_i32 s18, 0, s10
	s_delay_alu instid0(VALU_DEP_1) | instskip(NEXT) | instid1(TRANS32_DEP_1)
	v_rcp_iflag_f32_e32 v1, v1
	v_mul_f32_e32 v1, 0x4f7ffffe, v1
	s_delay_alu instid0(VALU_DEP_1) | instskip(NEXT) | instid1(VALU_DEP_1)
	v_cvt_u32_f32_e32 v1, v1
	v_readfirstlane_b32 s7, v1
	s_mul_i32 s18, s18, s7
	s_delay_alu instid0(SALU_CYCLE_1) | instskip(NEXT) | instid1(SALU_CYCLE_1)
	s_mul_hi_u32 s18, s7, s18
	s_add_co_i32 s7, s7, s18
	s_wait_alu 0xfffe
	s_mul_hi_u32 s7, s2, s7
	s_wait_alu 0xfffe
	s_mul_i32 s18, s7, s10
	s_add_co_i32 s19, s7, 1
	s_sub_co_i32 s18, s2, s18
	s_delay_alu instid0(SALU_CYCLE_1)
	s_sub_co_i32 s20, s18, s10
	s_cmp_ge_u32 s18, s10
	s_cselect_b32 s7, s19, s7
	s_cselect_b32 s18, s20, s18
	s_wait_alu 0xfffe
	s_add_co_i32 s19, s7, 1
	s_cmp_ge_u32 s18, s10
	s_cselect_b32 s18, s19, s7
	s_mov_b32 s19, s6
.LBB137_15:                             ;   in Loop: Header=BB137_11 Depth=1
	s_load_b64 s[20:21], s[8:9], 0xc8
	s_mul_u64 s[10:11], s[18:19], s[10:11]
	s_add_co_i32 s15, s15, -1
	s_wait_alu 0xfffe
	s_sub_nc_u64 s[2:3], s[2:3], s[10:11]
	s_cmp_gt_u32 s15, 2
	s_add_nc_u64 s[8:9], s[8:9], -8
	s_wait_kmcnt 0x0
	s_wait_alu 0xfffe
	s_mul_u64 s[2:3], s[20:21], s[2:3]
	s_wait_alu 0xfffe
	s_add_nc_u64 s[16:17], s[2:3], s[16:17]
	s_cbranch_scc0 .LBB137_18
; %bb.16:                               ;   in Loop: Header=BB137_11 Depth=1
	s_mov_b64 s[2:3], s[18:19]
	s_branch .LBB137_11
.LBB137_17:
	s_mov_b64 s[18:19], s[2:3]
.LBB137_18:
	s_clause 0x2
	s_load_b64 s[2:3], s[0:1], 0xd0
	s_load_b32 s8, s[0:1], 0x360
	s_load_b64 s[20:21], s[0:1], 0x0
	s_wait_kmcnt 0x0
	s_mul_u64 s[6:7], s[2:3], s[4:5]
	s_bitcmp1_b32 s8, 0
	s_brev_b32 s3, 1
	s_cselect_b32 s15, -1, 0
	s_delay_alu instid0(SALU_CYCLE_1)
	s_and_b32 s4, s15, exec_lo
	s_wait_alu 0xfffe
	s_cselect_b32 s4, s3, 0x7fffffff
	s_lshl_b64 s[22:23], s[6:7], 2
	s_wait_alu 0xfffe
	s_mov_b32 s5, s4
	s_mov_b32 s6, s4
	;; [unrolled: 1-line block ×7, first 2 shown]
	v_and_b32_e32 v37, 0x3ff, v0
	s_wait_alu 0xfffe
	v_dual_mov_b32 v1, s4 :: v_dual_mov_b32 v4, s7
	v_dual_mov_b32 v2, s5 :: v_dual_mov_b32 v3, s6
	v_mov_b32_e32 v6, s9
	v_cmp_gt_u32_e64 s2, s14, v37
	v_dual_mov_b32 v5, s8 :: v_dual_mov_b32 v8, s11
	v_mov_b32_e32 v7, s10
	v_mov_b32_e32 v9, s4
	s_add_nc_u64 s[20:21], s[20:21], s[22:23]
	s_lshl_b64 s[12:13], s[12:13], 2
	s_wait_alu 0xfffe
	s_add_nc_u64 s[28:29], s[20:21], s[12:13]
	s_and_saveexec_b32 s3, s2
	s_cbranch_execz .LBB137_20
; %bb.19:
	v_mad_co_u64_u32 v[1:2], null, s24, v37, 0
	s_delay_alu instid0(VALU_DEP_1) | instskip(NEXT) | instid1(VALU_DEP_1)
	v_mad_co_u64_u32 v[2:3], null, s25, v37, v[2:3]
	v_lshlrev_b64_e32 v[1:2], 2, v[1:2]
	s_delay_alu instid0(VALU_DEP_1) | instskip(NEXT) | instid1(VALU_DEP_1)
	v_add_co_u32 v1, vcc_lo, s28, v1
	v_add_co_ci_u32_e64 v2, null, s29, v2, vcc_lo
	global_load_b32 v9, v[1:2], off
	v_dual_mov_b32 v1, s4 :: v_dual_mov_b32 v2, s5
	v_dual_mov_b32 v3, s6 :: v_dual_mov_b32 v4, s7
	;; [unrolled: 1-line block ×4, first 2 shown]
.LBB137_20:
	s_wait_alu 0xfffe
	s_or_b32 exec_lo, exec_lo, s3
	v_add_nc_u32_e32 v19, 0x80, v37
	s_delay_alu instid0(VALU_DEP_1)
	v_cmp_gt_u32_e64 s3, s14, v19
	s_and_saveexec_b32 s4, s3
	s_cbranch_execz .LBB137_22
; %bb.21:
	v_mad_co_u64_u32 v[1:2], null, s24, v19, 0
	s_delay_alu instid0(VALU_DEP_1) | instskip(NEXT) | instid1(VALU_DEP_1)
	v_mad_co_u64_u32 v[10:11], null, s25, v19, v[2:3]
	v_mov_b32_e32 v2, v10
	s_delay_alu instid0(VALU_DEP_1) | instskip(NEXT) | instid1(VALU_DEP_1)
	v_lshlrev_b64_e32 v[1:2], 2, v[1:2]
	v_add_co_u32 v1, vcc_lo, s28, v1
	s_wait_alu 0xfffd
	s_delay_alu instid0(VALU_DEP_2)
	v_add_co_ci_u32_e64 v2, null, s29, v2, vcc_lo
	global_load_b32 v2, v[1:2], off
.LBB137_22:
	s_wait_alu 0xfffe
	s_or_b32 exec_lo, exec_lo, s4
	v_add_nc_u32_e32 v20, 0x100, v37
	s_delay_alu instid0(VALU_DEP_1)
	v_cmp_gt_u32_e64 s4, s14, v20
	s_and_saveexec_b32 s5, s4
	s_cbranch_execz .LBB137_24
; %bb.23:
	v_mad_co_u64_u32 v[10:11], null, s24, v20, 0
	s_delay_alu instid0(VALU_DEP_1) | instskip(SKIP_1) | instid1(VALU_DEP_1)
	v_mov_b32_e32 v1, v11
	s_wait_loadcnt 0x0
	v_mad_co_u64_u32 v[11:12], null, s25, v20, v[1:2]
	s_delay_alu instid0(VALU_DEP_1) | instskip(NEXT) | instid1(VALU_DEP_1)
	v_lshlrev_b64_e32 v[10:11], 2, v[10:11]
	v_add_co_u32 v10, vcc_lo, s28, v10
	s_wait_alu 0xfffd
	s_delay_alu instid0(VALU_DEP_2)
	v_add_co_ci_u32_e64 v11, null, s29, v11, vcc_lo
	global_load_b32 v3, v[10:11], off
.LBB137_24:
	s_wait_alu 0xfffe
	s_or_b32 exec_lo, exec_lo, s5
	v_add_nc_u32_e32 v21, 0x180, v37
	s_delay_alu instid0(VALU_DEP_1)
	v_cmp_gt_u32_e64 s5, s14, v21
	s_and_saveexec_b32 s6, s5
	s_cbranch_execz .LBB137_26
; %bb.25:
	v_mad_co_u64_u32 v[10:11], null, s24, v21, 0
	s_delay_alu instid0(VALU_DEP_1) | instskip(SKIP_1) | instid1(VALU_DEP_1)
	v_mov_b32_e32 v1, v11
	s_wait_loadcnt 0x0
	v_mad_co_u64_u32 v[11:12], null, s25, v21, v[1:2]
	s_delay_alu instid0(VALU_DEP_1) | instskip(NEXT) | instid1(VALU_DEP_1)
	v_lshlrev_b64_e32 v[10:11], 2, v[10:11]
	v_add_co_u32 v10, vcc_lo, s28, v10
	s_wait_alu 0xfffd
	s_delay_alu instid0(VALU_DEP_2)
	v_add_co_ci_u32_e64 v11, null, s29, v11, vcc_lo
	global_load_b32 v4, v[10:11], off
.LBB137_26:
	;; [unrolled: 21-line block ×5, first 2 shown]
	s_wait_alu 0xfffe
	s_or_b32 exec_lo, exec_lo, s9
	s_clause 0x1
	s_load_b64 s[12:13], s[0:1], 0x288
	s_load_b64 s[10:11], s[0:1], 0x1b8
	v_add_nc_u32_e32 v25, 0x380, v37
	s_delay_alu instid0(VALU_DEP_1)
	v_cmp_gt_u32_e64 s9, s14, v25
	s_and_saveexec_b32 s14, s9
	s_cbranch_execz .LBB137_34
; %bb.33:
	v_mad_co_u64_u32 v[10:11], null, s24, v25, 0
	s_delay_alu instid0(VALU_DEP_1) | instskip(SKIP_1) | instid1(VALU_DEP_1)
	v_mov_b32_e32 v1, v11
	s_wait_loadcnt 0x0
	v_mad_co_u64_u32 v[11:12], null, s25, v25, v[1:2]
	s_delay_alu instid0(VALU_DEP_1) | instskip(NEXT) | instid1(VALU_DEP_1)
	v_lshlrev_b64_e32 v[10:11], 2, v[10:11]
	v_add_co_u32 v10, vcc_lo, s28, v10
	s_wait_alu 0xfffd
	s_delay_alu instid0(VALU_DEP_2)
	v_add_co_ci_u32_e64 v11, null, s29, v11, vcc_lo
	global_load_b32 v8, v[10:11], off
.LBB137_34:
	s_wait_alu 0xfffe
	s_or_b32 exec_lo, exec_lo, s14
	v_lshrrev_b32_e32 v1, 5, v19
	v_lshrrev_b32_e32 v17, 5, v37
	v_lshrrev_b32_e32 v10, 5, v20
	v_lshlrev_b32_e32 v18, 3, v37
	s_load_b64 s[26:27], s[0:1], 0x358
	v_add_nc_u32_e32 v28, v1, v37
	v_lshrrev_b32_e32 v1, 5, v21
	v_add_nc_u32_e32 v29, v17, v37
	s_wait_kmcnt 0x0
	s_mul_u64 s[12:13], s[12:13], s[18:19]
	v_mov_b32_e32 v13, 0
	s_wait_alu 0xfffe
	s_lshl_b64 s[12:13], s[12:13], 3
	v_add_nc_u32_e32 v27, v1, v37
	v_lshrrev_b32_e32 v1, 5, v22
	s_wait_alu 0xfffe
	s_add_nc_u64 s[10:11], s[10:11], s[12:13]
	s_lshl_b64 s[12:13], s[16:17], 3
	v_mov_b32_e32 v14, 0
	s_wait_alu 0xfffe
	s_add_nc_u64 s[30:31], s[10:11], s[12:13]
	v_add_nc_u32_e32 v30, v1, v37
	v_lshrrev_b32_e32 v1, 5, v23
	s_delay_alu instid0(VALU_DEP_1) | instskip(SKIP_1) | instid1(VALU_DEP_1)
	v_add_nc_u32_e32 v34, v1, v37
	v_lshrrev_b32_e32 v1, 2, v37
	v_add_nc_u32_e32 v33, v1, v18
	v_dual_mov_b32 v1, 0 :: v_dual_add_nc_u32 v26, v10, v37
	v_lshlrev_b32_e32 v70, 2, v29
	v_lshlrev_b32_e32 v71, 2, v28
	s_delay_alu instid0(VALU_DEP_3) | instskip(NEXT) | instid1(VALU_DEP_4)
	v_dual_mov_b32 v16, v1 :: v_dual_lshlrev_b32 v73, 2, v27
	v_dual_mov_b32 v15, v1 :: v_dual_lshlrev_b32 v72, 2, v26
	s_wait_loadcnt 0x0
	ds_store_b32 v70, v9
	ds_store_b32 v71, v2 offset:512
	ds_store_b32 v72, v3 offset:1024
	v_lshrrev_b32_e32 v2, 5, v24
	v_lshrrev_b32_e32 v3, 5, v25
	v_lshlrev_b32_e32 v74, 2, v30
	v_lshlrev_b32_e32 v75, 2, v34
	;; [unrolled: 1-line block ×3, first 2 shown]
	v_dual_mov_b32 v9, v1 :: v_dual_add_nc_u32 v32, v2, v37
	v_add_nc_u32_e32 v31, v3, v37
	ds_store_b32 v73, v4 offset:1536
	v_mov_b32_e32 v4, v1
	v_lshlrev_b32_e32 v76, 2, v32
	ds_store_b32 v74, v5 offset:2048
	v_lshlrev_b32_e32 v77, 2, v31
	ds_store_b32 v75, v6 offset:2560
	ds_store_b32 v76, v7 offset:3072
	;; [unrolled: 1-line block ×3, first 2 shown]
	s_wait_dscnt 0x0
	s_barrier_signal -1
	s_barrier_wait -1
	global_inv scope:SCOPE_SE
	ds_load_2addr_b32 v[44:45], v78 offset1:1
	ds_load_2addr_b32 v[42:43], v78 offset0:2 offset1:3
	ds_load_2addr_b32 v[40:41], v78 offset0:4 offset1:5
	;; [unrolled: 1-line block ×3, first 2 shown]
	v_dual_mov_b32 v2, v1 :: v_dual_mov_b32 v3, v1
	v_dual_mov_b32 v5, v1 :: v_dual_mov_b32 v6, v1
	v_dual_mov_b32 v7, v1 :: v_dual_mov_b32 v8, v1
	v_dual_mov_b32 v10, v1 :: v_dual_mov_b32 v11, v1
	v_mov_b32_e32 v12, v1
	s_wait_loadcnt_dscnt 0x0
	s_barrier_signal -1
	s_barrier_wait -1
	global_inv scope:SCOPE_SE
	s_and_saveexec_b32 s0, s2
	s_cbranch_execnz .LBB137_70
; %bb.35:
	s_or_b32 exec_lo, exec_lo, s0
	s_and_saveexec_b32 s0, s3
	s_cbranch_execnz .LBB137_71
.LBB137_36:
	s_or_b32 exec_lo, exec_lo, s0
	s_and_saveexec_b32 s0, s4
	s_cbranch_execnz .LBB137_72
.LBB137_37:
	s_or_b32 exec_lo, exec_lo, s0
	s_and_saveexec_b32 s0, s5
	s_cbranch_execnz .LBB137_73
.LBB137_38:
	s_or_b32 exec_lo, exec_lo, s0
	s_and_saveexec_b32 s0, s6
	s_cbranch_execnz .LBB137_74
.LBB137_39:
	s_or_b32 exec_lo, exec_lo, s0
	s_and_saveexec_b32 s0, s7
	s_cbranch_execnz .LBB137_75
.LBB137_40:
	s_or_b32 exec_lo, exec_lo, s0
	s_and_saveexec_b32 s0, s8
	s_cbranch_execnz .LBB137_76
.LBB137_41:
	s_or_b32 exec_lo, exec_lo, s0
	s_xor_b32 s0, s15, -1
	s_and_saveexec_b32 s1, s9
	s_cbranch_execz .LBB137_43
.LBB137_42:
	v_mad_co_u64_u32 v[11:12], null, s26, v25, 0
	s_wait_loadcnt 0x0
	s_delay_alu instid0(VALU_DEP_1) | instskip(NEXT) | instid1(VALU_DEP_1)
	v_mad_co_u64_u32 v[19:20], null, s27, v25, v[12:13]
	v_mov_b32_e32 v12, v19
	s_delay_alu instid0(VALU_DEP_1) | instskip(NEXT) | instid1(VALU_DEP_1)
	v_lshlrev_b64_e32 v[11:12], 3, v[11:12]
	v_add_co_u32 v11, vcc_lo, s30, v11
	s_wait_alu 0xfffd
	s_delay_alu instid0(VALU_DEP_2)
	v_add_co_ci_u32_e64 v12, null, s31, v12, vcc_lo
	global_load_b64 v[11:12], v[11:12], off
.LBB137_43:
	s_or_b32 exec_lo, exec_lo, s1
	v_lshlrev_b32_e32 v79, 3, v29
	v_lshlrev_b32_e32 v82, 3, v27
	;; [unrolled: 1-line block ×9, first 2 shown]
	s_wait_loadcnt 0x0
	ds_store_b64 v79, v[13:14]
	ds_store_b64 v80, v[1:2] offset:1024
	ds_store_b64 v81, v[15:16] offset:2048
	;; [unrolled: 1-line block ×7, first 2 shown]
	s_wait_dscnt 0x0
	s_barrier_signal -1
	s_barrier_wait -1
	global_inv scope:SCOPE_SE
	ds_load_2addr_b64 v[5:8], v87 offset1:1
	ds_load_2addr_b64 v[1:4], v87 offset0:2 offset1:3
	v_mbcnt_lo_u32_b32 v91, -1, 0
	v_and_b32_e32 v20, 0x1f00, v18
	ds_load_2addr_b64 v[13:16], v87 offset0:4 offset1:5
	ds_load_2addr_b64 v[9:12], v87 offset0:6 offset1:7
	v_and_b32_e32 v19, 0x3e0, v37
	s_and_b32 vcc_lo, exec_lo, s0
	v_bfe_u32 v96, v0, 10, 10
	v_or_b32_e32 v20, v91, v20
	v_bfe_u32 v97, v0, 20, 10
	v_or_b32_e32 v21, v91, v19
	v_lshlrev_b32_e32 v88, 2, v18
	v_and_b32_e32 v94, 15, v91
	v_lshlrev_b32_e32 v89, 2, v20
	v_and_b32_e32 v93, 16, v91
	v_lshlrev_b32_e32 v99, 3, v21
	v_lshlrev_b32_e32 v100, 5, v21
	v_min_u32_e32 v95, 0x60, v19
	v_lshl_add_u32 v98, v20, 2, v89
	v_cmp_gt_u32_e64 s0, 4, v37
	v_cmp_lt_u32_e64 s1, 31, v37
	v_cmp_eq_u32_e64 s10, 0, v37
	v_lshlrev_b32_e32 v90, 2, v17
	v_mul_i32_i24_e32 v92, 0xffffffe4, v37
	v_and_b32_e32 v0, 3, v91
	s_mov_b32 s20, 0
	s_mov_b32 s11, -1
	s_wait_loadcnt_dscnt 0x0
	s_barrier_signal -1
	s_barrier_wait -1
	global_inv scope:SCOPE_SE
	s_wait_alu 0xfffe
	s_cbranch_vccz .LBB137_77
; %bb.44:
	v_xor_b32_e32 v17, 0x80000000, v44
	v_xor_b32_e32 v18, 0x80000000, v45
	;; [unrolled: 1-line block ×8, first 2 shown]
	ds_store_b128 v100, v[17:20]
	ds_store_b128 v100, v[21:24] offset:16
	v_dual_mov_b32 v104, 0 :: v_dual_lshlrev_b32 v17, 3, v99
	; wave barrier
	ds_load_2addr_b32 v[62:63], v89 offset1:32
	ds_load_2addr_b32 v[64:65], v89 offset0:64 offset1:96
	ds_load_2addr_b32 v[66:67], v89 offset0:128 offset1:160
	;; [unrolled: 1-line block ×3, first 2 shown]
	s_wait_loadcnt_dscnt 0x0
	s_barrier_signal -1
	s_barrier_wait -1
	global_inv scope:SCOPE_SE
	ds_store_b128 v17, v[5:8]
	ds_store_b128 v17, v[1:4] offset:16
	ds_store_b128 v17, v[13:16] offset:32
	;; [unrolled: 1-line block ×3, first 2 shown]
	; wave barrier
	ds_load_2addr_b64 v[21:24], v98 offset1:32
	ds_load_2addr_b64 v[25:28], v98 offset0:64 offset1:96
	ds_load_2addr_b64 v[29:32], v98 offset0:128 offset1:160
	;; [unrolled: 1-line block ×3, first 2 shown]
	s_wait_loadcnt_dscnt 0x0
	s_barrier_signal -1
	s_barrier_wait -1
	global_inv scope:SCOPE_SE
	s_load_b32 s11, s[34:35], 0xc
	s_getpc_b64 s[12:13]
	s_wait_alu 0xfffe
	s_sext_i32_i16 s13, s13
	s_add_co_u32 s12, s12, _ZN7rocprim17ROCPRIM_400000_NS16block_radix_sortIiLj128ELj8ElLj1ELj1ELj0ELNS0_26block_radix_rank_algorithmE1ELNS0_18block_padding_hintE2ELNS0_4arch9wavefront6targetE0EE19radix_bits_per_passE@rel32@lo+12
	s_wait_alu 0xfffe
	s_add_co_ci_u32 s13, s13, _ZN7rocprim17ROCPRIM_400000_NS16block_radix_sortIiLj128ELj8ElLj1ELj1ELj0ELNS0_26block_radix_rank_algorithmE1ELNS0_18block_padding_hintE2ELNS0_4arch9wavefront6targetE0EE19radix_bits_per_passE@rel32@hi+24
	v_or_b32_e32 v19, 31, v95
	s_load_b32 s33, s[12:13], 0x0
	s_mov_b32 s21, s20
	s_mov_b32 s22, s20
	;; [unrolled: 1-line block ×3, first 2 shown]
	v_cmp_eq_u32_e64 s17, v37, v19
	v_add_nc_u32_e32 v102, -4, v90
	v_cmp_eq_u32_e64 s12, 0, v94
	v_cmp_lt_u32_e64 s13, 1, v94
	v_cmp_lt_u32_e64 s15, 7, v94
	v_cmp_eq_u32_e64 s16, 0, v93
	v_cmp_eq_u32_e64 s18, 0, v0
	v_cmp_lt_u32_e64 s19, 1, v0
	v_add_nc_u32_e32 v105, v88, v92
	v_add_nc_u32_e32 v106, v89, v89
	s_wait_kmcnt 0x0
	s_lshr_b32 s14, s11, 16
	s_and_b32 s11, s11, 0xffff
	s_wait_alu 0xfffe
	v_mad_u32_u24 v17, v97, s14, v96
	v_cmp_lt_u32_e64 s14, 3, v94
	s_delay_alu instid0(VALU_DEP_2) | instskip(SKIP_1) | instid1(VALU_DEP_1)
	v_mad_co_u64_u32 v[17:18], null, v17, s11, v[37:38]
	v_sub_co_u32 v18, s11, v91, 1
	v_cmp_gt_i32_e32 vcc_lo, 0, v18
	s_delay_alu instid0(VALU_DEP_3) | instskip(SKIP_1) | instid1(VALU_DEP_1)
	v_lshrrev_b32_e32 v17, 3, v17
	s_wait_alu 0xfffd
	v_dual_cndmask_b32 v18, v18, v91 :: v_dual_and_b32 v103, 0x1ffffffc, v17
	s_delay_alu instid0(VALU_DEP_1)
	v_lshlrev_b32_e32 v101, 2, v18
	v_dual_mov_b32 v17, s20 :: v_dual_mov_b32 v18, s21
	v_dual_mov_b32 v19, s22 :: v_dual_mov_b32 v20, s23
	s_mov_b32 s21, 32
	s_branch .LBB137_46
.LBB137_45:                             ;   in Loop: Header=BB137_46 Depth=1
	s_wait_alu 0xfffe
	s_and_not1_b32 vcc_lo, exec_lo, s22
	s_mov_b32 s21, s20
	s_wait_alu 0xfffe
	s_cbranch_vccz .LBB137_78
.LBB137_46:                             ; =>This Inner Loop Header: Depth=1
	s_wait_alu 0xfffe
	s_min_u32 s20, s33, s21
	v_dual_mov_b32 v108, v69 :: v_dual_mov_b32 v109, v68
	s_wait_alu 0xfffe
	s_lshl_b32 s20, -1, s20
	ds_store_b128 v88, v[17:20] offset:16
	ds_store_b128 v88, v[17:20] offset:32
	s_wait_alu 0xfffe
	s_not_b32 s22, s20
	v_mov_b32_e32 v107, v62
	s_wait_loadcnt_dscnt 0x0
	s_barrier_signal -1
	s_barrier_wait -1
	global_inv scope:SCOPE_SE
	v_lshrrev_b32_e32 v46, v104, v107
	; wave barrier
	v_mov_b32_e32 v111, v66
	s_wait_alu 0xfffe
	s_delay_alu instid0(VALU_DEP_2) | instskip(SKIP_3) | instid1(VALU_DEP_4)
	v_dual_mov_b32 v113, v64 :: v_dual_and_b32 v62, s22, v46
	v_mov_b32_e32 v110, v67
	v_mov_b32_e32 v112, v65
	v_dual_mov_b32 v114, v63 :: v_dual_mov_b32 v59, v24
	v_and_b32_e32 v46, 1, v62
	v_lshlrev_b32_e32 v47, 30, v62
	v_lshlrev_b32_e32 v48, 29, v62
	;; [unrolled: 1-line block ×4, first 2 shown]
	v_add_co_u32 v46, s20, v46, -1
	s_wait_alu 0xf1ff
	v_cndmask_b32_e64 v50, 0, 1, s20
	v_not_b32_e32 v54, v47
	v_cmp_gt_i32_e64 s20, 0, v47
	v_not_b32_e32 v47, v48
	v_lshlrev_b32_e32 v52, 26, v62
	v_cmp_ne_u32_e32 vcc_lo, 0, v50
	v_ashrrev_i32_e32 v54, 31, v54
	v_lshlrev_b32_e32 v53, 25, v62
	v_ashrrev_i32_e32 v47, 31, v47
	v_lshlrev_b32_e32 v50, 24, v62
	s_wait_alu 0xfffd
	v_xor_b32_e32 v46, vcc_lo, v46
	v_cmp_gt_i32_e32 vcc_lo, 0, v48
	v_not_b32_e32 v48, v49
	s_wait_alu 0xf1ff
	v_xor_b32_e32 v54, s20, v54
	v_cmp_gt_i32_e64 s20, 0, v49
	v_and_b32_e32 v46, exec_lo, v46
	v_not_b32_e32 v49, v51
	v_ashrrev_i32_e32 v48, 31, v48
	s_wait_alu 0xfffd
	v_xor_b32_e32 v47, vcc_lo, v47
	v_cmp_gt_i32_e32 vcc_lo, 0, v51
	v_and_b32_e32 v46, v46, v54
	v_not_b32_e32 v51, v52
	v_ashrrev_i32_e32 v49, 31, v49
	s_wait_alu 0xf1ff
	v_xor_b32_e32 v48, s20, v48
	v_cmp_gt_i32_e64 s20, 0, v52
	v_and_b32_e32 v46, v46, v47
	v_not_b32_e32 v47, v53
	v_ashrrev_i32_e32 v51, 31, v51
	s_wait_alu 0xfffd
	v_xor_b32_e32 v49, vcc_lo, v49
	v_cmp_gt_i32_e32 vcc_lo, 0, v53
	v_and_b32_e32 v46, v46, v48
	v_not_b32_e32 v48, v50
	v_ashrrev_i32_e32 v47, 31, v47
	s_wait_alu 0xf1ff
	v_xor_b32_e32 v51, s20, v51
	v_cmp_gt_i32_e64 s20, 0, v50
	v_and_b32_e32 v46, v46, v49
	v_ashrrev_i32_e32 v48, 31, v48
	s_wait_alu 0xfffd
	v_xor_b32_e32 v47, vcc_lo, v47
	v_dual_mov_b32 v58, v23 :: v_dual_mov_b32 v53, v30
	v_and_b32_e32 v46, v46, v51
	s_wait_alu 0xf1ff
	v_xor_b32_e32 v54, s20, v48
	v_mov_b32_e32 v51, v32
	v_dual_mov_b32 v49, v34 :: v_dual_mov_b32 v50, v31
	v_dual_mov_b32 v48, v33 :: v_dual_and_b32 v55, v46, v47
	v_dual_mov_b32 v52, v29 :: v_dual_mov_b32 v47, v36
	v_mov_b32_e32 v57, v26
	s_delay_alu instid0(VALU_DEP_3) | instskip(SKIP_2) | instid1(VALU_DEP_3)
	v_and_b32_e32 v31, v55, v54
	v_dual_mov_b32 v55, v28 :: v_dual_mov_b32 v54, v27
	v_dual_mov_b32 v56, v25 :: v_dual_mov_b32 v61, v22
	v_mbcnt_lo_u32_b32 v29, v31, 0
	v_dual_mov_b32 v60, v21 :: v_dual_lshlrev_b32 v21, 4, v62
	v_cmp_ne_u32_e64 s20, 0, v31
	v_mov_b32_e32 v46, v35
	s_delay_alu instid0(VALU_DEP_4) | instskip(NEXT) | instid1(VALU_DEP_4)
	v_cmp_eq_u32_e32 vcc_lo, 0, v29
	v_add_nc_u32_e32 v30, v103, v21
	s_and_b32 s23, s20, vcc_lo
	s_wait_alu 0xfffe
	s_and_saveexec_b32 s20, s23
; %bb.47:                               ;   in Loop: Header=BB137_46 Depth=1
	v_bcnt_u32_b32 v21, v31, 0
	ds_store_b32 v30, v21 offset:16
; %bb.48:                               ;   in Loop: Header=BB137_46 Depth=1
	s_wait_alu 0xfffe
	s_or_b32 exec_lo, exec_lo, s20
	v_lshrrev_b32_e32 v21, v104, v114
	; wave barrier
	s_delay_alu instid0(VALU_DEP_1) | instskip(NEXT) | instid1(VALU_DEP_1)
	v_and_b32_e32 v21, s22, v21
	v_and_b32_e32 v22, 1, v21
	v_lshlrev_b32_e32 v23, 30, v21
	v_lshlrev_b32_e32 v24, 29, v21
	;; [unrolled: 1-line block ×4, first 2 shown]
	v_add_co_u32 v22, s20, v22, -1
	s_wait_alu 0xf1ff
	v_cndmask_b32_e64 v26, 0, 1, s20
	v_not_b32_e32 v32, v23
	v_cmp_gt_i32_e64 s20, 0, v23
	v_not_b32_e32 v23, v24
	v_lshlrev_b32_e32 v28, 26, v21
	v_cmp_ne_u32_e32 vcc_lo, 0, v26
	v_ashrrev_i32_e32 v32, 31, v32
	v_lshlrev_b32_e32 v31, 25, v21
	v_ashrrev_i32_e32 v23, 31, v23
	v_lshlrev_b32_e32 v26, 24, v21
	s_wait_alu 0xfffd
	v_xor_b32_e32 v22, vcc_lo, v22
	v_cmp_gt_i32_e32 vcc_lo, 0, v24
	v_not_b32_e32 v24, v25
	s_wait_alu 0xf1ff
	v_xor_b32_e32 v32, s20, v32
	v_cmp_gt_i32_e64 s20, 0, v25
	v_and_b32_e32 v22, exec_lo, v22
	v_not_b32_e32 v25, v27
	v_ashrrev_i32_e32 v24, 31, v24
	s_wait_alu 0xfffd
	v_xor_b32_e32 v23, vcc_lo, v23
	v_cmp_gt_i32_e32 vcc_lo, 0, v27
	v_and_b32_e32 v22, v22, v32
	v_not_b32_e32 v27, v28
	v_ashrrev_i32_e32 v25, 31, v25
	s_wait_alu 0xf1ff
	v_xor_b32_e32 v24, s20, v24
	v_cmp_gt_i32_e64 s20, 0, v28
	v_and_b32_e32 v22, v22, v23
	v_not_b32_e32 v23, v31
	v_ashrrev_i32_e32 v27, 31, v27
	s_wait_alu 0xfffd
	v_xor_b32_e32 v25, vcc_lo, v25
	v_cmp_gt_i32_e32 vcc_lo, 0, v31
	v_and_b32_e32 v22, v22, v24
	v_not_b32_e32 v24, v26
	v_ashrrev_i32_e32 v23, 31, v23
	s_wait_alu 0xf1ff
	v_xor_b32_e32 v27, s20, v27
	v_lshlrev_b32_e32 v21, 4, v21
	v_and_b32_e32 v22, v22, v25
	v_cmp_gt_i32_e64 s20, 0, v26
	v_ashrrev_i32_e32 v24, 31, v24
	s_wait_alu 0xfffd
	v_xor_b32_e32 v23, vcc_lo, v23
	v_add_nc_u32_e32 v33, v103, v21
	v_and_b32_e32 v22, v22, v27
	s_wait_alu 0xf1ff
	v_xor_b32_e32 v21, s20, v24
	ds_load_b32 v31, v33 offset:16
	v_and_b32_e32 v22, v22, v23
	; wave barrier
	s_delay_alu instid0(VALU_DEP_1) | instskip(NEXT) | instid1(VALU_DEP_1)
	v_and_b32_e32 v21, v22, v21
	v_mbcnt_lo_u32_b32 v32, v21, 0
	v_cmp_ne_u32_e64 s20, 0, v21
	s_delay_alu instid0(VALU_DEP_2)
	v_cmp_eq_u32_e32 vcc_lo, 0, v32
	s_and_b32 s23, s20, vcc_lo
	s_wait_alu 0xfffe
	s_and_saveexec_b32 s20, s23
	s_cbranch_execz .LBB137_50
; %bb.49:                               ;   in Loop: Header=BB137_46 Depth=1
	s_wait_dscnt 0x0
	v_bcnt_u32_b32 v21, v21, v31
	ds_store_b32 v33, v21 offset:16
.LBB137_50:                             ;   in Loop: Header=BB137_46 Depth=1
	s_wait_alu 0xfffe
	s_or_b32 exec_lo, exec_lo, s20
	v_lshrrev_b32_e32 v21, v104, v113
	; wave barrier
	s_delay_alu instid0(VALU_DEP_1) | instskip(NEXT) | instid1(VALU_DEP_1)
	v_and_b32_e32 v21, s22, v21
	v_and_b32_e32 v22, 1, v21
	v_lshlrev_b32_e32 v23, 30, v21
	v_lshlrev_b32_e32 v24, 29, v21
	;; [unrolled: 1-line block ×4, first 2 shown]
	v_add_co_u32 v22, s20, v22, -1
	s_wait_alu 0xf1ff
	v_cndmask_b32_e64 v26, 0, 1, s20
	v_not_b32_e32 v35, v23
	v_cmp_gt_i32_e64 s20, 0, v23
	v_not_b32_e32 v23, v24
	v_lshlrev_b32_e32 v28, 26, v21
	v_cmp_ne_u32_e32 vcc_lo, 0, v26
	v_ashrrev_i32_e32 v35, 31, v35
	v_lshlrev_b32_e32 v34, 25, v21
	v_ashrrev_i32_e32 v23, 31, v23
	v_lshlrev_b32_e32 v26, 24, v21
	s_wait_alu 0xfffd
	v_xor_b32_e32 v22, vcc_lo, v22
	v_cmp_gt_i32_e32 vcc_lo, 0, v24
	v_not_b32_e32 v24, v25
	s_wait_alu 0xf1ff
	v_xor_b32_e32 v35, s20, v35
	v_cmp_gt_i32_e64 s20, 0, v25
	v_and_b32_e32 v22, exec_lo, v22
	v_not_b32_e32 v25, v27
	v_ashrrev_i32_e32 v24, 31, v24
	s_wait_alu 0xfffd
	v_xor_b32_e32 v23, vcc_lo, v23
	v_cmp_gt_i32_e32 vcc_lo, 0, v27
	v_and_b32_e32 v22, v22, v35
	v_not_b32_e32 v27, v28
	v_ashrrev_i32_e32 v25, 31, v25
	s_wait_alu 0xf1ff
	v_xor_b32_e32 v24, s20, v24
	v_cmp_gt_i32_e64 s20, 0, v28
	v_and_b32_e32 v22, v22, v23
	v_not_b32_e32 v23, v34
	v_ashrrev_i32_e32 v27, 31, v27
	s_wait_alu 0xfffd
	v_xor_b32_e32 v25, vcc_lo, v25
	v_cmp_gt_i32_e32 vcc_lo, 0, v34
	v_and_b32_e32 v22, v22, v24
	v_not_b32_e32 v24, v26
	v_ashrrev_i32_e32 v23, 31, v23
	s_wait_alu 0xf1ff
	v_xor_b32_e32 v27, s20, v27
	v_lshlrev_b32_e32 v21, 4, v21
	v_and_b32_e32 v22, v22, v25
	v_cmp_gt_i32_e64 s20, 0, v26
	v_ashrrev_i32_e32 v24, 31, v24
	s_wait_alu 0xfffd
	v_xor_b32_e32 v23, vcc_lo, v23
	v_add_nc_u32_e32 v36, v103, v21
	v_and_b32_e32 v22, v22, v27
	s_wait_alu 0xf1ff
	v_xor_b32_e32 v21, s20, v24
	ds_load_b32 v34, v36 offset:16
	v_and_b32_e32 v22, v22, v23
	; wave barrier
	s_delay_alu instid0(VALU_DEP_1) | instskip(NEXT) | instid1(VALU_DEP_1)
	v_and_b32_e32 v21, v22, v21
	v_mbcnt_lo_u32_b32 v35, v21, 0
	v_cmp_ne_u32_e64 s20, 0, v21
	s_delay_alu instid0(VALU_DEP_2)
	v_cmp_eq_u32_e32 vcc_lo, 0, v35
	s_and_b32 s23, s20, vcc_lo
	s_wait_alu 0xfffe
	s_and_saveexec_b32 s20, s23
	s_cbranch_execz .LBB137_52
; %bb.51:                               ;   in Loop: Header=BB137_46 Depth=1
	s_wait_dscnt 0x0
	v_bcnt_u32_b32 v21, v21, v34
	ds_store_b32 v36, v21 offset:16
.LBB137_52:                             ;   in Loop: Header=BB137_46 Depth=1
	s_wait_alu 0xfffe
	s_or_b32 exec_lo, exec_lo, s20
	v_lshrrev_b32_e32 v21, v104, v112
	; wave barrier
	s_delay_alu instid0(VALU_DEP_1) | instskip(NEXT) | instid1(VALU_DEP_1)
	v_and_b32_e32 v21, s22, v21
	v_and_b32_e32 v22, 1, v21
	v_lshlrev_b32_e32 v23, 30, v21
	v_lshlrev_b32_e32 v24, 29, v21
	;; [unrolled: 1-line block ×4, first 2 shown]
	v_add_co_u32 v22, s20, v22, -1
	s_wait_alu 0xf1ff
	v_cndmask_b32_e64 v26, 0, 1, s20
	v_not_b32_e32 v63, v23
	v_cmp_gt_i32_e64 s20, 0, v23
	v_not_b32_e32 v23, v24
	v_lshlrev_b32_e32 v28, 26, v21
	v_cmp_ne_u32_e32 vcc_lo, 0, v26
	v_ashrrev_i32_e32 v63, 31, v63
	v_lshlrev_b32_e32 v62, 25, v21
	v_ashrrev_i32_e32 v23, 31, v23
	v_lshlrev_b32_e32 v26, 24, v21
	s_wait_alu 0xfffd
	v_xor_b32_e32 v22, vcc_lo, v22
	v_cmp_gt_i32_e32 vcc_lo, 0, v24
	v_not_b32_e32 v24, v25
	s_wait_alu 0xf1ff
	v_xor_b32_e32 v63, s20, v63
	v_cmp_gt_i32_e64 s20, 0, v25
	v_and_b32_e32 v22, exec_lo, v22
	v_not_b32_e32 v25, v27
	v_ashrrev_i32_e32 v24, 31, v24
	s_wait_alu 0xfffd
	v_xor_b32_e32 v23, vcc_lo, v23
	v_cmp_gt_i32_e32 vcc_lo, 0, v27
	v_and_b32_e32 v22, v22, v63
	v_not_b32_e32 v27, v28
	v_ashrrev_i32_e32 v25, 31, v25
	s_wait_alu 0xf1ff
	v_xor_b32_e32 v24, s20, v24
	v_cmp_gt_i32_e64 s20, 0, v28
	v_and_b32_e32 v22, v22, v23
	v_not_b32_e32 v23, v62
	v_ashrrev_i32_e32 v27, 31, v27
	s_wait_alu 0xfffd
	v_xor_b32_e32 v25, vcc_lo, v25
	v_cmp_gt_i32_e32 vcc_lo, 0, v62
	v_and_b32_e32 v22, v22, v24
	v_not_b32_e32 v24, v26
	v_ashrrev_i32_e32 v23, 31, v23
	s_wait_alu 0xf1ff
	v_xor_b32_e32 v27, s20, v27
	v_lshlrev_b32_e32 v21, 4, v21
	v_and_b32_e32 v22, v22, v25
	v_cmp_gt_i32_e64 s20, 0, v26
	v_ashrrev_i32_e32 v24, 31, v24
	s_wait_alu 0xfffd
	v_xor_b32_e32 v23, vcc_lo, v23
	v_add_nc_u32_e32 v64, v103, v21
	v_and_b32_e32 v22, v22, v27
	s_wait_alu 0xf1ff
	v_xor_b32_e32 v21, s20, v24
	ds_load_b32 v62, v64 offset:16
	v_and_b32_e32 v22, v22, v23
	; wave barrier
	s_delay_alu instid0(VALU_DEP_1) | instskip(NEXT) | instid1(VALU_DEP_1)
	v_and_b32_e32 v21, v22, v21
	v_mbcnt_lo_u32_b32 v63, v21, 0
	v_cmp_ne_u32_e64 s20, 0, v21
	s_delay_alu instid0(VALU_DEP_2)
	v_cmp_eq_u32_e32 vcc_lo, 0, v63
	s_and_b32 s23, s20, vcc_lo
	s_wait_alu 0xfffe
	s_and_saveexec_b32 s20, s23
	s_cbranch_execz .LBB137_54
; %bb.53:                               ;   in Loop: Header=BB137_46 Depth=1
	s_wait_dscnt 0x0
	v_bcnt_u32_b32 v21, v21, v62
	ds_store_b32 v64, v21 offset:16
.LBB137_54:                             ;   in Loop: Header=BB137_46 Depth=1
	s_wait_alu 0xfffe
	s_or_b32 exec_lo, exec_lo, s20
	v_lshrrev_b32_e32 v21, v104, v111
	; wave barrier
	s_delay_alu instid0(VALU_DEP_1) | instskip(NEXT) | instid1(VALU_DEP_1)
	v_and_b32_e32 v21, s22, v21
	v_and_b32_e32 v22, 1, v21
	v_lshlrev_b32_e32 v23, 30, v21
	v_lshlrev_b32_e32 v24, 29, v21
	;; [unrolled: 1-line block ×4, first 2 shown]
	v_add_co_u32 v22, s20, v22, -1
	s_wait_alu 0xf1ff
	v_cndmask_b32_e64 v26, 0, 1, s20
	v_not_b32_e32 v66, v23
	v_cmp_gt_i32_e64 s20, 0, v23
	v_not_b32_e32 v23, v24
	v_lshlrev_b32_e32 v28, 26, v21
	v_cmp_ne_u32_e32 vcc_lo, 0, v26
	v_ashrrev_i32_e32 v66, 31, v66
	v_lshlrev_b32_e32 v65, 25, v21
	v_ashrrev_i32_e32 v23, 31, v23
	v_lshlrev_b32_e32 v26, 24, v21
	s_wait_alu 0xfffd
	v_xor_b32_e32 v22, vcc_lo, v22
	v_cmp_gt_i32_e32 vcc_lo, 0, v24
	v_not_b32_e32 v24, v25
	s_wait_alu 0xf1ff
	v_xor_b32_e32 v66, s20, v66
	v_cmp_gt_i32_e64 s20, 0, v25
	v_and_b32_e32 v22, exec_lo, v22
	v_not_b32_e32 v25, v27
	v_ashrrev_i32_e32 v24, 31, v24
	s_wait_alu 0xfffd
	v_xor_b32_e32 v23, vcc_lo, v23
	v_cmp_gt_i32_e32 vcc_lo, 0, v27
	v_and_b32_e32 v22, v22, v66
	v_not_b32_e32 v27, v28
	v_ashrrev_i32_e32 v25, 31, v25
	s_wait_alu 0xf1ff
	v_xor_b32_e32 v24, s20, v24
	v_cmp_gt_i32_e64 s20, 0, v28
	v_and_b32_e32 v22, v22, v23
	v_not_b32_e32 v23, v65
	v_ashrrev_i32_e32 v27, 31, v27
	s_wait_alu 0xfffd
	v_xor_b32_e32 v25, vcc_lo, v25
	v_cmp_gt_i32_e32 vcc_lo, 0, v65
	v_and_b32_e32 v22, v22, v24
	v_not_b32_e32 v24, v26
	v_ashrrev_i32_e32 v23, 31, v23
	s_wait_alu 0xf1ff
	v_xor_b32_e32 v27, s20, v27
	v_lshlrev_b32_e32 v21, 4, v21
	v_and_b32_e32 v22, v22, v25
	v_cmp_gt_i32_e64 s20, 0, v26
	v_ashrrev_i32_e32 v24, 31, v24
	s_wait_alu 0xfffd
	v_xor_b32_e32 v23, vcc_lo, v23
	v_add_nc_u32_e32 v67, v103, v21
	v_and_b32_e32 v22, v22, v27
	s_wait_alu 0xf1ff
	v_xor_b32_e32 v21, s20, v24
	ds_load_b32 v65, v67 offset:16
	v_and_b32_e32 v22, v22, v23
	; wave barrier
	s_delay_alu instid0(VALU_DEP_1) | instskip(NEXT) | instid1(VALU_DEP_1)
	v_and_b32_e32 v21, v22, v21
	v_mbcnt_lo_u32_b32 v66, v21, 0
	v_cmp_ne_u32_e64 s20, 0, v21
	s_delay_alu instid0(VALU_DEP_2)
	v_cmp_eq_u32_e32 vcc_lo, 0, v66
	s_and_b32 s23, s20, vcc_lo
	s_wait_alu 0xfffe
	s_and_saveexec_b32 s20, s23
	s_cbranch_execz .LBB137_56
; %bb.55:                               ;   in Loop: Header=BB137_46 Depth=1
	s_wait_dscnt 0x0
	v_bcnt_u32_b32 v21, v21, v65
	ds_store_b32 v67, v21 offset:16
.LBB137_56:                             ;   in Loop: Header=BB137_46 Depth=1
	s_wait_alu 0xfffe
	s_or_b32 exec_lo, exec_lo, s20
	v_lshrrev_b32_e32 v21, v104, v110
	; wave barrier
	s_delay_alu instid0(VALU_DEP_1) | instskip(NEXT) | instid1(VALU_DEP_1)
	v_and_b32_e32 v21, s22, v21
	v_and_b32_e32 v22, 1, v21
	v_lshlrev_b32_e32 v23, 30, v21
	v_lshlrev_b32_e32 v24, 29, v21
	;; [unrolled: 1-line block ×4, first 2 shown]
	v_add_co_u32 v22, s20, v22, -1
	s_wait_alu 0xf1ff
	v_cndmask_b32_e64 v26, 0, 1, s20
	v_not_b32_e32 v69, v23
	v_cmp_gt_i32_e64 s20, 0, v23
	v_not_b32_e32 v23, v24
	v_lshlrev_b32_e32 v28, 26, v21
	v_cmp_ne_u32_e32 vcc_lo, 0, v26
	v_ashrrev_i32_e32 v69, 31, v69
	v_lshlrev_b32_e32 v68, 25, v21
	v_ashrrev_i32_e32 v23, 31, v23
	v_lshlrev_b32_e32 v26, 24, v21
	s_wait_alu 0xfffd
	v_xor_b32_e32 v22, vcc_lo, v22
	v_cmp_gt_i32_e32 vcc_lo, 0, v24
	v_not_b32_e32 v24, v25
	s_wait_alu 0xf1ff
	v_xor_b32_e32 v69, s20, v69
	v_cmp_gt_i32_e64 s20, 0, v25
	v_and_b32_e32 v22, exec_lo, v22
	v_not_b32_e32 v25, v27
	v_ashrrev_i32_e32 v24, 31, v24
	s_wait_alu 0xfffd
	v_xor_b32_e32 v23, vcc_lo, v23
	v_cmp_gt_i32_e32 vcc_lo, 0, v27
	v_and_b32_e32 v22, v22, v69
	v_not_b32_e32 v27, v28
	v_ashrrev_i32_e32 v25, 31, v25
	s_wait_alu 0xf1ff
	v_xor_b32_e32 v24, s20, v24
	v_cmp_gt_i32_e64 s20, 0, v28
	v_and_b32_e32 v22, v22, v23
	v_not_b32_e32 v23, v68
	v_ashrrev_i32_e32 v27, 31, v27
	s_wait_alu 0xfffd
	v_xor_b32_e32 v25, vcc_lo, v25
	v_cmp_gt_i32_e32 vcc_lo, 0, v68
	v_and_b32_e32 v22, v22, v24
	v_not_b32_e32 v24, v26
	v_ashrrev_i32_e32 v23, 31, v23
	s_wait_alu 0xf1ff
	v_xor_b32_e32 v27, s20, v27
	v_lshlrev_b32_e32 v21, 4, v21
	v_and_b32_e32 v22, v22, v25
	v_cmp_gt_i32_e64 s20, 0, v26
	v_ashrrev_i32_e32 v24, 31, v24
	s_wait_alu 0xfffd
	v_xor_b32_e32 v23, vcc_lo, v23
	v_add_nc_u32_e32 v115, v103, v21
	v_and_b32_e32 v22, v22, v27
	s_wait_alu 0xf1ff
	v_xor_b32_e32 v21, s20, v24
	ds_load_b32 v68, v115 offset:16
	v_and_b32_e32 v22, v22, v23
	; wave barrier
	s_delay_alu instid0(VALU_DEP_1) | instskip(NEXT) | instid1(VALU_DEP_1)
	v_and_b32_e32 v21, v22, v21
	v_mbcnt_lo_u32_b32 v69, v21, 0
	v_cmp_ne_u32_e64 s20, 0, v21
	s_delay_alu instid0(VALU_DEP_2)
	v_cmp_eq_u32_e32 vcc_lo, 0, v69
	s_and_b32 s23, s20, vcc_lo
	s_wait_alu 0xfffe
	s_and_saveexec_b32 s20, s23
	s_cbranch_execz .LBB137_58
; %bb.57:                               ;   in Loop: Header=BB137_46 Depth=1
	s_wait_dscnt 0x0
	v_bcnt_u32_b32 v21, v21, v68
	ds_store_b32 v115, v21 offset:16
.LBB137_58:                             ;   in Loop: Header=BB137_46 Depth=1
	s_wait_alu 0xfffe
	s_or_b32 exec_lo, exec_lo, s20
	v_lshrrev_b32_e32 v21, v104, v109
	; wave barrier
	s_delay_alu instid0(VALU_DEP_1) | instskip(NEXT) | instid1(VALU_DEP_1)
	v_and_b32_e32 v21, s22, v21
	v_and_b32_e32 v22, 1, v21
	v_lshlrev_b32_e32 v23, 30, v21
	v_lshlrev_b32_e32 v24, 29, v21
	;; [unrolled: 1-line block ×4, first 2 shown]
	v_add_co_u32 v22, s20, v22, -1
	s_wait_alu 0xf1ff
	v_cndmask_b32_e64 v26, 0, 1, s20
	v_not_b32_e32 v117, v23
	v_cmp_gt_i32_e64 s20, 0, v23
	v_not_b32_e32 v23, v24
	v_lshlrev_b32_e32 v28, 26, v21
	v_cmp_ne_u32_e32 vcc_lo, 0, v26
	v_ashrrev_i32_e32 v117, 31, v117
	v_lshlrev_b32_e32 v116, 25, v21
	v_ashrrev_i32_e32 v23, 31, v23
	v_lshlrev_b32_e32 v26, 24, v21
	s_wait_alu 0xfffd
	v_xor_b32_e32 v22, vcc_lo, v22
	v_cmp_gt_i32_e32 vcc_lo, 0, v24
	v_not_b32_e32 v24, v25
	s_wait_alu 0xf1ff
	v_xor_b32_e32 v117, s20, v117
	v_cmp_gt_i32_e64 s20, 0, v25
	v_and_b32_e32 v22, exec_lo, v22
	v_not_b32_e32 v25, v27
	v_ashrrev_i32_e32 v24, 31, v24
	s_wait_alu 0xfffd
	v_xor_b32_e32 v23, vcc_lo, v23
	v_cmp_gt_i32_e32 vcc_lo, 0, v27
	v_and_b32_e32 v22, v22, v117
	v_not_b32_e32 v27, v28
	v_ashrrev_i32_e32 v25, 31, v25
	s_wait_alu 0xf1ff
	v_xor_b32_e32 v24, s20, v24
	v_cmp_gt_i32_e64 s20, 0, v28
	v_and_b32_e32 v22, v22, v23
	v_not_b32_e32 v23, v116
	v_ashrrev_i32_e32 v27, 31, v27
	s_wait_alu 0xfffd
	v_xor_b32_e32 v25, vcc_lo, v25
	v_cmp_gt_i32_e32 vcc_lo, 0, v116
	v_and_b32_e32 v22, v22, v24
	v_not_b32_e32 v24, v26
	v_ashrrev_i32_e32 v23, 31, v23
	s_wait_alu 0xf1ff
	v_xor_b32_e32 v27, s20, v27
	v_lshlrev_b32_e32 v21, 4, v21
	v_and_b32_e32 v22, v22, v25
	v_cmp_gt_i32_e64 s20, 0, v26
	v_ashrrev_i32_e32 v24, 31, v24
	s_wait_alu 0xfffd
	v_xor_b32_e32 v23, vcc_lo, v23
	v_add_nc_u32_e32 v118, v103, v21
	v_and_b32_e32 v22, v22, v27
	s_wait_alu 0xf1ff
	v_xor_b32_e32 v21, s20, v24
	ds_load_b32 v116, v118 offset:16
	v_and_b32_e32 v22, v22, v23
	; wave barrier
	s_delay_alu instid0(VALU_DEP_1) | instskip(NEXT) | instid1(VALU_DEP_1)
	v_and_b32_e32 v21, v22, v21
	v_mbcnt_lo_u32_b32 v117, v21, 0
	v_cmp_ne_u32_e64 s20, 0, v21
	s_delay_alu instid0(VALU_DEP_2)
	v_cmp_eq_u32_e32 vcc_lo, 0, v117
	s_and_b32 s23, s20, vcc_lo
	s_wait_alu 0xfffe
	s_and_saveexec_b32 s20, s23
	s_cbranch_execz .LBB137_60
; %bb.59:                               ;   in Loop: Header=BB137_46 Depth=1
	s_wait_dscnt 0x0
	v_bcnt_u32_b32 v21, v21, v116
	ds_store_b32 v118, v21 offset:16
.LBB137_60:                             ;   in Loop: Header=BB137_46 Depth=1
	s_wait_alu 0xfffe
	s_or_b32 exec_lo, exec_lo, s20
	v_lshrrev_b32_e32 v21, v104, v108
	; wave barrier
	s_delay_alu instid0(VALU_DEP_1) | instskip(NEXT) | instid1(VALU_DEP_1)
	v_and_b32_e32 v21, s22, v21
	v_and_b32_e32 v22, 1, v21
	v_lshlrev_b32_e32 v23, 30, v21
	v_lshlrev_b32_e32 v24, 29, v21
	;; [unrolled: 1-line block ×4, first 2 shown]
	v_add_co_u32 v22, s20, v22, -1
	s_wait_alu 0xf1ff
	v_cndmask_b32_e64 v26, 0, 1, s20
	v_not_b32_e32 v120, v23
	v_cmp_gt_i32_e64 s20, 0, v23
	v_not_b32_e32 v23, v24
	v_lshlrev_b32_e32 v28, 26, v21
	v_cmp_ne_u32_e32 vcc_lo, 0, v26
	v_ashrrev_i32_e32 v120, 31, v120
	v_lshlrev_b32_e32 v119, 25, v21
	v_ashrrev_i32_e32 v23, 31, v23
	v_lshlrev_b32_e32 v26, 24, v21
	s_wait_alu 0xfffd
	v_xor_b32_e32 v22, vcc_lo, v22
	v_cmp_gt_i32_e32 vcc_lo, 0, v24
	v_not_b32_e32 v24, v25
	s_wait_alu 0xf1ff
	v_xor_b32_e32 v120, s20, v120
	v_cmp_gt_i32_e64 s20, 0, v25
	v_and_b32_e32 v22, exec_lo, v22
	v_not_b32_e32 v25, v27
	v_ashrrev_i32_e32 v24, 31, v24
	s_wait_alu 0xfffd
	v_xor_b32_e32 v23, vcc_lo, v23
	v_cmp_gt_i32_e32 vcc_lo, 0, v27
	v_and_b32_e32 v22, v22, v120
	v_not_b32_e32 v27, v28
	v_ashrrev_i32_e32 v25, 31, v25
	s_wait_alu 0xf1ff
	v_xor_b32_e32 v24, s20, v24
	v_cmp_gt_i32_e64 s20, 0, v28
	v_and_b32_e32 v22, v22, v23
	v_not_b32_e32 v23, v119
	v_ashrrev_i32_e32 v27, 31, v27
	s_wait_alu 0xfffd
	v_xor_b32_e32 v25, vcc_lo, v25
	v_cmp_gt_i32_e32 vcc_lo, 0, v119
	v_and_b32_e32 v22, v22, v24
	v_not_b32_e32 v24, v26
	v_ashrrev_i32_e32 v23, 31, v23
	s_wait_alu 0xf1ff
	v_xor_b32_e32 v27, s20, v27
	v_lshlrev_b32_e32 v21, 4, v21
	v_and_b32_e32 v22, v22, v25
	v_cmp_gt_i32_e64 s20, 0, v26
	v_ashrrev_i32_e32 v24, 31, v24
	s_wait_alu 0xfffd
	v_xor_b32_e32 v23, vcc_lo, v23
	v_add_nc_u32_e32 v119, v103, v21
	v_and_b32_e32 v22, v22, v27
	s_wait_alu 0xf1ff
	v_xor_b32_e32 v21, s20, v24
	ds_load_b32 v124, v119 offset:16
	v_and_b32_e32 v22, v22, v23
	; wave barrier
	s_delay_alu instid0(VALU_DEP_1) | instskip(NEXT) | instid1(VALU_DEP_1)
	v_and_b32_e32 v21, v22, v21
	v_mbcnt_lo_u32_b32 v125, v21, 0
	v_cmp_ne_u32_e64 s20, 0, v21
	s_delay_alu instid0(VALU_DEP_2)
	v_cmp_eq_u32_e32 vcc_lo, 0, v125
	s_and_b32 s22, s20, vcc_lo
	s_wait_alu 0xfffe
	s_and_saveexec_b32 s20, s22
	s_cbranch_execz .LBB137_62
; %bb.61:                               ;   in Loop: Header=BB137_46 Depth=1
	s_wait_dscnt 0x0
	v_bcnt_u32_b32 v21, v21, v124
	ds_store_b32 v119, v21 offset:16
.LBB137_62:                             ;   in Loop: Header=BB137_46 Depth=1
	s_wait_alu 0xfffe
	s_or_b32 exec_lo, exec_lo, s20
	; wave barrier
	s_wait_loadcnt_dscnt 0x0
	s_barrier_signal -1
	s_barrier_wait -1
	global_inv scope:SCOPE_SE
	ds_load_b128 v[25:28], v88 offset:16
	ds_load_b128 v[21:24], v88 offset:32
	s_wait_dscnt 0x1
	v_add_nc_u32_e32 v120, v26, v25
	s_delay_alu instid0(VALU_DEP_1) | instskip(SKIP_1) | instid1(VALU_DEP_1)
	v_add3_u32 v120, v120, v27, v28
	s_wait_dscnt 0x0
	v_add3_u32 v120, v120, v21, v22
	s_delay_alu instid0(VALU_DEP_1) | instskip(NEXT) | instid1(VALU_DEP_1)
	v_add3_u32 v24, v120, v23, v24
	v_mov_b32_dpp v120, v24 row_shr:1 row_mask:0xf bank_mask:0xf
	s_delay_alu instid0(VALU_DEP_1) | instskip(NEXT) | instid1(VALU_DEP_1)
	v_cndmask_b32_e64 v120, v120, 0, s12
	v_add_nc_u32_e32 v24, v120, v24
	s_delay_alu instid0(VALU_DEP_1) | instskip(NEXT) | instid1(VALU_DEP_1)
	v_mov_b32_dpp v120, v24 row_shr:2 row_mask:0xf bank_mask:0xf
	v_cndmask_b32_e64 v120, 0, v120, s13
	s_delay_alu instid0(VALU_DEP_1) | instskip(NEXT) | instid1(VALU_DEP_1)
	v_add_nc_u32_e32 v24, v24, v120
	v_mov_b32_dpp v120, v24 row_shr:4 row_mask:0xf bank_mask:0xf
	s_delay_alu instid0(VALU_DEP_1) | instskip(NEXT) | instid1(VALU_DEP_1)
	v_cndmask_b32_e64 v120, 0, v120, s14
	v_add_nc_u32_e32 v24, v24, v120
	s_delay_alu instid0(VALU_DEP_1) | instskip(NEXT) | instid1(VALU_DEP_1)
	v_mov_b32_dpp v120, v24 row_shr:8 row_mask:0xf bank_mask:0xf
	v_cndmask_b32_e64 v120, 0, v120, s15
	s_delay_alu instid0(VALU_DEP_1) | instskip(SKIP_3) | instid1(VALU_DEP_1)
	v_add_nc_u32_e32 v24, v24, v120
	ds_swizzle_b32 v120, v24 offset:swizzle(BROADCAST,32,15)
	s_wait_dscnt 0x0
	v_cndmask_b32_e64 v120, v120, 0, s16
	v_add_nc_u32_e32 v24, v24, v120
	s_and_saveexec_b32 s20, s17
; %bb.63:                               ;   in Loop: Header=BB137_46 Depth=1
	ds_store_b32 v90, v24
; %bb.64:                               ;   in Loop: Header=BB137_46 Depth=1
	s_wait_alu 0xfffe
	s_or_b32 exec_lo, exec_lo, s20
	s_wait_loadcnt_dscnt 0x0
	s_barrier_signal -1
	s_barrier_wait -1
	global_inv scope:SCOPE_SE
	s_and_saveexec_b32 s20, s0
	s_cbranch_execz .LBB137_66
; %bb.65:                               ;   in Loop: Header=BB137_46 Depth=1
	ds_load_b32 v120, v105
	s_wait_dscnt 0x0
	v_mov_b32_dpp v121, v120 row_shr:1 row_mask:0xf bank_mask:0xf
	s_delay_alu instid0(VALU_DEP_1) | instskip(NEXT) | instid1(VALU_DEP_1)
	v_cndmask_b32_e64 v121, v121, 0, s18
	v_add_nc_u32_e32 v120, v121, v120
	s_delay_alu instid0(VALU_DEP_1) | instskip(NEXT) | instid1(VALU_DEP_1)
	v_mov_b32_dpp v121, v120 row_shr:2 row_mask:0xf bank_mask:0xf
	v_cndmask_b32_e64 v121, 0, v121, s19
	s_delay_alu instid0(VALU_DEP_1)
	v_add_nc_u32_e32 v120, v120, v121
	ds_store_b32 v105, v120
.LBB137_66:                             ;   in Loop: Header=BB137_46 Depth=1
	s_wait_alu 0xfffe
	s_or_b32 exec_lo, exec_lo, s20
	v_mov_b32_e32 v120, 0
	s_wait_loadcnt_dscnt 0x0
	s_barrier_signal -1
	s_barrier_wait -1
	global_inv scope:SCOPE_SE
	s_and_saveexec_b32 s20, s1
; %bb.67:                               ;   in Loop: Header=BB137_46 Depth=1
	ds_load_b32 v120, v102
; %bb.68:                               ;   in Loop: Header=BB137_46 Depth=1
	s_wait_alu 0xfffe
	s_or_b32 exec_lo, exec_lo, s20
	s_wait_dscnt 0x0
	v_add_nc_u32_e32 v24, v120, v24
	v_cmp_lt_u32_e32 vcc_lo, 23, v104
	v_readfirstlane_b32 s20, v0
	s_mov_b32 s22, -1
	ds_bpermute_b32 v24, v101, v24
	s_and_b32 vcc_lo, exec_lo, vcc_lo
	s_wait_dscnt 0x0
	v_cndmask_b32_e64 v24, v24, v120, s11
	s_delay_alu instid0(VALU_DEP_1) | instskip(NEXT) | instid1(VALU_DEP_1)
	v_cndmask_b32_e64 v24, v24, 0, s10
	v_add_nc_u32_e32 v25, v24, v25
	s_delay_alu instid0(VALU_DEP_1) | instskip(NEXT) | instid1(VALU_DEP_1)
	v_add_nc_u32_e32 v26, v25, v26
	v_add_nc_u32_e32 v27, v26, v27
	s_delay_alu instid0(VALU_DEP_1) | instskip(NEXT) | instid1(VALU_DEP_1)
	v_add_nc_u32_e32 v120, v27, v28
	;; [unrolled: 3-line block ×3, first 2 shown]
	v_add_nc_u32_e32 v123, v122, v23
	ds_store_b128 v88, v[24:27] offset:16
	ds_store_b128 v88, v[120:123] offset:32
	s_wait_loadcnt_dscnt 0x0
	s_barrier_signal -1
	s_barrier_wait -1
	global_inv scope:SCOPE_SE
	ds_load_b32 v21, v30 offset:16
	ds_load_b32 v22, v33 offset:16
	;; [unrolled: 1-line block ×8, first 2 shown]
	s_wait_dscnt 0x7
	v_add_nc_u32_e32 v123, v21, v29
	s_wait_dscnt 0x6
	v_add3_u32 v122, v32, v31, v22
	s_wait_dscnt 0x5
	v_add3_u32 v121, v35, v34, v23
	;; [unrolled: 2-line block ×7, first 2 shown]
                                        ; implicit-def: $vgpr69
                                        ; implicit-def: $vgpr67
                                        ; implicit-def: $vgpr65
                                        ; implicit-def: $vgpr63
                                        ; implicit-def: $vgpr35_vgpr36
                                        ; implicit-def: $vgpr31_vgpr32
                                        ; implicit-def: $vgpr27_vgpr28
                                        ; implicit-def: $vgpr23_vgpr24
	s_wait_alu 0xfffe
	s_cbranch_vccnz .LBB137_45
; %bb.69:                               ;   in Loop: Header=BB137_46 Depth=1
	v_lshlrev_b32_e32 v21, 2, v123
	v_lshlrev_b32_e32 v22, 2, v122
	;; [unrolled: 1-line block ×3, first 2 shown]
	s_wait_loadcnt 0x0
	s_barrier_signal -1
	s_barrier_wait -1
	global_inv scope:SCOPE_SE
	ds_store_b32 v21, v107
	ds_store_b32 v22, v114
	;; [unrolled: 1-line block ×3, first 2 shown]
	v_lshlrev_b32_e32 v24, 2, v120
	v_add_nc_u32_e32 v21, v21, v21
	v_lshlrev_b32_e32 v25, 2, v119
	v_add_nc_u32_e32 v22, v22, v22
	;; [unrolled: 2-line block ×3, first 2 shown]
	v_lshlrev_b32_e32 v27, 2, v116
	v_lshlrev_b32_e32 v28, 2, v115
	ds_store_b32 v24, v112
	ds_store_b32 v25, v111
	;; [unrolled: 1-line block ×5, first 2 shown]
	s_wait_loadcnt_dscnt 0x0
	s_barrier_signal -1
	s_barrier_wait -1
	global_inv scope:SCOPE_SE
	ds_load_2addr_b32 v[62:63], v89 offset1:32
	ds_load_2addr_b32 v[64:65], v89 offset0:64 offset1:96
	ds_load_2addr_b32 v[66:67], v89 offset0:128 offset1:160
	ds_load_2addr_b32 v[68:69], v89 offset0:192 offset1:224
	s_wait_loadcnt_dscnt 0x0
	s_barrier_signal -1
	s_barrier_wait -1
	global_inv scope:SCOPE_SE
	ds_store_b64 v21, v[60:61]
	ds_store_b64 v22, v[58:59]
	ds_store_b64 v23, v[56:57]
	v_add_nc_u32_e32 v21, v24, v24
	v_add_nc_u32_e32 v22, v25, v25
	;; [unrolled: 1-line block ×5, first 2 shown]
	ds_store_b64 v21, v[54:55]
	ds_store_b64 v22, v[52:53]
	;; [unrolled: 1-line block ×5, first 2 shown]
	s_wait_loadcnt_dscnt 0x0
	s_barrier_signal -1
	s_barrier_wait -1
	global_inv scope:SCOPE_SE
	ds_load_2addr_b64 v[21:24], v106 offset1:32
	ds_load_2addr_b64 v[25:28], v106 offset0:64 offset1:96
	ds_load_2addr_b64 v[29:32], v106 offset0:128 offset1:160
	;; [unrolled: 1-line block ×3, first 2 shown]
	v_add_nc_u32_e32 v104, 8, v104
	s_add_co_i32 s20, s21, -8
	s_mov_b32 s22, 0
	s_wait_loadcnt_dscnt 0x0
	s_barrier_signal -1
	s_barrier_wait -1
	global_inv scope:SCOPE_SE
	s_branch .LBB137_45
.LBB137_70:
	v_mad_co_u64_u32 v[2:3], null, s26, v37, 0
	v_mov_b32_e32 v16, v1
	v_dual_mov_b32 v6, v1 :: v_dual_mov_b32 v7, v1
	v_dual_mov_b32 v8, v1 :: v_dual_mov_b32 v9, v1
	;; [unrolled: 1-line block ×3, first 2 shown]
	v_mad_co_u64_u32 v[3:4], null, s27, v37, v[3:4]
	v_dual_mov_b32 v4, v1 :: v_dual_mov_b32 v5, v1
	v_dual_mov_b32 v12, v1 :: v_dual_mov_b32 v15, v1
	s_delay_alu instid0(VALU_DEP_3) | instskip(NEXT) | instid1(VALU_DEP_1)
	v_lshlrev_b64_e32 v[2:3], 3, v[2:3]
	v_add_co_u32 v2, vcc_lo, s30, v2
	s_wait_alu 0xfffd
	s_delay_alu instid0(VALU_DEP_2)
	v_add_co_ci_u32_e64 v3, null, s31, v3, vcc_lo
	global_load_b64 v[13:14], v[2:3], off
	v_dual_mov_b32 v2, v1 :: v_dual_mov_b32 v3, v1
	s_or_b32 exec_lo, exec_lo, s0
	s_and_saveexec_b32 s0, s3
	s_cbranch_execz .LBB137_36
.LBB137_71:
	v_mad_co_u64_u32 v[1:2], null, s26, v19, 0
	s_delay_alu instid0(VALU_DEP_1) | instskip(NEXT) | instid1(VALU_DEP_1)
	v_mad_co_u64_u32 v[35:36], null, s27, v19, v[2:3]
	v_mov_b32_e32 v2, v35
	s_delay_alu instid0(VALU_DEP_1) | instskip(NEXT) | instid1(VALU_DEP_1)
	v_lshlrev_b64_e32 v[1:2], 3, v[1:2]
	v_add_co_u32 v1, vcc_lo, s30, v1
	s_wait_alu 0xfffd
	s_delay_alu instid0(VALU_DEP_2)
	v_add_co_ci_u32_e64 v2, null, s31, v2, vcc_lo
	global_load_b64 v[1:2], v[1:2], off
	s_or_b32 exec_lo, exec_lo, s0
	s_and_saveexec_b32 s0, s4
	s_cbranch_execz .LBB137_37
.LBB137_72:
	v_mad_co_u64_u32 v[15:16], null, s26, v20, 0
	s_delay_alu instid0(VALU_DEP_1) | instskip(NEXT) | instid1(VALU_DEP_1)
	v_mad_co_u64_u32 v[19:20], null, s27, v20, v[16:17]
	v_mov_b32_e32 v16, v19
	s_delay_alu instid0(VALU_DEP_1) | instskip(NEXT) | instid1(VALU_DEP_1)
	v_lshlrev_b64_e32 v[15:16], 3, v[15:16]
	v_add_co_u32 v15, vcc_lo, s30, v15
	s_wait_alu 0xfffd
	s_delay_alu instid0(VALU_DEP_2)
	v_add_co_ci_u32_e64 v16, null, s31, v16, vcc_lo
	global_load_b64 v[15:16], v[15:16], off
	s_or_b32 exec_lo, exec_lo, s0
	s_and_saveexec_b32 s0, s5
	s_cbranch_execz .LBB137_38
.LBB137_73:
	v_mad_co_u64_u32 v[3:4], null, s26, v21, 0
	s_delay_alu instid0(VALU_DEP_1) | instskip(NEXT) | instid1(VALU_DEP_1)
	v_mad_co_u64_u32 v[19:20], null, s27, v21, v[4:5]
	v_mov_b32_e32 v4, v19
	s_delay_alu instid0(VALU_DEP_1) | instskip(NEXT) | instid1(VALU_DEP_1)
	v_lshlrev_b64_e32 v[3:4], 3, v[3:4]
	v_add_co_u32 v3, vcc_lo, s30, v3
	s_wait_alu 0xfffd
	s_delay_alu instid0(VALU_DEP_2)
	v_add_co_ci_u32_e64 v4, null, s31, v4, vcc_lo
	global_load_b64 v[3:4], v[3:4], off
	s_or_b32 exec_lo, exec_lo, s0
	s_and_saveexec_b32 s0, s6
	s_cbranch_execz .LBB137_39
.LBB137_74:
	v_mad_co_u64_u32 v[5:6], null, s26, v22, 0
	s_delay_alu instid0(VALU_DEP_1) | instskip(NEXT) | instid1(VALU_DEP_1)
	v_mad_co_u64_u32 v[19:20], null, s27, v22, v[6:7]
	v_mov_b32_e32 v6, v19
	s_delay_alu instid0(VALU_DEP_1) | instskip(NEXT) | instid1(VALU_DEP_1)
	v_lshlrev_b64_e32 v[5:6], 3, v[5:6]
	v_add_co_u32 v5, vcc_lo, s30, v5
	s_wait_alu 0xfffd
	s_delay_alu instid0(VALU_DEP_2)
	v_add_co_ci_u32_e64 v6, null, s31, v6, vcc_lo
	global_load_b64 v[5:6], v[5:6], off
	s_or_b32 exec_lo, exec_lo, s0
	s_and_saveexec_b32 s0, s7
	s_cbranch_execz .LBB137_40
.LBB137_75:
	v_mad_co_u64_u32 v[7:8], null, s26, v23, 0
	s_delay_alu instid0(VALU_DEP_1) | instskip(NEXT) | instid1(VALU_DEP_1)
	v_mad_co_u64_u32 v[19:20], null, s27, v23, v[8:9]
	v_mov_b32_e32 v8, v19
	s_delay_alu instid0(VALU_DEP_1) | instskip(NEXT) | instid1(VALU_DEP_1)
	v_lshlrev_b64_e32 v[7:8], 3, v[7:8]
	v_add_co_u32 v7, vcc_lo, s30, v7
	s_wait_alu 0xfffd
	s_delay_alu instid0(VALU_DEP_2)
	v_add_co_ci_u32_e64 v8, null, s31, v8, vcc_lo
	global_load_b64 v[7:8], v[7:8], off
	s_or_b32 exec_lo, exec_lo, s0
	s_and_saveexec_b32 s0, s8
	s_cbranch_execz .LBB137_41
.LBB137_76:
	v_mad_co_u64_u32 v[9:10], null, s26, v24, 0
	s_delay_alu instid0(VALU_DEP_1) | instskip(NEXT) | instid1(VALU_DEP_1)
	v_mad_co_u64_u32 v[19:20], null, s27, v24, v[10:11]
	v_mov_b32_e32 v10, v19
	s_delay_alu instid0(VALU_DEP_1) | instskip(NEXT) | instid1(VALU_DEP_1)
	v_lshlrev_b64_e32 v[9:10], 3, v[9:10]
	v_add_co_u32 v9, vcc_lo, s30, v9
	s_wait_alu 0xfffd
	s_delay_alu instid0(VALU_DEP_2)
	v_add_co_ci_u32_e64 v10, null, s31, v10, vcc_lo
	global_load_b64 v[9:10], v[9:10], off
	s_or_b32 exec_lo, exec_lo, s0
	s_xor_b32 s0, s15, -1
	s_and_saveexec_b32 s1, s9
	s_cbranch_execnz .LBB137_42
	s_branch .LBB137_43
.LBB137_77:
                                        ; implicit-def: $vgpr49
                                        ; implicit-def: $vgpr47
                                        ; implicit-def: $vgpr48
                                        ; implicit-def: $vgpr36
                                        ; implicit-def: $vgpr46
                                        ; implicit-def: $vgpr34
                                        ; implicit-def: $vgpr35
                                        ; implicit-def: $vgpr33
                                        ; implicit-def: $vgpr19_vgpr20
                                        ; implicit-def: $vgpr23_vgpr24
                                        ; implicit-def: $vgpr27_vgpr28
                                        ; implicit-def: $vgpr31_vgpr32
	s_and_b32 vcc_lo, exec_lo, s11
	s_wait_alu 0xfffe
	s_cbranch_vccnz .LBB137_79
	s_branch .LBB137_106
.LBB137_78:
	v_lshlrev_b32_e32 v17, 2, v123
	v_lshlrev_b32_e32 v18, 2, v122
	;; [unrolled: 1-line block ×3, first 2 shown]
	s_wait_loadcnt 0x0
	s_barrier_signal -1
	s_barrier_wait -1
	global_inv scope:SCOPE_SE
	ds_store_b32 v17, v107
	ds_store_b32 v18, v114
	;; [unrolled: 1-line block ×3, first 2 shown]
	v_lshlrev_b32_e32 v20, 2, v120
	v_add_nc_u32_e32 v17, v17, v17
	v_lshlrev_b32_e32 v21, 2, v119
	v_add_nc_u32_e32 v18, v18, v18
	;; [unrolled: 2-line block ×3, first 2 shown]
	v_lshlrev_b32_e32 v23, 2, v116
	v_lshlrev_b32_e32 v24, 2, v115
	ds_store_b32 v20, v112
	ds_store_b32 v21, v111
	;; [unrolled: 1-line block ×5, first 2 shown]
	s_wait_loadcnt_dscnt 0x0
	s_barrier_signal -1
	s_barrier_wait -1
	global_inv scope:SCOPE_SE
	ds_load_b128 v[62:65], v88
	ds_load_b128 v[66:69], v88 offset:16
	s_wait_loadcnt_dscnt 0x0
	s_barrier_signal -1
	s_barrier_wait -1
	global_inv scope:SCOPE_SE
	ds_store_b64 v17, v[60:61]
	ds_store_b64 v18, v[58:59]
	;; [unrolled: 1-line block ×3, first 2 shown]
	v_add_nc_u32_e32 v17, v20, v20
	v_add_nc_u32_e32 v18, v21, v21
	;; [unrolled: 1-line block ×5, first 2 shown]
	ds_store_b64 v17, v[54:55]
	ds_store_b64 v18, v[52:53]
	;; [unrolled: 1-line block ×5, first 2 shown]
	v_lshl_add_u32 v17, v37, 5, v88
	s_wait_loadcnt_dscnt 0x0
	s_barrier_signal -1
	s_barrier_wait -1
	global_inv scope:SCOPE_SE
	ds_load_b128 v[29:32], v17
	ds_load_b128 v[25:28], v17 offset:16
	ds_load_b128 v[21:24], v17 offset:32
	;; [unrolled: 1-line block ×3, first 2 shown]
	v_xor_b32_e32 v33, 0x80000000, v62
	v_xor_b32_e32 v35, 0x80000000, v63
	;; [unrolled: 1-line block ×8, first 2 shown]
	s_branch .LBB137_106
.LBB137_79:
	s_wait_dscnt 0x0
	v_xor_b32_e32 v17, 0x7fffffff, v44
	v_xor_b32_e32 v18, 0x7fffffff, v45
	;; [unrolled: 1-line block ×8, first 2 shown]
	ds_store_b128 v100, v[17:20]
	ds_store_b128 v100, v[21:24] offset:16
	v_lshl_add_u32 v17, v99, 2, v100
	; wave barrier
	ds_load_2addr_b32 v[38:39], v89 offset1:32
	ds_load_2addr_b32 v[40:41], v89 offset0:64 offset1:96
	ds_load_2addr_b32 v[42:43], v89 offset0:128 offset1:160
	;; [unrolled: 1-line block ×3, first 2 shown]
	s_wait_loadcnt_dscnt 0x0
	s_barrier_signal -1
	s_barrier_wait -1
	global_inv scope:SCOPE_SE
	ds_store_b128 v17, v[5:8]
	ds_store_b128 v17, v[1:4] offset:16
	ds_store_b128 v17, v[13:16] offset:32
	;; [unrolled: 1-line block ×3, first 2 shown]
	; wave barrier
	ds_load_2addr_b64 v[4:7], v98 offset1:32
	ds_load_2addr_b64 v[8:11], v98 offset0:64 offset1:96
	ds_load_2addr_b64 v[12:15], v98 offset0:128 offset1:160
	;; [unrolled: 1-line block ×3, first 2 shown]
	s_wait_loadcnt_dscnt 0x0
	s_barrier_signal -1
	s_barrier_wait -1
	global_inv scope:SCOPE_SE
	s_load_b32 s10, s[34:35], 0xc
	s_getpc_b64 s[0:1]
	s_sext_i32_i16 s1, s1
	s_add_co_u32 s0, s0, _ZN7rocprim17ROCPRIM_400000_NS16block_radix_sortIiLj128ELj8ElLj1ELj1ELj0ELNS0_26block_radix_rank_algorithmE1ELNS0_18block_padding_hintE2ELNS0_4arch9wavefront6targetE0EE19radix_bits_per_passE@rel32@lo+8
	s_add_co_ci_u32 s1, s1, _ZN7rocprim17ROCPRIM_400000_NS16block_radix_sortIiLj128ELj8ElLj1ELj1ELj0ELNS0_26block_radix_rank_algorithmE1ELNS0_18block_padding_hintE2ELNS0_4arch9wavefront6targetE0EE19radix_bits_per_passE@rel32@hi+16
	v_or_b32_e32 v3, 31, v95
	s_load_b32 s21, s[0:1], 0x0
	s_mov_b32 s36, 0
	v_cmp_eq_u32_e64 s18, 0, v0
	s_mov_b32 s37, s36
	s_mov_b32 s38, s36
	s_mov_b32 s39, s36
	v_cmp_eq_u32_e64 s14, v37, v3
	v_cmp_lt_u32_e64 s19, 1, v0
	v_cmp_lt_u32_e64 s12, 7, v94
	v_cmp_eq_u32_e64 s13, 0, v93
	v_cmp_gt_u32_e64 s15, 4, v37
	v_cmp_lt_u32_e64 s16, 31, v37
	v_cmp_eq_u32_e64 s17, 0, v37
	v_add_nc_u32_e32 v46, -4, v90
	v_dual_mov_b32 v48, 0 :: v_dual_add_nc_u32 v49, v88, v92
	v_add_nc_u32_e32 v50, v89, v89
	s_wait_kmcnt 0x0
	s_lshr_b32 s11, s10, 16
	s_and_b32 s0, s10, 0xffff
	s_wait_alu 0xfffe
	v_mad_u32_u24 v1, v97, s11, v96
	v_cmp_lt_u32_e64 s10, 1, v94
	v_cmp_lt_u32_e64 s11, 3, v94
	s_mov_b32 s22, 32
	v_mad_co_u64_u32 v[1:2], null, v1, s0, v[37:38]
	v_sub_co_u32 v2, s1, v91, 1
	v_cmp_eq_u32_e64 s0, 0, v94
	s_delay_alu instid0(VALU_DEP_2) | instskip(NEXT) | instid1(VALU_DEP_4)
	v_cmp_gt_i32_e32 vcc_lo, 0, v2
	v_lshrrev_b32_e32 v1, 3, v1
	s_wait_alu 0xfffd
	s_delay_alu instid0(VALU_DEP_1) | instskip(NEXT) | instid1(VALU_DEP_1)
	v_dual_cndmask_b32 v2, v2, v91 :: v_dual_and_b32 v47, 0x1ffffffc, v1
	v_lshlrev_b32_e32 v36, 2, v2
	v_dual_mov_b32 v0, s36 :: v_dual_mov_b32 v1, s37
	v_dual_mov_b32 v2, s38 :: v_dual_mov_b32 v3, s39
	s_branch .LBB137_81
.LBB137_80:                             ;   in Loop: Header=BB137_81 Depth=1
	s_wait_alu 0xfffe
	s_and_not1_b32 vcc_lo, exec_lo, s23
	s_mov_b32 s22, s20
	s_wait_alu 0xfffe
	s_cbranch_vccz .LBB137_105
.LBB137_81:                             ; =>This Inner Loop Header: Depth=1
	s_min_u32 s20, s21, s22
	v_dual_mov_b32 v52, v45 :: v_dual_mov_b32 v53, v44
	s_wait_alu 0xfffe
	s_lshl_b32 s20, -1, s20
	ds_store_b128 v88, v[0:3] offset:16
	ds_store_b128 v88, v[0:3] offset:32
	s_wait_alu 0xfffe
	s_not_b32 s23, s20
	v_mov_b32_e32 v51, v38
	s_wait_loadcnt_dscnt 0x0
	s_barrier_signal -1
	s_barrier_wait -1
	global_inv scope:SCOPE_SE
	v_lshrrev_b32_e32 v20, v48, v51
	; wave barrier
	v_mov_b32_e32 v55, v42
	s_wait_alu 0xfffe
	s_delay_alu instid0(VALU_DEP_2) | instskip(SKIP_3) | instid1(VALU_DEP_4)
	v_dual_mov_b32 v57, v40 :: v_dual_and_b32 v38, s23, v20
	v_mov_b32_e32 v54, v43
	v_mov_b32_e32 v56, v41
	v_dual_mov_b32 v58, v39 :: v_dual_mov_b32 v31, v9
	v_and_b32_e32 v20, 1, v38
	v_lshlrev_b32_e32 v21, 30, v38
	v_lshlrev_b32_e32 v22, 29, v38
	;; [unrolled: 1-line block ×4, first 2 shown]
	v_add_co_u32 v20, s20, v20, -1
	s_wait_alu 0xf1ff
	v_cndmask_b32_e64 v24, 0, 1, s20
	v_not_b32_e32 v28, v21
	v_cmp_gt_i32_e64 s20, 0, v21
	v_not_b32_e32 v21, v22
	v_lshlrev_b32_e32 v26, 26, v38
	v_cmp_ne_u32_e32 vcc_lo, 0, v24
	v_ashrrev_i32_e32 v28, 31, v28
	v_lshlrev_b32_e32 v27, 25, v38
	v_ashrrev_i32_e32 v21, 31, v21
	v_lshlrev_b32_e32 v24, 24, v38
	s_wait_alu 0xfffd
	v_xor_b32_e32 v20, vcc_lo, v20
	v_cmp_gt_i32_e32 vcc_lo, 0, v22
	v_not_b32_e32 v22, v23
	s_wait_alu 0xf1ff
	v_xor_b32_e32 v28, s20, v28
	v_cmp_gt_i32_e64 s20, 0, v23
	v_and_b32_e32 v20, exec_lo, v20
	v_not_b32_e32 v23, v25
	v_ashrrev_i32_e32 v22, 31, v22
	s_wait_alu 0xfffd
	v_xor_b32_e32 v21, vcc_lo, v21
	v_cmp_gt_i32_e32 vcc_lo, 0, v25
	v_and_b32_e32 v20, v20, v28
	v_not_b32_e32 v25, v26
	v_ashrrev_i32_e32 v23, 31, v23
	s_wait_alu 0xf1ff
	v_xor_b32_e32 v22, s20, v22
	v_cmp_gt_i32_e64 s20, 0, v26
	v_and_b32_e32 v20, v20, v21
	v_not_b32_e32 v21, v27
	v_ashrrev_i32_e32 v25, 31, v25
	s_wait_alu 0xfffd
	v_xor_b32_e32 v23, vcc_lo, v23
	v_cmp_gt_i32_e32 vcc_lo, 0, v27
	v_and_b32_e32 v20, v20, v22
	v_not_b32_e32 v22, v24
	v_ashrrev_i32_e32 v21, 31, v21
	s_wait_alu 0xf1ff
	v_xor_b32_e32 v25, s20, v25
	v_cmp_gt_i32_e64 s20, 0, v24
	v_dual_mov_b32 v33, v7 :: v_dual_and_b32 v20, v20, v23
	v_ashrrev_i32_e32 v22, 31, v22
	s_wait_alu 0xfffd
	v_xor_b32_e32 v21, vcc_lo, v21
	s_delay_alu instid0(VALU_DEP_3)
	v_dual_mov_b32 v35, v5 :: v_dual_and_b32 v20, v20, v25
	v_mov_b32_e32 v25, v15
	s_wait_alu 0xf1ff
	v_xor_b32_e32 v28, s20, v22
	v_dual_mov_b32 v24, v14 :: v_dual_mov_b32 v27, v13
	v_and_b32_e32 v29, v20, v21
	v_mov_b32_e32 v26, v12
	v_mov_b32_e32 v34, v4
	v_dual_mov_b32 v21, v19 :: v_dual_lshlrev_b32 v4, 4, v38
	s_delay_alu instid0(VALU_DEP_4) | instskip(SKIP_2) | instid1(VALU_DEP_4)
	v_and_b32_e32 v14, v29, v28
	v_mov_b32_e32 v23, v17
	v_dual_mov_b32 v29, v11 :: v_dual_mov_b32 v20, v18
	v_dual_mov_b32 v22, v16 :: v_dual_add_nc_u32 v13, v47, v4
	s_delay_alu instid0(VALU_DEP_4)
	v_mbcnt_lo_u32_b32 v12, v14, 0
	v_cmp_ne_u32_e64 s20, 0, v14
	v_mov_b32_e32 v28, v10
	v_mov_b32_e32 v30, v8
	;; [unrolled: 1-line block ×3, first 2 shown]
	v_cmp_eq_u32_e32 vcc_lo, 0, v12
	s_and_b32 s33, s20, vcc_lo
	s_delay_alu instid0(SALU_CYCLE_1)
	s_and_saveexec_b32 s20, s33
; %bb.82:                               ;   in Loop: Header=BB137_81 Depth=1
	v_bcnt_u32_b32 v4, v14, 0
	ds_store_b32 v13, v4 offset:16
; %bb.83:                               ;   in Loop: Header=BB137_81 Depth=1
	s_wait_alu 0xfffe
	s_or_b32 exec_lo, exec_lo, s20
	v_lshrrev_b32_e32 v4, v48, v58
	; wave barrier
	s_delay_alu instid0(VALU_DEP_1) | instskip(NEXT) | instid1(VALU_DEP_1)
	v_and_b32_e32 v4, s23, v4
	v_and_b32_e32 v5, 1, v4
	v_lshlrev_b32_e32 v6, 30, v4
	v_lshlrev_b32_e32 v7, 29, v4
	;; [unrolled: 1-line block ×4, first 2 shown]
	v_add_co_u32 v5, s20, v5, -1
	s_wait_alu 0xf1ff
	v_cndmask_b32_e64 v9, 0, 1, s20
	v_not_b32_e32 v15, v6
	v_cmp_gt_i32_e64 s20, 0, v6
	v_not_b32_e32 v6, v7
	v_lshlrev_b32_e32 v11, 26, v4
	v_cmp_ne_u32_e32 vcc_lo, 0, v9
	v_ashrrev_i32_e32 v15, 31, v15
	v_lshlrev_b32_e32 v14, 25, v4
	v_ashrrev_i32_e32 v6, 31, v6
	v_lshlrev_b32_e32 v9, 24, v4
	s_wait_alu 0xfffd
	v_xor_b32_e32 v5, vcc_lo, v5
	v_cmp_gt_i32_e32 vcc_lo, 0, v7
	v_not_b32_e32 v7, v8
	s_wait_alu 0xf1ff
	v_xor_b32_e32 v15, s20, v15
	v_cmp_gt_i32_e64 s20, 0, v8
	v_and_b32_e32 v5, exec_lo, v5
	v_not_b32_e32 v8, v10
	v_ashrrev_i32_e32 v7, 31, v7
	s_wait_alu 0xfffd
	v_xor_b32_e32 v6, vcc_lo, v6
	v_cmp_gt_i32_e32 vcc_lo, 0, v10
	v_and_b32_e32 v5, v5, v15
	v_not_b32_e32 v10, v11
	v_ashrrev_i32_e32 v8, 31, v8
	s_wait_alu 0xf1ff
	v_xor_b32_e32 v7, s20, v7
	v_cmp_gt_i32_e64 s20, 0, v11
	v_and_b32_e32 v5, v5, v6
	v_not_b32_e32 v6, v14
	v_ashrrev_i32_e32 v10, 31, v10
	s_wait_alu 0xfffd
	v_xor_b32_e32 v8, vcc_lo, v8
	v_cmp_gt_i32_e32 vcc_lo, 0, v14
	v_and_b32_e32 v5, v5, v7
	v_not_b32_e32 v7, v9
	v_ashrrev_i32_e32 v6, 31, v6
	s_wait_alu 0xf1ff
	v_xor_b32_e32 v10, s20, v10
	v_lshlrev_b32_e32 v4, 4, v4
	v_and_b32_e32 v5, v5, v8
	v_cmp_gt_i32_e64 s20, 0, v9
	v_ashrrev_i32_e32 v7, 31, v7
	s_wait_alu 0xfffd
	v_xor_b32_e32 v6, vcc_lo, v6
	v_add_nc_u32_e32 v16, v47, v4
	v_and_b32_e32 v5, v5, v10
	s_wait_alu 0xf1ff
	v_xor_b32_e32 v4, s20, v7
	ds_load_b32 v14, v16 offset:16
	v_and_b32_e32 v5, v5, v6
	; wave barrier
	s_delay_alu instid0(VALU_DEP_1) | instskip(NEXT) | instid1(VALU_DEP_1)
	v_and_b32_e32 v4, v5, v4
	v_mbcnt_lo_u32_b32 v15, v4, 0
	v_cmp_ne_u32_e64 s20, 0, v4
	s_delay_alu instid0(VALU_DEP_2) | instskip(SKIP_1) | instid1(SALU_CYCLE_1)
	v_cmp_eq_u32_e32 vcc_lo, 0, v15
	s_and_b32 s33, s20, vcc_lo
	s_and_saveexec_b32 s20, s33
	s_cbranch_execz .LBB137_85
; %bb.84:                               ;   in Loop: Header=BB137_81 Depth=1
	s_wait_dscnt 0x0
	v_bcnt_u32_b32 v4, v4, v14
	ds_store_b32 v16, v4 offset:16
.LBB137_85:                             ;   in Loop: Header=BB137_81 Depth=1
	s_wait_alu 0xfffe
	s_or_b32 exec_lo, exec_lo, s20
	v_lshrrev_b32_e32 v4, v48, v57
	; wave barrier
	s_delay_alu instid0(VALU_DEP_1) | instskip(NEXT) | instid1(VALU_DEP_1)
	v_and_b32_e32 v4, s23, v4
	v_and_b32_e32 v5, 1, v4
	v_lshlrev_b32_e32 v6, 30, v4
	v_lshlrev_b32_e32 v7, 29, v4
	;; [unrolled: 1-line block ×4, first 2 shown]
	v_add_co_u32 v5, s20, v5, -1
	s_wait_alu 0xf1ff
	v_cndmask_b32_e64 v9, 0, 1, s20
	v_not_b32_e32 v18, v6
	v_cmp_gt_i32_e64 s20, 0, v6
	v_not_b32_e32 v6, v7
	v_lshlrev_b32_e32 v11, 26, v4
	v_cmp_ne_u32_e32 vcc_lo, 0, v9
	v_ashrrev_i32_e32 v18, 31, v18
	v_lshlrev_b32_e32 v17, 25, v4
	v_ashrrev_i32_e32 v6, 31, v6
	v_lshlrev_b32_e32 v9, 24, v4
	s_wait_alu 0xfffd
	v_xor_b32_e32 v5, vcc_lo, v5
	v_cmp_gt_i32_e32 vcc_lo, 0, v7
	v_not_b32_e32 v7, v8
	s_wait_alu 0xf1ff
	v_xor_b32_e32 v18, s20, v18
	v_cmp_gt_i32_e64 s20, 0, v8
	v_and_b32_e32 v5, exec_lo, v5
	v_not_b32_e32 v8, v10
	v_ashrrev_i32_e32 v7, 31, v7
	s_wait_alu 0xfffd
	v_xor_b32_e32 v6, vcc_lo, v6
	v_cmp_gt_i32_e32 vcc_lo, 0, v10
	v_and_b32_e32 v5, v5, v18
	v_not_b32_e32 v10, v11
	v_ashrrev_i32_e32 v8, 31, v8
	s_wait_alu 0xf1ff
	v_xor_b32_e32 v7, s20, v7
	v_cmp_gt_i32_e64 s20, 0, v11
	v_and_b32_e32 v5, v5, v6
	v_not_b32_e32 v6, v17
	v_ashrrev_i32_e32 v10, 31, v10
	s_wait_alu 0xfffd
	v_xor_b32_e32 v8, vcc_lo, v8
	v_cmp_gt_i32_e32 vcc_lo, 0, v17
	v_and_b32_e32 v5, v5, v7
	v_not_b32_e32 v7, v9
	v_ashrrev_i32_e32 v6, 31, v6
	s_wait_alu 0xf1ff
	v_xor_b32_e32 v10, s20, v10
	v_lshlrev_b32_e32 v4, 4, v4
	v_and_b32_e32 v5, v5, v8
	v_cmp_gt_i32_e64 s20, 0, v9
	v_ashrrev_i32_e32 v7, 31, v7
	s_wait_alu 0xfffd
	v_xor_b32_e32 v6, vcc_lo, v6
	v_add_nc_u32_e32 v19, v47, v4
	v_and_b32_e32 v5, v5, v10
	s_wait_alu 0xf1ff
	v_xor_b32_e32 v4, s20, v7
	ds_load_b32 v17, v19 offset:16
	v_and_b32_e32 v5, v5, v6
	; wave barrier
	s_delay_alu instid0(VALU_DEP_1) | instskip(NEXT) | instid1(VALU_DEP_1)
	v_and_b32_e32 v4, v5, v4
	v_mbcnt_lo_u32_b32 v18, v4, 0
	v_cmp_ne_u32_e64 s20, 0, v4
	s_delay_alu instid0(VALU_DEP_2) | instskip(SKIP_1) | instid1(SALU_CYCLE_1)
	v_cmp_eq_u32_e32 vcc_lo, 0, v18
	s_and_b32 s33, s20, vcc_lo
	s_and_saveexec_b32 s20, s33
	s_cbranch_execz .LBB137_87
; %bb.86:                               ;   in Loop: Header=BB137_81 Depth=1
	s_wait_dscnt 0x0
	v_bcnt_u32_b32 v4, v4, v17
	ds_store_b32 v19, v4 offset:16
.LBB137_87:                             ;   in Loop: Header=BB137_81 Depth=1
	s_wait_alu 0xfffe
	s_or_b32 exec_lo, exec_lo, s20
	v_lshrrev_b32_e32 v4, v48, v56
	; wave barrier
	s_delay_alu instid0(VALU_DEP_1) | instskip(NEXT) | instid1(VALU_DEP_1)
	v_and_b32_e32 v4, s23, v4
	v_and_b32_e32 v5, 1, v4
	v_lshlrev_b32_e32 v6, 30, v4
	v_lshlrev_b32_e32 v7, 29, v4
	;; [unrolled: 1-line block ×4, first 2 shown]
	v_add_co_u32 v5, s20, v5, -1
	s_wait_alu 0xf1ff
	v_cndmask_b32_e64 v9, 0, 1, s20
	v_not_b32_e32 v39, v6
	v_cmp_gt_i32_e64 s20, 0, v6
	v_not_b32_e32 v6, v7
	v_lshlrev_b32_e32 v11, 26, v4
	v_cmp_ne_u32_e32 vcc_lo, 0, v9
	v_ashrrev_i32_e32 v39, 31, v39
	v_lshlrev_b32_e32 v38, 25, v4
	v_ashrrev_i32_e32 v6, 31, v6
	v_lshlrev_b32_e32 v9, 24, v4
	s_wait_alu 0xfffd
	v_xor_b32_e32 v5, vcc_lo, v5
	v_cmp_gt_i32_e32 vcc_lo, 0, v7
	v_not_b32_e32 v7, v8
	s_wait_alu 0xf1ff
	v_xor_b32_e32 v39, s20, v39
	v_cmp_gt_i32_e64 s20, 0, v8
	v_and_b32_e32 v5, exec_lo, v5
	v_not_b32_e32 v8, v10
	v_ashrrev_i32_e32 v7, 31, v7
	s_wait_alu 0xfffd
	v_xor_b32_e32 v6, vcc_lo, v6
	v_cmp_gt_i32_e32 vcc_lo, 0, v10
	v_and_b32_e32 v5, v5, v39
	v_not_b32_e32 v10, v11
	v_ashrrev_i32_e32 v8, 31, v8
	s_wait_alu 0xf1ff
	v_xor_b32_e32 v7, s20, v7
	v_cmp_gt_i32_e64 s20, 0, v11
	v_and_b32_e32 v5, v5, v6
	v_not_b32_e32 v6, v38
	v_ashrrev_i32_e32 v10, 31, v10
	s_wait_alu 0xfffd
	v_xor_b32_e32 v8, vcc_lo, v8
	v_cmp_gt_i32_e32 vcc_lo, 0, v38
	v_and_b32_e32 v5, v5, v7
	v_not_b32_e32 v7, v9
	v_ashrrev_i32_e32 v6, 31, v6
	s_wait_alu 0xf1ff
	v_xor_b32_e32 v10, s20, v10
	v_lshlrev_b32_e32 v4, 4, v4
	v_and_b32_e32 v5, v5, v8
	v_cmp_gt_i32_e64 s20, 0, v9
	v_ashrrev_i32_e32 v7, 31, v7
	s_wait_alu 0xfffd
	v_xor_b32_e32 v6, vcc_lo, v6
	v_add_nc_u32_e32 v40, v47, v4
	v_and_b32_e32 v5, v5, v10
	s_wait_alu 0xf1ff
	v_xor_b32_e32 v4, s20, v7
	ds_load_b32 v38, v40 offset:16
	v_and_b32_e32 v5, v5, v6
	; wave barrier
	s_delay_alu instid0(VALU_DEP_1) | instskip(NEXT) | instid1(VALU_DEP_1)
	v_and_b32_e32 v4, v5, v4
	v_mbcnt_lo_u32_b32 v39, v4, 0
	v_cmp_ne_u32_e64 s20, 0, v4
	s_delay_alu instid0(VALU_DEP_2) | instskip(SKIP_1) | instid1(SALU_CYCLE_1)
	v_cmp_eq_u32_e32 vcc_lo, 0, v39
	s_and_b32 s33, s20, vcc_lo
	s_and_saveexec_b32 s20, s33
	s_cbranch_execz .LBB137_89
; %bb.88:                               ;   in Loop: Header=BB137_81 Depth=1
	s_wait_dscnt 0x0
	v_bcnt_u32_b32 v4, v4, v38
	ds_store_b32 v40, v4 offset:16
.LBB137_89:                             ;   in Loop: Header=BB137_81 Depth=1
	s_wait_alu 0xfffe
	s_or_b32 exec_lo, exec_lo, s20
	v_lshrrev_b32_e32 v4, v48, v55
	; wave barrier
	s_delay_alu instid0(VALU_DEP_1) | instskip(NEXT) | instid1(VALU_DEP_1)
	v_and_b32_e32 v4, s23, v4
	v_and_b32_e32 v5, 1, v4
	v_lshlrev_b32_e32 v6, 30, v4
	v_lshlrev_b32_e32 v7, 29, v4
	;; [unrolled: 1-line block ×4, first 2 shown]
	v_add_co_u32 v5, s20, v5, -1
	s_wait_alu 0xf1ff
	v_cndmask_b32_e64 v9, 0, 1, s20
	v_not_b32_e32 v42, v6
	v_cmp_gt_i32_e64 s20, 0, v6
	v_not_b32_e32 v6, v7
	v_lshlrev_b32_e32 v11, 26, v4
	v_cmp_ne_u32_e32 vcc_lo, 0, v9
	v_ashrrev_i32_e32 v42, 31, v42
	v_lshlrev_b32_e32 v41, 25, v4
	v_ashrrev_i32_e32 v6, 31, v6
	v_lshlrev_b32_e32 v9, 24, v4
	s_wait_alu 0xfffd
	v_xor_b32_e32 v5, vcc_lo, v5
	v_cmp_gt_i32_e32 vcc_lo, 0, v7
	v_not_b32_e32 v7, v8
	s_wait_alu 0xf1ff
	v_xor_b32_e32 v42, s20, v42
	v_cmp_gt_i32_e64 s20, 0, v8
	v_and_b32_e32 v5, exec_lo, v5
	v_not_b32_e32 v8, v10
	v_ashrrev_i32_e32 v7, 31, v7
	s_wait_alu 0xfffd
	v_xor_b32_e32 v6, vcc_lo, v6
	v_cmp_gt_i32_e32 vcc_lo, 0, v10
	v_and_b32_e32 v5, v5, v42
	v_not_b32_e32 v10, v11
	v_ashrrev_i32_e32 v8, 31, v8
	s_wait_alu 0xf1ff
	v_xor_b32_e32 v7, s20, v7
	v_cmp_gt_i32_e64 s20, 0, v11
	v_and_b32_e32 v5, v5, v6
	v_not_b32_e32 v6, v41
	v_ashrrev_i32_e32 v10, 31, v10
	s_wait_alu 0xfffd
	v_xor_b32_e32 v8, vcc_lo, v8
	v_cmp_gt_i32_e32 vcc_lo, 0, v41
	v_and_b32_e32 v5, v5, v7
	v_not_b32_e32 v7, v9
	v_ashrrev_i32_e32 v6, 31, v6
	s_wait_alu 0xf1ff
	v_xor_b32_e32 v10, s20, v10
	v_lshlrev_b32_e32 v4, 4, v4
	v_and_b32_e32 v5, v5, v8
	v_cmp_gt_i32_e64 s20, 0, v9
	v_ashrrev_i32_e32 v7, 31, v7
	s_wait_alu 0xfffd
	v_xor_b32_e32 v6, vcc_lo, v6
	v_add_nc_u32_e32 v43, v47, v4
	v_and_b32_e32 v5, v5, v10
	s_wait_alu 0xf1ff
	v_xor_b32_e32 v4, s20, v7
	ds_load_b32 v41, v43 offset:16
	v_and_b32_e32 v5, v5, v6
	; wave barrier
	s_delay_alu instid0(VALU_DEP_1) | instskip(NEXT) | instid1(VALU_DEP_1)
	v_and_b32_e32 v4, v5, v4
	v_mbcnt_lo_u32_b32 v42, v4, 0
	v_cmp_ne_u32_e64 s20, 0, v4
	s_delay_alu instid0(VALU_DEP_2) | instskip(SKIP_1) | instid1(SALU_CYCLE_1)
	v_cmp_eq_u32_e32 vcc_lo, 0, v42
	s_and_b32 s33, s20, vcc_lo
	s_and_saveexec_b32 s20, s33
	s_cbranch_execz .LBB137_91
; %bb.90:                               ;   in Loop: Header=BB137_81 Depth=1
	s_wait_dscnt 0x0
	v_bcnt_u32_b32 v4, v4, v41
	ds_store_b32 v43, v4 offset:16
.LBB137_91:                             ;   in Loop: Header=BB137_81 Depth=1
	s_wait_alu 0xfffe
	s_or_b32 exec_lo, exec_lo, s20
	v_lshrrev_b32_e32 v4, v48, v54
	; wave barrier
	s_delay_alu instid0(VALU_DEP_1) | instskip(NEXT) | instid1(VALU_DEP_1)
	v_and_b32_e32 v4, s23, v4
	v_and_b32_e32 v5, 1, v4
	v_lshlrev_b32_e32 v6, 30, v4
	v_lshlrev_b32_e32 v7, 29, v4
	;; [unrolled: 1-line block ×4, first 2 shown]
	v_add_co_u32 v5, s20, v5, -1
	s_wait_alu 0xf1ff
	v_cndmask_b32_e64 v9, 0, 1, s20
	v_not_b32_e32 v45, v6
	v_cmp_gt_i32_e64 s20, 0, v6
	v_not_b32_e32 v6, v7
	v_lshlrev_b32_e32 v11, 26, v4
	v_cmp_ne_u32_e32 vcc_lo, 0, v9
	v_ashrrev_i32_e32 v45, 31, v45
	v_lshlrev_b32_e32 v44, 25, v4
	v_ashrrev_i32_e32 v6, 31, v6
	v_lshlrev_b32_e32 v9, 24, v4
	s_wait_alu 0xfffd
	v_xor_b32_e32 v5, vcc_lo, v5
	v_cmp_gt_i32_e32 vcc_lo, 0, v7
	v_not_b32_e32 v7, v8
	s_wait_alu 0xf1ff
	v_xor_b32_e32 v45, s20, v45
	v_cmp_gt_i32_e64 s20, 0, v8
	v_and_b32_e32 v5, exec_lo, v5
	v_not_b32_e32 v8, v10
	v_ashrrev_i32_e32 v7, 31, v7
	s_wait_alu 0xfffd
	v_xor_b32_e32 v6, vcc_lo, v6
	v_cmp_gt_i32_e32 vcc_lo, 0, v10
	v_and_b32_e32 v5, v5, v45
	v_not_b32_e32 v10, v11
	v_ashrrev_i32_e32 v8, 31, v8
	s_wait_alu 0xf1ff
	v_xor_b32_e32 v7, s20, v7
	v_cmp_gt_i32_e64 s20, 0, v11
	v_and_b32_e32 v5, v5, v6
	v_not_b32_e32 v6, v44
	v_ashrrev_i32_e32 v10, 31, v10
	s_wait_alu 0xfffd
	v_xor_b32_e32 v8, vcc_lo, v8
	v_cmp_gt_i32_e32 vcc_lo, 0, v44
	v_and_b32_e32 v5, v5, v7
	v_not_b32_e32 v7, v9
	v_ashrrev_i32_e32 v6, 31, v6
	s_wait_alu 0xf1ff
	v_xor_b32_e32 v10, s20, v10
	v_lshlrev_b32_e32 v4, 4, v4
	v_and_b32_e32 v5, v5, v8
	v_cmp_gt_i32_e64 s20, 0, v9
	v_ashrrev_i32_e32 v7, 31, v7
	s_wait_alu 0xfffd
	v_xor_b32_e32 v6, vcc_lo, v6
	v_add_nc_u32_e32 v59, v47, v4
	v_and_b32_e32 v5, v5, v10
	s_wait_alu 0xf1ff
	v_xor_b32_e32 v4, s20, v7
	ds_load_b32 v44, v59 offset:16
	v_and_b32_e32 v5, v5, v6
	; wave barrier
	s_delay_alu instid0(VALU_DEP_1) | instskip(NEXT) | instid1(VALU_DEP_1)
	v_and_b32_e32 v4, v5, v4
	v_mbcnt_lo_u32_b32 v45, v4, 0
	v_cmp_ne_u32_e64 s20, 0, v4
	s_delay_alu instid0(VALU_DEP_2) | instskip(SKIP_1) | instid1(SALU_CYCLE_1)
	v_cmp_eq_u32_e32 vcc_lo, 0, v45
	s_and_b32 s33, s20, vcc_lo
	s_and_saveexec_b32 s20, s33
	s_cbranch_execz .LBB137_93
; %bb.92:                               ;   in Loop: Header=BB137_81 Depth=1
	s_wait_dscnt 0x0
	v_bcnt_u32_b32 v4, v4, v44
	ds_store_b32 v59, v4 offset:16
.LBB137_93:                             ;   in Loop: Header=BB137_81 Depth=1
	s_wait_alu 0xfffe
	s_or_b32 exec_lo, exec_lo, s20
	v_lshrrev_b32_e32 v4, v48, v53
	; wave barrier
	s_delay_alu instid0(VALU_DEP_1) | instskip(NEXT) | instid1(VALU_DEP_1)
	v_and_b32_e32 v4, s23, v4
	v_and_b32_e32 v5, 1, v4
	v_lshlrev_b32_e32 v6, 30, v4
	v_lshlrev_b32_e32 v7, 29, v4
	;; [unrolled: 1-line block ×4, first 2 shown]
	v_add_co_u32 v5, s20, v5, -1
	s_wait_alu 0xf1ff
	v_cndmask_b32_e64 v9, 0, 1, s20
	v_not_b32_e32 v61, v6
	v_cmp_gt_i32_e64 s20, 0, v6
	v_not_b32_e32 v6, v7
	v_lshlrev_b32_e32 v11, 26, v4
	v_cmp_ne_u32_e32 vcc_lo, 0, v9
	v_ashrrev_i32_e32 v61, 31, v61
	v_lshlrev_b32_e32 v60, 25, v4
	v_ashrrev_i32_e32 v6, 31, v6
	v_lshlrev_b32_e32 v9, 24, v4
	s_wait_alu 0xfffd
	v_xor_b32_e32 v5, vcc_lo, v5
	v_cmp_gt_i32_e32 vcc_lo, 0, v7
	v_not_b32_e32 v7, v8
	s_wait_alu 0xf1ff
	v_xor_b32_e32 v61, s20, v61
	v_cmp_gt_i32_e64 s20, 0, v8
	v_and_b32_e32 v5, exec_lo, v5
	v_not_b32_e32 v8, v10
	v_ashrrev_i32_e32 v7, 31, v7
	s_wait_alu 0xfffd
	v_xor_b32_e32 v6, vcc_lo, v6
	v_cmp_gt_i32_e32 vcc_lo, 0, v10
	v_and_b32_e32 v5, v5, v61
	v_not_b32_e32 v10, v11
	v_ashrrev_i32_e32 v8, 31, v8
	s_wait_alu 0xf1ff
	v_xor_b32_e32 v7, s20, v7
	v_cmp_gt_i32_e64 s20, 0, v11
	v_and_b32_e32 v5, v5, v6
	v_not_b32_e32 v6, v60
	v_ashrrev_i32_e32 v10, 31, v10
	s_wait_alu 0xfffd
	v_xor_b32_e32 v8, vcc_lo, v8
	v_cmp_gt_i32_e32 vcc_lo, 0, v60
	v_and_b32_e32 v5, v5, v7
	v_not_b32_e32 v7, v9
	v_ashrrev_i32_e32 v6, 31, v6
	s_wait_alu 0xf1ff
	v_xor_b32_e32 v10, s20, v10
	v_lshlrev_b32_e32 v4, 4, v4
	v_and_b32_e32 v5, v5, v8
	v_cmp_gt_i32_e64 s20, 0, v9
	v_ashrrev_i32_e32 v7, 31, v7
	s_wait_alu 0xfffd
	v_xor_b32_e32 v6, vcc_lo, v6
	v_add_nc_u32_e32 v62, v47, v4
	v_and_b32_e32 v5, v5, v10
	s_wait_alu 0xf1ff
	v_xor_b32_e32 v4, s20, v7
	ds_load_b32 v60, v62 offset:16
	v_and_b32_e32 v5, v5, v6
	; wave barrier
	s_delay_alu instid0(VALU_DEP_1) | instskip(NEXT) | instid1(VALU_DEP_1)
	v_and_b32_e32 v4, v5, v4
	v_mbcnt_lo_u32_b32 v61, v4, 0
	v_cmp_ne_u32_e64 s20, 0, v4
	s_delay_alu instid0(VALU_DEP_2) | instskip(SKIP_1) | instid1(SALU_CYCLE_1)
	v_cmp_eq_u32_e32 vcc_lo, 0, v61
	s_and_b32 s33, s20, vcc_lo
	s_and_saveexec_b32 s20, s33
	s_cbranch_execz .LBB137_95
; %bb.94:                               ;   in Loop: Header=BB137_81 Depth=1
	s_wait_dscnt 0x0
	v_bcnt_u32_b32 v4, v4, v60
	ds_store_b32 v62, v4 offset:16
.LBB137_95:                             ;   in Loop: Header=BB137_81 Depth=1
	s_wait_alu 0xfffe
	s_or_b32 exec_lo, exec_lo, s20
	v_lshrrev_b32_e32 v4, v48, v52
	; wave barrier
	s_delay_alu instid0(VALU_DEP_1) | instskip(NEXT) | instid1(VALU_DEP_1)
	v_and_b32_e32 v4, s23, v4
	v_and_b32_e32 v5, 1, v4
	v_lshlrev_b32_e32 v6, 30, v4
	v_lshlrev_b32_e32 v7, 29, v4
	;; [unrolled: 1-line block ×4, first 2 shown]
	v_add_co_u32 v5, s20, v5, -1
	s_wait_alu 0xf1ff
	v_cndmask_b32_e64 v9, 0, 1, s20
	v_not_b32_e32 v64, v6
	v_cmp_gt_i32_e64 s20, 0, v6
	v_not_b32_e32 v6, v7
	v_lshlrev_b32_e32 v11, 26, v4
	v_cmp_ne_u32_e32 vcc_lo, 0, v9
	v_ashrrev_i32_e32 v64, 31, v64
	v_lshlrev_b32_e32 v63, 25, v4
	v_ashrrev_i32_e32 v6, 31, v6
	v_lshlrev_b32_e32 v9, 24, v4
	s_wait_alu 0xfffd
	v_xor_b32_e32 v5, vcc_lo, v5
	v_cmp_gt_i32_e32 vcc_lo, 0, v7
	v_not_b32_e32 v7, v8
	s_wait_alu 0xf1ff
	v_xor_b32_e32 v64, s20, v64
	v_cmp_gt_i32_e64 s20, 0, v8
	v_and_b32_e32 v5, exec_lo, v5
	v_not_b32_e32 v8, v10
	v_ashrrev_i32_e32 v7, 31, v7
	s_wait_alu 0xfffd
	v_xor_b32_e32 v6, vcc_lo, v6
	v_cmp_gt_i32_e32 vcc_lo, 0, v10
	v_and_b32_e32 v5, v5, v64
	v_not_b32_e32 v10, v11
	v_ashrrev_i32_e32 v8, 31, v8
	s_wait_alu 0xf1ff
	v_xor_b32_e32 v7, s20, v7
	v_cmp_gt_i32_e64 s20, 0, v11
	v_and_b32_e32 v5, v5, v6
	v_not_b32_e32 v6, v63
	v_ashrrev_i32_e32 v10, 31, v10
	s_wait_alu 0xfffd
	v_xor_b32_e32 v8, vcc_lo, v8
	v_cmp_gt_i32_e32 vcc_lo, 0, v63
	v_and_b32_e32 v5, v5, v7
	v_not_b32_e32 v7, v9
	v_ashrrev_i32_e32 v6, 31, v6
	s_wait_alu 0xf1ff
	v_xor_b32_e32 v10, s20, v10
	v_lshlrev_b32_e32 v4, 4, v4
	v_and_b32_e32 v5, v5, v8
	v_cmp_gt_i32_e64 s20, 0, v9
	v_ashrrev_i32_e32 v7, 31, v7
	s_wait_alu 0xfffd
	v_xor_b32_e32 v6, vcc_lo, v6
	v_add_nc_u32_e32 v63, v47, v4
	v_and_b32_e32 v5, v5, v10
	s_wait_alu 0xf1ff
	v_xor_b32_e32 v4, s20, v7
	ds_load_b32 v68, v63 offset:16
	v_and_b32_e32 v5, v5, v6
	; wave barrier
	s_delay_alu instid0(VALU_DEP_1) | instskip(NEXT) | instid1(VALU_DEP_1)
	v_and_b32_e32 v4, v5, v4
	v_mbcnt_lo_u32_b32 v69, v4, 0
	v_cmp_ne_u32_e64 s20, 0, v4
	s_delay_alu instid0(VALU_DEP_2)
	v_cmp_eq_u32_e32 vcc_lo, 0, v69
	s_and_b32 s23, s20, vcc_lo
	s_wait_alu 0xfffe
	s_and_saveexec_b32 s20, s23
	s_cbranch_execz .LBB137_97
; %bb.96:                               ;   in Loop: Header=BB137_81 Depth=1
	s_wait_dscnt 0x0
	v_bcnt_u32_b32 v4, v4, v68
	ds_store_b32 v63, v4 offset:16
.LBB137_97:                             ;   in Loop: Header=BB137_81 Depth=1
	s_wait_alu 0xfffe
	s_or_b32 exec_lo, exec_lo, s20
	; wave barrier
	s_wait_loadcnt_dscnt 0x0
	s_barrier_signal -1
	s_barrier_wait -1
	global_inv scope:SCOPE_SE
	ds_load_b128 v[8:11], v88 offset:16
	ds_load_b128 v[4:7], v88 offset:32
	s_wait_dscnt 0x1
	v_add_nc_u32_e32 v64, v9, v8
	s_delay_alu instid0(VALU_DEP_1) | instskip(SKIP_1) | instid1(VALU_DEP_1)
	v_add3_u32 v64, v64, v10, v11
	s_wait_dscnt 0x0
	v_add3_u32 v64, v64, v4, v5
	s_delay_alu instid0(VALU_DEP_1) | instskip(NEXT) | instid1(VALU_DEP_1)
	v_add3_u32 v7, v64, v6, v7
	v_mov_b32_dpp v64, v7 row_shr:1 row_mask:0xf bank_mask:0xf
	s_delay_alu instid0(VALU_DEP_1) | instskip(NEXT) | instid1(VALU_DEP_1)
	v_cndmask_b32_e64 v64, v64, 0, s0
	v_add_nc_u32_e32 v7, v64, v7
	s_delay_alu instid0(VALU_DEP_1) | instskip(NEXT) | instid1(VALU_DEP_1)
	v_mov_b32_dpp v64, v7 row_shr:2 row_mask:0xf bank_mask:0xf
	v_cndmask_b32_e64 v64, 0, v64, s10
	s_delay_alu instid0(VALU_DEP_1) | instskip(NEXT) | instid1(VALU_DEP_1)
	v_add_nc_u32_e32 v7, v7, v64
	v_mov_b32_dpp v64, v7 row_shr:4 row_mask:0xf bank_mask:0xf
	s_delay_alu instid0(VALU_DEP_1) | instskip(NEXT) | instid1(VALU_DEP_1)
	v_cndmask_b32_e64 v64, 0, v64, s11
	v_add_nc_u32_e32 v7, v7, v64
	s_delay_alu instid0(VALU_DEP_1) | instskip(NEXT) | instid1(VALU_DEP_1)
	v_mov_b32_dpp v64, v7 row_shr:8 row_mask:0xf bank_mask:0xf
	v_cndmask_b32_e64 v64, 0, v64, s12
	s_delay_alu instid0(VALU_DEP_1) | instskip(SKIP_3) | instid1(VALU_DEP_1)
	v_add_nc_u32_e32 v7, v7, v64
	ds_swizzle_b32 v64, v7 offset:swizzle(BROADCAST,32,15)
	s_wait_dscnt 0x0
	v_cndmask_b32_e64 v64, v64, 0, s13
	v_add_nc_u32_e32 v7, v7, v64
	s_and_saveexec_b32 s20, s14
; %bb.98:                               ;   in Loop: Header=BB137_81 Depth=1
	ds_store_b32 v90, v7
; %bb.99:                               ;   in Loop: Header=BB137_81 Depth=1
	s_wait_alu 0xfffe
	s_or_b32 exec_lo, exec_lo, s20
	s_wait_loadcnt_dscnt 0x0
	s_barrier_signal -1
	s_barrier_wait -1
	global_inv scope:SCOPE_SE
	s_and_saveexec_b32 s20, s15
	s_cbranch_execz .LBB137_101
; %bb.100:                              ;   in Loop: Header=BB137_81 Depth=1
	ds_load_b32 v64, v49
	s_wait_dscnt 0x0
	v_mov_b32_dpp v65, v64 row_shr:1 row_mask:0xf bank_mask:0xf
	s_delay_alu instid0(VALU_DEP_1) | instskip(NEXT) | instid1(VALU_DEP_1)
	v_cndmask_b32_e64 v65, v65, 0, s18
	v_add_nc_u32_e32 v64, v65, v64
	s_delay_alu instid0(VALU_DEP_1) | instskip(NEXT) | instid1(VALU_DEP_1)
	v_mov_b32_dpp v65, v64 row_shr:2 row_mask:0xf bank_mask:0xf
	v_cndmask_b32_e64 v65, 0, v65, s19
	s_delay_alu instid0(VALU_DEP_1)
	v_add_nc_u32_e32 v64, v64, v65
	ds_store_b32 v49, v64
.LBB137_101:                            ;   in Loop: Header=BB137_81 Depth=1
	s_wait_alu 0xfffe
	s_or_b32 exec_lo, exec_lo, s20
	v_mov_b32_e32 v64, 0
	s_wait_loadcnt_dscnt 0x0
	s_barrier_signal -1
	s_barrier_wait -1
	global_inv scope:SCOPE_SE
	s_and_saveexec_b32 s20, s16
; %bb.102:                              ;   in Loop: Header=BB137_81 Depth=1
	ds_load_b32 v64, v46
; %bb.103:                              ;   in Loop: Header=BB137_81 Depth=1
	s_wait_alu 0xfffe
	s_or_b32 exec_lo, exec_lo, s20
	s_wait_dscnt 0x0
	v_add_nc_u32_e32 v7, v64, v7
	v_cmp_lt_u32_e32 vcc_lo, 23, v48
	v_readfirstlane_b32 s20, v0
	s_mov_b32 s23, -1
	ds_bpermute_b32 v7, v36, v7
	s_and_b32 vcc_lo, exec_lo, vcc_lo
	s_wait_dscnt 0x0
	v_cndmask_b32_e64 v7, v7, v64, s1
	s_delay_alu instid0(VALU_DEP_1) | instskip(NEXT) | instid1(VALU_DEP_1)
	v_cndmask_b32_e64 v7, v7, 0, s17
	v_add_nc_u32_e32 v8, v7, v8
	s_delay_alu instid0(VALU_DEP_1) | instskip(NEXT) | instid1(VALU_DEP_1)
	v_add_nc_u32_e32 v9, v8, v9
	v_add_nc_u32_e32 v10, v9, v10
	s_delay_alu instid0(VALU_DEP_1) | instskip(NEXT) | instid1(VALU_DEP_1)
	v_add_nc_u32_e32 v64, v10, v11
	;; [unrolled: 3-line block ×3, first 2 shown]
	v_add_nc_u32_e32 v67, v66, v6
	ds_store_b128 v88, v[7:10] offset:16
	ds_store_b128 v88, v[64:67] offset:32
	s_wait_loadcnt_dscnt 0x0
	s_barrier_signal -1
	s_barrier_wait -1
	global_inv scope:SCOPE_SE
	ds_load_b32 v4, v13 offset:16
	ds_load_b32 v5, v16 offset:16
	;; [unrolled: 1-line block ×8, first 2 shown]
	s_wait_dscnt 0x7
	v_add_nc_u32_e32 v67, v4, v12
	s_wait_dscnt 0x6
	v_add3_u32 v66, v15, v14, v5
	s_wait_dscnt 0x5
	v_add3_u32 v65, v18, v17, v6
	;; [unrolled: 2-line block ×7, first 2 shown]
                                        ; implicit-def: $vgpr45
                                        ; implicit-def: $vgpr43
                                        ; implicit-def: $vgpr41
                                        ; implicit-def: $vgpr39
                                        ; implicit-def: $vgpr18_vgpr19
                                        ; implicit-def: $vgpr14_vgpr15
                                        ; implicit-def: $vgpr10_vgpr11
                                        ; implicit-def: $vgpr6_vgpr7
	s_wait_alu 0xfffe
	s_cbranch_vccnz .LBB137_80
; %bb.104:                              ;   in Loop: Header=BB137_81 Depth=1
	v_lshlrev_b32_e32 v4, 2, v67
	v_lshlrev_b32_e32 v5, 2, v66
	;; [unrolled: 1-line block ×3, first 2 shown]
	s_wait_loadcnt 0x0
	s_barrier_signal -1
	s_barrier_wait -1
	global_inv scope:SCOPE_SE
	ds_store_b32 v4, v51
	ds_store_b32 v5, v58
	;; [unrolled: 1-line block ×3, first 2 shown]
	v_lshlrev_b32_e32 v7, 2, v64
	v_add_nc_u32_e32 v4, v4, v4
	v_lshlrev_b32_e32 v8, 2, v63
	v_add_nc_u32_e32 v5, v5, v5
	;; [unrolled: 2-line block ×3, first 2 shown]
	v_lshlrev_b32_e32 v10, 2, v60
	v_lshlrev_b32_e32 v11, 2, v59
	ds_store_b32 v7, v56
	ds_store_b32 v8, v55
	;; [unrolled: 1-line block ×5, first 2 shown]
	s_wait_loadcnt_dscnt 0x0
	s_barrier_signal -1
	s_barrier_wait -1
	global_inv scope:SCOPE_SE
	ds_load_2addr_b32 v[38:39], v89 offset1:32
	ds_load_2addr_b32 v[40:41], v89 offset0:64 offset1:96
	ds_load_2addr_b32 v[42:43], v89 offset0:128 offset1:160
	;; [unrolled: 1-line block ×3, first 2 shown]
	s_wait_loadcnt_dscnt 0x0
	s_barrier_signal -1
	s_barrier_wait -1
	global_inv scope:SCOPE_SE
	ds_store_b64 v4, v[34:35]
	ds_store_b64 v5, v[32:33]
	;; [unrolled: 1-line block ×3, first 2 shown]
	v_add_nc_u32_e32 v4, v7, v7
	v_add_nc_u32_e32 v5, v8, v8
	;; [unrolled: 1-line block ×5, first 2 shown]
	ds_store_b64 v4, v[28:29]
	ds_store_b64 v5, v[26:27]
	;; [unrolled: 1-line block ×5, first 2 shown]
	s_wait_loadcnt_dscnt 0x0
	s_barrier_signal -1
	s_barrier_wait -1
	global_inv scope:SCOPE_SE
	ds_load_2addr_b64 v[4:7], v50 offset1:32
	ds_load_2addr_b64 v[8:11], v50 offset0:64 offset1:96
	ds_load_2addr_b64 v[12:15], v50 offset0:128 offset1:160
	ds_load_2addr_b64 v[16:19], v50 offset0:192 offset1:224
	v_add_nc_u32_e32 v48, 8, v48
	s_add_co_i32 s20, s22, -8
	s_mov_b32 s23, 0
	s_wait_loadcnt_dscnt 0x0
	s_barrier_signal -1
	s_barrier_wait -1
	global_inv scope:SCOPE_SE
	s_branch .LBB137_80
.LBB137_105:
	v_lshlrev_b32_e32 v8, 2, v67
	v_lshlrev_b32_e32 v9, 2, v66
	;; [unrolled: 1-line block ×3, first 2 shown]
	s_wait_loadcnt 0x0
	s_barrier_signal -1
	s_barrier_wait -1
	global_inv scope:SCOPE_SE
	ds_store_b32 v8, v51
	ds_store_b32 v9, v58
	;; [unrolled: 1-line block ×3, first 2 shown]
	v_lshlrev_b32_e32 v11, 2, v64
	v_add_nc_u32_e32 v8, v8, v8
	v_lshlrev_b32_e32 v12, 2, v63
	v_add_nc_u32_e32 v9, v9, v9
	;; [unrolled: 2-line block ×3, first 2 shown]
	v_lshlrev_b32_e32 v14, 2, v60
	v_lshlrev_b32_e32 v15, 2, v59
	ds_store_b32 v11, v56
	ds_store_b32 v12, v55
	;; [unrolled: 1-line block ×5, first 2 shown]
	s_wait_loadcnt_dscnt 0x0
	s_barrier_signal -1
	s_barrier_wait -1
	global_inv scope:SCOPE_SE
	ds_load_b128 v[0:3], v88
	ds_load_b128 v[4:7], v88 offset:16
	s_wait_loadcnt_dscnt 0x0
	s_barrier_signal -1
	s_barrier_wait -1
	global_inv scope:SCOPE_SE
	ds_store_b64 v8, v[34:35]
	ds_store_b64 v9, v[32:33]
	;; [unrolled: 1-line block ×3, first 2 shown]
	v_add_nc_u32_e32 v8, v11, v11
	v_add_nc_u32_e32 v9, v12, v12
	;; [unrolled: 1-line block ×5, first 2 shown]
	ds_store_b64 v8, v[28:29]
	ds_store_b64 v9, v[26:27]
	;; [unrolled: 1-line block ×5, first 2 shown]
	v_lshl_add_u32 v8, v37, 5, v88
	s_wait_loadcnt_dscnt 0x0
	s_barrier_signal -1
	s_barrier_wait -1
	global_inv scope:SCOPE_SE
	ds_load_b128 v[29:32], v8
	ds_load_b128 v[25:28], v8 offset:16
	ds_load_b128 v[21:24], v8 offset:32
	;; [unrolled: 1-line block ×3, first 2 shown]
	v_xor_b32_e32 v33, 0x7fffffff, v0
	v_xor_b32_e32 v35, 0x7fffffff, v1
	;; [unrolled: 1-line block ×8, first 2 shown]
.LBB137_106:
	v_mad_co_u64_u32 v[0:1], null, s24, v37, 0
	s_wait_loadcnt_dscnt 0x0
	s_barrier_signal -1
	s_barrier_wait -1
	global_inv scope:SCOPE_SE
	ds_store_2addr_b32 v78, v33, v35 offset1:1
	ds_store_2addr_b32 v78, v34, v46 offset0:2 offset1:3
	ds_store_2addr_b32 v78, v36, v48 offset0:4 offset1:5
	;; [unrolled: 1-line block ×3, first 2 shown]
	s_wait_loadcnt_dscnt 0x0
	v_mad_co_u64_u32 v[1:2], null, s25, v37, v[1:2]
	s_barrier_signal -1
	s_barrier_wait -1
	global_inv scope:SCOPE_SE
	ds_load_b32 v8, v71 offset:512
	ds_load_b32 v7, v72 offset:1024
	;; [unrolled: 1-line block ×7, first 2 shown]
	v_lshlrev_b64_e32 v[0:1], 2, v[0:1]
	s_delay_alu instid0(VALU_DEP_1) | instskip(SKIP_1) | instid1(VALU_DEP_2)
	v_add_co_u32 v0, vcc_lo, s28, v0
	s_wait_alu 0xfffd
	v_add_co_ci_u32_e64 v1, null, s29, v1, vcc_lo
	s_and_saveexec_b32 s0, s2
	s_cbranch_execnz .LBB137_125
; %bb.107:
	s_wait_alu 0xfffe
	s_or_b32 exec_lo, exec_lo, s0
	s_and_saveexec_b32 s0, s3
	s_cbranch_execnz .LBB137_126
.LBB137_108:
	s_wait_alu 0xfffe
	s_or_b32 exec_lo, exec_lo, s0
	s_and_saveexec_b32 s0, s4
	s_cbranch_execnz .LBB137_127
.LBB137_109:
	s_wait_alu 0xfffe
	s_or_b32 exec_lo, exec_lo, s0
	s_and_saveexec_b32 s0, s5
	s_cbranch_execnz .LBB137_128
.LBB137_110:
	s_wait_alu 0xfffe
	s_or_b32 exec_lo, exec_lo, s0
	s_and_saveexec_b32 s0, s6
	s_cbranch_execnz .LBB137_129
.LBB137_111:
	s_wait_alu 0xfffe
	s_or_b32 exec_lo, exec_lo, s0
	s_and_saveexec_b32 s0, s7
	s_cbranch_execnz .LBB137_130
.LBB137_112:
	s_wait_alu 0xfffe
	s_or_b32 exec_lo, exec_lo, s0
	s_and_saveexec_b32 s0, s8
	s_cbranch_execnz .LBB137_131
.LBB137_113:
	s_wait_alu 0xfffe
	s_or_b32 exec_lo, exec_lo, s0
	s_and_saveexec_b32 s0, s9
	s_cbranch_execz .LBB137_115
.LBB137_114:
	v_mad_co_u64_u32 v[0:1], null, 0xe00, s24, v[0:1]
	s_wait_dscnt 0x0
	s_delay_alu instid0(VALU_DEP_1) | instskip(NEXT) | instid1(VALU_DEP_1)
	v_mad_co_u64_u32 v[3:4], null, 0xe00, s25, v[1:2]
	v_mov_b32_e32 v1, v3
	global_store_b32 v[0:1], v2, off
.LBB137_115:
	s_wait_alu 0xfffe
	s_or_b32 exec_lo, exec_lo, s0
	s_wait_dscnt 0x0
	v_mad_co_u64_u32 v[2:3], null, s26, v37, 0
	s_wait_loadcnt 0x0
	s_wait_storecnt 0x0
	s_barrier_signal -1
	s_barrier_wait -1
	global_inv scope:SCOPE_SE
	ds_store_2addr_b64 v87, v[29:30], v[31:32] offset1:1
	ds_store_2addr_b64 v87, v[25:26], v[27:28] offset0:2 offset1:3
	ds_store_2addr_b64 v87, v[21:22], v[23:24] offset0:4 offset1:5
	;; [unrolled: 1-line block ×3, first 2 shown]
	s_wait_loadcnt_dscnt 0x0
	v_mov_b32_e32 v0, v3
	s_barrier_signal -1
	s_barrier_wait -1
	global_inv scope:SCOPE_SE
	v_mad_co_u64_u32 v[3:4], null, s27, v37, v[0:1]
	ds_load_b64 v[14:15], v80 offset:1024
	ds_load_b64 v[12:13], v81 offset:2048
	;; [unrolled: 1-line block ×7, first 2 shown]
	v_lshlrev_b64_e32 v[2:3], 3, v[2:3]
	s_delay_alu instid0(VALU_DEP_1) | instskip(SKIP_1) | instid1(VALU_DEP_2)
	v_add_co_u32 v2, vcc_lo, s30, v2
	s_wait_alu 0xfffd
	v_add_co_ci_u32_e64 v3, null, s31, v3, vcc_lo
	s_and_saveexec_b32 s0, s2
	s_cbranch_execnz .LBB137_132
; %bb.116:
	s_wait_alu 0xfffe
	s_or_b32 exec_lo, exec_lo, s0
	s_and_saveexec_b32 s0, s3
	s_cbranch_execnz .LBB137_133
.LBB137_117:
	s_wait_alu 0xfffe
	s_or_b32 exec_lo, exec_lo, s0
	s_and_saveexec_b32 s0, s4
	s_cbranch_execnz .LBB137_134
.LBB137_118:
	s_wait_alu 0xfffe
	s_or_b32 exec_lo, exec_lo, s0
	s_and_saveexec_b32 s0, s5
	s_cbranch_execnz .LBB137_135
.LBB137_119:
	s_wait_alu 0xfffe
	s_or_b32 exec_lo, exec_lo, s0
	s_and_saveexec_b32 s0, s6
	s_cbranch_execnz .LBB137_136
.LBB137_120:
	s_wait_alu 0xfffe
	s_or_b32 exec_lo, exec_lo, s0
	s_and_saveexec_b32 s0, s7
	s_cbranch_execnz .LBB137_137
.LBB137_121:
	s_wait_alu 0xfffe
	s_or_b32 exec_lo, exec_lo, s0
	s_and_saveexec_b32 s0, s8
	s_cbranch_execnz .LBB137_138
.LBB137_122:
	s_wait_alu 0xfffe
	s_or_b32 exec_lo, exec_lo, s0
	s_and_saveexec_b32 s0, s9
	s_cbranch_execz .LBB137_124
.LBB137_123:
	v_mad_co_u64_u32 v[2:3], null, 0x1c00, s26, v[2:3]
	s_wait_dscnt 0x1
	s_delay_alu instid0(VALU_DEP_1)
	v_mad_co_u64_u32 v[3:4], null, 0x1c00, s27, v[3:4]
	s_wait_dscnt 0x0
	global_store_b64 v[2:3], v[0:1], off
.LBB137_124:
	s_nop 0
	s_sendmsg sendmsg(MSG_DEALLOC_VGPRS)
	s_endpgm
.LBB137_125:
	ds_load_b32 v9, v70
	s_wait_dscnt 0x0
	global_store_b32 v[0:1], v9, off
	s_wait_alu 0xfffe
	s_or_b32 exec_lo, exec_lo, s0
	s_and_saveexec_b32 s0, s3
	s_cbranch_execz .LBB137_108
.LBB137_126:
	s_lshl_b64 s[10:11], s[24:25], 9
	s_wait_alu 0xfffe
	v_add_co_u32 v9, vcc_lo, v0, s10
	s_wait_alu 0xfffd
	v_add_co_ci_u32_e64 v10, null, s11, v1, vcc_lo
	s_wait_dscnt 0x6
	global_store_b32 v[9:10], v8, off
	s_or_b32 exec_lo, exec_lo, s0
	s_and_saveexec_b32 s0, s4
	s_cbranch_execz .LBB137_109
.LBB137_127:
	s_lshl_b64 s[10:11], s[24:25], 10
	s_wait_dscnt 0x6
	s_wait_alu 0xfffe
	v_add_co_u32 v8, vcc_lo, v0, s10
	s_wait_alu 0xfffd
	v_add_co_ci_u32_e64 v9, null, s11, v1, vcc_lo
	s_wait_dscnt 0x5
	global_store_b32 v[8:9], v7, off
	s_or_b32 exec_lo, exec_lo, s0
	s_and_saveexec_b32 s0, s5
	s_cbranch_execz .LBB137_110
.LBB137_128:
	s_wait_dscnt 0x5
	v_mad_co_u64_u32 v[7:8], null, 0x600, s24, v[0:1]
	s_delay_alu instid0(VALU_DEP_1)
	v_mad_co_u64_u32 v[8:9], null, 0x600, s25, v[8:9]
	s_wait_dscnt 0x4
	global_store_b32 v[7:8], v6, off
	s_wait_alu 0xfffe
	s_or_b32 exec_lo, exec_lo, s0
	s_and_saveexec_b32 s0, s6
	s_cbranch_execz .LBB137_111
.LBB137_129:
	s_lshl_b64 s[10:11], s[24:25], 11
	s_wait_dscnt 0x4
	s_wait_alu 0xfffe
	v_add_co_u32 v6, vcc_lo, v0, s10
	s_wait_alu 0xfffd
	v_add_co_ci_u32_e64 v7, null, s11, v1, vcc_lo
	s_wait_dscnt 0x3
	global_store_b32 v[6:7], v5, off
	s_or_b32 exec_lo, exec_lo, s0
	s_and_saveexec_b32 s0, s7
	s_cbranch_execz .LBB137_112
.LBB137_130:
	s_wait_dscnt 0x3
	v_mad_co_u64_u32 v[5:6], null, 0xa00, s24, v[0:1]
	s_delay_alu instid0(VALU_DEP_1)
	v_mad_co_u64_u32 v[6:7], null, 0xa00, s25, v[6:7]
	s_wait_dscnt 0x2
	global_store_b32 v[5:6], v4, off
	s_wait_alu 0xfffe
	s_or_b32 exec_lo, exec_lo, s0
	s_and_saveexec_b32 s0, s8
	s_cbranch_execz .LBB137_113
.LBB137_131:
	s_wait_dscnt 0x2
	v_mad_co_u64_u32 v[4:5], null, 0xc00, s24, v[0:1]
	s_delay_alu instid0(VALU_DEP_1)
	v_mad_co_u64_u32 v[5:6], null, 0xc00, s25, v[5:6]
	s_wait_dscnt 0x1
	global_store_b32 v[4:5], v3, off
	s_wait_alu 0xfffe
	s_or_b32 exec_lo, exec_lo, s0
	s_and_saveexec_b32 s0, s9
	s_cbranch_execnz .LBB137_114
	s_branch .LBB137_115
.LBB137_132:
	ds_load_b64 v[16:17], v79
	s_wait_dscnt 0x0
	global_store_b64 v[2:3], v[16:17], off
	s_wait_alu 0xfffe
	s_or_b32 exec_lo, exec_lo, s0
	s_and_saveexec_b32 s0, s3
	s_cbranch_execz .LBB137_117
.LBB137_133:
	s_lshl_b64 s[2:3], s[26:27], 10
	s_wait_alu 0xfffe
	v_add_co_u32 v16, vcc_lo, v2, s2
	s_wait_alu 0xfffd
	v_add_co_ci_u32_e64 v17, null, s3, v3, vcc_lo
	s_wait_dscnt 0x6
	global_store_b64 v[16:17], v[14:15], off
	s_or_b32 exec_lo, exec_lo, s0
	s_and_saveexec_b32 s0, s4
	s_cbranch_execz .LBB137_118
.LBB137_134:
	s_lshl_b64 s[2:3], s[26:27], 11
	s_wait_dscnt 0x6
	s_wait_alu 0xfffe
	v_add_co_u32 v14, vcc_lo, v2, s2
	s_wait_alu 0xfffd
	v_add_co_ci_u32_e64 v15, null, s3, v3, vcc_lo
	s_wait_dscnt 0x5
	global_store_b64 v[14:15], v[12:13], off
	s_or_b32 exec_lo, exec_lo, s0
	s_and_saveexec_b32 s0, s5
	s_cbranch_execz .LBB137_119
.LBB137_135:
	s_wait_dscnt 0x5
	v_mad_co_u64_u32 v[12:13], null, 0xc00, s26, v[2:3]
	s_delay_alu instid0(VALU_DEP_1)
	v_mad_co_u64_u32 v[13:14], null, 0xc00, s27, v[13:14]
	s_wait_dscnt 0x4
	global_store_b64 v[12:13], v[10:11], off
	s_wait_alu 0xfffe
	s_or_b32 exec_lo, exec_lo, s0
	s_and_saveexec_b32 s0, s6
	s_cbranch_execz .LBB137_120
.LBB137_136:
	s_lshl_b64 s[2:3], s[26:27], 12
	s_wait_dscnt 0x4
	s_wait_alu 0xfffe
	v_add_co_u32 v10, vcc_lo, v2, s2
	s_wait_alu 0xfffd
	v_add_co_ci_u32_e64 v11, null, s3, v3, vcc_lo
	s_wait_dscnt 0x3
	global_store_b64 v[10:11], v[8:9], off
	s_or_b32 exec_lo, exec_lo, s0
	s_and_saveexec_b32 s0, s7
	s_cbranch_execz .LBB137_121
.LBB137_137:
	s_wait_dscnt 0x3
	v_mad_co_u64_u32 v[8:9], null, 0x1400, s26, v[2:3]
	s_delay_alu instid0(VALU_DEP_1)
	v_mad_co_u64_u32 v[9:10], null, 0x1400, s27, v[9:10]
	s_wait_dscnt 0x2
	global_store_b64 v[8:9], v[6:7], off
	s_wait_alu 0xfffe
	s_or_b32 exec_lo, exec_lo, s0
	s_and_saveexec_b32 s0, s8
	s_cbranch_execz .LBB137_122
.LBB137_138:
	s_wait_dscnt 0x2
	v_mad_co_u64_u32 v[6:7], null, 0x1800, s26, v[2:3]
	s_delay_alu instid0(VALU_DEP_1)
	v_mad_co_u64_u32 v[7:8], null, 0x1800, s27, v[7:8]
	s_wait_dscnt 0x1
	global_store_b64 v[6:7], v[4:5], off
	s_wait_alu 0xfffe
	s_or_b32 exec_lo, exec_lo, s0
	s_and_saveexec_b32 s0, s9
	s_cbranch_execnz .LBB137_123
	s_branch .LBB137_124
	.section	.rodata,"a",@progbits
	.p2align	6, 0x0
	.amdhsa_kernel _ZN2at6native18radixSortKVInPlaceILin1ELin1ELi128ELi8EilmEEvNS_4cuda6detail10TensorInfoIT3_T5_EES6_S6_S6_NS4_IT4_S6_EES6_b
		.amdhsa_group_segment_fixed_size 8448
		.amdhsa_private_segment_fixed_size 0
		.amdhsa_kernarg_size 1128
		.amdhsa_user_sgpr_count 2
		.amdhsa_user_sgpr_dispatch_ptr 0
		.amdhsa_user_sgpr_queue_ptr 0
		.amdhsa_user_sgpr_kernarg_segment_ptr 1
		.amdhsa_user_sgpr_dispatch_id 0
		.amdhsa_user_sgpr_private_segment_size 0
		.amdhsa_wavefront_size32 1
		.amdhsa_uses_dynamic_stack 0
		.amdhsa_enable_private_segment 0
		.amdhsa_system_sgpr_workgroup_id_x 1
		.amdhsa_system_sgpr_workgroup_id_y 1
		.amdhsa_system_sgpr_workgroup_id_z 1
		.amdhsa_system_sgpr_workgroup_info 0
		.amdhsa_system_vgpr_workitem_id 2
		.amdhsa_next_free_vgpr 126
		.amdhsa_next_free_sgpr 40
		.amdhsa_reserve_vcc 1
		.amdhsa_float_round_mode_32 0
		.amdhsa_float_round_mode_16_64 0
		.amdhsa_float_denorm_mode_32 3
		.amdhsa_float_denorm_mode_16_64 3
		.amdhsa_fp16_overflow 0
		.amdhsa_workgroup_processor_mode 1
		.amdhsa_memory_ordered 1
		.amdhsa_forward_progress 1
		.amdhsa_inst_pref_size 123
		.amdhsa_round_robin_scheduling 0
		.amdhsa_exception_fp_ieee_invalid_op 0
		.amdhsa_exception_fp_denorm_src 0
		.amdhsa_exception_fp_ieee_div_zero 0
		.amdhsa_exception_fp_ieee_overflow 0
		.amdhsa_exception_fp_ieee_underflow 0
		.amdhsa_exception_fp_ieee_inexact 0
		.amdhsa_exception_int_div_zero 0
	.end_amdhsa_kernel
	.section	.text._ZN2at6native18radixSortKVInPlaceILin1ELin1ELi128ELi8EilmEEvNS_4cuda6detail10TensorInfoIT3_T5_EES6_S6_S6_NS4_IT4_S6_EES6_b,"axG",@progbits,_ZN2at6native18radixSortKVInPlaceILin1ELin1ELi128ELi8EilmEEvNS_4cuda6detail10TensorInfoIT3_T5_EES6_S6_S6_NS4_IT4_S6_EES6_b,comdat
.Lfunc_end137:
	.size	_ZN2at6native18radixSortKVInPlaceILin1ELin1ELi128ELi8EilmEEvNS_4cuda6detail10TensorInfoIT3_T5_EES6_S6_S6_NS4_IT4_S6_EES6_b, .Lfunc_end137-_ZN2at6native18radixSortKVInPlaceILin1ELin1ELi128ELi8EilmEEvNS_4cuda6detail10TensorInfoIT3_T5_EES6_S6_S6_NS4_IT4_S6_EES6_b
                                        ; -- End function
	.set _ZN2at6native18radixSortKVInPlaceILin1ELin1ELi128ELi8EilmEEvNS_4cuda6detail10TensorInfoIT3_T5_EES6_S6_S6_NS4_IT4_S6_EES6_b.num_vgpr, 126
	.set _ZN2at6native18radixSortKVInPlaceILin1ELin1ELi128ELi8EilmEEvNS_4cuda6detail10TensorInfoIT3_T5_EES6_S6_S6_NS4_IT4_S6_EES6_b.num_agpr, 0
	.set _ZN2at6native18radixSortKVInPlaceILin1ELin1ELi128ELi8EilmEEvNS_4cuda6detail10TensorInfoIT3_T5_EES6_S6_S6_NS4_IT4_S6_EES6_b.numbered_sgpr, 40
	.set _ZN2at6native18radixSortKVInPlaceILin1ELin1ELi128ELi8EilmEEvNS_4cuda6detail10TensorInfoIT3_T5_EES6_S6_S6_NS4_IT4_S6_EES6_b.num_named_barrier, 0
	.set _ZN2at6native18radixSortKVInPlaceILin1ELin1ELi128ELi8EilmEEvNS_4cuda6detail10TensorInfoIT3_T5_EES6_S6_S6_NS4_IT4_S6_EES6_b.private_seg_size, 0
	.set _ZN2at6native18radixSortKVInPlaceILin1ELin1ELi128ELi8EilmEEvNS_4cuda6detail10TensorInfoIT3_T5_EES6_S6_S6_NS4_IT4_S6_EES6_b.uses_vcc, 1
	.set _ZN2at6native18radixSortKVInPlaceILin1ELin1ELi128ELi8EilmEEvNS_4cuda6detail10TensorInfoIT3_T5_EES6_S6_S6_NS4_IT4_S6_EES6_b.uses_flat_scratch, 0
	.set _ZN2at6native18radixSortKVInPlaceILin1ELin1ELi128ELi8EilmEEvNS_4cuda6detail10TensorInfoIT3_T5_EES6_S6_S6_NS4_IT4_S6_EES6_b.has_dyn_sized_stack, 0
	.set _ZN2at6native18radixSortKVInPlaceILin1ELin1ELi128ELi8EilmEEvNS_4cuda6detail10TensorInfoIT3_T5_EES6_S6_S6_NS4_IT4_S6_EES6_b.has_recursion, 0
	.set _ZN2at6native18radixSortKVInPlaceILin1ELin1ELi128ELi8EilmEEvNS_4cuda6detail10TensorInfoIT3_T5_EES6_S6_S6_NS4_IT4_S6_EES6_b.has_indirect_call, 0
	.section	.AMDGPU.csdata,"",@progbits
; Kernel info:
; codeLenInByte = 15708
; TotalNumSgprs: 42
; NumVgprs: 126
; ScratchSize: 0
; MemoryBound: 0
; FloatMode: 240
; IeeeMode: 1
; LDSByteSize: 8448 bytes/workgroup (compile time only)
; SGPRBlocks: 0
; VGPRBlocks: 15
; NumSGPRsForWavesPerEU: 42
; NumVGPRsForWavesPerEU: 126
; Occupancy: 10
; WaveLimiterHint : 1
; COMPUTE_PGM_RSRC2:SCRATCH_EN: 0
; COMPUTE_PGM_RSRC2:USER_SGPR: 2
; COMPUTE_PGM_RSRC2:TRAP_HANDLER: 0
; COMPUTE_PGM_RSRC2:TGID_X_EN: 1
; COMPUTE_PGM_RSRC2:TGID_Y_EN: 1
; COMPUTE_PGM_RSRC2:TGID_Z_EN: 1
; COMPUTE_PGM_RSRC2:TIDIG_COMP_CNT: 2
	.section	.text._ZN2at6native18radixSortKVInPlaceILin1ELin1ELi32ELi4EilmEEvNS_4cuda6detail10TensorInfoIT3_T5_EES6_S6_S6_NS4_IT4_S6_EES6_b,"axG",@progbits,_ZN2at6native18radixSortKVInPlaceILin1ELin1ELi32ELi4EilmEEvNS_4cuda6detail10TensorInfoIT3_T5_EES6_S6_S6_NS4_IT4_S6_EES6_b,comdat
	.protected	_ZN2at6native18radixSortKVInPlaceILin1ELin1ELi32ELi4EilmEEvNS_4cuda6detail10TensorInfoIT3_T5_EES6_S6_S6_NS4_IT4_S6_EES6_b ; -- Begin function _ZN2at6native18radixSortKVInPlaceILin1ELin1ELi32ELi4EilmEEvNS_4cuda6detail10TensorInfoIT3_T5_EES6_S6_S6_NS4_IT4_S6_EES6_b
	.globl	_ZN2at6native18radixSortKVInPlaceILin1ELin1ELi32ELi4EilmEEvNS_4cuda6detail10TensorInfoIT3_T5_EES6_S6_S6_NS4_IT4_S6_EES6_b
	.p2align	8
	.type	_ZN2at6native18radixSortKVInPlaceILin1ELin1ELi32ELi4EilmEEvNS_4cuda6detail10TensorInfoIT3_T5_EES6_S6_S6_NS4_IT4_S6_EES6_b,@function
_ZN2at6native18radixSortKVInPlaceILin1ELin1ELi32ELi4EilmEEvNS_4cuda6detail10TensorInfoIT3_T5_EES6_S6_S6_NS4_IT4_S6_EES6_b: ; @_ZN2at6native18radixSortKVInPlaceILin1ELin1ELi32ELi4EilmEEvNS_4cuda6detail10TensorInfoIT3_T5_EES6_S6_S6_NS4_IT4_S6_EES6_b
; %bb.0:
	s_clause 0x1
	s_load_b64 s[2:3], s[0:1], 0x368
	s_load_b128 s[4:7], s[0:1], 0x1a0
	s_wait_kmcnt 0x0
	s_lshr_b32 s7, ttmp7, 16
	s_and_b32 s8, ttmp7, 0xffff
	s_mul_i32 s3, s3, s7
	s_delay_alu instid0(SALU_CYCLE_1) | instskip(NEXT) | instid1(SALU_CYCLE_1)
	s_add_co_i32 s3, s3, s8
	s_mul_i32 s2, s3, s2
	s_mov_b32 s3, 0
	s_add_co_i32 s2, s2, ttmp9
	s_delay_alu instid0(SALU_CYCLE_1)
	v_cmp_le_u64_e64 s4, s[4:5], s[2:3]
	s_and_b32 vcc_lo, exec_lo, s4
	s_cbranch_vccnz .LBB138_76
; %bb.1:
	s_clause 0x1
	s_load_b32 s7, s[0:1], 0x198
	s_load_b64 s[16:17], s[0:1], 0x1b0
	s_mov_b64 s[4:5], 0
	s_mov_b64 s[8:9], s[2:3]
	s_wait_kmcnt 0x0
	s_cmp_lt_i32 s7, 2
	s_cbranch_scc1 .LBB138_9
; %bb.2:
	s_mov_b32 s10, 0
	s_add_co_i32 s4, s7, -1
	s_mov_b32 s5, s10
	s_add_co_i32 s7, s7, 1
	s_wait_alu 0xfffe
	s_lshl_b64 s[4:5], s[4:5], 3
	s_mov_b64 s[14:15], s[2:3]
	s_wait_alu 0xfffe
	s_add_nc_u64 s[8:9], s[0:1], s[4:5]
	s_mov_b64 s[4:5], 0
	s_add_nc_u64 s[12:13], s[8:9], 8
.LBB138_3:                              ; =>This Inner Loop Header: Depth=1
	s_load_b64 s[18:19], s[12:13], 0x0
	s_wait_kmcnt 0x0
	s_or_b64 s[8:9], s[14:15], s[18:19]
	s_wait_alu 0xfffe
	s_mov_b32 s11, s9
                                        ; implicit-def: $sgpr8_sgpr9
	s_delay_alu instid0(SALU_CYCLE_1)
	s_cmp_lg_u64 s[10:11], 0
	s_mov_b32 s11, -1
	s_cbranch_scc0 .LBB138_5
; %bb.4:                                ;   in Loop: Header=BB138_3 Depth=1
	s_cvt_f32_u32 s8, s18
	s_cvt_f32_u32 s9, s19
	s_sub_nc_u64 s[20:21], 0, s[18:19]
	s_mov_b32 s23, s10
	s_mov_b32 s27, s10
	s_wait_alu 0xfffe
	s_fmamk_f32 s8, s9, 0x4f800000, s8
	s_wait_alu 0xfffe
	s_delay_alu instid0(SALU_CYCLE_2) | instskip(NEXT) | instid1(TRANS32_DEP_1)
	v_s_rcp_f32 s8, s8
	s_mul_f32 s8, s8, 0x5f7ffffc
	s_wait_alu 0xfffe
	s_delay_alu instid0(SALU_CYCLE_2) | instskip(SKIP_1) | instid1(SALU_CYCLE_2)
	s_mul_f32 s9, s8, 0x2f800000
	s_wait_alu 0xfffe
	s_trunc_f32 s9, s9
	s_wait_alu 0xfffe
	s_delay_alu instid0(SALU_CYCLE_2) | instskip(SKIP_2) | instid1(SALU_CYCLE_1)
	s_fmamk_f32 s8, s9, 0xcf800000, s8
	s_cvt_u32_f32 s9, s9
	s_wait_alu 0xfffe
	s_cvt_u32_f32 s8, s8
	s_wait_alu 0xfffe
	s_delay_alu instid0(SALU_CYCLE_2) | instskip(NEXT) | instid1(SALU_CYCLE_1)
	s_mul_u64 s[24:25], s[20:21], s[8:9]
	s_mul_hi_u32 s29, s8, s25
	s_mul_i32 s28, s8, s25
	s_mul_hi_u32 s22, s8, s24
	s_mul_i32 s26, s9, s24
	s_add_nc_u64 s[22:23], s[22:23], s[28:29]
	s_mul_hi_u32 s11, s9, s24
	s_mul_hi_u32 s30, s9, s25
	s_add_co_u32 s22, s22, s26
	s_add_co_ci_u32 s26, s23, s11
	s_mul_i32 s24, s9, s25
	s_add_co_ci_u32 s25, s30, 0
	s_delay_alu instid0(SALU_CYCLE_1) | instskip(SKIP_3) | instid1(SALU_CYCLE_1)
	s_add_nc_u64 s[22:23], s[26:27], s[24:25]
	s_mov_b32 s25, s10
	s_add_co_u32 s8, s8, s22
	s_cselect_b32 s11, -1, 0
	s_cmp_lg_u32 s11, 0
	s_add_co_ci_u32 s9, s9, s23
	s_mov_b32 s23, s10
	s_wait_alu 0xfffe
	s_mul_u64 s[20:21], s[20:21], s[8:9]
	s_delay_alu instid0(SALU_CYCLE_1)
	s_mul_hi_u32 s27, s8, s21
	s_mul_i32 s26, s8, s21
	s_mul_hi_u32 s22, s8, s20
	s_mul_i32 s24, s9, s20
	s_add_nc_u64 s[22:23], s[22:23], s[26:27]
	s_mul_hi_u32 s11, s9, s20
	s_mul_hi_u32 s28, s9, s21
	s_mul_i32 s20, s9, s21
	s_add_co_u32 s21, s22, s24
	s_add_co_ci_u32 s24, s23, s11
	s_add_co_ci_u32 s21, s28, 0
	s_mov_b32 s23, s10
	s_add_nc_u64 s[20:21], s[24:25], s[20:21]
	s_delay_alu instid0(SALU_CYCLE_1)
	s_add_co_u32 s8, s8, s20
	s_cselect_b32 s11, -1, 0
	s_wait_alu 0xfffe
	s_mul_hi_u32 s22, s14, s8
	s_cmp_lg_u32 s11, 0
	s_mul_hi_u32 s11, s15, s8
	s_add_co_ci_u32 s20, s9, s21
	s_mul_i32 s21, s15, s8
	s_mul_hi_u32 s9, s14, s20
	s_mul_i32 s8, s14, s20
	s_mul_hi_u32 s26, s15, s20
	s_wait_alu 0xfffe
	s_add_nc_u64 s[8:9], s[22:23], s[8:9]
	s_mul_i32 s20, s15, s20
	s_wait_alu 0xfffe
	s_add_co_u32 s8, s8, s21
	s_add_co_ci_u32 s24, s9, s11
	s_add_co_ci_u32 s21, s26, 0
	s_delay_alu instid0(SALU_CYCLE_1) | instskip(SKIP_2) | instid1(SALU_CYCLE_1)
	s_add_nc_u64 s[8:9], s[24:25], s[20:21]
	s_wait_alu 0xfffe
	s_mul_u64 s[20:21], s[18:19], s[8:9]
	s_sub_co_u32 s11, s14, s20
	s_cselect_b32 s20, -1, 0
	s_sub_co_i32 s22, s15, s21
	s_cmp_lg_u32 s20, 0
	s_sub_co_ci_u32 s22, s22, s19
	s_sub_co_u32 s23, s11, s18
	s_cselect_b32 s24, -1, 0
	s_delay_alu instid0(SALU_CYCLE_1) | instskip(SKIP_1) | instid1(SALU_CYCLE_1)
	s_cmp_lg_u32 s24, 0
	s_sub_co_ci_u32 s22, s22, 0
	s_cmp_ge_u32 s22, s19
	s_cselect_b32 s24, -1, 0
	s_cmp_ge_u32 s23, s18
	s_cselect_b32 s25, -1, 0
	s_cmp_eq_u32 s22, s19
	s_add_nc_u64 s[22:23], s[8:9], 1
	s_cselect_b32 s26, s25, s24
	s_add_nc_u64 s[24:25], s[8:9], 2
	s_cmp_lg_u32 s26, 0
	s_cselect_b32 s22, s24, s22
	s_cselect_b32 s23, s25, s23
	s_cmp_lg_u32 s20, 0
	s_sub_co_ci_u32 s20, s15, s21
	s_delay_alu instid0(SALU_CYCLE_1)
	s_cmp_ge_u32 s20, s19
	s_cselect_b32 s21, -1, 0
	s_cmp_ge_u32 s11, s18
	s_cselect_b32 s11, -1, 0
	s_cmp_eq_u32 s20, s19
	s_cselect_b32 s11, s11, s21
	s_delay_alu instid0(SALU_CYCLE_1)
	s_cmp_lg_u32 s11, 0
	s_mov_b32 s11, 0
	s_cselect_b32 s9, s23, s9
	s_cselect_b32 s8, s22, s8
.LBB138_5:                              ;   in Loop: Header=BB138_3 Depth=1
	s_and_not1_b32 vcc_lo, exec_lo, s11
	s_cbranch_vccnz .LBB138_7
; %bb.6:                                ;   in Loop: Header=BB138_3 Depth=1
	v_cvt_f32_u32_e32 v1, s18
	s_sub_co_i32 s9, 0, s18
	s_delay_alu instid0(VALU_DEP_1) | instskip(NEXT) | instid1(TRANS32_DEP_1)
	v_rcp_iflag_f32_e32 v1, v1
	v_mul_f32_e32 v1, 0x4f7ffffe, v1
	s_delay_alu instid0(VALU_DEP_1) | instskip(NEXT) | instid1(VALU_DEP_1)
	v_cvt_u32_f32_e32 v1, v1
	v_readfirstlane_b32 s8, v1
	s_wait_alu 0xfffe
	s_mul_i32 s9, s9, s8
	s_wait_alu 0xfffe
	s_mul_hi_u32 s9, s8, s9
	s_wait_alu 0xfffe
	s_add_co_i32 s8, s8, s9
	s_wait_alu 0xfffe
	s_mul_hi_u32 s8, s14, s8
	s_wait_alu 0xfffe
	s_mul_i32 s9, s8, s18
	s_add_co_i32 s11, s8, 1
	s_wait_alu 0xfffe
	s_sub_co_i32 s9, s14, s9
	s_wait_alu 0xfffe
	s_sub_co_i32 s20, s9, s18
	s_cmp_ge_u32 s9, s18
	s_cselect_b32 s8, s11, s8
	s_cselect_b32 s9, s20, s9
	s_wait_alu 0xfffe
	s_add_co_i32 s11, s8, 1
	s_cmp_ge_u32 s9, s18
	s_mov_b32 s9, s10
	s_cselect_b32 s8, s11, s8
.LBB138_7:                              ;   in Loop: Header=BB138_3 Depth=1
	s_load_b64 s[20:21], s[12:13], 0xc8
	s_mul_u64 s[18:19], s[8:9], s[18:19]
	s_add_co_i32 s7, s7, -1
	s_wait_alu 0xfffe
	s_sub_nc_u64 s[14:15], s[14:15], s[18:19]
	s_cmp_gt_u32 s7, 2
	s_add_nc_u64 s[12:13], s[12:13], -8
	s_wait_kmcnt 0x0
	s_mul_u64 s[14:15], s[20:21], s[14:15]
	s_delay_alu instid0(SALU_CYCLE_1)
	s_add_nc_u64 s[4:5], s[14:15], s[4:5]
	s_cbranch_scc0 .LBB138_9
; %bb.8:                                ;   in Loop: Header=BB138_3 Depth=1
	s_mov_b64 s[14:15], s[8:9]
	s_branch .LBB138_3
.LBB138_9:
	s_load_b32 s7, s[0:1], 0x350
	s_add_nc_u64 s[24:25], s[0:1], 0x368
	s_mov_b64 s[12:13], 0
	s_wait_kmcnt 0x0
	s_cmp_lt_i32 s7, 2
	s_cbranch_scc1 .LBB138_17
; %bb.10:
	s_mov_b32 s10, 0
	s_add_co_i32 s12, s7, -1
	s_mov_b32 s13, s10
	s_add_co_i32 s7, s7, 1
	s_lshl_b64 s[12:13], s[12:13], 3
	s_delay_alu instid0(SALU_CYCLE_1) | instskip(NEXT) | instid1(SALU_CYCLE_1)
	s_add_nc_u64 s[12:13], s[0:1], s[12:13]
	s_add_nc_u64 s[14:15], s[12:13], 0x1c0
	s_mov_b64 s[12:13], 0
.LBB138_11:                             ; =>This Inner Loop Header: Depth=1
	s_load_b64 s[18:19], s[14:15], 0x0
                                        ; implicit-def: $sgpr22_sgpr23
	s_wait_kmcnt 0x0
	s_or_b64 s[20:21], s[2:3], s[18:19]
	s_delay_alu instid0(SALU_CYCLE_1)
	s_mov_b32 s11, s21
	s_wait_alu 0xfffe
	s_cmp_lg_u64 s[10:11], 0
	s_mov_b32 s11, -1
	s_cbranch_scc0 .LBB138_13
; %bb.12:                               ;   in Loop: Header=BB138_11 Depth=1
	s_cvt_f32_u32 s11, s18
	s_cvt_f32_u32 s20, s19
	s_sub_nc_u64 s[22:23], 0, s[18:19]
	s_mov_b32 s27, s10
	s_mov_b32 s31, s10
	s_wait_alu 0xfffe
	s_fmamk_f32 s11, s20, 0x4f800000, s11
	s_wait_alu 0xfffe
	s_delay_alu instid0(SALU_CYCLE_2) | instskip(NEXT) | instid1(TRANS32_DEP_1)
	v_s_rcp_f32 s11, s11
	s_mul_f32 s11, s11, 0x5f7ffffc
	s_wait_alu 0xfffe
	s_delay_alu instid0(SALU_CYCLE_2) | instskip(NEXT) | instid1(SALU_CYCLE_3)
	s_mul_f32 s20, s11, 0x2f800000
	s_trunc_f32 s20, s20
	s_delay_alu instid0(SALU_CYCLE_3) | instskip(SKIP_2) | instid1(SALU_CYCLE_1)
	s_fmamk_f32 s11, s20, 0xcf800000, s11
	s_cvt_u32_f32 s21, s20
	s_wait_alu 0xfffe
	s_cvt_u32_f32 s20, s11
	s_delay_alu instid0(SALU_CYCLE_3) | instskip(NEXT) | instid1(SALU_CYCLE_1)
	s_mul_u64 s[28:29], s[22:23], s[20:21]
	s_mul_hi_u32 s35, s20, s29
	s_mul_i32 s34, s20, s29
	s_mul_hi_u32 s26, s20, s28
	s_mul_i32 s30, s21, s28
	s_add_nc_u64 s[26:27], s[26:27], s[34:35]
	s_mul_hi_u32 s11, s21, s28
	s_mul_hi_u32 s33, s21, s29
	s_add_co_u32 s26, s26, s30
	s_wait_alu 0xfffe
	s_add_co_ci_u32 s30, s27, s11
	s_mul_i32 s28, s21, s29
	s_add_co_ci_u32 s29, s33, 0
	s_delay_alu instid0(SALU_CYCLE_1)
	s_add_nc_u64 s[26:27], s[30:31], s[28:29]
	s_mov_b32 s29, s10
	s_add_co_u32 s20, s20, s26
	s_cselect_b32 s11, -1, 0
	s_wait_alu 0xfffe
	s_cmp_lg_u32 s11, 0
	s_add_co_ci_u32 s21, s21, s27
	s_mov_b32 s27, s10
	s_mul_u64 s[22:23], s[22:23], s[20:21]
	s_delay_alu instid0(SALU_CYCLE_1)
	s_mul_hi_u32 s31, s20, s23
	s_mul_i32 s30, s20, s23
	s_mul_hi_u32 s26, s20, s22
	s_mul_i32 s28, s21, s22
	s_add_nc_u64 s[26:27], s[26:27], s[30:31]
	s_mul_hi_u32 s11, s21, s22
	s_mul_hi_u32 s33, s21, s23
	s_mul_i32 s22, s21, s23
	s_add_co_u32 s23, s26, s28
	s_wait_alu 0xfffe
	s_add_co_ci_u32 s28, s27, s11
	s_add_co_ci_u32 s23, s33, 0
	s_mov_b32 s27, s10
	s_add_nc_u64 s[22:23], s[28:29], s[22:23]
	s_delay_alu instid0(SALU_CYCLE_1)
	s_add_co_u32 s11, s20, s22
	s_cselect_b32 s20, -1, 0
	s_wait_alu 0xfffe
	s_mul_hi_u32 s26, s2, s11
	s_cmp_lg_u32 s20, 0
	s_mul_hi_u32 s28, s3, s11
	s_add_co_ci_u32 s22, s21, s23
	s_mul_i32 s11, s3, s11
	s_mul_hi_u32 s21, s2, s22
	s_mul_i32 s20, s2, s22
	s_mul_hi_u32 s23, s3, s22
	s_add_nc_u64 s[20:21], s[26:27], s[20:21]
	s_mul_i32 s22, s3, s22
	s_wait_alu 0xfffe
	s_add_co_u32 s11, s20, s11
	s_add_co_ci_u32 s28, s21, s28
	s_add_co_ci_u32 s23, s23, 0
	s_delay_alu instid0(SALU_CYCLE_1) | instskip(NEXT) | instid1(SALU_CYCLE_1)
	s_add_nc_u64 s[20:21], s[28:29], s[22:23]
	s_mul_u64 s[22:23], s[18:19], s[20:21]
	s_delay_alu instid0(SALU_CYCLE_1)
	s_sub_co_u32 s11, s2, s22
	s_cselect_b32 s22, -1, 0
	s_sub_co_i32 s26, s3, s23
	s_cmp_lg_u32 s22, 0
	s_sub_co_ci_u32 s26, s26, s19
	s_wait_alu 0xfffe
	s_sub_co_u32 s27, s11, s18
	s_cselect_b32 s28, -1, 0
	s_delay_alu instid0(SALU_CYCLE_1) | instskip(SKIP_1) | instid1(SALU_CYCLE_1)
	s_cmp_lg_u32 s28, 0
	s_sub_co_ci_u32 s26, s26, 0
	s_cmp_ge_u32 s26, s19
	s_cselect_b32 s28, -1, 0
	s_cmp_ge_u32 s27, s18
	s_cselect_b32 s29, -1, 0
	s_cmp_eq_u32 s26, s19
	s_add_nc_u64 s[26:27], s[20:21], 1
	s_cselect_b32 s30, s29, s28
	s_add_nc_u64 s[28:29], s[20:21], 2
	s_cmp_lg_u32 s30, 0
	s_cselect_b32 s26, s28, s26
	s_cselect_b32 s27, s29, s27
	s_cmp_lg_u32 s22, 0
	s_sub_co_ci_u32 s22, s3, s23
	s_delay_alu instid0(SALU_CYCLE_1)
	s_cmp_ge_u32 s22, s19
	s_cselect_b32 s23, -1, 0
	s_cmp_ge_u32 s11, s18
	s_cselect_b32 s11, -1, 0
	s_cmp_eq_u32 s22, s19
	s_wait_alu 0xfffe
	s_cselect_b32 s11, s11, s23
	s_wait_alu 0xfffe
	s_cmp_lg_u32 s11, 0
	s_mov_b32 s11, 0
	s_cselect_b32 s23, s27, s21
	s_cselect_b32 s22, s26, s20
.LBB138_13:                             ;   in Loop: Header=BB138_11 Depth=1
	s_wait_alu 0xfffe
	s_and_not1_b32 vcc_lo, exec_lo, s11
	s_cbranch_vccnz .LBB138_15
; %bb.14:                               ;   in Loop: Header=BB138_11 Depth=1
	v_cvt_f32_u32_e32 v1, s18
	s_sub_co_i32 s20, 0, s18
	s_mov_b32 s23, s10
	s_delay_alu instid0(VALU_DEP_1) | instskip(NEXT) | instid1(TRANS32_DEP_1)
	v_rcp_iflag_f32_e32 v1, v1
	v_mul_f32_e32 v1, 0x4f7ffffe, v1
	s_delay_alu instid0(VALU_DEP_1) | instskip(NEXT) | instid1(VALU_DEP_1)
	v_cvt_u32_f32_e32 v1, v1
	v_readfirstlane_b32 s11, v1
	s_mul_i32 s20, s20, s11
	s_delay_alu instid0(SALU_CYCLE_1) | instskip(NEXT) | instid1(SALU_CYCLE_1)
	s_mul_hi_u32 s20, s11, s20
	s_add_co_i32 s11, s11, s20
	s_wait_alu 0xfffe
	s_mul_hi_u32 s11, s2, s11
	s_wait_alu 0xfffe
	s_mul_i32 s20, s11, s18
	s_add_co_i32 s21, s11, 1
	s_sub_co_i32 s20, s2, s20
	s_delay_alu instid0(SALU_CYCLE_1)
	s_sub_co_i32 s22, s20, s18
	s_cmp_ge_u32 s20, s18
	s_cselect_b32 s11, s21, s11
	s_cselect_b32 s20, s22, s20
	s_wait_alu 0xfffe
	s_add_co_i32 s21, s11, 1
	s_cmp_ge_u32 s20, s18
	s_cselect_b32 s22, s21, s11
.LBB138_15:                             ;   in Loop: Header=BB138_11 Depth=1
	s_load_b64 s[20:21], s[14:15], 0xc8
	s_mul_u64 s[18:19], s[22:23], s[18:19]
	s_add_co_i32 s7, s7, -1
	s_wait_alu 0xfffe
	s_sub_nc_u64 s[2:3], s[2:3], s[18:19]
	s_cmp_gt_u32 s7, 2
	s_add_nc_u64 s[14:15], s[14:15], -8
	s_wait_kmcnt 0x0
	s_wait_alu 0xfffe
	s_mul_u64 s[2:3], s[20:21], s[2:3]
	s_wait_alu 0xfffe
	s_add_nc_u64 s[12:13], s[2:3], s[12:13]
	s_cbranch_scc0 .LBB138_18
; %bb.16:                               ;   in Loop: Header=BB138_11 Depth=1
	s_mov_b64 s[2:3], s[22:23]
	s_branch .LBB138_11
.LBB138_17:
	s_mov_b64 s[22:23], s[2:3]
.LBB138_18:
	s_clause 0x2
	s_load_b64 s[2:3], s[0:1], 0xd0
	s_load_b32 s7, s[0:1], 0x360
	s_load_b64 s[14:15], s[0:1], 0x0
	s_wait_kmcnt 0x0
	s_mul_u64 s[10:11], s[2:3], s[8:9]
	s_bitcmp1_b32 s7, 0
	s_brev_b32 s3, 1
	s_cselect_b32 s7, -1, 0
	s_delay_alu instid0(SALU_CYCLE_1)
	s_and_b32 s8, s7, exec_lo
	s_wait_alu 0xfffe
	s_cselect_b32 s8, s3, 0x7fffffff
	s_lshl_b64 s[18:19], s[10:11], 2
	s_wait_alu 0xfffe
	s_mov_b32 s9, s8
	s_mov_b32 s10, s8
	;; [unrolled: 1-line block ×3, first 2 shown]
	v_and_b32_e32 v17, 0x3ff, v0
	s_wait_alu 0xfffe
	v_dual_mov_b32 v1, s8 :: v_dual_mov_b32 v4, s11
	v_dual_mov_b32 v2, s9 :: v_dual_mov_b32 v3, s10
	v_mov_b32_e32 v6, s8
	v_cmp_gt_u32_e64 s2, s6, v17
	s_add_nc_u64 s[14:15], s[14:15], s[18:19]
	s_lshl_b64 s[4:5], s[4:5], 2
	s_wait_alu 0xfffe
	s_add_nc_u64 s[20:21], s[14:15], s[4:5]
	s_and_saveexec_b32 s3, s2
	s_cbranch_execz .LBB138_20
; %bb.19:
	v_mad_co_u64_u32 v[1:2], null, s16, v17, 0
	s_delay_alu instid0(VALU_DEP_1) | instskip(NEXT) | instid1(VALU_DEP_1)
	v_mad_co_u64_u32 v[2:3], null, s17, v17, v[2:3]
	v_lshlrev_b64_e32 v[1:2], 2, v[1:2]
	s_delay_alu instid0(VALU_DEP_1) | instskip(NEXT) | instid1(VALU_DEP_1)
	v_add_co_u32 v1, vcc_lo, s20, v1
	v_add_co_ci_u32_e64 v2, null, s21, v2, vcc_lo
	global_load_b32 v6, v[1:2], off
	v_dual_mov_b32 v1, s8 :: v_dual_mov_b32 v2, s9
	v_dual_mov_b32 v3, s10 :: v_dual_mov_b32 v4, s11
.LBB138_20:
	s_wait_alu 0xfffe
	s_or_b32 exec_lo, exec_lo, s3
	v_add_nc_u32_e32 v5, 32, v17
	s_delay_alu instid0(VALU_DEP_1)
	v_cmp_gt_u32_e64 s3, s6, v5
	s_and_saveexec_b32 s4, s3
	s_cbranch_execz .LBB138_22
; %bb.21:
	v_mad_co_u64_u32 v[1:2], null, s16, v5, 0
	s_delay_alu instid0(VALU_DEP_1) | instskip(NEXT) | instid1(VALU_DEP_1)
	v_mad_co_u64_u32 v[7:8], null, s17, v5, v[2:3]
	v_mov_b32_e32 v2, v7
	s_delay_alu instid0(VALU_DEP_1) | instskip(NEXT) | instid1(VALU_DEP_1)
	v_lshlrev_b64_e32 v[1:2], 2, v[1:2]
	v_add_co_u32 v1, vcc_lo, s20, v1
	s_wait_alu 0xfffd
	s_delay_alu instid0(VALU_DEP_2)
	v_add_co_ci_u32_e64 v2, null, s21, v2, vcc_lo
	global_load_b32 v2, v[1:2], off
.LBB138_22:
	s_wait_alu 0xfffe
	s_or_b32 exec_lo, exec_lo, s4
	v_add_nc_u32_e32 v9, 64, v17
	s_delay_alu instid0(VALU_DEP_1)
	v_cmp_gt_u32_e64 s4, s6, v9
	s_and_saveexec_b32 s5, s4
	s_cbranch_execz .LBB138_24
; %bb.23:
	v_mad_co_u64_u32 v[7:8], null, s16, v9, 0
	s_delay_alu instid0(VALU_DEP_1) | instskip(SKIP_1) | instid1(VALU_DEP_1)
	v_mov_b32_e32 v1, v8
	s_wait_loadcnt 0x0
	v_mad_co_u64_u32 v[10:11], null, s17, v9, v[1:2]
	s_delay_alu instid0(VALU_DEP_1) | instskip(NEXT) | instid1(VALU_DEP_1)
	v_mov_b32_e32 v8, v10
	v_lshlrev_b64_e32 v[7:8], 2, v[7:8]
	s_delay_alu instid0(VALU_DEP_1) | instskip(SKIP_1) | instid1(VALU_DEP_2)
	v_add_co_u32 v7, vcc_lo, s20, v7
	s_wait_alu 0xfffd
	v_add_co_ci_u32_e64 v8, null, s21, v8, vcc_lo
	global_load_b32 v3, v[7:8], off
.LBB138_24:
	s_wait_alu 0xfffe
	s_or_b32 exec_lo, exec_lo, s5
	s_clause 0x1
	s_load_b64 s[10:11], s[0:1], 0x288
	s_load_b64 s[8:9], s[0:1], 0x1b8
	v_add_nc_u32_e32 v10, 0x60, v17
	s_delay_alu instid0(VALU_DEP_1)
	v_cmp_gt_u32_e64 s5, s6, v10
	s_and_saveexec_b32 s6, s5
	s_cbranch_execz .LBB138_26
; %bb.25:
	v_mad_co_u64_u32 v[7:8], null, s16, v10, 0
	s_delay_alu instid0(VALU_DEP_1) | instskip(SKIP_1) | instid1(VALU_DEP_1)
	v_mov_b32_e32 v1, v8
	s_wait_loadcnt 0x0
	v_mad_co_u64_u32 v[11:12], null, s17, v10, v[1:2]
	s_delay_alu instid0(VALU_DEP_1) | instskip(NEXT) | instid1(VALU_DEP_1)
	v_mov_b32_e32 v8, v11
	v_lshlrev_b64_e32 v[7:8], 2, v[7:8]
	s_delay_alu instid0(VALU_DEP_1) | instskip(SKIP_1) | instid1(VALU_DEP_2)
	v_add_co_u32 v7, vcc_lo, s20, v7
	s_wait_alu 0xfffd
	v_add_co_ci_u32_e64 v8, null, s21, v8, vcc_lo
	global_load_b32 v4, v[7:8], off
.LBB138_26:
	s_wait_alu 0xfffe
	s_or_b32 exec_lo, exec_lo, s6
	v_lshrrev_b32_e32 v1, 5, v17
	v_lshrrev_b32_e32 v7, 5, v5
	;; [unrolled: 1-line block ×3, first 2 shown]
	v_lshlrev_b32_e32 v38, 2, v17
	v_lshrrev_b32_e32 v12, 5, v10
	v_add_nc_u32_e32 v1, v1, v17
	v_add_nc_u32_e32 v11, v7, v17
	v_lshrrev_b32_e32 v7, 3, v17
	v_add_nc_u32_e32 v13, v8, v17
	v_add_nc_u32_e32 v12, v12, v17
	v_lshlrev_b32_e32 v34, 2, v1
	v_lshlrev_b32_e32 v35, 2, v11
	v_add_nc_u32_e32 v1, v7, v38
	v_lshlrev_b32_e32 v36, 2, v13
	v_lshlrev_b32_e32 v37, 2, v12
	s_load_b64 s[18:19], s[0:1], 0x358
	s_wait_loadcnt 0x0
	ds_store_b32 v34, v6
	ds_store_b32 v35, v2 offset:128
	v_lshlrev_b32_e32 v39, 2, v1
	ds_store_b32 v36, v3 offset:256
	ds_store_b32 v37, v4 offset:384
	s_wait_dscnt 0x0
	; wave barrier
	global_inv scope:SCOPE_SE
	ds_load_2addr_b32 v[20:21], v39 offset1:1
	ds_load_2addr_b32 v[18:19], v39 offset0:2 offset1:3
	s_wait_kmcnt 0x0
	s_mul_u64 s[0:1], s[10:11], s[22:23]
	v_mov_b32_e32 v1, 0
	s_lshl_b64 s[0:1], s[0:1], 3
	v_dual_mov_b32 v3, 0 :: v_dual_mov_b32 v2, 0
	v_mov_b32_e32 v4, 0
	s_add_nc_u64 s[0:1], s[8:9], s[0:1]
	s_lshl_b64 s[8:9], s[12:13], 3
	s_wait_loadcnt_dscnt 0x0
	s_wait_alu 0xfffe
	s_add_nc_u64 s[22:23], s[0:1], s[8:9]
	; wave barrier
	global_inv scope:SCOPE_SE
	s_and_saveexec_b32 s0, s2
	s_cbranch_execz .LBB138_28
; %bb.27:
	v_mad_co_u64_u32 v[3:4], null, s18, v17, 0
	s_delay_alu instid0(VALU_DEP_1) | instskip(NEXT) | instid1(VALU_DEP_1)
	v_mad_co_u64_u32 v[6:7], null, s19, v17, v[4:5]
	v_mov_b32_e32 v4, v6
	s_delay_alu instid0(VALU_DEP_1) | instskip(NEXT) | instid1(VALU_DEP_1)
	v_lshlrev_b64_e32 v[3:4], 3, v[3:4]
	v_add_co_u32 v3, vcc_lo, s22, v3
	s_wait_alu 0xfffd
	s_delay_alu instid0(VALU_DEP_2)
	v_add_co_ci_u32_e64 v4, null, s23, v4, vcc_lo
	global_load_b64 v[3:4], v[3:4], off
.LBB138_28:
	s_or_b32 exec_lo, exec_lo, s0
	s_and_saveexec_b32 s0, s3
	s_cbranch_execz .LBB138_30
; %bb.29:
	v_mad_co_u64_u32 v[1:2], null, s18, v5, 0
	s_wait_loadcnt 0x0
	s_delay_alu instid0(VALU_DEP_1) | instskip(NEXT) | instid1(VALU_DEP_1)
	v_mad_co_u64_u32 v[5:6], null, s19, v5, v[2:3]
	v_mov_b32_e32 v2, v5
	s_delay_alu instid0(VALU_DEP_1) | instskip(NEXT) | instid1(VALU_DEP_1)
	v_lshlrev_b64_e32 v[1:2], 3, v[1:2]
	v_add_co_u32 v1, vcc_lo, s22, v1
	s_wait_alu 0xfffd
	s_delay_alu instid0(VALU_DEP_2)
	v_add_co_ci_u32_e64 v2, null, s23, v2, vcc_lo
	global_load_b64 v[1:2], v[1:2], off
.LBB138_30:
	s_or_b32 exec_lo, exec_lo, s0
	v_mov_b32_e32 v5, 0
	v_dual_mov_b32 v6, 0 :: v_dual_mov_b32 v7, 0
	v_mov_b32_e32 v8, 0
	s_and_saveexec_b32 s0, s4
	s_cbranch_execz .LBB138_32
; %bb.31:
	v_mad_co_u64_u32 v[7:8], null, s18, v9, 0
	s_delay_alu instid0(VALU_DEP_1) | instskip(NEXT) | instid1(VALU_DEP_1)
	v_mad_co_u64_u32 v[8:9], null, s19, v9, v[8:9]
	v_lshlrev_b64_e32 v[7:8], 3, v[7:8]
	s_delay_alu instid0(VALU_DEP_1) | instskip(SKIP_1) | instid1(VALU_DEP_2)
	v_add_co_u32 v7, vcc_lo, s22, v7
	s_wait_alu 0xfffd
	v_add_co_ci_u32_e64 v8, null, s23, v8, vcc_lo
	global_load_b64 v[7:8], v[7:8], off
.LBB138_32:
	s_or_b32 exec_lo, exec_lo, s0
	s_xor_b32 s8, s7, -1
	s_and_saveexec_b32 s0, s5
	s_cbranch_execz .LBB138_34
; %bb.33:
	v_mad_co_u64_u32 v[5:6], null, s18, v10, 0
	s_wait_loadcnt 0x0
	s_delay_alu instid0(VALU_DEP_1) | instskip(NEXT) | instid1(VALU_DEP_1)
	v_mad_co_u64_u32 v[9:10], null, s19, v10, v[6:7]
	v_mov_b32_e32 v6, v9
	s_delay_alu instid0(VALU_DEP_1) | instskip(NEXT) | instid1(VALU_DEP_1)
	v_lshlrev_b64_e32 v[5:6], 3, v[5:6]
	v_add_co_u32 v5, vcc_lo, s22, v5
	s_wait_alu 0xfffd
	s_delay_alu instid0(VALU_DEP_2)
	v_add_co_ci_u32_e64 v6, null, s23, v6, vcc_lo
	global_load_b64 v[5:6], v[5:6], off
.LBB138_34:
	s_or_b32 exec_lo, exec_lo, s0
	v_add_nc_u32_e32 v40, v34, v34
	v_lshlrev_b32_e32 v43, 3, v12
	v_add_nc_u32_e32 v44, v39, v39
	v_lshlrev_b32_e32 v41, 3, v11
	v_lshlrev_b32_e32 v42, 3, v13
	s_wait_loadcnt 0x0
	ds_store_b64 v40, v[3:4]
	ds_store_b64 v41, v[1:2] offset:256
	ds_store_b64 v42, v[7:8] offset:512
	ds_store_b64 v43, v[5:6] offset:768
	s_wait_dscnt 0x0
	; wave barrier
	global_inv scope:SCOPE_SE
	ds_load_2addr_b64 v[5:8], v44 offset1:1
	ds_load_2addr_b64 v[1:4], v44 offset0:2 offset1:3
	v_mbcnt_lo_u32_b32 v46, -1, 0
	s_wait_alu 0xfffe
	s_and_b32 vcc_lo, exec_lo, s8
	v_bfe_u32 v50, v0, 10, 10
	v_bfe_u32 v51, v0, 20, 10
	v_lshlrev_b32_e32 v45, 5, v17
	v_and_b32_e32 v9, 3, v46
	v_and_b32_e32 v52, 28, v46
	;; [unrolled: 1-line block ×4, first 2 shown]
	v_cmp_eq_u32_e64 s8, 31, v17
	v_cmp_eq_u32_e64 s7, 0, v9
	;; [unrolled: 1-line block ×5, first 2 shown]
	v_or_b32_e32 v53, 32, v52
	v_cmp_eq_u32_e64 s14, 0, v17
	v_and_or_b32 v47, 0xf80, v38, v46
	s_mov_b32 s9, -1
	s_mov_b32 s15, 32
	; wave barrier
	s_wait_loadcnt_dscnt 0x0
	global_inv scope:SCOPE_SE
                                        ; implicit-def: $vgpr12
                                        ; implicit-def: $vgpr10
                                        ; implicit-def: $vgpr11
                                        ; implicit-def: $vgpr9
	s_wait_alu 0xfffe
	s_cbranch_vccz .LBB138_50
; %bb.35:
	v_xor_b32_e32 v0, 0x80000000, v20
	v_xor_b32_e32 v9, 0x80000000, v21
	;; [unrolled: 1-line block ×4, first 2 shown]
	ds_bpermute_b32 v12, v52, v5
	ds_bpermute_b32 v13, v52, v0
	;; [unrolled: 1-line block ×3, first 2 shown]
	ds_bpermute_b32 v26, v52, v0 offset:64
	ds_bpermute_b32 v28, v52, v10
	ds_bpermute_b32 v22, v53, v0
	ds_bpermute_b32 v30, v52, v9 offset:64
	ds_bpermute_b32 v32, v52, v11
	ds_bpermute_b32 v0, v52, v0 offset:96
	ds_bpermute_b32 v14, v52, v6
	ds_bpermute_b32 v27, v53, v9
	ds_bpermute_b32 v9, v52, v9 offset:96
	ds_bpermute_b32 v15, v52, v7
	ds_bpermute_b32 v16, v52, v8
	;; [unrolled: 1-line block ×4, first 2 shown]
	ds_bpermute_b32 v56, v52, v10 offset:64
	ds_bpermute_b32 v10, v52, v10 offset:96
	ds_bpermute_b32 v24, v52, v1
	ds_bpermute_b32 v25, v52, v2
	ds_bpermute_b32 v57, v53, v11
	s_wait_dscnt 0x13
	s_wait_alu 0xf1ff
	v_cndmask_b32_e64 v13, 0, v13, s7
	ds_bpermute_b32 v58, v52, v11 offset:64
	s_wait_dscnt 0x12
	v_cndmask_b32_e64 v26, 0, v26, s7
	ds_bpermute_b32 v11, v52, v11 offset:96
	ds_bpermute_b32 v29, v52, v3
	v_cndmask_b32_e64 v13, v13, v23, s6
	ds_bpermute_b32 v23, v53, v7
	ds_bpermute_b32 v54, v52, v4
	;; [unrolled: 1-line block ×3, first 2 shown]
	s_wait_dscnt 0x15
	v_cndmask_b32_e64 v22, 0, v22, s7
	v_cndmask_b32_e64 v13, v13, v28, s1
	s_wait_dscnt 0x14
	v_cndmask_b32_e64 v26, v26, v30, s6
	s_wait_dscnt 0x12
	;; [unrolled: 2-line block ×4, first 2 shown]
	v_cndmask_b32_e64 v22, v22, v27, s6
	v_cndmask_b32_e64 v30, v13, v32, s0
	ds_bpermute_b32 v13, v53, v1
	ds_bpermute_b32 v27, v53, v8
	v_cndmask_b32_e64 v12, 0, v12, s7
	s_wait_dscnt 0x11
	v_cndmask_b32_e64 v0, v0, v9, s6
	s_wait_dscnt 0xf
	;; [unrolled: 2-line block ×3, first 2 shown]
	v_cndmask_b32_e64 v22, v22, v31, s1
	ds_bpermute_b32 v16, v53, v4
	v_cndmask_b32_e64 v12, v12, v15, s6
	s_wait_dscnt 0xc
	v_cndmask_b32_e64 v0, v0, v10, s1
	v_cndmask_b32_e64 v10, 0, v33, s7
	s_wait_dscnt 0xa
	v_cndmask_b32_e64 v9, v9, v25, s1
	s_wait_dscnt 0x9
	v_cndmask_b32_e64 v31, v22, v57, s0
	v_cndmask_b32_e64 v12, v12, v24, s1
	s_wait_dscnt 0x7
	v_cndmask_b32_e64 v33, v0, v11, s0
	s_wait_dscnt 0x5
	;; [unrolled: 2-line block ×3, first 2 shown]
	v_cndmask_b32_e64 v14, 0, v55, s7
	v_cndmask_b32_e64 v10, v9, v54, s0
	;; [unrolled: 1-line block ×3, first 2 shown]
	ds_bpermute_b32 v12, v53, v2
	ds_bpermute_b32 v22, v52, v6 offset:96
	s_wait_dscnt 0x4
	v_cndmask_b32_e64 v0, v0, v13, s1
	ds_bpermute_b32 v13, v52, v6 offset:64
	s_wait_dscnt 0x4
	v_cndmask_b32_e64 v11, v14, v27, s6
	ds_bpermute_b32 v15, v52, v5 offset:64
	ds_bpermute_b32 v23, v52, v8 offset:64
	;; [unrolled: 1-line block ×4, first 2 shown]
	v_cndmask_b32_e64 v26, v26, v56, s1
	ds_bpermute_b32 v14, v53, v3
	ds_bpermute_b32 v25, v52, v7 offset:64
	ds_bpermute_b32 v29, v52, v7 offset:96
	;; [unrolled: 1-line block ×3, first 2 shown]
	; wave barrier
	s_wait_loadcnt_dscnt 0x0
	global_inv scope:SCOPE_SE
	s_load_b32 s9, s[24:25], 0xc
	v_cndmask_b32_e64 v32, v26, v58, s0
	ds_bpermute_b32 v26, v52, v1 offset:64
	ds_bpermute_b32 v28, v52, v2 offset:64
	;; [unrolled: 1-line block ×6, first 2 shown]
	v_cndmask_b32_e64 v13, 0, v13, s7
	ds_bpermute_b32 v59, v52, v3 offset:96
	v_cndmask_b32_e64 v11, v11, v12, s1
	v_cndmask_b32_e64 v22, 0, v22, s7
	;; [unrolled: 1-line block ×10, first 2 shown]
	s_wait_kmcnt 0x0
	s_lshr_b32 s10, s9, 16
	v_cndmask_b32_e64 v0, v16, v56, s1
	s_wait_dscnt 0x6
	v_cndmask_b32_e64 v15, v15, v26, s1
	s_wait_dscnt 0x5
	;; [unrolled: 2-line block ×3, first 2 shown]
	v_cndmask_b32_e64 v22, v22, v57, s1
	v_cmp_lt_u32_e64 s12, 7, v48
	s_wait_dscnt 0x3
	v_cndmask_b32_e64 v16, v0, v58, s0
	s_wait_alu 0xfffe
	v_mad_u32_u24 v0, v51, s10, v50
	s_getpc_b64 s[10:11]
	s_wait_alu 0xfffe
	s_sext_i32_i16 s11, s11
	s_add_co_u32 s10, s10, _ZN7rocprim17ROCPRIM_400000_NS16block_radix_sortIiLj32ELj4ElLj1ELj1ELj0ELNS0_26block_radix_rank_algorithmE1ELNS0_18block_padding_hintE2ELNS0_4arch9wavefront6targetE0EE19radix_bits_per_passE@rel32@lo+12
	s_wait_alu 0xfffe
	s_add_co_ci_u32 s11, s11, _ZN7rocprim17ROCPRIM_400000_NS16block_radix_sortIiLj32ELj4ElLj1ELj1ELj0ELNS0_26block_radix_rank_algorithmE1ELNS0_18block_padding_hintE2ELNS0_4arch9wavefront6targetE0EE19radix_bits_per_passE@rel32@hi+24
	s_and_b32 s9, s9, 0xffff
	s_wait_dscnt 0x1
	v_cndmask_b32_e64 v14, v13, v55, s0
	v_cndmask_b32_e64 v13, v15, v54, s0
	s_wait_dscnt 0x0
	v_cndmask_b32_e64 v15, v22, v59, s0
	s_wait_alu 0xfffe
	v_mad_co_u64_u32 v[22:23], null, v0, s9, v[17:18]
	v_sub_co_u32 v0, s27, v46, 1
	s_load_b32 s26, s[10:11], 0x0
	v_cmp_eq_u32_e64 s9, 0, v48
	v_cmp_lt_u32_e64 s10, 1, v48
	v_cmp_gt_i32_e32 vcc_lo, 0, v0
	v_lshrrev_b32_e32 v22, 3, v22
	v_cmp_lt_u32_e64 s11, 3, v48
	v_cmp_eq_u32_e64 s13, 0, v49
	s_wait_alu 0xfffd
	v_dual_mov_b32 v56, 0 :: v_dual_cndmask_b32 v23, v0, v46
	v_lshlrev_b32_e32 v0, 2, v47
	v_and_b32_e32 v55, 0x1ffffffc, v22
	v_dual_mov_b32 v57, 0 :: v_dual_mov_b32 v60, 0
	s_delay_alu instid0(VALU_DEP_4) | instskip(NEXT) | instid1(VALU_DEP_4)
	v_lshlrev_b32_e32 v54, 2, v23
	v_add_nc_u32_e32 v58, v0, v0
	s_or_b32 s27, s14, s27
	s_branch .LBB138_37
.LBB138_36:                             ;   in Loop: Header=BB138_37 Depth=1
	s_wait_alu 0xfffe
	s_and_not1_b32 vcc_lo, exec_lo, s28
	s_mov_b32 s15, s14
	s_wait_alu 0xfffe
	s_cbranch_vccz .LBB138_49
.LBB138_37:                             ; =>This Inner Loop Header: Depth=1
	s_wait_kmcnt 0x0
	s_min_u32 s14, s26, s15
	ds_store_2addr_b32 v45, v57, v57 offset0:1 offset1:2
	ds_store_2addr_b32 v45, v57, v57 offset0:3 offset1:4
	;; [unrolled: 1-line block ×4, first 2 shown]
	s_wait_alu 0xfffe
	s_lshl_b32 s14, -1, s14
	s_wait_loadcnt_dscnt 0x0
	s_wait_alu 0xfffe
	s_not_b32 s28, s14
	v_mov_b32_e32 v59, v30
	; wave barrier
	global_inv scope:SCOPE_SE
	; wave barrier
	v_mov_b32_e32 v61, v33
	v_lshrrev_b32_e32 v22, v60, v59
	v_dual_mov_b32 v62, v32 :: v_dual_mov_b32 v63, v31
	s_wait_alu 0xfffe
	s_delay_alu instid0(VALU_DEP_2) | instskip(NEXT) | instid1(VALU_DEP_1)
	v_and_b32_e32 v64, s28, v22
	v_and_b32_e32 v22, 1, v64
	v_lshlrev_b32_e32 v23, 30, v64
	v_lshlrev_b32_e32 v24, 29, v64
	;; [unrolled: 1-line block ×4, first 2 shown]
	v_add_co_u32 v22, s14, v22, -1
	s_wait_alu 0xf1ff
	v_cndmask_b32_e64 v26, 0, 1, s14
	v_not_b32_e32 v30, v23
	v_cmp_gt_i32_e64 s14, 0, v23
	v_not_b32_e32 v23, v24
	v_lshlrev_b32_e32 v28, 26, v64
	v_cmp_ne_u32_e32 vcc_lo, 0, v26
	v_ashrrev_i32_e32 v30, 31, v30
	v_lshlrev_b32_e32 v26, 24, v64
	v_ashrrev_i32_e32 v23, 31, v23
	v_lshlrev_b32_e32 v29, 25, v64
	s_wait_alu 0xfffd
	v_xor_b32_e32 v22, vcc_lo, v22
	v_cmp_gt_i32_e32 vcc_lo, 0, v24
	v_not_b32_e32 v24, v25
	s_wait_alu 0xf1ff
	v_xor_b32_e32 v30, s14, v30
	v_cmp_gt_i32_e64 s14, 0, v25
	v_and_b32_e32 v22, exec_lo, v22
	v_not_b32_e32 v25, v27
	v_ashrrev_i32_e32 v24, 31, v24
	s_wait_alu 0xfffd
	v_xor_b32_e32 v23, vcc_lo, v23
	v_cmp_gt_i32_e32 vcc_lo, 0, v27
	v_and_b32_e32 v22, v22, v30
	v_not_b32_e32 v27, v28
	v_ashrrev_i32_e32 v25, 31, v25
	s_wait_alu 0xf1ff
	v_xor_b32_e32 v24, s14, v24
	v_cmp_gt_i32_e64 s14, 0, v28
	v_and_b32_e32 v22, v22, v23
	v_ashrrev_i32_e32 v27, 31, v27
	s_wait_alu 0xfffd
	v_xor_b32_e32 v25, vcc_lo, v25
	v_lshl_add_u32 v31, v64, 2, v55
	v_and_b32_e32 v22, v22, v24
	s_wait_alu 0xf1ff
	v_xor_b32_e32 v27, s14, v27
	v_not_b32_e32 v24, v26
	v_cmp_gt_i32_e64 s14, 0, v26
	v_and_b32_e32 v22, v22, v25
	s_delay_alu instid0(VALU_DEP_3) | instskip(NEXT) | instid1(VALU_DEP_2)
	v_ashrrev_i32_e32 v24, 31, v24
	v_dual_mov_b32 v27, v12 :: v_dual_and_b32 v22, v22, v27
	v_mov_b32_e32 v26, v11
	v_not_b32_e32 v23, v29
	v_cmp_gt_i32_e32 vcc_lo, 0, v29
	s_wait_alu 0xf1ff
	v_xor_b32_e32 v24, s14, v24
	v_dual_mov_b32 v29, v10 :: v_dual_mov_b32 v28, v9
	v_ashrrev_i32_e32 v23, 31, v23
	s_wait_alu 0xfffd
	s_delay_alu instid0(VALU_DEP_1) | instskip(NEXT) | instid1(VALU_DEP_1)
	v_xor_b32_e32 v23, vcc_lo, v23
	v_and_b32_e32 v22, v22, v23
	s_delay_alu instid0(VALU_DEP_1) | instskip(SKIP_2) | instid1(VALU_DEP_3)
	v_dual_mov_b32 v23, v16 :: v_dual_and_b32 v32, v22, v24
	v_dual_mov_b32 v25, v14 :: v_dual_mov_b32 v22, v15
	v_mov_b32_e32 v24, v13
	v_mbcnt_lo_u32_b32 v30, v32, 0
	v_cmp_ne_u32_e64 s14, 0, v32
	s_delay_alu instid0(VALU_DEP_2)
	v_cmp_eq_u32_e32 vcc_lo, 0, v30
	s_and_b32 s29, s14, vcc_lo
	s_wait_alu 0xfffe
	s_and_saveexec_b32 s14, s29
; %bb.38:                               ;   in Loop: Header=BB138_37 Depth=1
	v_bcnt_u32_b32 v9, v32, 0
	ds_store_b32 v31, v9 offset:4
; %bb.39:                               ;   in Loop: Header=BB138_37 Depth=1
	s_wait_alu 0xfffe
	s_or_b32 exec_lo, exec_lo, s14
	v_lshrrev_b32_e32 v9, v60, v63
	; wave barrier
	s_delay_alu instid0(VALU_DEP_1) | instskip(NEXT) | instid1(VALU_DEP_1)
	v_and_b32_e32 v9, s28, v9
	v_and_b32_e32 v10, 1, v9
	v_lshlrev_b32_e32 v11, 30, v9
	v_lshlrev_b32_e32 v12, 29, v9
	;; [unrolled: 1-line block ×4, first 2 shown]
	v_add_co_u32 v10, s14, v10, -1
	s_wait_alu 0xf1ff
	v_cndmask_b32_e64 v14, 0, 1, s14
	v_not_b32_e32 v33, v11
	v_cmp_gt_i32_e64 s14, 0, v11
	v_not_b32_e32 v11, v12
	v_lshlrev_b32_e32 v16, 26, v9
	v_cmp_ne_u32_e32 vcc_lo, 0, v14
	v_ashrrev_i32_e32 v33, 31, v33
	v_lshlrev_b32_e32 v32, 25, v9
	v_ashrrev_i32_e32 v11, 31, v11
	v_lshlrev_b32_e32 v14, 24, v9
	s_wait_alu 0xfffd
	v_xor_b32_e32 v10, vcc_lo, v10
	v_cmp_gt_i32_e32 vcc_lo, 0, v12
	v_not_b32_e32 v12, v13
	s_wait_alu 0xf1ff
	v_xor_b32_e32 v33, s14, v33
	v_cmp_gt_i32_e64 s14, 0, v13
	v_and_b32_e32 v10, exec_lo, v10
	v_not_b32_e32 v13, v15
	v_ashrrev_i32_e32 v12, 31, v12
	s_wait_alu 0xfffd
	v_xor_b32_e32 v11, vcc_lo, v11
	v_cmp_gt_i32_e32 vcc_lo, 0, v15
	v_and_b32_e32 v10, v10, v33
	v_not_b32_e32 v15, v16
	v_ashrrev_i32_e32 v13, 31, v13
	s_wait_alu 0xf1ff
	v_xor_b32_e32 v12, s14, v12
	v_cmp_gt_i32_e64 s14, 0, v16
	v_and_b32_e32 v10, v10, v11
	v_not_b32_e32 v11, v32
	v_ashrrev_i32_e32 v15, 31, v15
	s_wait_alu 0xfffd
	v_xor_b32_e32 v13, vcc_lo, v13
	v_cmp_gt_i32_e32 vcc_lo, 0, v32
	v_and_b32_e32 v10, v10, v12
	v_not_b32_e32 v12, v14
	v_ashrrev_i32_e32 v11, 31, v11
	s_wait_alu 0xf1ff
	v_xor_b32_e32 v15, s14, v15
	v_cmp_gt_i32_e64 s14, 0, v14
	v_and_b32_e32 v10, v10, v13
	v_ashrrev_i32_e32 v12, 31, v12
	s_wait_alu 0xfffd
	v_xor_b32_e32 v11, vcc_lo, v11
	v_lshl_add_u32 v33, v9, 2, v55
	v_and_b32_e32 v10, v10, v15
	s_wait_alu 0xf1ff
	v_xor_b32_e32 v9, s14, v12
	ds_load_b32 v32, v33 offset:4
	v_and_b32_e32 v10, v10, v11
	; wave barrier
	s_delay_alu instid0(VALU_DEP_1) | instskip(NEXT) | instid1(VALU_DEP_1)
	v_and_b32_e32 v9, v10, v9
	v_mbcnt_lo_u32_b32 v64, v9, 0
	v_cmp_ne_u32_e64 s14, 0, v9
	s_delay_alu instid0(VALU_DEP_2)
	v_cmp_eq_u32_e32 vcc_lo, 0, v64
	s_and_b32 s29, s14, vcc_lo
	s_wait_alu 0xfffe
	s_and_saveexec_b32 s14, s29
	s_cbranch_execz .LBB138_41
; %bb.40:                               ;   in Loop: Header=BB138_37 Depth=1
	s_wait_dscnt 0x0
	v_bcnt_u32_b32 v9, v9, v32
	ds_store_b32 v33, v9 offset:4
.LBB138_41:                             ;   in Loop: Header=BB138_37 Depth=1
	s_wait_alu 0xfffe
	s_or_b32 exec_lo, exec_lo, s14
	v_lshrrev_b32_e32 v9, v60, v62
	; wave barrier
	s_delay_alu instid0(VALU_DEP_1) | instskip(NEXT) | instid1(VALU_DEP_1)
	v_and_b32_e32 v9, s28, v9
	v_and_b32_e32 v10, 1, v9
	v_lshlrev_b32_e32 v11, 30, v9
	v_lshlrev_b32_e32 v12, 29, v9
	;; [unrolled: 1-line block ×4, first 2 shown]
	v_add_co_u32 v10, s14, v10, -1
	s_wait_alu 0xf1ff
	v_cndmask_b32_e64 v14, 0, 1, s14
	v_not_b32_e32 v66, v11
	v_cmp_gt_i32_e64 s14, 0, v11
	v_not_b32_e32 v11, v12
	v_lshlrev_b32_e32 v16, 26, v9
	v_cmp_ne_u32_e32 vcc_lo, 0, v14
	v_ashrrev_i32_e32 v66, 31, v66
	v_lshlrev_b32_e32 v65, 25, v9
	v_ashrrev_i32_e32 v11, 31, v11
	v_lshlrev_b32_e32 v14, 24, v9
	s_wait_alu 0xfffd
	v_xor_b32_e32 v10, vcc_lo, v10
	v_cmp_gt_i32_e32 vcc_lo, 0, v12
	v_not_b32_e32 v12, v13
	s_wait_alu 0xf1ff
	v_xor_b32_e32 v66, s14, v66
	v_cmp_gt_i32_e64 s14, 0, v13
	v_and_b32_e32 v10, exec_lo, v10
	v_not_b32_e32 v13, v15
	v_ashrrev_i32_e32 v12, 31, v12
	s_wait_alu 0xfffd
	v_xor_b32_e32 v11, vcc_lo, v11
	v_cmp_gt_i32_e32 vcc_lo, 0, v15
	v_and_b32_e32 v10, v10, v66
	v_not_b32_e32 v15, v16
	v_ashrrev_i32_e32 v13, 31, v13
	s_wait_alu 0xf1ff
	v_xor_b32_e32 v12, s14, v12
	v_cmp_gt_i32_e64 s14, 0, v16
	v_and_b32_e32 v10, v10, v11
	v_not_b32_e32 v11, v65
	v_ashrrev_i32_e32 v15, 31, v15
	s_wait_alu 0xfffd
	v_xor_b32_e32 v13, vcc_lo, v13
	v_cmp_gt_i32_e32 vcc_lo, 0, v65
	v_and_b32_e32 v10, v10, v12
	v_not_b32_e32 v12, v14
	v_ashrrev_i32_e32 v11, 31, v11
	s_wait_alu 0xf1ff
	v_xor_b32_e32 v15, s14, v15
	v_cmp_gt_i32_e64 s14, 0, v14
	v_and_b32_e32 v10, v10, v13
	v_ashrrev_i32_e32 v12, 31, v12
	s_wait_alu 0xfffd
	v_xor_b32_e32 v11, vcc_lo, v11
	v_lshl_add_u32 v66, v9, 2, v55
	v_and_b32_e32 v10, v10, v15
	s_wait_alu 0xf1ff
	v_xor_b32_e32 v9, s14, v12
	ds_load_b32 v65, v66 offset:4
	v_and_b32_e32 v10, v10, v11
	; wave barrier
	s_delay_alu instid0(VALU_DEP_1) | instskip(NEXT) | instid1(VALU_DEP_1)
	v_and_b32_e32 v9, v10, v9
	v_mbcnt_lo_u32_b32 v67, v9, 0
	v_cmp_ne_u32_e64 s14, 0, v9
	s_delay_alu instid0(VALU_DEP_2)
	v_cmp_eq_u32_e32 vcc_lo, 0, v67
	s_and_b32 s29, s14, vcc_lo
	s_wait_alu 0xfffe
	s_and_saveexec_b32 s14, s29
	s_cbranch_execz .LBB138_43
; %bb.42:                               ;   in Loop: Header=BB138_37 Depth=1
	s_wait_dscnt 0x0
	v_bcnt_u32_b32 v9, v9, v65
	ds_store_b32 v66, v9 offset:4
.LBB138_43:                             ;   in Loop: Header=BB138_37 Depth=1
	s_wait_alu 0xfffe
	s_or_b32 exec_lo, exec_lo, s14
	v_lshrrev_b32_e32 v9, v60, v61
	; wave barrier
	s_delay_alu instid0(VALU_DEP_1) | instskip(NEXT) | instid1(VALU_DEP_1)
	v_and_b32_e32 v9, s28, v9
	v_and_b32_e32 v10, 1, v9
	v_lshlrev_b32_e32 v11, 30, v9
	v_lshlrev_b32_e32 v12, 29, v9
	;; [unrolled: 1-line block ×4, first 2 shown]
	v_add_co_u32 v10, s14, v10, -1
	s_wait_alu 0xf1ff
	v_cndmask_b32_e64 v14, 0, 1, s14
	v_not_b32_e32 v69, v11
	v_cmp_gt_i32_e64 s14, 0, v11
	v_not_b32_e32 v11, v12
	v_lshlrev_b32_e32 v16, 26, v9
	v_cmp_ne_u32_e32 vcc_lo, 0, v14
	v_ashrrev_i32_e32 v69, 31, v69
	v_lshlrev_b32_e32 v68, 25, v9
	v_ashrrev_i32_e32 v11, 31, v11
	v_lshlrev_b32_e32 v14, 24, v9
	s_wait_alu 0xfffd
	v_xor_b32_e32 v10, vcc_lo, v10
	v_cmp_gt_i32_e32 vcc_lo, 0, v12
	v_not_b32_e32 v12, v13
	s_wait_alu 0xf1ff
	v_xor_b32_e32 v69, s14, v69
	v_cmp_gt_i32_e64 s14, 0, v13
	v_and_b32_e32 v10, exec_lo, v10
	v_not_b32_e32 v13, v15
	v_ashrrev_i32_e32 v12, 31, v12
	s_wait_alu 0xfffd
	v_xor_b32_e32 v11, vcc_lo, v11
	v_cmp_gt_i32_e32 vcc_lo, 0, v15
	v_and_b32_e32 v10, v10, v69
	v_not_b32_e32 v15, v16
	v_ashrrev_i32_e32 v13, 31, v13
	s_wait_alu 0xf1ff
	v_xor_b32_e32 v12, s14, v12
	v_cmp_gt_i32_e64 s14, 0, v16
	v_and_b32_e32 v10, v10, v11
	v_not_b32_e32 v11, v68
	v_ashrrev_i32_e32 v15, 31, v15
	s_wait_alu 0xfffd
	v_xor_b32_e32 v13, vcc_lo, v13
	v_cmp_gt_i32_e32 vcc_lo, 0, v68
	v_and_b32_e32 v10, v10, v12
	v_not_b32_e32 v12, v14
	v_ashrrev_i32_e32 v11, 31, v11
	s_wait_alu 0xf1ff
	v_xor_b32_e32 v15, s14, v15
	v_cmp_gt_i32_e64 s14, 0, v14
	v_and_b32_e32 v10, v10, v13
	v_ashrrev_i32_e32 v12, 31, v12
	s_wait_alu 0xfffd
	v_xor_b32_e32 v11, vcc_lo, v11
	v_lshl_add_u32 v68, v9, 2, v55
	v_and_b32_e32 v10, v10, v15
	s_wait_alu 0xf1ff
	v_xor_b32_e32 v9, s14, v12
	ds_load_b32 v69, v68 offset:4
	v_and_b32_e32 v10, v10, v11
	; wave barrier
	s_delay_alu instid0(VALU_DEP_1) | instskip(NEXT) | instid1(VALU_DEP_1)
	v_and_b32_e32 v9, v10, v9
	v_mbcnt_lo_u32_b32 v70, v9, 0
	v_cmp_ne_u32_e64 s14, 0, v9
	s_delay_alu instid0(VALU_DEP_2)
	v_cmp_eq_u32_e32 vcc_lo, 0, v70
	s_and_b32 s28, s14, vcc_lo
	s_wait_alu 0xfffe
	s_and_saveexec_b32 s14, s28
	s_cbranch_execz .LBB138_45
; %bb.44:                               ;   in Loop: Header=BB138_37 Depth=1
	s_wait_dscnt 0x0
	v_bcnt_u32_b32 v9, v9, v69
	ds_store_b32 v68, v9 offset:4
.LBB138_45:                             ;   in Loop: Header=BB138_37 Depth=1
	s_wait_alu 0xfffe
	s_or_b32 exec_lo, exec_lo, s14
	; wave barrier
	; wave barrier
	s_wait_loadcnt_dscnt 0x0
	global_inv scope:SCOPE_SE
	ds_load_2addr_b32 v[15:16], v45 offset0:1 offset1:2
	ds_load_2addr_b32 v[13:14], v45 offset0:3 offset1:4
	;; [unrolled: 1-line block ×4, first 2 shown]
	s_wait_dscnt 0x3
	v_add_nc_u32_e32 v71, v16, v15
	s_wait_dscnt 0x2
	s_delay_alu instid0(VALU_DEP_1) | instskip(SKIP_1) | instid1(VALU_DEP_1)
	v_add3_u32 v71, v71, v13, v14
	s_wait_dscnt 0x1
	v_add3_u32 v71, v71, v11, v12
	s_wait_dscnt 0x0
	s_delay_alu instid0(VALU_DEP_1) | instskip(NEXT) | instid1(VALU_DEP_1)
	v_add3_u32 v10, v71, v9, v10
	v_mov_b32_dpp v71, v10 row_shr:1 row_mask:0xf bank_mask:0xf
	s_delay_alu instid0(VALU_DEP_1) | instskip(NEXT) | instid1(VALU_DEP_1)
	v_cndmask_b32_e64 v71, v71, 0, s9
	v_add_nc_u32_e32 v10, v71, v10
	s_delay_alu instid0(VALU_DEP_1) | instskip(NEXT) | instid1(VALU_DEP_1)
	v_mov_b32_dpp v71, v10 row_shr:2 row_mask:0xf bank_mask:0xf
	v_cndmask_b32_e64 v71, 0, v71, s10
	s_delay_alu instid0(VALU_DEP_1) | instskip(NEXT) | instid1(VALU_DEP_1)
	v_add_nc_u32_e32 v10, v10, v71
	v_mov_b32_dpp v71, v10 row_shr:4 row_mask:0xf bank_mask:0xf
	s_delay_alu instid0(VALU_DEP_1) | instskip(NEXT) | instid1(VALU_DEP_1)
	v_cndmask_b32_e64 v71, 0, v71, s11
	v_add_nc_u32_e32 v10, v10, v71
	s_delay_alu instid0(VALU_DEP_1) | instskip(NEXT) | instid1(VALU_DEP_1)
	v_mov_b32_dpp v71, v10 row_shr:8 row_mask:0xf bank_mask:0xf
	v_cndmask_b32_e64 v71, 0, v71, s12
	s_delay_alu instid0(VALU_DEP_1) | instskip(SKIP_3) | instid1(VALU_DEP_1)
	v_add_nc_u32_e32 v10, v10, v71
	ds_swizzle_b32 v71, v10 offset:swizzle(BROADCAST,32,15)
	s_wait_dscnt 0x0
	v_cndmask_b32_e64 v71, v71, 0, s13
	v_add_nc_u32_e32 v10, v10, v71
	s_and_saveexec_b32 s14, s8
; %bb.46:                               ;   in Loop: Header=BB138_37 Depth=1
	ds_store_b32 v56, v10
; %bb.47:                               ;   in Loop: Header=BB138_37 Depth=1
	s_wait_alu 0xfffe
	s_or_b32 exec_lo, exec_lo, s14
	ds_bpermute_b32 v10, v54, v10
	; wave barrier
	s_wait_loadcnt_dscnt 0x0
	global_inv scope:SCOPE_SE
	v_cmp_lt_u32_e32 vcc_lo, 23, v60
	v_readfirstlane_b32 s14, v0
	s_mov_b32 s28, -1
	s_and_b32 vcc_lo, exec_lo, vcc_lo
	v_cndmask_b32_e64 v10, v10, 0, s27
	s_delay_alu instid0(VALU_DEP_1) | instskip(NEXT) | instid1(VALU_DEP_1)
	v_add_nc_u32_e32 v15, v10, v15
	v_add_nc_u32_e32 v16, v15, v16
	s_delay_alu instid0(VALU_DEP_1) | instskip(NEXT) | instid1(VALU_DEP_1)
	v_add_nc_u32_e32 v13, v16, v13
	v_add_nc_u32_e32 v14, v13, v14
	;; [unrolled: 3-line block ×3, first 2 shown]
	s_delay_alu instid0(VALU_DEP_1)
	v_add_nc_u32_e32 v9, v12, v9
	ds_store_2addr_b32 v45, v10, v15 offset0:1 offset1:2
	ds_store_2addr_b32 v45, v16, v13 offset0:3 offset1:4
	;; [unrolled: 1-line block ×4, first 2 shown]
	; wave barrier
	s_wait_loadcnt_dscnt 0x0
	global_inv scope:SCOPE_SE
	ds_load_b32 v9, v31 offset:4
	ds_load_b32 v10, v33 offset:4
	ds_load_b32 v11, v66 offset:4
	ds_load_b32 v12, v68 offset:4
                                        ; implicit-def: $vgpr15_vgpr16
	s_wait_dscnt 0x3
	v_add_nc_u32_e32 v68, v9, v30
	s_wait_dscnt 0x2
	v_add3_u32 v66, v64, v32, v10
	s_wait_dscnt 0x1
	v_add3_u32 v65, v67, v65, v11
	;; [unrolled: 2-line block ×3, first 2 shown]
                                        ; implicit-def: $vgpr33
                                        ; implicit-def: $vgpr31
                                        ; implicit-def: $vgpr11_vgpr12
	s_wait_alu 0xfffe
	s_cbranch_vccnz .LBB138_36
; %bb.48:                               ;   in Loop: Header=BB138_37 Depth=1
	v_lshlrev_b32_e32 v9, 2, v68
	v_lshlrev_b32_e32 v10, 2, v66
	;; [unrolled: 1-line block ×4, first 2 shown]
	s_wait_loadcnt 0x0
	; wave barrier
	global_inv scope:SCOPE_SE
	ds_store_b32 v9, v59
	ds_store_b32 v10, v63
	;; [unrolled: 1-line block ×4, first 2 shown]
	v_add_nc_u32_e32 v9, v9, v9
	v_add_nc_u32_e32 v10, v10, v10
	;; [unrolled: 1-line block ×4, first 2 shown]
	; wave barrier
	s_wait_loadcnt_dscnt 0x0
	global_inv scope:SCOPE_SE
	ds_load_2addr_b32 v[30:31], v0 offset1:32
	ds_load_2addr_b32 v[32:33], v0 offset0:64 offset1:96
	; wave barrier
	s_wait_loadcnt_dscnt 0x0
	global_inv scope:SCOPE_SE
	ds_store_b64 v9, v[28:29]
	ds_store_b64 v10, v[26:27]
	;; [unrolled: 1-line block ×4, first 2 shown]
	; wave barrier
	s_wait_loadcnt_dscnt 0x0
	global_inv scope:SCOPE_SE
	ds_load_2addr_b64 v[9:12], v58 offset1:32
	ds_load_2addr_b64 v[13:16], v58 offset0:64 offset1:96
	v_add_nc_u32_e32 v60, 8, v60
	s_add_co_i32 s14, s15, -8
	s_mov_b32 s28, 0
	; wave barrier
	s_wait_loadcnt_dscnt 0x0
	global_inv scope:SCOPE_SE
	s_branch .LBB138_36
.LBB138_49:
	v_lshlrev_b32_e32 v0, 2, v68
	v_lshlrev_b32_e32 v14, 2, v65
	;; [unrolled: 1-line block ×5, first 2 shown]
	s_wait_loadcnt 0x0
	; wave barrier
	global_inv scope:SCOPE_SE
	ds_store_b32 v0, v59
	ds_store_b32 v9, v63
	;; [unrolled: 1-line block ×4, first 2 shown]
	; wave barrier
	s_wait_loadcnt_dscnt 0x0
	global_inv scope:SCOPE_SE
	ds_load_b128 v[10:13], v10
	v_add_nc_u32_e32 v0, v0, v0
	v_add_nc_u32_e32 v9, v9, v9
	;; [unrolled: 1-line block ×3, first 2 shown]
	; wave barrier
	s_wait_loadcnt_dscnt 0x0
	global_inv scope:SCOPE_SE
	v_add_nc_u32_e32 v15, v15, v15
	ds_store_b64 v0, v[28:29]
	ds_store_b64 v9, v[26:27]
	;; [unrolled: 1-line block ×3, first 2 shown]
	s_mov_b32 s9, 0
	ds_store_b64 v15, v[22:23]
	; wave barrier
	s_wait_loadcnt_dscnt 0x0
	global_inv scope:SCOPE_SE
	v_xor_b32_e32 v9, 0x80000000, v10
	v_xor_b32_e32 v11, 0x80000000, v11
	;; [unrolled: 1-line block ×4, first 2 shown]
.LBB138_50:
	s_wait_alu 0xfffe
	s_and_b32 vcc_lo, exec_lo, s9
	s_wait_alu 0xfffe
	s_cbranch_vccz .LBB138_66
; %bb.51:
	v_xor_b32_e32 v0, 0x7fffffff, v20
	v_xor_b32_e32 v9, 0x7fffffff, v21
	;; [unrolled: 1-line block ×4, first 2 shown]
	ds_bpermute_b32 v12, v52, v5
	ds_bpermute_b32 v13, v52, v0
	;; [unrolled: 1-line block ×4, first 2 shown]
	ds_bpermute_b32 v20, v52, v0 offset:64
	ds_bpermute_b32 v23, v53, v9
	ds_bpermute_b32 v24, v52, v10
	;; [unrolled: 1-line block ×3, first 2 shown]
	ds_bpermute_b32 v0, v52, v0 offset:96
	ds_bpermute_b32 v26, v52, v9 offset:64
	ds_bpermute_b32 v27, v53, v10
	ds_bpermute_b32 v28, v52, v11
	;; [unrolled: 1-line block ×4, first 2 shown]
	ds_bpermute_b32 v9, v52, v9 offset:96
	ds_bpermute_b32 v21, v52, v1
	ds_bpermute_b32 v22, v52, v2
	;; [unrolled: 1-line block ×3, first 2 shown]
	ds_bpermute_b32 v33, v52, v10 offset:64
	ds_bpermute_b32 v10, v52, v10 offset:96
	ds_bpermute_b32 v25, v52, v3
	s_wait_dscnt 0x13
	v_cndmask_b32_e64 v13, 0, v13, s7
	s_wait_dscnt 0x12
	v_cndmask_b32_e64 v18, 0, v18, s7
	ds_bpermute_b32 v29, v52, v4
	ds_bpermute_b32 v31, v53, v6
	;; [unrolled: 1-line block ×3, first 2 shown]
	s_wait_dscnt 0x14
	v_cndmask_b32_e64 v13, v13, v19, s6
	ds_bpermute_b32 v54, v53, v7
	ds_bpermute_b32 v55, v52, v11 offset:64
	s_wait_dscnt 0x15
	v_cndmask_b32_e64 v19, 0, v20, s7
	s_wait_dscnt 0x14
	v_cndmask_b32_e64 v18, v18, v23, s6
	;; [unrolled: 2-line block ×3, first 2 shown]
	ds_bpermute_b32 v11, v52, v11 offset:96
	s_wait_dscnt 0x12
	v_cndmask_b32_e64 v0, 0, v0, s7
	s_wait_dscnt 0x11
	v_cndmask_b32_e64 v20, v19, v26, s6
	;; [unrolled: 2-line block ×4, first 2 shown]
	ds_bpermute_b32 v13, v53, v8
	v_cndmask_b32_e64 v14, 0, v14, s7
	ds_bpermute_b32 v23, v53, v1
	v_cndmask_b32_e64 v12, 0, v12, s7
	s_wait_dscnt 0xe
	v_cndmask_b32_e64 v0, v0, v9, s6
	ds_bpermute_b32 v24, v52, v2 offset:64
	v_cndmask_b32_e64 v9, v14, v16, s6
	ds_bpermute_b32 v14, v52, v6 offset:64
	v_cndmask_b32_e64 v12, v12, v15, s6
	s_wait_dscnt 0xb
	v_cndmask_b32_e64 v0, v0, v10, s1
	v_cndmask_b32_e64 v10, 0, v30, s7
	;; [unrolled: 1-line block ×3, first 2 shown]
	s_wait_dscnt 0x8
	v_cndmask_b32_e64 v15, 0, v31, s7
	v_cndmask_b32_e64 v12, v12, v21, s1
	ds_bpermute_b32 v16, v52, v5 offset:64
	s_wait_dscnt 0x5
	v_cndmask_b32_e64 v21, v0, v11, s0
	v_cndmask_b32_e64 v0, v10, v54, s6
	;; [unrolled: 1-line block ×4, first 2 shown]
	ds_bpermute_b32 v12, v53, v2
	ds_bpermute_b32 v6, v52, v6 offset:96
	ds_bpermute_b32 v5, v52, v5 offset:96
	s_wait_dscnt 0x7
	v_cndmask_b32_e64 v11, v15, v13, s6
	s_wait_dscnt 0x6
	v_cndmask_b32_e64 v0, v0, v23, s1
	ds_bpermute_b32 v15, v53, v4
	ds_bpermute_b32 v22, v52, v8 offset:64
	ds_bpermute_b32 v23, v52, v7 offset:64
	;; [unrolled: 1-line block ×4, first 2 shown]
	ds_bpermute_b32 v13, v53, v3
	ds_bpermute_b32 v25, v52, v1 offset:64
	ds_bpermute_b32 v2, v52, v2 offset:96
	ds_bpermute_b32 v1, v52, v1 offset:96
	ds_bpermute_b32 v26, v52, v3 offset:64
	ds_bpermute_b32 v27, v52, v4 offset:64
	ds_bpermute_b32 v28, v52, v3 offset:96
	ds_bpermute_b32 v3, v52, v4 offset:96
	; wave barrier
	s_wait_loadcnt_dscnt 0x0
	global_inv scope:SCOPE_SE
	s_load_b32 s8, s[24:25], 0xc
	v_cndmask_b32_e64 v14, 0, v14, s7
	v_cndmask_b32_e64 v4, v11, v12, s1
	;; [unrolled: 1-line block ×16, first 2 shown]
	s_getpc_b64 s[6:7]
	s_wait_alu 0xfffe
	s_sext_i32_i16 s7, s7
	s_add_co_u32 s6, s6, _ZN7rocprim17ROCPRIM_400000_NS16block_radix_sortIiLj32ELj4ElLj1ELj1ELj0ELNS0_26block_radix_rank_algorithmE1ELNS0_18block_padding_hintE2ELNS0_4arch9wavefront6targetE0EE19radix_bits_per_passE@rel32@lo+12
	s_wait_alu 0xfffe
	s_add_co_ci_u32 s7, s7, _ZN7rocprim17ROCPRIM_400000_NS16block_radix_sortIiLj32ELj4ElLj1ELj1ELj0ELNS0_26block_radix_rank_algorithmE1ELNS0_18block_padding_hintE2ELNS0_4arch9wavefront6targetE0EE19radix_bits_per_passE@rel32@hi+24
	v_cndmask_b32_e64 v19, v19, v32, s0
	v_cndmask_b32_e64 v20, v20, v55, s0
	;; [unrolled: 1-line block ×6, first 2 shown]
	s_wait_kmcnt 0x0
	s_lshr_b32 s0, s8, 16
	s_load_b32 s11, s[6:7], 0x0
	v_mad_u32_u24 v4, v51, s0, v50
	s_and_b32 s0, s8, 0xffff
	v_sub_co_u32 v6, s10, v46, 1
	v_dual_mov_b32 v26, 0 :: v_dual_lshlrev_b32 v23, 2, v47
	s_wait_alu 0xfffe
	v_mad_co_u64_u32 v[4:5], null, v4, s0, v[17:18]
	s_delay_alu instid0(VALU_DEP_3)
	v_cmp_gt_i32_e32 vcc_lo, 0, v6
	v_cmp_eq_u32_e64 s0, 0, v48
	v_cmp_lt_u32_e64 s1, 1, v48
	v_cmp_lt_u32_e64 s6, 3, v48
	;; [unrolled: 1-line block ×3, first 2 shown]
	v_cmp_eq_u32_e64 s8, 0, v49
	v_lshrrev_b32_e32 v4, 3, v4
	s_wait_alu 0xfffd
	v_cndmask_b32_e32 v5, v6, v46, vcc_lo
	v_cmp_eq_u32_e32 vcc_lo, 0, v17
	v_cmp_eq_u32_e64 s9, 31, v17
	v_dual_mov_b32 v25, 0 :: v_dual_and_b32 v24, 0x1ffffffc, v4
	s_delay_alu instid0(VALU_DEP_4)
	v_lshlrev_b32_e32 v22, 2, v5
	v_add_nc_u32_e32 v27, v23, v23
	v_mov_b32_e32 v29, 0
	s_or_b32 s12, vcc_lo, s10
	s_mov_b32 s13, 32
	s_branch .LBB138_53
.LBB138_52:                             ;   in Loop: Header=BB138_53 Depth=1
	s_wait_alu 0xfffe
	s_and_not1_b32 vcc_lo, exec_lo, s14
	s_mov_b32 s13, s10
	s_wait_alu 0xfffe
	s_cbranch_vccz .LBB138_65
.LBB138_53:                             ; =>This Inner Loop Header: Depth=1
	v_mov_b32_e32 v28, v18
	s_wait_kmcnt 0x0
	s_wait_alu 0xfffe
	s_min_u32 s10, s11, s13
	ds_store_2addr_b32 v45, v26, v26 offset0:1 offset1:2
	ds_store_2addr_b32 v45, v26, v26 offset0:3 offset1:4
	;; [unrolled: 1-line block ×4, first 2 shown]
	s_wait_alu 0xfffe
	s_lshl_b32 s10, -1, s10
	s_wait_loadcnt_dscnt 0x0
	v_lshrrev_b32_e32 v4, v29, v28
	s_wait_alu 0xfffe
	s_not_b32 s14, s10
	; wave barrier
	global_inv scope:SCOPE_SE
	; wave barrier
	s_wait_alu 0xfffe
	v_dual_mov_b32 v31, v20 :: v_dual_and_b32 v18, s14, v4
	v_mov_b32_e32 v30, v21
	s_delay_alu instid0(VALU_DEP_2)
	v_dual_mov_b32 v32, v19 :: v_dual_lshlrev_b32 v13, 27, v18
	v_and_b32_e32 v4, 1, v18
	v_lshlrev_b32_e32 v5, 30, v18
	v_lshlrev_b32_e32 v6, 29, v18
	;; [unrolled: 1-line block ×4, first 2 shown]
	v_add_co_u32 v4, s10, v4, -1
	s_wait_alu 0xf1ff
	v_cndmask_b32_e64 v8, 0, 1, s10
	v_not_b32_e32 v16, v5
	v_cmp_gt_i32_e64 s10, 0, v5
	v_not_b32_e32 v5, v6
	v_lshlrev_b32_e32 v15, 25, v18
	v_cmp_ne_u32_e32 vcc_lo, 0, v8
	v_ashrrev_i32_e32 v16, 31, v16
	v_lshlrev_b32_e32 v8, 24, v18
	v_ashrrev_i32_e32 v5, 31, v5
	v_lshl_add_u32 v18, v18, 2, v24
	s_wait_alu 0xfffd
	v_xor_b32_e32 v4, vcc_lo, v4
	v_cmp_gt_i32_e32 vcc_lo, 0, v6
	v_not_b32_e32 v6, v7
	s_wait_alu 0xf1ff
	v_xor_b32_e32 v16, s10, v16
	v_cmp_gt_i32_e64 s10, 0, v7
	v_and_b32_e32 v4, exec_lo, v4
	v_not_b32_e32 v7, v13
	v_ashrrev_i32_e32 v6, 31, v6
	s_wait_alu 0xfffd
	v_xor_b32_e32 v5, vcc_lo, v5
	v_cmp_gt_i32_e32 vcc_lo, 0, v13
	v_and_b32_e32 v4, v4, v16
	v_not_b32_e32 v13, v14
	v_ashrrev_i32_e32 v7, 31, v7
	s_wait_alu 0xf1ff
	v_xor_b32_e32 v6, s10, v6
	v_cmp_gt_i32_e64 s10, 0, v14
	v_and_b32_e32 v4, v4, v5
	v_not_b32_e32 v5, v15
	v_ashrrev_i32_e32 v13, 31, v13
	s_wait_alu 0xfffd
	v_xor_b32_e32 v7, vcc_lo, v7
	v_cmp_gt_i32_e32 vcc_lo, 0, v15
	v_and_b32_e32 v4, v4, v6
	v_mov_b32_e32 v16, v10
	v_ashrrev_i32_e32 v5, 31, v5
	s_wait_alu 0xf1ff
	v_xor_b32_e32 v13, s10, v13
	v_mov_b32_e32 v15, v9
	v_not_b32_e32 v6, v8
	v_and_b32_e32 v4, v4, v7
	v_cmp_gt_i32_e64 s10, 0, v8
	s_wait_alu 0xfffd
	v_xor_b32_e32 v5, vcc_lo, v5
	v_ashrrev_i32_e32 v6, 31, v6
	v_and_b32_e32 v4, v4, v13
	v_dual_mov_b32 v14, v12 :: v_dual_mov_b32 v13, v11
	s_wait_alu 0xf1ff
	s_delay_alu instid0(VALU_DEP_3) | instskip(NEXT) | instid1(VALU_DEP_3)
	v_xor_b32_e32 v6, s10, v6
	v_and_b32_e32 v4, v4, v5
	s_delay_alu instid0(VALU_DEP_1) | instskip(SKIP_2) | instid1(VALU_DEP_3)
	v_dual_mov_b32 v5, v3 :: v_dual_and_b32 v8, v4, v6
	v_dual_mov_b32 v7, v1 :: v_dual_mov_b32 v4, v2
	v_mov_b32_e32 v6, v0
	v_mbcnt_lo_u32_b32 v12, v8, 0
	v_cmp_ne_u32_e64 s10, 0, v8
	s_delay_alu instid0(VALU_DEP_2)
	v_cmp_eq_u32_e32 vcc_lo, 0, v12
	s_and_b32 s15, s10, vcc_lo
	s_wait_alu 0xfffe
	s_and_saveexec_b32 s10, s15
; %bb.54:                               ;   in Loop: Header=BB138_53 Depth=1
	v_bcnt_u32_b32 v0, v8, 0
	ds_store_b32 v18, v0 offset:4
; %bb.55:                               ;   in Loop: Header=BB138_53 Depth=1
	s_wait_alu 0xfffe
	s_or_b32 exec_lo, exec_lo, s10
	v_lshrrev_b32_e32 v0, v29, v32
	; wave barrier
	s_delay_alu instid0(VALU_DEP_1) | instskip(NEXT) | instid1(VALU_DEP_1)
	v_and_b32_e32 v0, s14, v0
	v_and_b32_e32 v1, 1, v0
	v_lshlrev_b32_e32 v2, 30, v0
	v_lshlrev_b32_e32 v3, 29, v0
	v_lshlrev_b32_e32 v8, 28, v0
	v_lshlrev_b32_e32 v10, 27, v0
	v_add_co_u32 v1, s10, v1, -1
	s_wait_alu 0xf1ff
	v_cndmask_b32_e64 v9, 0, 1, s10
	v_not_b32_e32 v20, v2
	v_cmp_gt_i32_e64 s10, 0, v2
	v_not_b32_e32 v2, v3
	v_lshlrev_b32_e32 v11, 26, v0
	v_cmp_ne_u32_e32 vcc_lo, 0, v9
	v_ashrrev_i32_e32 v20, 31, v20
	v_lshlrev_b32_e32 v19, 25, v0
	v_ashrrev_i32_e32 v2, 31, v2
	v_lshlrev_b32_e32 v9, 24, v0
	s_wait_alu 0xfffd
	v_xor_b32_e32 v1, vcc_lo, v1
	v_cmp_gt_i32_e32 vcc_lo, 0, v3
	v_not_b32_e32 v3, v8
	s_wait_alu 0xf1ff
	v_xor_b32_e32 v20, s10, v20
	v_cmp_gt_i32_e64 s10, 0, v8
	v_and_b32_e32 v1, exec_lo, v1
	v_not_b32_e32 v8, v10
	v_ashrrev_i32_e32 v3, 31, v3
	s_wait_alu 0xfffd
	v_xor_b32_e32 v2, vcc_lo, v2
	v_cmp_gt_i32_e32 vcc_lo, 0, v10
	v_and_b32_e32 v1, v1, v20
	v_not_b32_e32 v10, v11
	v_ashrrev_i32_e32 v8, 31, v8
	s_wait_alu 0xf1ff
	v_xor_b32_e32 v3, s10, v3
	v_cmp_gt_i32_e64 s10, 0, v11
	v_and_b32_e32 v1, v1, v2
	v_not_b32_e32 v2, v19
	v_ashrrev_i32_e32 v10, 31, v10
	s_wait_alu 0xfffd
	v_xor_b32_e32 v8, vcc_lo, v8
	v_cmp_gt_i32_e32 vcc_lo, 0, v19
	v_and_b32_e32 v1, v1, v3
	v_not_b32_e32 v3, v9
	v_ashrrev_i32_e32 v2, 31, v2
	s_wait_alu 0xf1ff
	v_xor_b32_e32 v10, s10, v10
	v_cmp_gt_i32_e64 s10, 0, v9
	v_and_b32_e32 v1, v1, v8
	v_ashrrev_i32_e32 v3, 31, v3
	s_wait_alu 0xfffd
	v_xor_b32_e32 v2, vcc_lo, v2
	v_lshl_add_u32 v20, v0, 2, v24
	v_and_b32_e32 v1, v1, v10
	s_wait_alu 0xf1ff
	v_xor_b32_e32 v0, s10, v3
	ds_load_b32 v19, v20 offset:4
	v_and_b32_e32 v1, v1, v2
	; wave barrier
	s_delay_alu instid0(VALU_DEP_1) | instskip(NEXT) | instid1(VALU_DEP_1)
	v_and_b32_e32 v0, v1, v0
	v_mbcnt_lo_u32_b32 v21, v0, 0
	v_cmp_ne_u32_e64 s10, 0, v0
	s_delay_alu instid0(VALU_DEP_2)
	v_cmp_eq_u32_e32 vcc_lo, 0, v21
	s_and_b32 s15, s10, vcc_lo
	s_wait_alu 0xfffe
	s_and_saveexec_b32 s10, s15
	s_cbranch_execz .LBB138_57
; %bb.56:                               ;   in Loop: Header=BB138_53 Depth=1
	s_wait_dscnt 0x0
	v_bcnt_u32_b32 v0, v0, v19
	ds_store_b32 v20, v0 offset:4
.LBB138_57:                             ;   in Loop: Header=BB138_53 Depth=1
	s_wait_alu 0xfffe
	s_or_b32 exec_lo, exec_lo, s10
	v_lshrrev_b32_e32 v0, v29, v31
	; wave barrier
	s_delay_alu instid0(VALU_DEP_1) | instskip(NEXT) | instid1(VALU_DEP_1)
	v_and_b32_e32 v0, s14, v0
	v_and_b32_e32 v1, 1, v0
	v_lshlrev_b32_e32 v2, 30, v0
	v_lshlrev_b32_e32 v3, 29, v0
	;; [unrolled: 1-line block ×4, first 2 shown]
	v_add_co_u32 v1, s10, v1, -1
	s_wait_alu 0xf1ff
	v_cndmask_b32_e64 v9, 0, 1, s10
	v_not_b32_e32 v46, v2
	v_cmp_gt_i32_e64 s10, 0, v2
	v_not_b32_e32 v2, v3
	v_lshlrev_b32_e32 v11, 26, v0
	v_cmp_ne_u32_e32 vcc_lo, 0, v9
	v_ashrrev_i32_e32 v46, 31, v46
	v_lshlrev_b32_e32 v33, 25, v0
	v_ashrrev_i32_e32 v2, 31, v2
	v_lshlrev_b32_e32 v9, 24, v0
	s_wait_alu 0xfffd
	v_xor_b32_e32 v1, vcc_lo, v1
	v_cmp_gt_i32_e32 vcc_lo, 0, v3
	v_not_b32_e32 v3, v8
	s_wait_alu 0xf1ff
	v_xor_b32_e32 v46, s10, v46
	v_cmp_gt_i32_e64 s10, 0, v8
	v_and_b32_e32 v1, exec_lo, v1
	v_not_b32_e32 v8, v10
	v_ashrrev_i32_e32 v3, 31, v3
	s_wait_alu 0xfffd
	v_xor_b32_e32 v2, vcc_lo, v2
	v_cmp_gt_i32_e32 vcc_lo, 0, v10
	v_and_b32_e32 v1, v1, v46
	v_not_b32_e32 v10, v11
	v_ashrrev_i32_e32 v8, 31, v8
	s_wait_alu 0xf1ff
	v_xor_b32_e32 v3, s10, v3
	v_cmp_gt_i32_e64 s10, 0, v11
	v_and_b32_e32 v1, v1, v2
	v_not_b32_e32 v2, v33
	v_ashrrev_i32_e32 v10, 31, v10
	s_wait_alu 0xfffd
	v_xor_b32_e32 v8, vcc_lo, v8
	v_cmp_gt_i32_e32 vcc_lo, 0, v33
	v_and_b32_e32 v1, v1, v3
	v_not_b32_e32 v3, v9
	v_ashrrev_i32_e32 v2, 31, v2
	s_wait_alu 0xf1ff
	v_xor_b32_e32 v10, s10, v10
	v_cmp_gt_i32_e64 s10, 0, v9
	v_and_b32_e32 v1, v1, v8
	v_ashrrev_i32_e32 v3, 31, v3
	s_wait_alu 0xfffd
	v_xor_b32_e32 v2, vcc_lo, v2
	v_lshl_add_u32 v46, v0, 2, v24
	v_and_b32_e32 v1, v1, v10
	s_wait_alu 0xf1ff
	v_xor_b32_e32 v0, s10, v3
	ds_load_b32 v33, v46 offset:4
	v_and_b32_e32 v1, v1, v2
	; wave barrier
	s_delay_alu instid0(VALU_DEP_1) | instskip(NEXT) | instid1(VALU_DEP_1)
	v_and_b32_e32 v0, v1, v0
	v_mbcnt_lo_u32_b32 v47, v0, 0
	v_cmp_ne_u32_e64 s10, 0, v0
	s_delay_alu instid0(VALU_DEP_2)
	v_cmp_eq_u32_e32 vcc_lo, 0, v47
	s_and_b32 s15, s10, vcc_lo
	s_wait_alu 0xfffe
	s_and_saveexec_b32 s10, s15
	s_cbranch_execz .LBB138_59
; %bb.58:                               ;   in Loop: Header=BB138_53 Depth=1
	s_wait_dscnt 0x0
	v_bcnt_u32_b32 v0, v0, v33
	ds_store_b32 v46, v0 offset:4
.LBB138_59:                             ;   in Loop: Header=BB138_53 Depth=1
	s_wait_alu 0xfffe
	s_or_b32 exec_lo, exec_lo, s10
	v_lshrrev_b32_e32 v0, v29, v30
	; wave barrier
	s_delay_alu instid0(VALU_DEP_1) | instskip(NEXT) | instid1(VALU_DEP_1)
	v_and_b32_e32 v0, s14, v0
	v_and_b32_e32 v1, 1, v0
	v_lshlrev_b32_e32 v2, 30, v0
	v_lshlrev_b32_e32 v3, 29, v0
	;; [unrolled: 1-line block ×4, first 2 shown]
	v_add_co_u32 v1, s10, v1, -1
	s_wait_alu 0xf1ff
	v_cndmask_b32_e64 v9, 0, 1, s10
	v_not_b32_e32 v49, v2
	v_cmp_gt_i32_e64 s10, 0, v2
	v_not_b32_e32 v2, v3
	v_lshlrev_b32_e32 v11, 26, v0
	v_cmp_ne_u32_e32 vcc_lo, 0, v9
	v_ashrrev_i32_e32 v49, 31, v49
	v_lshlrev_b32_e32 v48, 25, v0
	v_ashrrev_i32_e32 v2, 31, v2
	v_lshlrev_b32_e32 v9, 24, v0
	s_wait_alu 0xfffd
	v_xor_b32_e32 v1, vcc_lo, v1
	v_cmp_gt_i32_e32 vcc_lo, 0, v3
	v_not_b32_e32 v3, v8
	s_wait_alu 0xf1ff
	v_xor_b32_e32 v49, s10, v49
	v_cmp_gt_i32_e64 s10, 0, v8
	v_and_b32_e32 v1, exec_lo, v1
	v_not_b32_e32 v8, v10
	v_ashrrev_i32_e32 v3, 31, v3
	s_wait_alu 0xfffd
	v_xor_b32_e32 v2, vcc_lo, v2
	v_cmp_gt_i32_e32 vcc_lo, 0, v10
	v_and_b32_e32 v1, v1, v49
	v_not_b32_e32 v10, v11
	v_ashrrev_i32_e32 v8, 31, v8
	s_wait_alu 0xf1ff
	v_xor_b32_e32 v3, s10, v3
	v_cmp_gt_i32_e64 s10, 0, v11
	v_and_b32_e32 v1, v1, v2
	v_not_b32_e32 v2, v48
	v_ashrrev_i32_e32 v10, 31, v10
	s_wait_alu 0xfffd
	v_xor_b32_e32 v8, vcc_lo, v8
	v_cmp_gt_i32_e32 vcc_lo, 0, v48
	v_and_b32_e32 v1, v1, v3
	v_not_b32_e32 v3, v9
	v_ashrrev_i32_e32 v2, 31, v2
	s_wait_alu 0xf1ff
	v_xor_b32_e32 v10, s10, v10
	v_cmp_gt_i32_e64 s10, 0, v9
	v_and_b32_e32 v1, v1, v8
	v_ashrrev_i32_e32 v3, 31, v3
	s_wait_alu 0xfffd
	v_xor_b32_e32 v2, vcc_lo, v2
	v_lshl_add_u32 v48, v0, 2, v24
	v_and_b32_e32 v1, v1, v10
	s_wait_alu 0xf1ff
	v_xor_b32_e32 v0, s10, v3
	ds_load_b32 v49, v48 offset:4
	v_and_b32_e32 v1, v1, v2
	; wave barrier
	s_delay_alu instid0(VALU_DEP_1) | instskip(NEXT) | instid1(VALU_DEP_1)
	v_and_b32_e32 v0, v1, v0
	v_mbcnt_lo_u32_b32 v50, v0, 0
	v_cmp_ne_u32_e64 s10, 0, v0
	s_delay_alu instid0(VALU_DEP_2)
	v_cmp_eq_u32_e32 vcc_lo, 0, v50
	s_and_b32 s14, s10, vcc_lo
	s_wait_alu 0xfffe
	s_and_saveexec_b32 s10, s14
	s_cbranch_execz .LBB138_61
; %bb.60:                               ;   in Loop: Header=BB138_53 Depth=1
	s_wait_dscnt 0x0
	v_bcnt_u32_b32 v0, v0, v49
	ds_store_b32 v48, v0 offset:4
.LBB138_61:                             ;   in Loop: Header=BB138_53 Depth=1
	s_wait_alu 0xfffe
	s_or_b32 exec_lo, exec_lo, s10
	; wave barrier
	; wave barrier
	s_wait_loadcnt_dscnt 0x0
	global_inv scope:SCOPE_SE
	ds_load_2addr_b32 v[10:11], v45 offset0:1 offset1:2
	ds_load_2addr_b32 v[8:9], v45 offset0:3 offset1:4
	;; [unrolled: 1-line block ×4, first 2 shown]
	s_wait_dscnt 0x3
	v_add_nc_u32_e32 v51, v11, v10
	s_wait_dscnt 0x2
	s_delay_alu instid0(VALU_DEP_1) | instskip(SKIP_1) | instid1(VALU_DEP_1)
	v_add3_u32 v51, v51, v8, v9
	s_wait_dscnt 0x1
	v_add3_u32 v51, v51, v2, v3
	s_wait_dscnt 0x0
	s_delay_alu instid0(VALU_DEP_1) | instskip(NEXT) | instid1(VALU_DEP_1)
	v_add3_u32 v1, v51, v0, v1
	v_mov_b32_dpp v51, v1 row_shr:1 row_mask:0xf bank_mask:0xf
	s_delay_alu instid0(VALU_DEP_1) | instskip(NEXT) | instid1(VALU_DEP_1)
	v_cndmask_b32_e64 v51, v51, 0, s0
	v_add_nc_u32_e32 v1, v51, v1
	s_delay_alu instid0(VALU_DEP_1) | instskip(NEXT) | instid1(VALU_DEP_1)
	v_mov_b32_dpp v51, v1 row_shr:2 row_mask:0xf bank_mask:0xf
	v_cndmask_b32_e64 v51, 0, v51, s1
	s_delay_alu instid0(VALU_DEP_1) | instskip(NEXT) | instid1(VALU_DEP_1)
	v_add_nc_u32_e32 v1, v1, v51
	v_mov_b32_dpp v51, v1 row_shr:4 row_mask:0xf bank_mask:0xf
	s_delay_alu instid0(VALU_DEP_1) | instskip(NEXT) | instid1(VALU_DEP_1)
	v_cndmask_b32_e64 v51, 0, v51, s6
	v_add_nc_u32_e32 v1, v1, v51
	s_delay_alu instid0(VALU_DEP_1) | instskip(NEXT) | instid1(VALU_DEP_1)
	v_mov_b32_dpp v51, v1 row_shr:8 row_mask:0xf bank_mask:0xf
	v_cndmask_b32_e64 v51, 0, v51, s7
	s_delay_alu instid0(VALU_DEP_1) | instskip(SKIP_3) | instid1(VALU_DEP_1)
	v_add_nc_u32_e32 v1, v1, v51
	ds_swizzle_b32 v51, v1 offset:swizzle(BROADCAST,32,15)
	s_wait_dscnt 0x0
	v_cndmask_b32_e64 v51, v51, 0, s8
	v_add_nc_u32_e32 v1, v1, v51
	s_and_saveexec_b32 s10, s9
; %bb.62:                               ;   in Loop: Header=BB138_53 Depth=1
	ds_store_b32 v25, v1
; %bb.63:                               ;   in Loop: Header=BB138_53 Depth=1
	s_wait_alu 0xfffe
	s_or_b32 exec_lo, exec_lo, s10
	ds_bpermute_b32 v1, v22, v1
	; wave barrier
	s_wait_loadcnt_dscnt 0x0
	global_inv scope:SCOPE_SE
	v_cmp_lt_u32_e32 vcc_lo, 23, v29
	s_mov_b32 s14, -1
	s_and_b32 vcc_lo, exec_lo, vcc_lo
	v_cndmask_b32_e64 v1, v1, 0, s12
	s_delay_alu instid0(VALU_DEP_1) | instskip(NEXT) | instid1(VALU_DEP_1)
	v_add_nc_u32_e32 v10, v1, v10
	v_add_nc_u32_e32 v11, v10, v11
	s_delay_alu instid0(VALU_DEP_1) | instskip(NEXT) | instid1(VALU_DEP_1)
	v_add_nc_u32_e32 v8, v11, v8
	v_add_nc_u32_e32 v9, v8, v9
	;; [unrolled: 3-line block ×3, first 2 shown]
	s_delay_alu instid0(VALU_DEP_1)
	v_add_nc_u32_e32 v0, v3, v0
	ds_store_2addr_b32 v45, v1, v10 offset0:1 offset1:2
	ds_store_2addr_b32 v45, v11, v8 offset0:3 offset1:4
	;; [unrolled: 1-line block ×4, first 2 shown]
	; wave barrier
	s_wait_loadcnt_dscnt 0x0
	global_inv scope:SCOPE_SE
	ds_load_b32 v0, v18 offset:4
	ds_load_b32 v1, v20 offset:4
	;; [unrolled: 1-line block ×4, first 2 shown]
	s_wait_dscnt 0x3
	v_add_nc_u32_e32 v48, v0, v12
	s_wait_dscnt 0x2
	v_add3_u32 v46, v21, v19, v1
	s_wait_dscnt 0x1
	v_add3_u32 v33, v47, v33, v2
	;; [unrolled: 2-line block ×3, first 2 shown]
	v_readfirstlane_b32 s10, v0
                                        ; implicit-def: $vgpr21
                                        ; implicit-def: $vgpr19
                                        ; implicit-def: $vgpr2_vgpr3
                                        ; implicit-def: $vgpr11_vgpr12
	s_wait_alu 0xfffe
	s_cbranch_vccnz .LBB138_52
; %bb.64:                               ;   in Loop: Header=BB138_53 Depth=1
	v_lshlrev_b32_e32 v0, 2, v48
	v_lshlrev_b32_e32 v1, 2, v46
	;; [unrolled: 1-line block ×4, first 2 shown]
	s_wait_loadcnt 0x0
	; wave barrier
	global_inv scope:SCOPE_SE
	ds_store_b32 v0, v28
	ds_store_b32 v1, v32
	;; [unrolled: 1-line block ×4, first 2 shown]
	v_add_nc_u32_e32 v0, v0, v0
	v_add_nc_u32_e32 v1, v1, v1
	;; [unrolled: 1-line block ×4, first 2 shown]
	; wave barrier
	s_wait_loadcnt_dscnt 0x0
	global_inv scope:SCOPE_SE
	ds_load_2addr_b32 v[18:19], v23 offset1:32
	ds_load_2addr_b32 v[20:21], v23 offset0:64 offset1:96
	; wave barrier
	s_wait_loadcnt_dscnt 0x0
	global_inv scope:SCOPE_SE
	ds_store_b64 v0, v[15:16]
	ds_store_b64 v1, v[13:14]
	;; [unrolled: 1-line block ×4, first 2 shown]
	; wave barrier
	s_wait_loadcnt_dscnt 0x0
	global_inv scope:SCOPE_SE
	ds_load_2addr_b64 v[9:12], v27 offset1:32
	ds_load_2addr_b64 v[0:3], v27 offset0:64 offset1:96
	v_add_nc_u32_e32 v29, 8, v29
	s_add_co_i32 s10, s13, -8
	s_mov_b32 s14, 0
	; wave barrier
	s_wait_loadcnt_dscnt 0x0
	global_inv scope:SCOPE_SE
	s_branch .LBB138_52
.LBB138_65:
	v_lshlrev_b32_e32 v9, 2, v48
	v_lshlrev_b32_e32 v11, 2, v33
	;; [unrolled: 1-line block ×5, first 2 shown]
	s_wait_loadcnt 0x0
	; wave barrier
	global_inv scope:SCOPE_SE
	ds_store_b32 v9, v28
	ds_store_b32 v10, v32
	;; [unrolled: 1-line block ×4, first 2 shown]
	; wave barrier
	s_wait_loadcnt_dscnt 0x0
	global_inv scope:SCOPE_SE
	ds_load_b128 v[0:3], v0
	v_add_nc_u32_e32 v9, v9, v9
	v_add_nc_u32_e32 v10, v10, v10
	; wave barrier
	s_wait_loadcnt_dscnt 0x0
	global_inv scope:SCOPE_SE
	v_add_nc_u32_e32 v18, v11, v11
	ds_store_b64 v9, v[15:16]
	ds_store_b64 v10, v[13:14]
	v_add_nc_u32_e32 v8, v8, v8
	ds_store_b64 v18, v[6:7]
	ds_store_b64 v8, v[4:5]
	; wave barrier
	s_wait_loadcnt_dscnt 0x0
	global_inv scope:SCOPE_SE
	v_xor_b32_e32 v9, 0x7fffffff, v0
	v_xor_b32_e32 v11, 0x7fffffff, v1
	;; [unrolled: 1-line block ×4, first 2 shown]
.LBB138_66:
	v_mad_co_u64_u32 v[13:14], null, s16, v17, 0
	v_lshlrev_b32_e32 v0, 3, v38
	ds_load_b128 v[4:7], v0
	ds_load_b128 v[0:3], v0 offset:16
	v_mov_b32_e32 v8, v14
	; wave barrier
	s_wait_loadcnt_dscnt 0x0
	global_inv scope:SCOPE_SE
	ds_store_2addr_b32 v39, v9, v11 offset1:1
	ds_store_2addr_b32 v39, v10, v12 offset0:2 offset1:3
	s_wait_loadcnt_dscnt 0x0
	v_mad_co_u64_u32 v[14:15], null, s17, v17, v[8:9]
	; wave barrier
	global_inv scope:SCOPE_SE
	ds_load_b32 v12, v35 offset:128
	ds_load_b32 v11, v36 offset:256
	;; [unrolled: 1-line block ×3, first 2 shown]
	v_lshlrev_b64_e32 v[8:9], 2, v[13:14]
	s_delay_alu instid0(VALU_DEP_1) | instskip(SKIP_1) | instid1(VALU_DEP_2)
	v_add_co_u32 v8, vcc_lo, s20, v8
	s_wait_alu 0xfffd
	v_add_co_ci_u32_e64 v9, null, s21, v9, vcc_lo
	s_and_saveexec_b32 s0, s2
	s_cbranch_execnz .LBB138_77
; %bb.67:
	s_wait_alu 0xfffe
	s_or_b32 exec_lo, exec_lo, s0
	s_and_saveexec_b32 s0, s3
	s_cbranch_execnz .LBB138_78
.LBB138_68:
	s_wait_alu 0xfffe
	s_or_b32 exec_lo, exec_lo, s0
	s_and_saveexec_b32 s0, s4
	s_cbranch_execnz .LBB138_79
.LBB138_69:
	s_wait_alu 0xfffe
	s_or_b32 exec_lo, exec_lo, s0
	s_and_saveexec_b32 s0, s5
	s_cbranch_execz .LBB138_71
.LBB138_70:
	v_mad_co_u64_u32 v[8:9], null, 0x180, s16, v[8:9]
	s_wait_dscnt 0x0
	s_delay_alu instid0(VALU_DEP_1) | instskip(NEXT) | instid1(VALU_DEP_1)
	v_mad_co_u64_u32 v[11:12], null, 0x180, s17, v[9:10]
	v_mov_b32_e32 v9, v11
	global_store_b32 v[8:9], v10, off
.LBB138_71:
	s_wait_alu 0xfffe
	s_or_b32 exec_lo, exec_lo, s0
	v_mad_co_u64_u32 v[8:9], null, s18, v17, 0
	s_wait_storecnt 0x0
	; wave barrier
	s_wait_loadcnt_dscnt 0x0
	global_inv scope:SCOPE_SE
	ds_store_2addr_b64 v44, v[4:5], v[6:7] offset1:1
	ds_store_2addr_b64 v44, v[0:1], v[2:3] offset0:2 offset1:3
	; wave barrier
	s_wait_loadcnt_dscnt 0x0
	global_inv scope:SCOPE_SE
	ds_load_b64 v[6:7], v41 offset:256
	ds_load_b64 v[4:5], v42 offset:512
	;; [unrolled: 1-line block ×3, first 2 shown]
	v_mad_co_u64_u32 v[9:10], null, s19, v17, v[9:10]
	s_delay_alu instid0(VALU_DEP_1) | instskip(NEXT) | instid1(VALU_DEP_1)
	v_lshlrev_b64_e32 v[2:3], 3, v[8:9]
	v_add_co_u32 v2, vcc_lo, s22, v2
	s_wait_alu 0xfffd
	s_delay_alu instid0(VALU_DEP_2)
	v_add_co_ci_u32_e64 v3, null, s23, v3, vcc_lo
	s_and_saveexec_b32 s0, s2
	s_cbranch_execnz .LBB138_80
; %bb.72:
	s_wait_alu 0xfffe
	s_or_b32 exec_lo, exec_lo, s0
	s_and_saveexec_b32 s0, s3
	s_cbranch_execnz .LBB138_81
.LBB138_73:
	s_wait_alu 0xfffe
	s_or_b32 exec_lo, exec_lo, s0
	s_and_saveexec_b32 s0, s4
	s_cbranch_execnz .LBB138_82
.LBB138_74:
	s_wait_alu 0xfffe
	s_or_b32 exec_lo, exec_lo, s0
	s_and_saveexec_b32 s0, s5
	s_cbranch_execz .LBB138_76
.LBB138_75:
	v_mad_co_u64_u32 v[2:3], null, 0x300, s18, v[2:3]
	s_wait_dscnt 0x1
	s_delay_alu instid0(VALU_DEP_1)
	v_mad_co_u64_u32 v[3:4], null, 0x300, s19, v[3:4]
	s_wait_dscnt 0x0
	global_store_b64 v[2:3], v[0:1], off
.LBB138_76:
	s_endpgm
.LBB138_77:
	ds_load_b32 v13, v34
	s_wait_dscnt 0x0
	global_store_b32 v[8:9], v13, off
	s_wait_alu 0xfffe
	s_or_b32 exec_lo, exec_lo, s0
	s_and_saveexec_b32 s0, s3
	s_cbranch_execz .LBB138_68
.LBB138_78:
	s_lshl_b64 s[6:7], s[16:17], 7
	s_wait_alu 0xfffe
	v_add_co_u32 v13, vcc_lo, v8, s6
	s_wait_alu 0xfffd
	v_add_co_ci_u32_e64 v14, null, s7, v9, vcc_lo
	s_wait_dscnt 0x2
	global_store_b32 v[13:14], v12, off
	s_or_b32 exec_lo, exec_lo, s0
	s_and_saveexec_b32 s0, s4
	s_cbranch_execz .LBB138_69
.LBB138_79:
	s_lshl_b64 s[6:7], s[16:17], 8
	s_wait_dscnt 0x2
	s_wait_alu 0xfffe
	v_add_co_u32 v12, vcc_lo, v8, s6
	s_wait_alu 0xfffd
	v_add_co_ci_u32_e64 v13, null, s7, v9, vcc_lo
	s_wait_dscnt 0x1
	global_store_b32 v[12:13], v11, off
	s_or_b32 exec_lo, exec_lo, s0
	s_and_saveexec_b32 s0, s5
	s_cbranch_execnz .LBB138_70
	s_branch .LBB138_71
.LBB138_80:
	ds_load_b64 v[8:9], v40
	s_wait_dscnt 0x0
	global_store_b64 v[2:3], v[8:9], off
	s_wait_alu 0xfffe
	s_or_b32 exec_lo, exec_lo, s0
	s_and_saveexec_b32 s0, s3
	s_cbranch_execz .LBB138_73
.LBB138_81:
	s_lshl_b64 s[2:3], s[18:19], 8
	s_wait_alu 0xfffe
	v_add_co_u32 v8, vcc_lo, v2, s2
	s_wait_alu 0xfffd
	v_add_co_ci_u32_e64 v9, null, s3, v3, vcc_lo
	s_wait_dscnt 0x2
	global_store_b64 v[8:9], v[6:7], off
	s_or_b32 exec_lo, exec_lo, s0
	s_and_saveexec_b32 s0, s4
	s_cbranch_execz .LBB138_74
.LBB138_82:
	s_lshl_b64 s[2:3], s[18:19], 9
	s_wait_dscnt 0x2
	s_wait_alu 0xfffe
	v_add_co_u32 v6, vcc_lo, v2, s2
	s_wait_alu 0xfffd
	v_add_co_ci_u32_e64 v7, null, s3, v3, vcc_lo
	s_wait_dscnt 0x1
	global_store_b64 v[6:7], v[4:5], off
	s_or_b32 exec_lo, exec_lo, s0
	s_and_saveexec_b32 s0, s5
	s_cbranch_execnz .LBB138_75
	s_branch .LBB138_76
	.section	.rodata,"a",@progbits
	.p2align	6, 0x0
	.amdhsa_kernel _ZN2at6native18radixSortKVInPlaceILin1ELin1ELi32ELi4EilmEEvNS_4cuda6detail10TensorInfoIT3_T5_EES6_S6_S6_NS4_IT4_S6_EES6_b
		.amdhsa_group_segment_fixed_size 1056
		.amdhsa_private_segment_fixed_size 0
		.amdhsa_kernarg_size 1128
		.amdhsa_user_sgpr_count 2
		.amdhsa_user_sgpr_dispatch_ptr 0
		.amdhsa_user_sgpr_queue_ptr 0
		.amdhsa_user_sgpr_kernarg_segment_ptr 1
		.amdhsa_user_sgpr_dispatch_id 0
		.amdhsa_user_sgpr_private_segment_size 0
		.amdhsa_wavefront_size32 1
		.amdhsa_uses_dynamic_stack 0
		.amdhsa_enable_private_segment 0
		.amdhsa_system_sgpr_workgroup_id_x 1
		.amdhsa_system_sgpr_workgroup_id_y 1
		.amdhsa_system_sgpr_workgroup_id_z 1
		.amdhsa_system_sgpr_workgroup_info 0
		.amdhsa_system_vgpr_workitem_id 2
		.amdhsa_next_free_vgpr 72
		.amdhsa_next_free_sgpr 36
		.amdhsa_reserve_vcc 1
		.amdhsa_float_round_mode_32 0
		.amdhsa_float_round_mode_16_64 0
		.amdhsa_float_denorm_mode_32 3
		.amdhsa_float_denorm_mode_16_64 3
		.amdhsa_fp16_overflow 0
		.amdhsa_workgroup_processor_mode 1
		.amdhsa_memory_ordered 1
		.amdhsa_forward_progress 1
		.amdhsa_inst_pref_size 86
		.amdhsa_round_robin_scheduling 0
		.amdhsa_exception_fp_ieee_invalid_op 0
		.amdhsa_exception_fp_denorm_src 0
		.amdhsa_exception_fp_ieee_div_zero 0
		.amdhsa_exception_fp_ieee_overflow 0
		.amdhsa_exception_fp_ieee_underflow 0
		.amdhsa_exception_fp_ieee_inexact 0
		.amdhsa_exception_int_div_zero 0
	.end_amdhsa_kernel
	.section	.text._ZN2at6native18radixSortKVInPlaceILin1ELin1ELi32ELi4EilmEEvNS_4cuda6detail10TensorInfoIT3_T5_EES6_S6_S6_NS4_IT4_S6_EES6_b,"axG",@progbits,_ZN2at6native18radixSortKVInPlaceILin1ELin1ELi32ELi4EilmEEvNS_4cuda6detail10TensorInfoIT3_T5_EES6_S6_S6_NS4_IT4_S6_EES6_b,comdat
.Lfunc_end138:
	.size	_ZN2at6native18radixSortKVInPlaceILin1ELin1ELi32ELi4EilmEEvNS_4cuda6detail10TensorInfoIT3_T5_EES6_S6_S6_NS4_IT4_S6_EES6_b, .Lfunc_end138-_ZN2at6native18radixSortKVInPlaceILin1ELin1ELi32ELi4EilmEEvNS_4cuda6detail10TensorInfoIT3_T5_EES6_S6_S6_NS4_IT4_S6_EES6_b
                                        ; -- End function
	.set _ZN2at6native18radixSortKVInPlaceILin1ELin1ELi32ELi4EilmEEvNS_4cuda6detail10TensorInfoIT3_T5_EES6_S6_S6_NS4_IT4_S6_EES6_b.num_vgpr, 72
	.set _ZN2at6native18radixSortKVInPlaceILin1ELin1ELi32ELi4EilmEEvNS_4cuda6detail10TensorInfoIT3_T5_EES6_S6_S6_NS4_IT4_S6_EES6_b.num_agpr, 0
	.set _ZN2at6native18radixSortKVInPlaceILin1ELin1ELi32ELi4EilmEEvNS_4cuda6detail10TensorInfoIT3_T5_EES6_S6_S6_NS4_IT4_S6_EES6_b.numbered_sgpr, 36
	.set _ZN2at6native18radixSortKVInPlaceILin1ELin1ELi32ELi4EilmEEvNS_4cuda6detail10TensorInfoIT3_T5_EES6_S6_S6_NS4_IT4_S6_EES6_b.num_named_barrier, 0
	.set _ZN2at6native18radixSortKVInPlaceILin1ELin1ELi32ELi4EilmEEvNS_4cuda6detail10TensorInfoIT3_T5_EES6_S6_S6_NS4_IT4_S6_EES6_b.private_seg_size, 0
	.set _ZN2at6native18radixSortKVInPlaceILin1ELin1ELi32ELi4EilmEEvNS_4cuda6detail10TensorInfoIT3_T5_EES6_S6_S6_NS4_IT4_S6_EES6_b.uses_vcc, 1
	.set _ZN2at6native18radixSortKVInPlaceILin1ELin1ELi32ELi4EilmEEvNS_4cuda6detail10TensorInfoIT3_T5_EES6_S6_S6_NS4_IT4_S6_EES6_b.uses_flat_scratch, 0
	.set _ZN2at6native18radixSortKVInPlaceILin1ELin1ELi32ELi4EilmEEvNS_4cuda6detail10TensorInfoIT3_T5_EES6_S6_S6_NS4_IT4_S6_EES6_b.has_dyn_sized_stack, 0
	.set _ZN2at6native18radixSortKVInPlaceILin1ELin1ELi32ELi4EilmEEvNS_4cuda6detail10TensorInfoIT3_T5_EES6_S6_S6_NS4_IT4_S6_EES6_b.has_recursion, 0
	.set _ZN2at6native18radixSortKVInPlaceILin1ELin1ELi32ELi4EilmEEvNS_4cuda6detail10TensorInfoIT3_T5_EES6_S6_S6_NS4_IT4_S6_EES6_b.has_indirect_call, 0
	.section	.AMDGPU.csdata,"",@progbits
; Kernel info:
; codeLenInByte = 10956
; TotalNumSgprs: 38
; NumVgprs: 72
; ScratchSize: 0
; MemoryBound: 0
; FloatMode: 240
; IeeeMode: 1
; LDSByteSize: 1056 bytes/workgroup (compile time only)
; SGPRBlocks: 0
; VGPRBlocks: 8
; NumSGPRsForWavesPerEU: 38
; NumVGPRsForWavesPerEU: 72
; Occupancy: 16
; WaveLimiterHint : 1
; COMPUTE_PGM_RSRC2:SCRATCH_EN: 0
; COMPUTE_PGM_RSRC2:USER_SGPR: 2
; COMPUTE_PGM_RSRC2:TRAP_HANDLER: 0
; COMPUTE_PGM_RSRC2:TGID_X_EN: 1
; COMPUTE_PGM_RSRC2:TGID_Y_EN: 1
; COMPUTE_PGM_RSRC2:TGID_Z_EN: 1
; COMPUTE_PGM_RSRC2:TIDIG_COMP_CNT: 2
	.section	.text._ZN2at6native18radixSortKVInPlaceILin1ELin1ELi16ELi2EilmEEvNS_4cuda6detail10TensorInfoIT3_T5_EES6_S6_S6_NS4_IT4_S6_EES6_b,"axG",@progbits,_ZN2at6native18radixSortKVInPlaceILin1ELin1ELi16ELi2EilmEEvNS_4cuda6detail10TensorInfoIT3_T5_EES6_S6_S6_NS4_IT4_S6_EES6_b,comdat
	.protected	_ZN2at6native18radixSortKVInPlaceILin1ELin1ELi16ELi2EilmEEvNS_4cuda6detail10TensorInfoIT3_T5_EES6_S6_S6_NS4_IT4_S6_EES6_b ; -- Begin function _ZN2at6native18radixSortKVInPlaceILin1ELin1ELi16ELi2EilmEEvNS_4cuda6detail10TensorInfoIT3_T5_EES6_S6_S6_NS4_IT4_S6_EES6_b
	.globl	_ZN2at6native18radixSortKVInPlaceILin1ELin1ELi16ELi2EilmEEvNS_4cuda6detail10TensorInfoIT3_T5_EES6_S6_S6_NS4_IT4_S6_EES6_b
	.p2align	8
	.type	_ZN2at6native18radixSortKVInPlaceILin1ELin1ELi16ELi2EilmEEvNS_4cuda6detail10TensorInfoIT3_T5_EES6_S6_S6_NS4_IT4_S6_EES6_b,@function
_ZN2at6native18radixSortKVInPlaceILin1ELin1ELi16ELi2EilmEEvNS_4cuda6detail10TensorInfoIT3_T5_EES6_S6_S6_NS4_IT4_S6_EES6_b: ; @_ZN2at6native18radixSortKVInPlaceILin1ELin1ELi16ELi2EilmEEvNS_4cuda6detail10TensorInfoIT3_T5_EES6_S6_S6_NS4_IT4_S6_EES6_b
; %bb.0:
	s_clause 0x1
	s_load_b64 s[2:3], s[0:1], 0x368
	s_load_b128 s[4:7], s[0:1], 0x1a0
	s_wait_kmcnt 0x0
	s_lshr_b32 s7, ttmp7, 16
	s_and_b32 s8, ttmp7, 0xffff
	s_mul_i32 s3, s3, s7
	s_delay_alu instid0(SALU_CYCLE_1) | instskip(NEXT) | instid1(SALU_CYCLE_1)
	s_add_co_i32 s3, s3, s8
	s_mul_i32 s2, s3, s2
	s_mov_b32 s3, 0
	s_add_co_i32 s2, s2, ttmp9
	s_delay_alu instid0(SALU_CYCLE_1)
	v_cmp_le_u64_e64 s4, s[4:5], s[2:3]
	s_and_b32 vcc_lo, exec_lo, s4
	s_cbranch_vccnz .LBB139_68
; %bb.1:
	s_clause 0x1
	s_load_b32 s7, s[0:1], 0x198
	s_load_b64 s[16:17], s[0:1], 0x1b0
	s_mov_b64 s[4:5], 0
	s_mov_b64 s[10:11], s[2:3]
	s_wait_kmcnt 0x0
	s_cmp_lt_i32 s7, 2
	s_cbranch_scc1 .LBB139_9
; %bb.2:
	s_mov_b32 s8, 0
	s_add_co_i32 s4, s7, -1
	s_mov_b32 s5, s8
	s_add_co_i32 s7, s7, 1
	s_wait_alu 0xfffe
	s_lshl_b64 s[4:5], s[4:5], 3
	s_mov_b64 s[14:15], s[2:3]
	s_wait_alu 0xfffe
	s_add_nc_u64 s[10:11], s[0:1], s[4:5]
	s_mov_b64 s[4:5], 0
	s_add_nc_u64 s[12:13], s[10:11], 8
.LBB139_3:                              ; =>This Inner Loop Header: Depth=1
	s_load_b64 s[18:19], s[12:13], 0x0
	s_wait_kmcnt 0x0
	s_or_b64 s[10:11], s[14:15], s[18:19]
	s_delay_alu instid0(SALU_CYCLE_1)
	s_mov_b32 s9, s11
                                        ; implicit-def: $sgpr10_sgpr11
	s_wait_alu 0xfffe
	s_cmp_lg_u64 s[8:9], 0
	s_mov_b32 s9, -1
	s_cbranch_scc0 .LBB139_5
; %bb.4:                                ;   in Loop: Header=BB139_3 Depth=1
	s_cvt_f32_u32 s9, s18
	s_cvt_f32_u32 s10, s19
	s_sub_nc_u64 s[20:21], 0, s[18:19]
	s_mov_b32 s23, s8
	s_mov_b32 s27, s8
	s_wait_alu 0xfffe
	s_fmamk_f32 s9, s10, 0x4f800000, s9
	s_wait_alu 0xfffe
	s_delay_alu instid0(SALU_CYCLE_2) | instskip(NEXT) | instid1(TRANS32_DEP_1)
	v_s_rcp_f32 s9, s9
	s_mul_f32 s9, s9, 0x5f7ffffc
	s_wait_alu 0xfffe
	s_delay_alu instid0(SALU_CYCLE_2) | instskip(NEXT) | instid1(SALU_CYCLE_3)
	s_mul_f32 s10, s9, 0x2f800000
	s_trunc_f32 s10, s10
	s_delay_alu instid0(SALU_CYCLE_3) | instskip(SKIP_2) | instid1(SALU_CYCLE_1)
	s_fmamk_f32 s9, s10, 0xcf800000, s9
	s_cvt_u32_f32 s11, s10
	s_wait_alu 0xfffe
	s_cvt_u32_f32 s10, s9
	s_delay_alu instid0(SALU_CYCLE_3) | instskip(NEXT) | instid1(SALU_CYCLE_1)
	s_mul_u64 s[24:25], s[20:21], s[10:11]
	s_mul_hi_u32 s29, s10, s25
	s_mul_i32 s28, s10, s25
	s_mul_hi_u32 s22, s10, s24
	s_mul_i32 s26, s11, s24
	s_add_nc_u64 s[22:23], s[22:23], s[28:29]
	s_mul_hi_u32 s9, s11, s24
	s_mul_hi_u32 s30, s11, s25
	s_add_co_u32 s22, s22, s26
	s_wait_alu 0xfffe
	s_add_co_ci_u32 s26, s23, s9
	s_mul_i32 s24, s11, s25
	s_add_co_ci_u32 s25, s30, 0
	s_delay_alu instid0(SALU_CYCLE_1)
	s_add_nc_u64 s[22:23], s[26:27], s[24:25]
	s_mov_b32 s25, s8
	s_add_co_u32 s10, s10, s22
	s_cselect_b32 s9, -1, 0
	s_wait_alu 0xfffe
	s_cmp_lg_u32 s9, 0
	s_add_co_ci_u32 s11, s11, s23
	s_mov_b32 s23, s8
	s_mul_u64 s[20:21], s[20:21], s[10:11]
	s_delay_alu instid0(SALU_CYCLE_1)
	s_mul_hi_u32 s27, s10, s21
	s_mul_i32 s26, s10, s21
	s_mul_hi_u32 s22, s10, s20
	s_mul_i32 s24, s11, s20
	s_add_nc_u64 s[22:23], s[22:23], s[26:27]
	s_mul_hi_u32 s9, s11, s20
	s_mul_hi_u32 s28, s11, s21
	s_mul_i32 s20, s11, s21
	s_add_co_u32 s21, s22, s24
	s_wait_alu 0xfffe
	s_add_co_ci_u32 s24, s23, s9
	s_add_co_ci_u32 s21, s28, 0
	s_mov_b32 s23, s8
	s_add_nc_u64 s[20:21], s[24:25], s[20:21]
	s_delay_alu instid0(SALU_CYCLE_1)
	s_add_co_u32 s9, s10, s20
	s_cselect_b32 s10, -1, 0
	s_wait_alu 0xfffe
	s_mul_hi_u32 s22, s14, s9
	s_cmp_lg_u32 s10, 0
	s_mul_hi_u32 s24, s15, s9
	s_add_co_ci_u32 s20, s11, s21
	s_mul_i32 s9, s15, s9
	s_mul_hi_u32 s11, s14, s20
	s_mul_i32 s10, s14, s20
	s_mul_hi_u32 s21, s15, s20
	s_add_nc_u64 s[10:11], s[22:23], s[10:11]
	s_mul_i32 s20, s15, s20
	s_wait_alu 0xfffe
	s_add_co_u32 s9, s10, s9
	s_add_co_ci_u32 s24, s11, s24
	s_add_co_ci_u32 s21, s21, 0
	s_delay_alu instid0(SALU_CYCLE_1) | instskip(NEXT) | instid1(SALU_CYCLE_1)
	s_add_nc_u64 s[10:11], s[24:25], s[20:21]
	s_mul_u64 s[20:21], s[18:19], s[10:11]
	s_delay_alu instid0(SALU_CYCLE_1)
	s_sub_co_u32 s9, s14, s20
	s_cselect_b32 s20, -1, 0
	s_sub_co_i32 s22, s15, s21
	s_cmp_lg_u32 s20, 0
	s_sub_co_ci_u32 s22, s22, s19
	s_wait_alu 0xfffe
	s_sub_co_u32 s23, s9, s18
	s_cselect_b32 s24, -1, 0
	s_delay_alu instid0(SALU_CYCLE_1) | instskip(SKIP_1) | instid1(SALU_CYCLE_1)
	s_cmp_lg_u32 s24, 0
	s_sub_co_ci_u32 s22, s22, 0
	s_cmp_ge_u32 s22, s19
	s_cselect_b32 s24, -1, 0
	s_cmp_ge_u32 s23, s18
	s_cselect_b32 s25, -1, 0
	s_cmp_eq_u32 s22, s19
	s_add_nc_u64 s[22:23], s[10:11], 1
	s_cselect_b32 s26, s25, s24
	s_add_nc_u64 s[24:25], s[10:11], 2
	s_cmp_lg_u32 s26, 0
	s_cselect_b32 s22, s24, s22
	s_cselect_b32 s23, s25, s23
	s_cmp_lg_u32 s20, 0
	s_sub_co_ci_u32 s20, s15, s21
	s_delay_alu instid0(SALU_CYCLE_1)
	s_cmp_ge_u32 s20, s19
	s_cselect_b32 s21, -1, 0
	s_cmp_ge_u32 s9, s18
	s_cselect_b32 s9, -1, 0
	s_cmp_eq_u32 s20, s19
	s_wait_alu 0xfffe
	s_cselect_b32 s9, s9, s21
	s_wait_alu 0xfffe
	s_cmp_lg_u32 s9, 0
	s_mov_b32 s9, 0
	s_cselect_b32 s11, s23, s11
	s_cselect_b32 s10, s22, s10
.LBB139_5:                              ;   in Loop: Header=BB139_3 Depth=1
	s_wait_alu 0xfffe
	s_and_not1_b32 vcc_lo, exec_lo, s9
	s_cbranch_vccnz .LBB139_7
; %bb.6:                                ;   in Loop: Header=BB139_3 Depth=1
	v_cvt_f32_u32_e32 v1, s18
	s_sub_co_i32 s10, 0, s18
	s_delay_alu instid0(VALU_DEP_1) | instskip(NEXT) | instid1(TRANS32_DEP_1)
	v_rcp_iflag_f32_e32 v1, v1
	v_mul_f32_e32 v1, 0x4f7ffffe, v1
	s_delay_alu instid0(VALU_DEP_1) | instskip(NEXT) | instid1(VALU_DEP_1)
	v_cvt_u32_f32_e32 v1, v1
	v_readfirstlane_b32 s9, v1
	s_mul_i32 s10, s10, s9
	s_delay_alu instid0(SALU_CYCLE_1) | instskip(NEXT) | instid1(SALU_CYCLE_1)
	s_mul_hi_u32 s10, s9, s10
	s_add_co_i32 s9, s9, s10
	s_wait_alu 0xfffe
	s_mul_hi_u32 s9, s14, s9
	s_wait_alu 0xfffe
	s_mul_i32 s10, s9, s18
	s_add_co_i32 s11, s9, 1
	s_sub_co_i32 s10, s14, s10
	s_delay_alu instid0(SALU_CYCLE_1)
	s_sub_co_i32 s20, s10, s18
	s_cmp_ge_u32 s10, s18
	s_cselect_b32 s9, s11, s9
	s_cselect_b32 s10, s20, s10
	s_wait_alu 0xfffe
	s_add_co_i32 s11, s9, 1
	s_cmp_ge_u32 s10, s18
	s_cselect_b32 s10, s11, s9
	s_mov_b32 s11, s8
.LBB139_7:                              ;   in Loop: Header=BB139_3 Depth=1
	s_load_b64 s[20:21], s[12:13], 0xc8
	s_mul_u64 s[18:19], s[10:11], s[18:19]
	s_add_co_i32 s7, s7, -1
	s_wait_alu 0xfffe
	s_sub_nc_u64 s[14:15], s[14:15], s[18:19]
	s_cmp_gt_u32 s7, 2
	s_add_nc_u64 s[12:13], s[12:13], -8
	s_wait_kmcnt 0x0
	s_mul_u64 s[14:15], s[20:21], s[14:15]
	s_delay_alu instid0(SALU_CYCLE_1)
	s_add_nc_u64 s[4:5], s[14:15], s[4:5]
	s_cbranch_scc0 .LBB139_9
; %bb.8:                                ;   in Loop: Header=BB139_3 Depth=1
	s_mov_b64 s[14:15], s[10:11]
	s_branch .LBB139_3
.LBB139_9:
	s_load_b32 s7, s[0:1], 0x350
	s_mov_b64 s[8:9], 0
	s_wait_kmcnt 0x0
	s_cmp_lt_i32 s7, 2
	s_cbranch_scc1 .LBB139_17
; %bb.10:
	s_mov_b32 s12, 0
	s_add_co_i32 s8, s7, -1
	s_mov_b32 s9, s12
	s_add_co_i32 s7, s7, 1
	s_wait_alu 0xfffe
	s_lshl_b64 s[8:9], s[8:9], 3
	s_wait_alu 0xfffe
	s_add_nc_u64 s[8:9], s[0:1], s[8:9]
	s_wait_alu 0xfffe
	s_add_nc_u64 s[14:15], s[8:9], 0x1c0
	s_mov_b64 s[8:9], 0
.LBB139_11:                             ; =>This Inner Loop Header: Depth=1
	s_load_b64 s[18:19], s[14:15], 0x0
                                        ; implicit-def: $sgpr22_sgpr23
	s_wait_kmcnt 0x0
	s_or_b64 s[20:21], s[2:3], s[18:19]
	s_delay_alu instid0(SALU_CYCLE_1)
	s_mov_b32 s13, s21
	s_wait_alu 0xfffe
	s_cmp_lg_u64 s[12:13], 0
	s_mov_b32 s13, -1
	s_cbranch_scc0 .LBB139_13
; %bb.12:                               ;   in Loop: Header=BB139_11 Depth=1
	s_cvt_f32_u32 s13, s18
	s_cvt_f32_u32 s20, s19
	s_sub_nc_u64 s[22:23], 0, s[18:19]
	s_mov_b32 s25, s12
	s_mov_b32 s29, s12
	s_wait_alu 0xfffe
	s_fmamk_f32 s13, s20, 0x4f800000, s13
	s_wait_alu 0xfffe
	s_delay_alu instid0(SALU_CYCLE_2) | instskip(NEXT) | instid1(TRANS32_DEP_1)
	v_s_rcp_f32 s13, s13
	s_mul_f32 s13, s13, 0x5f7ffffc
	s_wait_alu 0xfffe
	s_delay_alu instid0(SALU_CYCLE_2) | instskip(NEXT) | instid1(SALU_CYCLE_3)
	s_mul_f32 s20, s13, 0x2f800000
	s_trunc_f32 s20, s20
	s_delay_alu instid0(SALU_CYCLE_3) | instskip(SKIP_2) | instid1(SALU_CYCLE_1)
	s_fmamk_f32 s13, s20, 0xcf800000, s13
	s_cvt_u32_f32 s21, s20
	s_wait_alu 0xfffe
	s_cvt_u32_f32 s20, s13
	s_delay_alu instid0(SALU_CYCLE_3) | instskip(NEXT) | instid1(SALU_CYCLE_1)
	s_mul_u64 s[26:27], s[22:23], s[20:21]
	s_mul_hi_u32 s31, s20, s27
	s_mul_i32 s30, s20, s27
	s_mul_hi_u32 s24, s20, s26
	s_mul_i32 s28, s21, s26
	s_add_nc_u64 s[24:25], s[24:25], s[30:31]
	s_mul_hi_u32 s13, s21, s26
	s_mul_hi_u32 s33, s21, s27
	s_add_co_u32 s24, s24, s28
	s_wait_alu 0xfffe
	s_add_co_ci_u32 s28, s25, s13
	s_mul_i32 s26, s21, s27
	s_add_co_ci_u32 s27, s33, 0
	s_delay_alu instid0(SALU_CYCLE_1)
	s_add_nc_u64 s[24:25], s[28:29], s[26:27]
	s_mov_b32 s27, s12
	s_add_co_u32 s20, s20, s24
	s_cselect_b32 s13, -1, 0
	s_wait_alu 0xfffe
	s_cmp_lg_u32 s13, 0
	s_add_co_ci_u32 s21, s21, s25
	s_mov_b32 s25, s12
	s_mul_u64 s[22:23], s[22:23], s[20:21]
	s_delay_alu instid0(SALU_CYCLE_1)
	s_mul_hi_u32 s29, s20, s23
	s_mul_i32 s28, s20, s23
	s_mul_hi_u32 s24, s20, s22
	s_mul_i32 s26, s21, s22
	s_add_nc_u64 s[24:25], s[24:25], s[28:29]
	s_mul_hi_u32 s13, s21, s22
	s_mul_hi_u32 s30, s21, s23
	s_mul_i32 s22, s21, s23
	s_add_co_u32 s23, s24, s26
	s_wait_alu 0xfffe
	s_add_co_ci_u32 s26, s25, s13
	s_add_co_ci_u32 s23, s30, 0
	s_mov_b32 s25, s12
	s_add_nc_u64 s[22:23], s[26:27], s[22:23]
	s_delay_alu instid0(SALU_CYCLE_1)
	s_add_co_u32 s13, s20, s22
	s_cselect_b32 s20, -1, 0
	s_wait_alu 0xfffe
	s_mul_hi_u32 s24, s2, s13
	s_cmp_lg_u32 s20, 0
	s_mul_hi_u32 s26, s3, s13
	s_add_co_ci_u32 s22, s21, s23
	s_mul_i32 s13, s3, s13
	s_mul_hi_u32 s21, s2, s22
	s_mul_i32 s20, s2, s22
	s_mul_hi_u32 s23, s3, s22
	s_add_nc_u64 s[20:21], s[24:25], s[20:21]
	s_mul_i32 s22, s3, s22
	s_wait_alu 0xfffe
	s_add_co_u32 s13, s20, s13
	s_add_co_ci_u32 s26, s21, s26
	s_add_co_ci_u32 s23, s23, 0
	s_delay_alu instid0(SALU_CYCLE_1) | instskip(NEXT) | instid1(SALU_CYCLE_1)
	s_add_nc_u64 s[20:21], s[26:27], s[22:23]
	s_mul_u64 s[22:23], s[18:19], s[20:21]
	s_delay_alu instid0(SALU_CYCLE_1)
	s_sub_co_u32 s13, s2, s22
	s_cselect_b32 s22, -1, 0
	s_sub_co_i32 s24, s3, s23
	s_cmp_lg_u32 s22, 0
	s_sub_co_ci_u32 s24, s24, s19
	s_wait_alu 0xfffe
	s_sub_co_u32 s25, s13, s18
	s_cselect_b32 s26, -1, 0
	s_delay_alu instid0(SALU_CYCLE_1) | instskip(SKIP_1) | instid1(SALU_CYCLE_1)
	s_cmp_lg_u32 s26, 0
	s_sub_co_ci_u32 s24, s24, 0
	s_cmp_ge_u32 s24, s19
	s_cselect_b32 s26, -1, 0
	s_cmp_ge_u32 s25, s18
	s_cselect_b32 s27, -1, 0
	s_cmp_eq_u32 s24, s19
	s_add_nc_u64 s[24:25], s[20:21], 1
	s_cselect_b32 s28, s27, s26
	s_add_nc_u64 s[26:27], s[20:21], 2
	s_cmp_lg_u32 s28, 0
	s_cselect_b32 s24, s26, s24
	s_cselect_b32 s25, s27, s25
	s_cmp_lg_u32 s22, 0
	s_sub_co_ci_u32 s22, s3, s23
	s_delay_alu instid0(SALU_CYCLE_1)
	s_cmp_ge_u32 s22, s19
	s_cselect_b32 s23, -1, 0
	s_cmp_ge_u32 s13, s18
	s_cselect_b32 s13, -1, 0
	s_cmp_eq_u32 s22, s19
	s_wait_alu 0xfffe
	s_cselect_b32 s13, s13, s23
	s_wait_alu 0xfffe
	s_cmp_lg_u32 s13, 0
	s_mov_b32 s13, 0
	s_cselect_b32 s23, s25, s21
	s_cselect_b32 s22, s24, s20
.LBB139_13:                             ;   in Loop: Header=BB139_11 Depth=1
	s_wait_alu 0xfffe
	s_and_not1_b32 vcc_lo, exec_lo, s13
	s_cbranch_vccnz .LBB139_15
; %bb.14:                               ;   in Loop: Header=BB139_11 Depth=1
	v_cvt_f32_u32_e32 v1, s18
	s_sub_co_i32 s20, 0, s18
	s_mov_b32 s23, s12
	s_delay_alu instid0(VALU_DEP_1) | instskip(NEXT) | instid1(TRANS32_DEP_1)
	v_rcp_iflag_f32_e32 v1, v1
	v_mul_f32_e32 v1, 0x4f7ffffe, v1
	s_delay_alu instid0(VALU_DEP_1) | instskip(NEXT) | instid1(VALU_DEP_1)
	v_cvt_u32_f32_e32 v1, v1
	v_readfirstlane_b32 s13, v1
	s_mul_i32 s20, s20, s13
	s_delay_alu instid0(SALU_CYCLE_1) | instskip(NEXT) | instid1(SALU_CYCLE_1)
	s_mul_hi_u32 s20, s13, s20
	s_add_co_i32 s13, s13, s20
	s_wait_alu 0xfffe
	s_mul_hi_u32 s13, s2, s13
	s_wait_alu 0xfffe
	s_mul_i32 s20, s13, s18
	s_add_co_i32 s21, s13, 1
	s_sub_co_i32 s20, s2, s20
	s_delay_alu instid0(SALU_CYCLE_1)
	s_sub_co_i32 s22, s20, s18
	s_cmp_ge_u32 s20, s18
	s_cselect_b32 s13, s21, s13
	s_cselect_b32 s20, s22, s20
	s_wait_alu 0xfffe
	s_add_co_i32 s21, s13, 1
	s_cmp_ge_u32 s20, s18
	s_cselect_b32 s22, s21, s13
.LBB139_15:                             ;   in Loop: Header=BB139_11 Depth=1
	s_load_b64 s[20:21], s[14:15], 0xc8
	s_mul_u64 s[18:19], s[22:23], s[18:19]
	s_add_co_i32 s7, s7, -1
	s_wait_alu 0xfffe
	s_sub_nc_u64 s[2:3], s[2:3], s[18:19]
	s_cmp_gt_u32 s7, 2
	s_add_nc_u64 s[14:15], s[14:15], -8
	s_wait_kmcnt 0x0
	s_wait_alu 0xfffe
	s_mul_u64 s[2:3], s[20:21], s[2:3]
	s_wait_alu 0xfffe
	s_add_nc_u64 s[8:9], s[2:3], s[8:9]
	s_cbranch_scc0 .LBB139_18
; %bb.16:                               ;   in Loop: Header=BB139_11 Depth=1
	s_mov_b64 s[2:3], s[22:23]
	s_branch .LBB139_11
.LBB139_17:
	s_mov_b64 s[22:23], s[2:3]
.LBB139_18:
	s_clause 0x2
	s_load_b64 s[2:3], s[0:1], 0xd0
	s_load_b32 s7, s[0:1], 0x360
	s_load_b64 s[12:13], s[0:1], 0x0
	s_wait_kmcnt 0x0
	s_mul_u64 s[14:15], s[2:3], s[10:11]
	s_bitcmp1_b32 s7, 0
	s_brev_b32 s3, 1
	s_cselect_b32 s7, -1, 0
	v_cmp_gt_u32_e64 s2, s6, v0
	s_and_b32 s10, s7, exec_lo
	s_wait_alu 0xfffe
	s_cselect_b32 s10, s3, 0x7fffffff
	s_lshl_b64 s[14:15], s[14:15], 2
	s_mov_b32 s11, s10
	s_delay_alu instid0(SALU_CYCLE_1)
	v_dual_mov_b32 v1, s10 :: v_dual_mov_b32 v2, s11
	s_add_nc_u64 s[12:13], s[12:13], s[14:15]
	s_lshl_b64 s[4:5], s[4:5], 2
	s_wait_alu 0xfffe
	s_add_nc_u64 s[20:21], s[12:13], s[4:5]
	s_and_saveexec_b32 s3, s2
	s_cbranch_execz .LBB139_20
; %bb.19:
	v_mad_co_u64_u32 v[1:2], null, s16, v0, 0
	s_delay_alu instid0(VALU_DEP_1) | instskip(NEXT) | instid1(VALU_DEP_1)
	v_mad_co_u64_u32 v[2:3], null, s17, v0, v[2:3]
	v_lshlrev_b64_e32 v[1:2], 2, v[1:2]
	s_delay_alu instid0(VALU_DEP_1) | instskip(NEXT) | instid1(VALU_DEP_1)
	v_add_co_u32 v1, vcc_lo, s20, v1
	v_add_co_ci_u32_e64 v2, null, s21, v2, vcc_lo
	global_load_b32 v1, v[1:2], off
	v_mov_b32_e32 v2, s10
.LBB139_20:
	s_wait_alu 0xfffe
	s_or_b32 exec_lo, exec_lo, s3
	s_clause 0x1
	s_load_b64 s[10:11], s[0:1], 0x288
	s_load_b64 s[4:5], s[0:1], 0x1b8
	v_or_b32_e32 v5, 16, v0
	s_delay_alu instid0(VALU_DEP_1)
	v_cmp_gt_u32_e64 s3, s6, v5
	s_and_saveexec_b32 s6, s3
	s_cbranch_execz .LBB139_22
; %bb.21:
	v_mad_co_u64_u32 v[2:3], null, s16, v5, 0
	s_delay_alu instid0(VALU_DEP_1) | instskip(NEXT) | instid1(VALU_DEP_1)
	v_mad_co_u64_u32 v[3:4], null, s17, v5, v[3:4]
	v_lshlrev_b64_e32 v[2:3], 2, v[2:3]
	s_delay_alu instid0(VALU_DEP_1) | instskip(SKIP_1) | instid1(VALU_DEP_2)
	v_add_co_u32 v2, vcc_lo, s20, v2
	s_wait_alu 0xfffd
	v_add_co_ci_u32_e64 v3, null, s21, v3, vcc_lo
	global_load_b32 v2, v[2:3], off
.LBB139_22:
	s_wait_alu 0xfffe
	s_or_b32 exec_lo, exec_lo, s6
	v_lshlrev_b32_e32 v20, 2, v0
	v_lshlrev_b32_e32 v19, 3, v0
	s_load_b64 s[18:19], s[0:1], 0x358
	s_wait_kmcnt 0x0
	s_mul_u64 s[0:1], s[10:11], s[22:23]
	s_delay_alu instid0(SALU_CYCLE_1)
	s_lshl_b64 s[0:1], s[0:1], 3
	s_wait_loadcnt 0x0
	ds_store_2addr_b32 v20, v1, v2 offset1:16
	v_mov_b32_e32 v1, 0
	v_mov_b32_e32 v3, 0
	s_wait_dscnt 0x0
	; wave barrier
	global_inv scope:SCOPE_SE
	v_mov_b32_e32 v4, 0
	ds_load_2addr_b32 v[13:14], v19 offset1:1
	v_mov_b32_e32 v2, v1
	s_add_nc_u64 s[0:1], s[4:5], s[0:1]
	s_lshl_b64 s[4:5], s[8:9], 3
	s_wait_loadcnt_dscnt 0x0
	s_wait_alu 0xfffe
	s_add_nc_u64 s[22:23], s[0:1], s[4:5]
	; wave barrier
	global_inv scope:SCOPE_SE
	s_and_saveexec_b32 s0, s2
	s_cbranch_execz .LBB139_24
; %bb.23:
	v_mad_co_u64_u32 v[2:3], null, s18, v0, 0
	s_delay_alu instid0(VALU_DEP_1) | instskip(NEXT) | instid1(VALU_DEP_1)
	v_mad_co_u64_u32 v[3:4], null, s19, v0, v[3:4]
	v_lshlrev_b64_e32 v[2:3], 3, v[2:3]
	s_delay_alu instid0(VALU_DEP_1) | instskip(SKIP_1) | instid1(VALU_DEP_2)
	v_add_co_u32 v2, vcc_lo, s22, v2
	s_wait_alu 0xfffd
	v_add_co_ci_u32_e64 v3, null, s23, v3, vcc_lo
	global_load_b64 v[3:4], v[2:3], off
	v_mov_b32_e32 v2, v1
.LBB139_24:
	s_or_b32 exec_lo, exec_lo, s0
	v_lshlrev_b32_e32 v6, 1, v0
	s_xor_b32 s8, s7, -1
	s_and_saveexec_b32 s0, s3
	s_cbranch_execz .LBB139_26
; %bb.25:
	v_mad_co_u64_u32 v[1:2], null, s18, v5, 0
	s_wait_loadcnt 0x0
	s_delay_alu instid0(VALU_DEP_1) | instskip(NEXT) | instid1(VALU_DEP_1)
	v_mad_co_u64_u32 v[7:8], null, s19, v5, v[2:3]
	v_mov_b32_e32 v2, v7
	s_delay_alu instid0(VALU_DEP_1) | instskip(NEXT) | instid1(VALU_DEP_1)
	v_lshlrev_b64_e32 v[1:2], 3, v[1:2]
	v_add_co_u32 v1, vcc_lo, s22, v1
	s_wait_alu 0xfffd
	s_delay_alu instid0(VALU_DEP_2)
	v_add_co_ci_u32_e64 v2, null, s23, v2, vcc_lo
	global_load_b64 v[1:2], v[1:2], off
.LBB139_26:
	s_or_b32 exec_lo, exec_lo, s0
	v_lshlrev_b32_e32 v5, 2, v6
	v_mbcnt_lo_u32_b32 v6, -1, 0
	s_getpc_b64 s[0:1]
	s_sext_i32_i16 s1, s1
	s_add_co_u32 s0, s0, _ZN7rocprim17ROCPRIM_400000_NS16block_radix_sortIiLj16ELj2ElLj1ELj1ELj0ELNS0_26block_radix_rank_algorithmE1ELNS0_18block_padding_hintE2ELNS0_4arch9wavefront6targetE0EE19radix_bits_per_passE@rel32@lo+8
	s_add_co_ci_u32 s1, s1, _ZN7rocprim17ROCPRIM_400000_NS16block_radix_sortIiLj16ELj2ElLj1ELj1ELj0ELNS0_26block_radix_rank_algorithmE1ELNS0_18block_padding_hintE2ELNS0_4arch9wavefront6targetE0EE19radix_bits_per_passE@rel32@hi+16
	v_lshlrev_b32_e32 v25, 5, v0
	s_load_b32 s15, s[0:1], 0x0
	v_add_nc_u32_e32 v22, v19, v5
	v_sub_co_u32 v7, s24, v6, 1
	v_and_b32_e32 v8, 16, v6
	v_and_b32_e32 v5, 15, v6
	v_mad_i32_i24 v24, 0xffffffe8, v0, v25
	v_cmp_gt_u32_e64 s0, 0x80, v0
	v_cmp_eq_u32_e64 s7, 15, v0
	v_cmp_lt_i32_e32 vcc_lo, v7, v8
	v_add_nc_u32_e32 v21, v20, v20
	v_cmp_eq_u32_e64 s1, 0, v5
	v_cmp_lt_u32_e64 s4, 1, v5
	v_cmp_lt_u32_e64 s5, 3, v5
	s_wait_alu 0xfffd
	v_cndmask_b32_e32 v6, v7, v6, vcc_lo
	s_wait_loadcnt 0x0
	ds_store_b64 v21, v[3:4]
	ds_store_b64 v19, v[1:2] offset:128
	s_wait_dscnt 0x0
	; wave barrier
	global_inv scope:SCOPE_SE
	ds_load_2addr_b64 v[1:4], v22 offset1:1
	v_cmp_lt_u32_e64 s6, 7, v5
	v_lshlrev_b32_e32 v26, 2, v6
	v_lshl_add_u32 v23, v0, 3, v24
	s_and_b32 vcc_lo, exec_lo, s8
	v_cmp_gt_u32_e64 s8, 0x70, v0
	v_cmp_gt_u32_e64 s9, 0x60, v0
	;; [unrolled: 1-line block ×7, first 2 shown]
	s_mov_b32 s25, -1
	; wave barrier
	s_wait_loadcnt_dscnt 0x0
	global_inv scope:SCOPE_SE
	s_wait_alu 0xfffe
	s_cbranch_vccz .LBB139_42
; %bb.27:
	v_mov_b32_e32 v6, v2
	v_mov_b32_e32 v8, v4
	v_xor_b32_e32 v9, 0x80000000, v13
	v_xor_b32_e32 v10, 0x80000000, v14
	v_dual_mov_b32 v28, 0 :: v_dual_mov_b32 v5, v1
	v_dual_mov_b32 v30, 0 :: v_dual_mov_b32 v7, v3
	s_mov_b32 s25, 32
	s_branch .LBB139_29
.LBB139_28:                             ;   in Loop: Header=BB139_29 Depth=1
	s_wait_alu 0xfffe
	s_and_not1_b32 vcc_lo, exec_lo, s27
	s_mov_b32 s25, s26
	s_wait_alu 0xfffe
	s_cbranch_vccz .LBB139_43
.LBB139_29:                             ; =>This Inner Loop Header: Depth=1
	v_dual_mov_b32 v27, v10 :: v_dual_mov_b32 v16, v8
	v_dual_mov_b32 v29, v9 :: v_dual_mov_b32 v18, v6
	v_mov_b32_e32 v15, v7
	v_mov_b32_e32 v17, v5
	s_and_saveexec_b32 s26, s0
	s_cbranch_execz .LBB139_38
; %bb.30:                               ;   in Loop: Header=BB139_29 Depth=1
	ds_store_b32 v20, v28
	s_and_b32 exec_lo, exec_lo, s8
	s_cbranch_execz .LBB139_38
; %bb.31:                               ;   in Loop: Header=BB139_29 Depth=1
	ds_store_b32 v20, v28 offset:64
	s_and_b32 exec_lo, exec_lo, s9
	s_cbranch_execz .LBB139_38
; %bb.32:                               ;   in Loop: Header=BB139_29 Depth=1
	ds_store_b32 v20, v28 offset:128
	;; [unrolled: 4-line block ×6, first 2 shown]
	s_and_b32 exec_lo, exec_lo, s14
; %bb.37:                               ;   in Loop: Header=BB139_29 Depth=1
	ds_store_b32 v20, v28 offset:448
.LBB139_38:                             ;   in Loop: Header=BB139_29 Depth=1
	s_wait_alu 0xfffe
	s_or_b32 exec_lo, exec_lo, s26
	s_wait_kmcnt 0x0
	s_min_u32 s26, s15, s25
	v_lshrrev_b32_e32 v5, v30, v29
	s_wait_alu 0xfffe
	s_lshl_b32 s26, -1, s26
	s_wait_alu 0xfffe
	s_not_b32 s26, s26
	s_wait_alu 0xfffe
	v_and_b32_e32 v5, s26, v5
	s_delay_alu instid0(VALU_DEP_1) | instskip(SKIP_1) | instid1(VALU_DEP_2)
	v_lshlrev_b32_e32 v6, 4, v5
	v_lshrrev_b32_e32 v5, 2, v5
	v_and_or_b32 v6, 0x70, v6, v0
	s_delay_alu instid0(VALU_DEP_2) | instskip(NEXT) | instid1(VALU_DEP_1)
	v_and_b32_e32 v5, 0x1ffffffe, v5
	v_lshl_add_u32 v32, v6, 2, v5
	v_lshrrev_b32_e32 v5, v30, v27
	ds_load_u16 v31, v32
	v_and_b32_e32 v5, s26, v5
	s_delay_alu instid0(VALU_DEP_1) | instskip(SKIP_1) | instid1(VALU_DEP_2)
	v_lshlrev_b32_e32 v6, 4, v5
	v_lshrrev_b32_e32 v5, 2, v5
	v_and_or_b32 v6, 0x70, v6, v0
	s_delay_alu instid0(VALU_DEP_2) | instskip(NEXT) | instid1(VALU_DEP_1)
	v_and_b32_e32 v5, 0x1ffffffe, v5
	v_lshl_add_u32 v33, v6, 2, v5
	s_wait_dscnt 0x0
	v_add_nc_u16 v7, v31, 1
	ds_store_b16 v32, v7
	ds_load_u16 v34, v33
	s_wait_dscnt 0x0
	v_add_nc_u16 v5, v34, 1
	ds_store_b16 v33, v5
	; wave barrier
	s_wait_loadcnt_dscnt 0x0
	global_inv scope:SCOPE_SE
	ds_load_b128 v[9:12], v25
	ds_load_b128 v[5:8], v25 offset:16
	s_wait_dscnt 0x1
	v_add_nc_u32_e32 v35, v10, v9
	s_delay_alu instid0(VALU_DEP_1) | instskip(SKIP_1) | instid1(VALU_DEP_1)
	v_add3_u32 v35, v35, v11, v12
	s_wait_dscnt 0x0
	v_add3_u32 v35, v35, v5, v6
	s_delay_alu instid0(VALU_DEP_1) | instskip(NEXT) | instid1(VALU_DEP_1)
	v_add3_u32 v8, v35, v7, v8
	v_mov_b32_dpp v35, v8 row_shr:1 row_mask:0xf bank_mask:0xf
	s_delay_alu instid0(VALU_DEP_1) | instskip(NEXT) | instid1(VALU_DEP_1)
	v_cndmask_b32_e64 v35, v35, 0, s1
	v_add_nc_u32_e32 v8, v35, v8
	s_delay_alu instid0(VALU_DEP_1) | instskip(NEXT) | instid1(VALU_DEP_1)
	v_mov_b32_dpp v35, v8 row_shr:2 row_mask:0xf bank_mask:0xf
	v_cndmask_b32_e64 v35, 0, v35, s4
	s_delay_alu instid0(VALU_DEP_1) | instskip(NEXT) | instid1(VALU_DEP_1)
	v_add_nc_u32_e32 v8, v8, v35
	v_mov_b32_dpp v35, v8 row_shr:4 row_mask:0xf bank_mask:0xf
	s_delay_alu instid0(VALU_DEP_1) | instskip(NEXT) | instid1(VALU_DEP_1)
	v_cndmask_b32_e64 v35, 0, v35, s5
	v_add_nc_u32_e32 v8, v8, v35
	s_delay_alu instid0(VALU_DEP_1) | instskip(NEXT) | instid1(VALU_DEP_1)
	v_mov_b32_dpp v35, v8 row_shr:8 row_mask:0xf bank_mask:0xf
	v_cndmask_b32_e64 v35, 0, v35, s6
	s_delay_alu instid0(VALU_DEP_1)
	v_add_nc_u32_e32 v8, v8, v35
	s_and_saveexec_b32 s26, s7
; %bb.39:                               ;   in Loop: Header=BB139_29 Depth=1
	ds_store_b32 v28, v8 offset:512
; %bb.40:                               ;   in Loop: Header=BB139_29 Depth=1
	s_wait_alu 0xfffe
	s_or_b32 exec_lo, exec_lo, s26
	ds_bpermute_b32 v8, v26, v8
	; wave barrier
	s_wait_loadcnt_dscnt 0x0
	global_inv scope:SCOPE_SE
	ds_load_b32 v35, v28 offset:512
	v_cmp_lt_u32_e32 vcc_lo, 27, v30
	v_readfirstlane_b32 s26, v0
	s_mov_b32 s27, -1
	s_and_b32 vcc_lo, exec_lo, vcc_lo
	v_cndmask_b32_e64 v8, v8, 0, s24
	s_wait_dscnt 0x0
	s_delay_alu instid0(VALU_DEP_1) | instskip(NEXT) | instid1(VALU_DEP_1)
	v_lshl_add_u32 v8, v35, 16, v8
	v_add_nc_u32_e32 v9, v8, v9
	s_delay_alu instid0(VALU_DEP_1) | instskip(NEXT) | instid1(VALU_DEP_1)
	v_add_nc_u32_e32 v10, v9, v10
	v_add_nc_u32_e32 v11, v10, v11
	s_delay_alu instid0(VALU_DEP_1) | instskip(NEXT) | instid1(VALU_DEP_1)
	v_add_nc_u32_e32 v35, v11, v12
	;; [unrolled: 3-line block ×3, first 2 shown]
	v_add_nc_u32_e32 v38, v37, v7
	v_and_b32_e32 v7, 0xffff, v31
	ds_store_b128 v25, v[8:11]
	ds_store_b128 v25, v[35:38] offset:16
	; wave barrier
	s_wait_loadcnt_dscnt 0x0
	global_inv scope:SCOPE_SE
	ds_load_u16 v5, v32
	ds_load_u16 v6, v33
	v_and_b32_e32 v8, 0xffff, v34
                                        ; implicit-def: $vgpr10
	s_wait_dscnt 0x1
	v_add_nc_u32_e32 v12, v5, v7
	s_wait_dscnt 0x0
	s_delay_alu instid0(VALU_DEP_2)
	v_add_nc_u32_e32 v11, v6, v8
                                        ; implicit-def: $vgpr7_vgpr8
	s_wait_alu 0xfffe
	s_cbranch_vccnz .LBB139_28
; %bb.41:                               ;   in Loop: Header=BB139_29 Depth=1
	v_lshlrev_b32_e32 v5, 2, v12
	s_delay_alu instid0(VALU_DEP_2)
	v_lshlrev_b32_e32 v6, 2, v11
	s_wait_loadcnt 0x0
	; wave barrier
	global_inv scope:SCOPE_SE
	v_add_nc_u32_e32 v30, 4, v30
	ds_store_b32 v5, v29
	ds_store_b32 v6, v27
	v_add_nc_u32_e32 v5, v5, v5
	v_add_nc_u32_e32 v6, v6, v6
	; wave barrier
	s_wait_loadcnt_dscnt 0x0
	global_inv scope:SCOPE_SE
	ds_load_b64 v[9:10], v24
	; wave barrier
	s_wait_loadcnt_dscnt 0x0
	global_inv scope:SCOPE_SE
	ds_store_b64 v5, v[17:18]
	ds_store_b64 v6, v[15:16]
	; wave barrier
	s_wait_loadcnt_dscnt 0x0
	global_inv scope:SCOPE_SE
	ds_load_b128 v[5:8], v23
	s_add_co_i32 s26, s25, -4
	s_mov_b32 s27, 0
	; wave barrier
	s_wait_loadcnt_dscnt 0x0
	global_inv scope:SCOPE_SE
	s_branch .LBB139_28
.LBB139_42:
                                        ; implicit-def: $vgpr10
                                        ; implicit-def: $vgpr9
                                        ; implicit-def: $vgpr7_vgpr8
	s_and_b32 vcc_lo, exec_lo, s25
	s_wait_alu 0xfffe
	s_cbranch_vccnz .LBB139_44
	s_branch .LBB139_60
.LBB139_43:
	v_lshlrev_b32_e32 v5, 2, v12
	v_lshlrev_b32_e32 v6, 2, v11
	s_wait_loadcnt 0x0
	; wave barrier
	global_inv scope:SCOPE_SE
	ds_store_b32 v5, v29
	ds_store_b32 v6, v27
	v_add_nc_u32_e32 v5, v5, v5
	v_add_nc_u32_e32 v6, v6, v6
	; wave barrier
	s_wait_loadcnt_dscnt 0x0
	global_inv scope:SCOPE_SE
	ds_load_b64 v[9:10], v24
	; wave barrier
	s_wait_loadcnt_dscnt 0x0
	global_inv scope:SCOPE_SE
	ds_store_b64 v5, v[17:18]
	ds_store_b64 v6, v[15:16]
	; wave barrier
	s_wait_loadcnt_dscnt 0x0
	global_inv scope:SCOPE_SE
	ds_load_b128 v[5:8], v23
	v_xor_b32_e32 v9, 0x80000000, v9
	v_xor_b32_e32 v10, 0x80000000, v10
	s_branch .LBB139_60
.LBB139_44:
	s_wait_dscnt 0x0
	v_mul_i32_i24_e32 v7, -12, v0
	v_xor_b32_e32 v5, 0x7fffffff, v13
	v_xor_b32_e32 v6, 0x7fffffff, v14
	v_cmp_gt_u32_e64 s8, 0x70, v0
	v_cmp_gt_u32_e64 s9, 0x60, v0
	;; [unrolled: 1-line block ×7, first 2 shown]
	v_dual_mov_b32 v14, 0 :: v_dual_add_nc_u32 v15, v23, v7
	v_mov_b32_e32 v17, 0
	s_mov_b32 s25, 32
	s_branch .LBB139_46
.LBB139_45:                             ;   in Loop: Header=BB139_46 Depth=1
	s_wait_alu 0xfffe
	s_and_not1_b32 vcc_lo, exec_lo, s27
	s_mov_b32 s25, s26
	s_wait_alu 0xfffe
	s_cbranch_vccz .LBB139_59
.LBB139_46:                             ; =>This Inner Loop Header: Depth=1
	v_dual_mov_b32 v13, v6 :: v_dual_mov_b32 v16, v5
	v_dual_mov_b32 v10, v4 :: v_dual_mov_b32 v9, v3
	;; [unrolled: 1-line block ×3, first 2 shown]
	s_and_saveexec_b32 s26, s0
	s_cbranch_execz .LBB139_55
; %bb.47:                               ;   in Loop: Header=BB139_46 Depth=1
	ds_store_b32 v15, v14
	s_and_b32 exec_lo, exec_lo, s8
	s_cbranch_execz .LBB139_55
; %bb.48:                               ;   in Loop: Header=BB139_46 Depth=1
	ds_store_b32 v15, v14 offset:64
	s_and_b32 exec_lo, exec_lo, s9
	s_cbranch_execz .LBB139_55
; %bb.49:                               ;   in Loop: Header=BB139_46 Depth=1
	ds_store_b32 v15, v14 offset:128
	;; [unrolled: 4-line block ×6, first 2 shown]
	s_and_b32 exec_lo, exec_lo, s14
; %bb.54:                               ;   in Loop: Header=BB139_46 Depth=1
	ds_store_b32 v15, v14 offset:448
.LBB139_55:                             ;   in Loop: Header=BB139_46 Depth=1
	s_wait_alu 0xfffe
	s_or_b32 exec_lo, exec_lo, s26
	s_wait_kmcnt 0x0
	s_min_u32 s26, s15, s25
	v_lshrrev_b32_e32 v1, v17, v16
	s_wait_alu 0xfffe
	s_lshl_b32 s26, -1, s26
	s_wait_alu 0xfffe
	s_not_b32 s26, s26
	s_wait_alu 0xfffe
	v_and_b32_e32 v1, s26, v1
	s_delay_alu instid0(VALU_DEP_1) | instskip(SKIP_1) | instid1(VALU_DEP_2)
	v_lshlrev_b32_e32 v2, 4, v1
	v_lshrrev_b32_e32 v1, 2, v1
	v_and_or_b32 v2, 0x70, v2, v0
	s_delay_alu instid0(VALU_DEP_2) | instskip(NEXT) | instid1(VALU_DEP_1)
	v_and_b32_e32 v1, 0x1ffffffe, v1
	v_lshl_add_u32 v27, v2, 2, v1
	v_lshrrev_b32_e32 v1, v17, v13
	ds_load_u16 v18, v27
	v_and_b32_e32 v1, s26, v1
	s_delay_alu instid0(VALU_DEP_1) | instskip(SKIP_1) | instid1(VALU_DEP_2)
	v_lshlrev_b32_e32 v2, 4, v1
	v_lshrrev_b32_e32 v1, 2, v1
	v_and_or_b32 v2, 0x70, v2, v0
	s_delay_alu instid0(VALU_DEP_2) | instskip(NEXT) | instid1(VALU_DEP_1)
	v_and_b32_e32 v1, 0x1ffffffe, v1
	v_lshl_add_u32 v28, v2, 2, v1
	s_wait_dscnt 0x0
	v_add_nc_u16 v3, v18, 1
	ds_store_b16 v27, v3
	ds_load_u16 v29, v28
	s_wait_dscnt 0x0
	v_add_nc_u16 v1, v29, 1
	ds_store_b16 v28, v1
	; wave barrier
	s_wait_loadcnt_dscnt 0x0
	global_inv scope:SCOPE_SE
	ds_load_b128 v[5:8], v25
	ds_load_b128 v[1:4], v25 offset:16
	s_wait_dscnt 0x1
	v_add_nc_u32_e32 v30, v6, v5
	s_delay_alu instid0(VALU_DEP_1) | instskip(SKIP_1) | instid1(VALU_DEP_1)
	v_add3_u32 v30, v30, v7, v8
	s_wait_dscnt 0x0
	v_add3_u32 v30, v30, v1, v2
	s_delay_alu instid0(VALU_DEP_1) | instskip(NEXT) | instid1(VALU_DEP_1)
	v_add3_u32 v4, v30, v3, v4
	v_mov_b32_dpp v30, v4 row_shr:1 row_mask:0xf bank_mask:0xf
	s_delay_alu instid0(VALU_DEP_1) | instskip(NEXT) | instid1(VALU_DEP_1)
	v_cndmask_b32_e64 v30, v30, 0, s1
	v_add_nc_u32_e32 v4, v30, v4
	s_delay_alu instid0(VALU_DEP_1) | instskip(NEXT) | instid1(VALU_DEP_1)
	v_mov_b32_dpp v30, v4 row_shr:2 row_mask:0xf bank_mask:0xf
	v_cndmask_b32_e64 v30, 0, v30, s4
	s_delay_alu instid0(VALU_DEP_1) | instskip(NEXT) | instid1(VALU_DEP_1)
	v_add_nc_u32_e32 v4, v4, v30
	v_mov_b32_dpp v30, v4 row_shr:4 row_mask:0xf bank_mask:0xf
	s_delay_alu instid0(VALU_DEP_1) | instskip(NEXT) | instid1(VALU_DEP_1)
	v_cndmask_b32_e64 v30, 0, v30, s5
	v_add_nc_u32_e32 v4, v4, v30
	s_delay_alu instid0(VALU_DEP_1) | instskip(NEXT) | instid1(VALU_DEP_1)
	v_mov_b32_dpp v30, v4 row_shr:8 row_mask:0xf bank_mask:0xf
	v_cndmask_b32_e64 v30, 0, v30, s6
	s_delay_alu instid0(VALU_DEP_1)
	v_add_nc_u32_e32 v4, v4, v30
	s_and_saveexec_b32 s26, s7
; %bb.56:                               ;   in Loop: Header=BB139_46 Depth=1
	ds_store_b32 v14, v4 offset:512
; %bb.57:                               ;   in Loop: Header=BB139_46 Depth=1
	s_wait_alu 0xfffe
	s_or_b32 exec_lo, exec_lo, s26
	ds_bpermute_b32 v4, v26, v4
	; wave barrier
	s_wait_loadcnt_dscnt 0x0
	global_inv scope:SCOPE_SE
	ds_load_b32 v30, v14 offset:512
	v_cmp_lt_u32_e32 vcc_lo, 27, v17
	v_readfirstlane_b32 s26, v0
	s_mov_b32 s27, -1
	s_and_b32 vcc_lo, exec_lo, vcc_lo
	v_cndmask_b32_e64 v4, v4, 0, s24
	s_wait_dscnt 0x0
	s_delay_alu instid0(VALU_DEP_1) | instskip(NEXT) | instid1(VALU_DEP_1)
	v_lshl_add_u32 v4, v30, 16, v4
	v_add_nc_u32_e32 v5, v4, v5
	s_delay_alu instid0(VALU_DEP_1) | instskip(NEXT) | instid1(VALU_DEP_1)
	v_add_nc_u32_e32 v6, v5, v6
	v_add_nc_u32_e32 v7, v6, v7
	s_delay_alu instid0(VALU_DEP_1) | instskip(NEXT) | instid1(VALU_DEP_1)
	v_add_nc_u32_e32 v30, v7, v8
	;; [unrolled: 3-line block ×3, first 2 shown]
	v_add_nc_u32_e32 v33, v32, v3
	v_and_b32_e32 v3, 0xffff, v18
	ds_store_b128 v25, v[4:7]
	ds_store_b128 v25, v[30:33] offset:16
	; wave barrier
	s_wait_loadcnt_dscnt 0x0
	global_inv scope:SCOPE_SE
	ds_load_u16 v1, v27
	ds_load_u16 v2, v28
	v_and_b32_e32 v4, 0xffff, v29
                                        ; implicit-def: $vgpr6
	s_wait_dscnt 0x1
	v_add_nc_u32_e32 v8, v1, v3
	s_wait_dscnt 0x0
	s_delay_alu instid0(VALU_DEP_2)
	v_add_nc_u32_e32 v7, v2, v4
                                        ; implicit-def: $vgpr3_vgpr4
	s_wait_alu 0xfffe
	s_cbranch_vccnz .LBB139_45
; %bb.58:                               ;   in Loop: Header=BB139_46 Depth=1
	v_lshlrev_b32_e32 v1, 2, v8
	s_delay_alu instid0(VALU_DEP_2)
	v_lshlrev_b32_e32 v2, 2, v7
	s_wait_loadcnt 0x0
	; wave barrier
	global_inv scope:SCOPE_SE
	v_add_nc_u32_e32 v17, 4, v17
	ds_store_b32 v1, v16
	ds_store_b32 v2, v13
	v_add_nc_u32_e32 v1, v1, v1
	v_add_nc_u32_e32 v2, v2, v2
	; wave barrier
	s_wait_loadcnt_dscnt 0x0
	global_inv scope:SCOPE_SE
	ds_load_b64 v[5:6], v24
	; wave barrier
	s_wait_loadcnt_dscnt 0x0
	global_inv scope:SCOPE_SE
	ds_store_b64 v1, v[11:12]
	ds_store_b64 v2, v[9:10]
	; wave barrier
	s_wait_loadcnt_dscnt 0x0
	global_inv scope:SCOPE_SE
	ds_load_b128 v[1:4], v23
	s_add_co_i32 s26, s25, -4
	s_mov_b32 s27, 0
	; wave barrier
	s_wait_loadcnt_dscnt 0x0
	global_inv scope:SCOPE_SE
	s_branch .LBB139_45
.LBB139_59:
	v_lshlrev_b32_e32 v1, 2, v8
	v_lshlrev_b32_e32 v2, 2, v7
	s_wait_loadcnt 0x0
	; wave barrier
	global_inv scope:SCOPE_SE
	ds_store_b32 v1, v16
	ds_store_b32 v2, v13
	v_add_nc_u32_e32 v3, v1, v1
	v_add_nc_u32_e32 v4, v2, v2
	; wave barrier
	s_wait_loadcnt_dscnt 0x0
	global_inv scope:SCOPE_SE
	ds_load_b64 v[1:2], v24
	; wave barrier
	s_wait_loadcnt_dscnt 0x0
	global_inv scope:SCOPE_SE
	ds_store_b64 v3, v[11:12]
	ds_store_b64 v4, v[9:10]
	; wave barrier
	s_wait_loadcnt_dscnt 0x0
	global_inv scope:SCOPE_SE
	ds_load_b128 v[5:8], v23
	v_xor_b32_e32 v9, 0x7fffffff, v1
	v_xor_b32_e32 v10, 0x7fffffff, v2
.LBB139_60:
	v_mad_co_u64_u32 v[1:2], null, s16, v0, 0
	; wave barrier
	s_wait_loadcnt_dscnt 0x0
	global_inv scope:SCOPE_SE
	ds_store_2addr_b32 v19, v9, v10 offset1:1
	; wave barrier
	s_wait_loadcnt_dscnt 0x0
	global_inv scope:SCOPE_SE
	v_mad_co_u64_u32 v[2:3], null, s17, v0, v[2:3]
	ds_load_b32 v3, v20 offset:64
	v_lshlrev_b64_e32 v[1:2], 2, v[1:2]
	s_delay_alu instid0(VALU_DEP_1) | instskip(SKIP_1) | instid1(VALU_DEP_2)
	v_add_co_u32 v1, vcc_lo, s20, v1
	s_wait_alu 0xfffd
	v_add_co_ci_u32_e64 v2, null, s21, v2, vcc_lo
	s_and_saveexec_b32 s0, s2
	s_cbranch_execz .LBB139_62
; %bb.61:
	ds_load_b32 v4, v20
	s_wait_dscnt 0x0
	global_store_b32 v[1:2], v4, off
.LBB139_62:
	s_wait_alu 0xfffe
	s_or_b32 exec_lo, exec_lo, s0
	s_and_saveexec_b32 s0, s3
	s_cbranch_execz .LBB139_64
; %bb.63:
	s_lshl_b64 s[4:5], s[16:17], 6
	s_wait_alu 0xfffe
	v_add_co_u32 v1, vcc_lo, v1, s4
	s_wait_alu 0xfffd
	v_add_co_ci_u32_e64 v2, null, s5, v2, vcc_lo
	s_wait_dscnt 0x0
	global_store_b32 v[1:2], v3, off
.LBB139_64:
	s_wait_alu 0xfffe
	s_or_b32 exec_lo, exec_lo, s0
	s_wait_dscnt 0x0
	v_mad_co_u64_u32 v[2:3], null, s18, v0, 0
	s_wait_loadcnt 0x0
	s_wait_storecnt 0x0
	; wave barrier
	global_inv scope:SCOPE_SE
	ds_store_2addr_b64 v22, v[5:6], v[7:8] offset1:1
	; wave barrier
	s_wait_loadcnt_dscnt 0x0
	global_inv scope:SCOPE_SE
	v_mov_b32_e32 v1, v3
	s_delay_alu instid0(VALU_DEP_1) | instskip(SKIP_2) | instid1(VALU_DEP_1)
	v_mad_co_u64_u32 v[3:4], null, s19, v0, v[1:2]
	ds_load_b64 v[0:1], v19 offset:128
	v_lshlrev_b64_e32 v[2:3], 3, v[2:3]
	v_add_co_u32 v2, vcc_lo, s22, v2
	s_wait_alu 0xfffd
	s_delay_alu instid0(VALU_DEP_2)
	v_add_co_ci_u32_e64 v3, null, s23, v3, vcc_lo
	s_and_saveexec_b32 s0, s2
	s_cbranch_execz .LBB139_66
; %bb.65:
	ds_load_b64 v[4:5], v21
	s_wait_dscnt 0x0
	global_store_b64 v[2:3], v[4:5], off
.LBB139_66:
	s_wait_alu 0xfffe
	s_or_b32 exec_lo, exec_lo, s0
	s_and_saveexec_b32 s0, s3
	s_cbranch_execz .LBB139_68
; %bb.67:
	s_lshl_b64 s[0:1], s[18:19], 7
	s_wait_alu 0xfffe
	v_add_co_u32 v2, vcc_lo, v2, s0
	s_wait_alu 0xfffd
	v_add_co_ci_u32_e64 v3, null, s1, v3, vcc_lo
	s_wait_dscnt 0x0
	global_store_b64 v[2:3], v[0:1], off
.LBB139_68:
	s_endpgm
	.section	.rodata,"a",@progbits
	.p2align	6, 0x0
	.amdhsa_kernel _ZN2at6native18radixSortKVInPlaceILin1ELin1ELi16ELi2EilmEEvNS_4cuda6detail10TensorInfoIT3_T5_EES6_S6_S6_NS4_IT4_S6_EES6_b
		.amdhsa_group_segment_fixed_size 528
		.amdhsa_private_segment_fixed_size 0
		.amdhsa_kernarg_size 1128
		.amdhsa_user_sgpr_count 2
		.amdhsa_user_sgpr_dispatch_ptr 0
		.amdhsa_user_sgpr_queue_ptr 0
		.amdhsa_user_sgpr_kernarg_segment_ptr 1
		.amdhsa_user_sgpr_dispatch_id 0
		.amdhsa_user_sgpr_private_segment_size 0
		.amdhsa_wavefront_size32 1
		.amdhsa_uses_dynamic_stack 0
		.amdhsa_enable_private_segment 0
		.amdhsa_system_sgpr_workgroup_id_x 1
		.amdhsa_system_sgpr_workgroup_id_y 1
		.amdhsa_system_sgpr_workgroup_id_z 1
		.amdhsa_system_sgpr_workgroup_info 0
		.amdhsa_system_vgpr_workitem_id 0
		.amdhsa_next_free_vgpr 39
		.amdhsa_next_free_sgpr 34
		.amdhsa_reserve_vcc 1
		.amdhsa_float_round_mode_32 0
		.amdhsa_float_round_mode_16_64 0
		.amdhsa_float_denorm_mode_32 3
		.amdhsa_float_denorm_mode_16_64 3
		.amdhsa_fp16_overflow 0
		.amdhsa_workgroup_processor_mode 1
		.amdhsa_memory_ordered 1
		.amdhsa_forward_progress 1
		.amdhsa_inst_pref_size 42
		.amdhsa_round_robin_scheduling 0
		.amdhsa_exception_fp_ieee_invalid_op 0
		.amdhsa_exception_fp_denorm_src 0
		.amdhsa_exception_fp_ieee_div_zero 0
		.amdhsa_exception_fp_ieee_overflow 0
		.amdhsa_exception_fp_ieee_underflow 0
		.amdhsa_exception_fp_ieee_inexact 0
		.amdhsa_exception_int_div_zero 0
	.end_amdhsa_kernel
	.section	.text._ZN2at6native18radixSortKVInPlaceILin1ELin1ELi16ELi2EilmEEvNS_4cuda6detail10TensorInfoIT3_T5_EES6_S6_S6_NS4_IT4_S6_EES6_b,"axG",@progbits,_ZN2at6native18radixSortKVInPlaceILin1ELin1ELi16ELi2EilmEEvNS_4cuda6detail10TensorInfoIT3_T5_EES6_S6_S6_NS4_IT4_S6_EES6_b,comdat
.Lfunc_end139:
	.size	_ZN2at6native18radixSortKVInPlaceILin1ELin1ELi16ELi2EilmEEvNS_4cuda6detail10TensorInfoIT3_T5_EES6_S6_S6_NS4_IT4_S6_EES6_b, .Lfunc_end139-_ZN2at6native18radixSortKVInPlaceILin1ELin1ELi16ELi2EilmEEvNS_4cuda6detail10TensorInfoIT3_T5_EES6_S6_S6_NS4_IT4_S6_EES6_b
                                        ; -- End function
	.set _ZN2at6native18radixSortKVInPlaceILin1ELin1ELi16ELi2EilmEEvNS_4cuda6detail10TensorInfoIT3_T5_EES6_S6_S6_NS4_IT4_S6_EES6_b.num_vgpr, 39
	.set _ZN2at6native18radixSortKVInPlaceILin1ELin1ELi16ELi2EilmEEvNS_4cuda6detail10TensorInfoIT3_T5_EES6_S6_S6_NS4_IT4_S6_EES6_b.num_agpr, 0
	.set _ZN2at6native18radixSortKVInPlaceILin1ELin1ELi16ELi2EilmEEvNS_4cuda6detail10TensorInfoIT3_T5_EES6_S6_S6_NS4_IT4_S6_EES6_b.numbered_sgpr, 34
	.set _ZN2at6native18radixSortKVInPlaceILin1ELin1ELi16ELi2EilmEEvNS_4cuda6detail10TensorInfoIT3_T5_EES6_S6_S6_NS4_IT4_S6_EES6_b.num_named_barrier, 0
	.set _ZN2at6native18radixSortKVInPlaceILin1ELin1ELi16ELi2EilmEEvNS_4cuda6detail10TensorInfoIT3_T5_EES6_S6_S6_NS4_IT4_S6_EES6_b.private_seg_size, 0
	.set _ZN2at6native18radixSortKVInPlaceILin1ELin1ELi16ELi2EilmEEvNS_4cuda6detail10TensorInfoIT3_T5_EES6_S6_S6_NS4_IT4_S6_EES6_b.uses_vcc, 1
	.set _ZN2at6native18radixSortKVInPlaceILin1ELin1ELi16ELi2EilmEEvNS_4cuda6detail10TensorInfoIT3_T5_EES6_S6_S6_NS4_IT4_S6_EES6_b.uses_flat_scratch, 0
	.set _ZN2at6native18radixSortKVInPlaceILin1ELin1ELi16ELi2EilmEEvNS_4cuda6detail10TensorInfoIT3_T5_EES6_S6_S6_NS4_IT4_S6_EES6_b.has_dyn_sized_stack, 0
	.set _ZN2at6native18radixSortKVInPlaceILin1ELin1ELi16ELi2EilmEEvNS_4cuda6detail10TensorInfoIT3_T5_EES6_S6_S6_NS4_IT4_S6_EES6_b.has_recursion, 0
	.set _ZN2at6native18radixSortKVInPlaceILin1ELin1ELi16ELi2EilmEEvNS_4cuda6detail10TensorInfoIT3_T5_EES6_S6_S6_NS4_IT4_S6_EES6_b.has_indirect_call, 0
	.section	.AMDGPU.csdata,"",@progbits
; Kernel info:
; codeLenInByte = 5296
; TotalNumSgprs: 36
; NumVgprs: 39
; ScratchSize: 0
; MemoryBound: 0
; FloatMode: 240
; IeeeMode: 1
; LDSByteSize: 528 bytes/workgroup (compile time only)
; SGPRBlocks: 0
; VGPRBlocks: 4
; NumSGPRsForWavesPerEU: 36
; NumVGPRsForWavesPerEU: 39
; Occupancy: 16
; WaveLimiterHint : 1
; COMPUTE_PGM_RSRC2:SCRATCH_EN: 0
; COMPUTE_PGM_RSRC2:USER_SGPR: 2
; COMPUTE_PGM_RSRC2:TRAP_HANDLER: 0
; COMPUTE_PGM_RSRC2:TGID_X_EN: 1
; COMPUTE_PGM_RSRC2:TGID_Y_EN: 1
; COMPUTE_PGM_RSRC2:TGID_Z_EN: 1
; COMPUTE_PGM_RSRC2:TIDIG_COMP_CNT: 0
	.section	.text._ZN2at6native18radixSortKVInPlaceILin2ELin1ELi512ELi8ElljEEvNS_4cuda6detail10TensorInfoIT3_T5_EES6_S6_S6_NS4_IT4_S6_EES6_b,"axG",@progbits,_ZN2at6native18radixSortKVInPlaceILin2ELin1ELi512ELi8ElljEEvNS_4cuda6detail10TensorInfoIT3_T5_EES6_S6_S6_NS4_IT4_S6_EES6_b,comdat
	.protected	_ZN2at6native18radixSortKVInPlaceILin2ELin1ELi512ELi8ElljEEvNS_4cuda6detail10TensorInfoIT3_T5_EES6_S6_S6_NS4_IT4_S6_EES6_b ; -- Begin function _ZN2at6native18radixSortKVInPlaceILin2ELin1ELi512ELi8ElljEEvNS_4cuda6detail10TensorInfoIT3_T5_EES6_S6_S6_NS4_IT4_S6_EES6_b
	.globl	_ZN2at6native18radixSortKVInPlaceILin2ELin1ELi512ELi8ElljEEvNS_4cuda6detail10TensorInfoIT3_T5_EES6_S6_S6_NS4_IT4_S6_EES6_b
	.p2align	8
	.type	_ZN2at6native18radixSortKVInPlaceILin2ELin1ELi512ELi8ElljEEvNS_4cuda6detail10TensorInfoIT3_T5_EES6_S6_S6_NS4_IT4_S6_EES6_b,@function
_ZN2at6native18radixSortKVInPlaceILin2ELin1ELi512ELi8ElljEEvNS_4cuda6detail10TensorInfoIT3_T5_EES6_S6_S6_NS4_IT4_S6_EES6_b: ; @_ZN2at6native18radixSortKVInPlaceILin2ELin1ELi512ELi8ElljEEvNS_4cuda6detail10TensorInfoIT3_T5_EES6_S6_S6_NS4_IT4_S6_EES6_b
; %bb.0:
	s_clause 0x1
	s_load_b64 s[2:3], s[0:1], 0x1c8
	s_load_b96 s[24:26], s[0:1], 0xd8
	s_lshr_b32 s4, ttmp7, 16
	s_wait_kmcnt 0x0
	s_mul_i32 s3, s3, s4
	s_and_b32 s4, ttmp7, 0xffff
	s_delay_alu instid0(SALU_CYCLE_1) | instskip(NEXT) | instid1(SALU_CYCLE_1)
	s_add_co_i32 s3, s3, s4
	s_mul_i32 s4, s3, s2
	s_delay_alu instid0(SALU_CYCLE_1) | instskip(NEXT) | instid1(SALU_CYCLE_1)
	s_add_co_i32 s4, s4, ttmp9
	s_cmp_ge_u32 s4, s24
	s_cbranch_scc1 .LBB140_110
; %bb.1:
	s_load_b32 s2, s[0:1], 0x1b8
	s_add_nc_u64 s[22:23], s[0:1], 0xe8
	s_mov_b32 s21, 0
	s_mov_b32 s24, s4
	s_wait_kmcnt 0x0
	s_cmp_lt_i32 s2, 2
	s_cbranch_scc1 .LBB140_4
; %bb.2:
	s_add_co_i32 s20, s2, -1
	s_add_co_i32 s5, s2, 1
	s_lshl_b64 s[6:7], s[20:21], 2
	s_mov_b32 s24, s4
	s_add_nc_u64 s[6:7], s[22:23], s[6:7]
	s_delay_alu instid0(SALU_CYCLE_1)
	s_add_nc_u64 s[2:3], s[6:7], 8
.LBB140_3:                              ; =>This Inner Loop Header: Depth=1
	s_clause 0x1
	s_load_b32 s6, s[2:3], 0x0
	s_load_b32 s7, s[2:3], 0x64
	s_mov_b32 s10, s24
	s_add_nc_u64 s[2:3], s[2:3], -4
	s_wait_kmcnt 0x0
	s_cvt_f32_u32 s8, s6
	s_sub_co_i32 s9, 0, s6
	s_wait_alu 0xfffe
	s_delay_alu instid0(SALU_CYCLE_1) | instskip(NEXT) | instid1(TRANS32_DEP_1)
	v_rcp_iflag_f32_e32 v1, s8
	v_readfirstlane_b32 s8, v1
	s_mul_f32 s8, s8, 0x4f7ffffe
	s_wait_alu 0xfffe
	s_delay_alu instid0(SALU_CYCLE_2) | instskip(SKIP_1) | instid1(SALU_CYCLE_2)
	s_cvt_u32_f32 s8, s8
	s_wait_alu 0xfffe
	s_mul_i32 s9, s9, s8
	s_wait_alu 0xfffe
	s_mul_hi_u32 s9, s8, s9
	s_wait_alu 0xfffe
	s_add_co_i32 s8, s8, s9
	s_wait_alu 0xfffe
	s_mul_hi_u32 s8, s24, s8
	s_wait_alu 0xfffe
	s_mul_i32 s9, s8, s6
	s_add_co_i32 s11, s8, 1
	s_wait_alu 0xfffe
	s_sub_co_i32 s9, s24, s9
	s_wait_alu 0xfffe
	s_sub_co_i32 s12, s9, s6
	s_cmp_ge_u32 s9, s6
	s_cselect_b32 s8, s11, s8
	s_cselect_b32 s9, s12, s9
	s_wait_alu 0xfffe
	s_add_co_i32 s11, s8, 1
	s_cmp_ge_u32 s9, s6
	s_cselect_b32 s24, s11, s8
	s_add_co_i32 s5, s5, -1
	s_mul_i32 s6, s24, s6
	s_delay_alu instid0(SALU_CYCLE_1) | instskip(NEXT) | instid1(SALU_CYCLE_1)
	s_sub_co_i32 s6, s10, s6
	s_mul_i32 s6, s7, s6
	s_delay_alu instid0(SALU_CYCLE_1)
	s_add_co_i32 s21, s6, s21
	s_cmp_gt_u32 s5, 2
	s_cbranch_scc1 .LBB140_3
.LBB140_4:
	s_clause 0x2
	s_load_b64 s[28:29], s[0:1], 0x1c0
	s_load_b64 s[2:3], s[0:1], 0x0
	s_load_b32 s5, s[0:1], 0x6c
	s_add_nc_u64 s[34:35], s[0:1], 0x1c8
	s_mov_b32 s1, 0
	s_wait_kmcnt 0x0
	s_bitcmp1_b32 s29, 0
	s_mul_i32 s0, s5, s4
	s_cselect_b32 s20, -1, 0
	s_brev_b32 s5, 1
	s_lshl_b64 s[30:31], s[0:1], 3
	s_and_b32 s0, s20, exec_lo
	s_cselect_b32 s4, 0, -1
	s_cselect_b32 s5, s5, 0x7fffffff
	s_mov_b32 s6, s4
	s_mov_b32 s7, s5
	;; [unrolled: 1-line block ×14, first 2 shown]
	v_dual_mov_b32 v1, s4 :: v_dual_and_b32 v74, 0x3ff, v0
	v_mov_b32_e32 v18, s5
	v_dual_mov_b32 v2, s5 :: v_dual_mov_b32 v3, s6
	s_delay_alu instid0(VALU_DEP_3)
	v_mul_lo_u32 v72, s26, v74
	v_cmp_gt_u32_e64 s0, s25, v74
	s_wait_alu 0xfffe
	v_dual_mov_b32 v4, s7 :: v_dual_mov_b32 v5, s8
	v_dual_mov_b32 v6, s9 :: v_dual_mov_b32 v7, s10
	;; [unrolled: 1-line block ×7, first 2 shown]
	s_add_nc_u64 s[30:31], s[2:3], s[30:31]
	s_and_saveexec_b32 s1, s0
	s_cbranch_execz .LBB140_6
; %bb.5:
	v_mov_b32_e32 v73, 0
	s_delay_alu instid0(VALU_DEP_1) | instskip(NEXT) | instid1(VALU_DEP_1)
	v_lshlrev_b64_e32 v[1:2], 3, v[72:73]
	v_add_co_u32 v1, vcc_lo, s30, v1
	s_delay_alu instid0(VALU_DEP_1)
	v_add_co_ci_u32_e64 v2, null, s31, v2, vcc_lo
	global_load_b64 v[17:18], v[1:2], off
	v_dual_mov_b32 v1, s4 :: v_dual_mov_b32 v4, s7
	v_dual_mov_b32 v3, s6 :: v_dual_mov_b32 v6, s9
	;; [unrolled: 1-line block ×8, first 2 shown]
.LBB140_6:
	s_or_b32 exec_lo, exec_lo, s1
	v_add_nc_u32_e32 v31, 0x200, v74
	s_delay_alu instid0(VALU_DEP_1)
	v_cmp_gt_u32_e64 s1, s25, v31
	s_and_saveexec_b32 s2, s1
	s_cbranch_execz .LBB140_8
; %bb.7:
	v_mul_lo_u32 v1, s26, v31
	v_mov_b32_e32 v2, 0
	s_delay_alu instid0(VALU_DEP_1) | instskip(NEXT) | instid1(VALU_DEP_1)
	v_lshlrev_b64_e32 v[1:2], 3, v[1:2]
	v_add_co_u32 v1, vcc_lo, s30, v1
	s_wait_alu 0xfffd
	s_delay_alu instid0(VALU_DEP_2)
	v_add_co_ci_u32_e64 v2, null, s31, v2, vcc_lo
	global_load_b64 v[3:4], v[1:2], off
.LBB140_8:
	s_or_b32 exec_lo, exec_lo, s2
	v_or_b32_e32 v32, 0x400, v74
	s_delay_alu instid0(VALU_DEP_1)
	v_cmp_gt_u32_e64 s2, s25, v32
	s_and_saveexec_b32 s3, s2
	s_cbranch_execz .LBB140_10
; %bb.9:
	v_mul_lo_u32 v1, s26, v32
	v_mov_b32_e32 v2, 0
	s_delay_alu instid0(VALU_DEP_1) | instskip(NEXT) | instid1(VALU_DEP_1)
	v_lshlrev_b64_e32 v[1:2], 3, v[1:2]
	v_add_co_u32 v1, vcc_lo, s30, v1
	s_wait_alu 0xfffd
	s_delay_alu instid0(VALU_DEP_2)
	v_add_co_ci_u32_e64 v2, null, s31, v2, vcc_lo
	global_load_b64 v[5:6], v[1:2], off
.LBB140_10:
	s_or_b32 exec_lo, exec_lo, s3
	v_add_nc_u32_e32 v34, 0x600, v74
	s_delay_alu instid0(VALU_DEP_1)
	v_cmp_gt_u32_e64 s3, s25, v34
	s_and_saveexec_b32 s4, s3
	s_cbranch_execz .LBB140_12
; %bb.11:
	v_mul_lo_u32 v1, s26, v34
	v_mov_b32_e32 v2, 0
	s_delay_alu instid0(VALU_DEP_1) | instskip(NEXT) | instid1(VALU_DEP_1)
	v_lshlrev_b64_e32 v[1:2], 3, v[1:2]
	v_add_co_u32 v1, vcc_lo, s30, v1
	s_wait_alu 0xfffd
	s_delay_alu instid0(VALU_DEP_2)
	v_add_co_ci_u32_e64 v2, null, s31, v2, vcc_lo
	global_load_b64 v[7:8], v[1:2], off
.LBB140_12:
	s_wait_alu 0xfffe
	s_or_b32 exec_lo, exec_lo, s4
	v_or_b32_e32 v35, 0x800, v74
	s_delay_alu instid0(VALU_DEP_1)
	v_cmp_gt_u32_e64 s4, s25, v35
	s_and_saveexec_b32 s5, s4
	s_cbranch_execz .LBB140_14
; %bb.13:
	v_mul_lo_u32 v1, s26, v35
	v_mov_b32_e32 v2, 0
	s_delay_alu instid0(VALU_DEP_1) | instskip(NEXT) | instid1(VALU_DEP_1)
	v_lshlrev_b64_e32 v[1:2], 3, v[1:2]
	v_add_co_u32 v1, vcc_lo, s30, v1
	s_wait_alu 0xfffd
	s_delay_alu instid0(VALU_DEP_2)
	v_add_co_ci_u32_e64 v2, null, s31, v2, vcc_lo
	global_load_b64 v[9:10], v[1:2], off
.LBB140_14:
	s_wait_alu 0xfffe
	s_or_b32 exec_lo, exec_lo, s5
	v_add_nc_u32_e32 v36, 0xa00, v74
	s_delay_alu instid0(VALU_DEP_1)
	v_cmp_gt_u32_e64 s5, s25, v36
	s_and_saveexec_b32 s6, s5
	s_cbranch_execz .LBB140_16
; %bb.15:
	v_mul_lo_u32 v1, s26, v36
	v_mov_b32_e32 v2, 0
	s_delay_alu instid0(VALU_DEP_1) | instskip(NEXT) | instid1(VALU_DEP_1)
	v_lshlrev_b64_e32 v[1:2], 3, v[1:2]
	v_add_co_u32 v1, vcc_lo, s30, v1
	s_wait_alu 0xfffd
	s_delay_alu instid0(VALU_DEP_2)
	v_add_co_ci_u32_e64 v2, null, s31, v2, vcc_lo
	global_load_b64 v[11:12], v[1:2], off
.LBB140_16:
	s_wait_alu 0xfffe
	s_or_b32 exec_lo, exec_lo, s6
	v_or_b32_e32 v37, 0xc00, v74
	s_delay_alu instid0(VALU_DEP_1)
	v_cmp_gt_u32_e64 s6, s25, v37
	s_and_saveexec_b32 s7, s6
	s_cbranch_execz .LBB140_18
; %bb.17:
	v_mul_lo_u32 v1, s26, v37
	v_mov_b32_e32 v2, 0
	s_delay_alu instid0(VALU_DEP_1) | instskip(NEXT) | instid1(VALU_DEP_1)
	v_lshlrev_b64_e32 v[1:2], 3, v[1:2]
	v_add_co_u32 v1, vcc_lo, s30, v1
	s_wait_alu 0xfffd
	s_delay_alu instid0(VALU_DEP_2)
	v_add_co_ci_u32_e64 v2, null, s31, v2, vcc_lo
	global_load_b64 v[13:14], v[1:2], off
.LBB140_18:
	s_wait_alu 0xfffe
	s_or_b32 exec_lo, exec_lo, s7
	s_clause 0x1
	s_load_b32 s10, s[22:23], 0x6c
	s_load_b64 s[8:9], s[22:23], 0x0
	v_add_nc_u32_e32 v38, 0xe00, v74
	s_delay_alu instid0(VALU_DEP_1)
	v_cmp_gt_u32_e64 s7, s25, v38
	s_and_saveexec_b32 s11, s7
	s_cbranch_execz .LBB140_20
; %bb.19:
	v_mul_lo_u32 v1, s26, v38
	v_mov_b32_e32 v2, 0
	s_delay_alu instid0(VALU_DEP_1) | instskip(NEXT) | instid1(VALU_DEP_1)
	v_lshlrev_b64_e32 v[1:2], 3, v[1:2]
	v_add_co_u32 v1, vcc_lo, s30, v1
	s_wait_alu 0xfffd
	s_delay_alu instid0(VALU_DEP_2)
	v_add_co_ci_u32_e64 v2, null, s31, v2, vcc_lo
	global_load_b64 v[15:16], v[1:2], off
.LBB140_20:
	s_wait_alu 0xfffe
	s_or_b32 exec_lo, exec_lo, s11
	v_lshrrev_b32_e32 v2, 2, v32
	v_dual_mov_b32 v70, 0 :: v_dual_lshlrev_b32 v73, 3, v74
	v_lshrrev_b32_e32 v1, 2, v31
	v_lshrrev_b32_e32 v19, 2, v34
	s_delay_alu instid0(VALU_DEP_4)
	v_and_b32_e32 v2, 0x1f8, v2
	v_lshrrev_b32_e32 v33, 5, v74
	v_mov_b32_e32 v71, v70
	v_and_b32_e32 v1, 0x1f8, v1
	v_and_b32_e32 v19, 0x3f8, v19
	v_add_nc_u32_e32 v109, v2, v73
	v_lshrrev_b32_e32 v2, 2, v36
	v_lshl_add_u32 v107, v33, 3, v73
	v_add_nc_u32_e32 v108, v1, v73
	v_lshrrev_b32_e32 v1, 2, v35
	v_add_nc_u32_e32 v110, v19, v73
	v_dual_mov_b32 v21, v70 :: v_dual_and_b32 v2, 0x3f8, v2
	v_lshrrev_b32_e32 v19, 2, v37
	s_delay_alu instid0(VALU_DEP_4) | instskip(NEXT) | instid1(VALU_DEP_3)
	v_dual_mov_b32 v22, v70 :: v_dual_and_b32 v1, 0x3f8, v1
	v_dual_mov_b32 v27, 0 :: v_dual_add_nc_u32 v112, v2, v73
	v_mov_b32_e32 v28, 0
	s_wait_loadcnt 0x0
	ds_store_b64 v107, v[17:18]
	ds_store_b64 v108, v[3:4] offset:4096
	ds_store_b64 v109, v[5:6] offset:8192
	;; [unrolled: 1-line block ×3, first 2 shown]
	v_dual_mov_b32 v26, v70 :: v_dual_lshlrev_b32 v5, 1, v74
	v_lshrrev_b32_e32 v20, 2, v38
	v_dual_mov_b32 v30, v70 :: v_dual_add_nc_u32 v111, v1, v73
	s_delay_alu instid0(VALU_DEP_3) | instskip(SKIP_1) | instid1(VALU_DEP_4)
	v_and_b32_e32 v1, 0x7f8, v5
	v_dual_mov_b32 v24, v70 :: v_dual_and_b32 v3, 0x3f8, v19
	v_dual_mov_b32 v23, v70 :: v_dual_and_b32 v4, 0x7f8, v20
	s_delay_alu instid0(VALU_DEP_3) | instskip(NEXT) | instid1(VALU_DEP_3)
	v_lshl_add_u32 v115, v74, 6, v1
	v_add_nc_u32_e32 v113, v3, v73
	s_delay_alu instid0(VALU_DEP_3)
	v_dual_mov_b32 v25, v70 :: v_dual_add_nc_u32 v114, v4, v73
	ds_store_b64 v111, v[9:10] offset:16384
	ds_store_b64 v112, v[11:12] offset:20480
	;; [unrolled: 1-line block ×4, first 2 shown]
	s_wait_dscnt 0x0
	s_barrier_signal -1
	s_barrier_wait -1
	global_inv scope:SCOPE_SE
	ds_load_2addr_b64 v[13:16], v115 offset1:1
	ds_load_2addr_b64 v[9:12], v115 offset0:2 offset1:3
	ds_load_2addr_b64 v[5:8], v115 offset0:4 offset1:5
	;; [unrolled: 1-line block ×3, first 2 shown]
	s_wait_kmcnt 0x0
	s_mul_i32 s10, s10, s24
	v_mul_lo_u32 v69, s28, v74
	s_mov_b32 s11, 0
	s_wait_alu 0xfffe
	s_add_co_i32 s10, s10, s21
	v_dual_mov_b32 v17, v70 :: v_dual_mov_b32 v18, v70
	v_dual_mov_b32 v19, v70 :: v_dual_mov_b32 v20, v70
	v_mov_b32_e32 v29, v70
	s_wait_alu 0xfffe
	s_lshl_b64 s[10:11], s[10:11], 3
	s_wait_loadcnt_dscnt 0x0
	s_wait_alu 0xfffe
	s_add_nc_u64 s[24:25], s[8:9], s[10:11]
	s_barrier_signal -1
	s_barrier_wait -1
	global_inv scope:SCOPE_SE
	s_and_saveexec_b32 s8, s0
	s_cbranch_execnz .LBB140_56
; %bb.21:
	s_wait_alu 0xfffe
	s_or_b32 exec_lo, exec_lo, s8
	s_and_saveexec_b32 s8, s1
	s_cbranch_execnz .LBB140_57
.LBB140_22:
	s_wait_alu 0xfffe
	s_or_b32 exec_lo, exec_lo, s8
	s_and_saveexec_b32 s8, s2
	s_cbranch_execnz .LBB140_58
.LBB140_23:
	s_wait_alu 0xfffe
	s_or_b32 exec_lo, exec_lo, s8
	s_and_saveexec_b32 s8, s3
	s_cbranch_execnz .LBB140_59
.LBB140_24:
	s_wait_alu 0xfffe
	s_or_b32 exec_lo, exec_lo, s8
	s_and_saveexec_b32 s8, s4
	s_cbranch_execnz .LBB140_60
.LBB140_25:
	s_wait_alu 0xfffe
	s_or_b32 exec_lo, exec_lo, s8
	s_and_saveexec_b32 s8, s5
	s_cbranch_execnz .LBB140_61
.LBB140_26:
	s_wait_alu 0xfffe
	s_or_b32 exec_lo, exec_lo, s8
	s_and_saveexec_b32 s8, s6
	s_cbranch_execnz .LBB140_62
.LBB140_27:
	s_wait_alu 0xfffe
	s_or_b32 exec_lo, exec_lo, s8
	s_xor_b32 s8, s20, -1
	s_and_saveexec_b32 s9, s7
	s_cbranch_execz .LBB140_29
.LBB140_28:
	v_mul_lo_u32 v29, s28, v38
	v_mov_b32_e32 v30, 0
	s_delay_alu instid0(VALU_DEP_1) | instskip(NEXT) | instid1(VALU_DEP_1)
	v_lshlrev_b64_e32 v[29:30], 3, v[29:30]
	v_add_co_u32 v29, vcc_lo, s24, v29
	s_wait_alu 0xfffd
	s_delay_alu instid0(VALU_DEP_2)
	v_add_co_ci_u32_e64 v30, null, s25, v30, vcc_lo
	global_load_b64 v[29:30], v[29:30], off
.LBB140_29:
	s_wait_alu 0xfffe
	s_or_b32 exec_lo, exec_lo, s9
	s_wait_loadcnt 0x0
	ds_store_b64 v107, v[27:28]
	ds_store_b64 v108, v[70:71] offset:4096
	ds_store_b64 v109, v[17:18] offset:8192
	;; [unrolled: 1-line block ×7, first 2 shown]
	s_wait_dscnt 0x0
	s_barrier_signal -1
	s_barrier_wait -1
	global_inv scope:SCOPE_SE
	ds_load_2addr_b64 v[21:24], v115 offset1:1
	ds_load_2addr_b64 v[17:20], v115 offset0:2 offset1:3
	ds_load_2addr_b64 v[29:32], v115 offset0:4 offset1:5
	;; [unrolled: 1-line block ×3, first 2 shown]
	v_mbcnt_lo_u32_b32 v118, -1, 0
	v_and_b32_e32 v34, 0x3e0, v74
	v_and_b32_e32 v35, 0x1f00, v73
	s_and_b32 vcc_lo, exec_lo, s8
	v_bfe_u32 v123, v0, 10, 10
	v_bfe_u32 v124, v0, 20, 10
	v_or_b32_e32 v36, v118, v34
	v_or_b32_e32 v37, v118, v35
	v_lshlrev_b32_e32 v116, 2, v73
	v_and_b32_e32 v120, 15, v118
	v_and_b32_e32 v121, 16, v118
	v_lshlrev_b32_e32 v126, 6, v36
	v_lshlrev_b32_e32 v125, 3, v37
	v_min_u32_e32 v122, 0x1e0, v34
	v_cmp_gt_u32_e64 s8, 16, v74
	v_cmp_lt_u32_e64 s9, 31, v74
	v_cmp_eq_u32_e64 s10, 0, v74
	v_lshlrev_b32_e32 v117, 2, v33
	v_mul_i32_i24_e32 v119, 0xffffffe4, v74
	v_lshlrev_b32_e32 v0, 3, v35
	s_mov_b32 s20, 0
	s_mov_b32 s11, -1
	s_wait_loadcnt_dscnt 0x0
	s_barrier_signal -1
	s_barrier_wait -1
	global_inv scope:SCOPE_SE
                                        ; implicit-def: $vgpr63_vgpr64
                                        ; implicit-def: $vgpr59_vgpr60
                                        ; implicit-def: $vgpr55_vgpr56
                                        ; implicit-def: $vgpr51_vgpr52
                                        ; implicit-def: $vgpr35_vgpr36
                                        ; implicit-def: $vgpr39_vgpr40
                                        ; implicit-def: $vgpr43_vgpr44
                                        ; implicit-def: $vgpr47_vgpr48
	s_wait_alu 0xfffe
	s_cbranch_vccz .LBB140_64
; %bb.30:
	v_xor_b32_e32 v34, 0x80000000, v14
	v_xor_b32_e32 v36, 0x80000000, v16
	v_mov_b32_e32 v33, v13
	v_dual_mov_b32 v35, v15 :: v_dual_add_nc_u32 v128, -4, v117
	v_xor_b32_e32 v38, 0x80000000, v10
	v_xor_b32_e32 v40, 0x80000000, v12
	v_mov_b32_e32 v37, v9
	v_dual_mov_b32 v39, v11 :: v_dual_mov_b32 v70, 0
	v_xor_b32_e32 v42, 0x80000000, v6
	v_xor_b32_e32 v44, 0x80000000, v8
	s_mov_b32 s21, s20
	s_mov_b32 s22, s20
	;; [unrolled: 1-line block ×3, first 2 shown]
	v_mov_b32_e32 v41, v5
	v_mov_b32_e32 v43, v7
	v_xor_b32_e32 v46, 0x80000000, v2
	v_xor_b32_e32 v48, 0x80000000, v4
	v_mov_b32_e32 v45, v1
	v_mov_b32_e32 v47, v3
	ds_store_b128 v126, v[33:36]
	ds_store_b128 v126, v[37:40] offset:16
	ds_store_b128 v126, v[41:44] offset:32
	;; [unrolled: 1-line block ×3, first 2 shown]
	; wave barrier
	ds_load_2addr_b64 v[37:40], v125 offset1:32
	ds_load_2addr_b64 v[41:44], v125 offset0:64 offset1:96
	ds_load_2addr_b64 v[45:48], v125 offset0:128 offset1:160
	;; [unrolled: 1-line block ×3, first 2 shown]
	; wave barrier
	ds_store_b128 v126, v[21:24]
	ds_store_b128 v126, v[17:20] offset:16
	ds_store_b128 v126, v[29:32] offset:32
	;; [unrolled: 1-line block ×3, first 2 shown]
	; wave barrier
	ds_load_2addr_b64 v[49:52], v125 offset1:32
	ds_load_2addr_b64 v[53:56], v125 offset0:64 offset1:96
	ds_load_2addr_b64 v[57:60], v125 offset0:128 offset1:160
	;; [unrolled: 1-line block ×3, first 2 shown]
	s_wait_loadcnt_dscnt 0x0
	s_barrier_signal -1
	s_barrier_wait -1
	global_inv scope:SCOPE_SE
	s_load_b32 s11, s[34:35], 0xc
	s_getpc_b64 s[12:13]
	s_wait_alu 0xfffe
	s_sext_i32_i16 s13, s13
	s_add_co_u32 s12, s12, _ZN7rocprim17ROCPRIM_400000_NS16block_radix_sortIlLj512ELj8ElLj1ELj1ELj0ELNS0_26block_radix_rank_algorithmE1ELNS0_18block_padding_hintE2ELNS0_4arch9wavefront6targetE0EE19radix_bits_per_passE@rel32@lo+12
	s_wait_alu 0xfffe
	s_add_co_ci_u32 s13, s13, _ZN7rocprim17ROCPRIM_400000_NS16block_radix_sortIlLj512ELj8ElLj1ELj1ELj0ELNS0_26block_radix_rank_algorithmE1ELNS0_18block_padding_hintE2ELNS0_4arch9wavefront6targetE0EE19radix_bits_per_passE@rel32@hi+24
	v_or_b32_e32 v35, 31, v122
	s_load_b32 s19, s[12:13], 0x0
	v_cmp_eq_u32_e64 s12, 0, v120
	v_cmp_lt_u32_e64 s13, 1, v120
	v_cmp_lt_u32_e64 s15, 7, v120
	v_cmp_eq_u32_e64 s17, v74, v35
	v_cmp_eq_u32_e64 s16, 0, v121
	v_lshl_add_u32 v129, v118, 3, v0
	v_mov_b32_e32 v71, 0
	v_add_nc_u32_e32 v131, v116, v119
	s_wait_kmcnt 0x0
	s_lshr_b32 s14, s11, 16
	s_and_b32 s11, s11, 0xffff
	s_wait_alu 0xfffe
	v_mad_u32_u24 v33, v124, s14, v123
	v_cmp_lt_u32_e64 s14, 3, v120
	s_delay_alu instid0(VALU_DEP_2) | instskip(SKIP_1) | instid1(VALU_DEP_1)
	v_mad_co_u64_u32 v[33:34], null, v33, s11, v[74:75]
	v_sub_co_u32 v34, s11, v118, 1
	v_cmp_gt_i32_e32 vcc_lo, 0, v34
	s_delay_alu instid0(VALU_DEP_3) | instskip(SKIP_2) | instid1(VALU_DEP_2)
	v_lshrrev_b32_e32 v33, 3, v33
	s_wait_alu 0xfffd
	v_cndmask_b32_e32 v34, v34, v118, vcc_lo
	v_and_b32_e32 v130, 0x1ffffffc, v33
	s_delay_alu instid0(VALU_DEP_2)
	v_dual_mov_b32 v36, s23 :: v_dual_lshlrev_b32 v127, 2, v34
	v_dual_mov_b32 v35, s22 :: v_dual_mov_b32 v34, s21
	v_mov_b32_e32 v33, s20
	s_mov_b32 s20, 64
	s_branch .LBB140_32
.LBB140_31:                             ;   in Loop: Header=BB140_32 Depth=1
	s_wait_alu 0xfffe
	s_and_not1_b32 vcc_lo, exec_lo, s18
	s_wait_alu 0xfffe
	s_cbranch_vccz .LBB140_63
.LBB140_32:                             ; =>This Inner Loop Header: Depth=1
	v_dual_mov_b32 v76, v38 :: v_dual_mov_b32 v75, v37
	s_wait_alu 0xfffe
	s_min_u32 s18, s19, s20
	v_mov_b32_e32 v78, v68
	s_wait_alu 0xfffe
	s_lshl_b32 s18, -1, s18
	v_mov_b32_e32 v80, v66
	v_lshrrev_b64 v[37:38], v70, v[75:76]
	s_wait_alu 0xfffe
	s_not_b32 s21, s18
	v_mov_b32_e32 v79, v65
	ds_store_b128 v116, v[33:36] offset:64
	ds_store_b128 v116, v[33:36] offset:80
	s_wait_loadcnt_dscnt 0x0
	s_wait_alu 0xfffe
	v_dual_mov_b32 v77, v67 :: v_dual_and_b32 v38, s21, v37
	v_dual_mov_b32 v82, v48 :: v_dual_mov_b32 v81, v47
	s_barrier_signal -1
	s_delay_alu instid0(VALU_DEP_2) | instskip(SKIP_3) | instid1(VALU_DEP_3)
	v_dual_mov_b32 v100, v46 :: v_dual_lshlrev_b32 v47, 30, v38
	v_and_b32_e32 v37, 1, v38
	v_dual_mov_b32 v99, v45 :: v_dual_lshlrev_b32 v48, 29, v38
	v_dual_mov_b32 v102, v44 :: v_dual_lshlrev_b32 v65, 28, v38
	v_add_co_u32 v37, s18, v37, -1
	s_wait_alu 0xf1ff
	v_cndmask_b32_e64 v66, 0, 1, s18
	v_not_b32_e32 v84, v47
	v_cmp_gt_i32_e64 s18, 0, v47
	v_not_b32_e32 v47, v48
	v_dual_mov_b32 v104, v42 :: v_dual_lshlrev_b32 v67, 27, v38
	v_cmp_ne_u32_e32 vcc_lo, 0, v66
	v_ashrrev_i32_e32 v84, 31, v84
	s_delay_alu instid0(VALU_DEP_4)
	v_ashrrev_i32_e32 v47, 31, v47
	v_dual_mov_b32 v101, v43 :: v_dual_lshlrev_b32 v68, 26, v38
	s_wait_alu 0xfffd
	v_xor_b32_e32 v37, vcc_lo, v37
	v_cmp_gt_i32_e32 vcc_lo, 0, v48
	v_not_b32_e32 v48, v65
	s_wait_alu 0xf1ff
	v_xor_b32_e32 v84, s18, v84
	v_cmp_gt_i32_e64 s18, 0, v65
	v_and_b32_e32 v37, exec_lo, v37
	v_not_b32_e32 v65, v67
	v_ashrrev_i32_e32 v48, 31, v48
	s_wait_alu 0xfffd
	v_xor_b32_e32 v47, vcc_lo, v47
	v_dual_mov_b32 v106, v40 :: v_dual_lshlrev_b32 v83, 25, v38
	v_dual_mov_b32 v86, v62 :: v_dual_and_b32 v37, v37, v84
	v_cmp_gt_i32_e32 vcc_lo, 0, v67
	v_not_b32_e32 v67, v68
	v_ashrrev_i32_e32 v65, 31, v65
	s_wait_alu 0xf1ff
	v_xor_b32_e32 v48, s18, v48
	v_dual_mov_b32 v88, v60 :: v_dual_and_b32 v37, v37, v47
	v_dual_mov_b32 v103, v41 :: v_dual_lshlrev_b32 v66, 24, v38
	v_cmp_gt_i32_e64 s18, 0, v68
	v_not_b32_e32 v47, v83
	v_ashrrev_i32_e32 v67, 31, v67
	s_wait_alu 0xfffd
	v_xor_b32_e32 v65, vcc_lo, v65
	v_dual_mov_b32 v90, v58 :: v_dual_and_b32 v37, v37, v48
	v_cmp_gt_i32_e32 vcc_lo, 0, v83
	v_not_b32_e32 v48, v66
	v_ashrrev_i32_e32 v47, 31, v47
	s_wait_alu 0xf1ff
	v_xor_b32_e32 v67, s18, v67
	v_dual_mov_b32 v92, v56 :: v_dual_and_b32 v37, v37, v65
	v_cmp_gt_i32_e64 s18, 0, v66
	v_ashrrev_i32_e32 v45, 31, v48
	s_wait_alu 0xfffd
	v_xor_b32_e32 v46, vcc_lo, v47
	v_dual_mov_b32 v94, v54 :: v_dual_and_b32 v37, v37, v67
	v_dual_mov_b32 v105, v39 :: v_dual_mov_b32 v96, v52
	s_wait_alu 0xf1ff
	v_xor_b32_e32 v39, s18, v45
	s_delay_alu instid0(VALU_DEP_3) | instskip(SKIP_2) | instid1(VALU_DEP_3)
	v_dual_mov_b32 v98, v50 :: v_dual_and_b32 v37, v37, v46
	v_dual_mov_b32 v84, v64 :: v_dual_mov_b32 v83, v63
	v_lshlrev_b32_e32 v38, 6, v38
	v_and_b32_e32 v37, v37, v39
	v_mov_b32_e32 v85, v61
	v_mov_b32_e32 v87, v59
	;; [unrolled: 1-line block ×4, first 2 shown]
	v_mbcnt_lo_u32_b32 v45, v37, 0
	v_cmp_ne_u32_e64 s18, 0, v37
	v_mov_b32_e32 v93, v53
	v_mov_b32_e32 v95, v51
	;; [unrolled: 1-line block ×3, first 2 shown]
	v_cmp_eq_u32_e32 vcc_lo, 0, v45
	v_add_nc_u32_e32 v46, v130, v38
	s_barrier_wait -1
	global_inv scope:SCOPE_SE
	s_and_b32 s22, s18, vcc_lo
	; wave barrier
	s_wait_alu 0xfffe
	s_and_saveexec_b32 s18, s22
; %bb.33:                               ;   in Loop: Header=BB140_32 Depth=1
	v_bcnt_u32_b32 v37, v37, 0
	ds_store_b32 v46, v37 offset:64
; %bb.34:                               ;   in Loop: Header=BB140_32 Depth=1
	s_wait_alu 0xfffe
	s_or_b32 exec_lo, exec_lo, s18
	v_lshrrev_b64 v[37:38], v70, v[105:106]
	; wave barrier
	s_delay_alu instid0(VALU_DEP_1) | instskip(NEXT) | instid1(VALU_DEP_1)
	v_and_b32_e32 v37, s21, v37
	v_and_b32_e32 v38, 1, v37
	v_lshlrev_b32_e32 v39, 30, v37
	v_lshlrev_b32_e32 v40, 29, v37
	v_lshlrev_b32_e32 v41, 28, v37
	v_lshlrev_b32_e32 v43, 27, v37
	v_add_co_u32 v38, s18, v38, -1
	s_wait_alu 0xf1ff
	v_cndmask_b32_e64 v42, 0, 1, s18
	v_not_b32_e32 v48, v39
	v_cmp_gt_i32_e64 s18, 0, v39
	v_not_b32_e32 v39, v40
	v_lshlrev_b32_e32 v44, 26, v37
	v_cmp_ne_u32_e32 vcc_lo, 0, v42
	v_ashrrev_i32_e32 v48, 31, v48
	v_lshlrev_b32_e32 v47, 25, v37
	v_ashrrev_i32_e32 v39, 31, v39
	v_lshlrev_b32_e32 v42, 24, v37
	s_wait_alu 0xfffd
	v_xor_b32_e32 v38, vcc_lo, v38
	v_cmp_gt_i32_e32 vcc_lo, 0, v40
	v_not_b32_e32 v40, v41
	s_wait_alu 0xf1ff
	v_xor_b32_e32 v48, s18, v48
	v_cmp_gt_i32_e64 s18, 0, v41
	v_and_b32_e32 v38, exec_lo, v38
	v_not_b32_e32 v41, v43
	v_ashrrev_i32_e32 v40, 31, v40
	s_wait_alu 0xfffd
	v_xor_b32_e32 v39, vcc_lo, v39
	v_cmp_gt_i32_e32 vcc_lo, 0, v43
	v_and_b32_e32 v38, v38, v48
	v_not_b32_e32 v43, v44
	v_ashrrev_i32_e32 v41, 31, v41
	s_wait_alu 0xf1ff
	v_xor_b32_e32 v40, s18, v40
	v_cmp_gt_i32_e64 s18, 0, v44
	v_and_b32_e32 v38, v38, v39
	v_not_b32_e32 v39, v47
	v_ashrrev_i32_e32 v43, 31, v43
	s_wait_alu 0xfffd
	v_xor_b32_e32 v41, vcc_lo, v41
	v_cmp_gt_i32_e32 vcc_lo, 0, v47
	v_and_b32_e32 v38, v38, v40
	v_not_b32_e32 v40, v42
	v_ashrrev_i32_e32 v39, 31, v39
	s_wait_alu 0xf1ff
	v_xor_b32_e32 v43, s18, v43
	v_lshlrev_b32_e32 v37, 6, v37
	v_and_b32_e32 v38, v38, v41
	v_cmp_gt_i32_e64 s18, 0, v42
	v_ashrrev_i32_e32 v40, 31, v40
	s_wait_alu 0xfffd
	v_xor_b32_e32 v39, vcc_lo, v39
	v_add_nc_u32_e32 v49, v130, v37
	v_and_b32_e32 v38, v38, v43
	s_wait_alu 0xf1ff
	v_xor_b32_e32 v37, s18, v40
	ds_load_b32 v47, v49 offset:64
	v_and_b32_e32 v38, v38, v39
	; wave barrier
	s_delay_alu instid0(VALU_DEP_1) | instskip(NEXT) | instid1(VALU_DEP_1)
	v_and_b32_e32 v37, v38, v37
	v_mbcnt_lo_u32_b32 v48, v37, 0
	v_cmp_ne_u32_e64 s18, 0, v37
	s_delay_alu instid0(VALU_DEP_2)
	v_cmp_eq_u32_e32 vcc_lo, 0, v48
	s_and_b32 s22, s18, vcc_lo
	s_wait_alu 0xfffe
	s_and_saveexec_b32 s18, s22
	s_cbranch_execz .LBB140_36
; %bb.35:                               ;   in Loop: Header=BB140_32 Depth=1
	s_wait_dscnt 0x0
	v_bcnt_u32_b32 v37, v37, v47
	ds_store_b32 v49, v37 offset:64
.LBB140_36:                             ;   in Loop: Header=BB140_32 Depth=1
	s_wait_alu 0xfffe
	s_or_b32 exec_lo, exec_lo, s18
	v_lshrrev_b64 v[37:38], v70, v[103:104]
	; wave barrier
	s_delay_alu instid0(VALU_DEP_1) | instskip(NEXT) | instid1(VALU_DEP_1)
	v_and_b32_e32 v37, s21, v37
	v_and_b32_e32 v38, 1, v37
	v_lshlrev_b32_e32 v39, 30, v37
	v_lshlrev_b32_e32 v40, 29, v37
	;; [unrolled: 1-line block ×4, first 2 shown]
	v_add_co_u32 v38, s18, v38, -1
	s_wait_alu 0xf1ff
	v_cndmask_b32_e64 v42, 0, 1, s18
	v_not_b32_e32 v51, v39
	v_cmp_gt_i32_e64 s18, 0, v39
	v_not_b32_e32 v39, v40
	v_lshlrev_b32_e32 v44, 26, v37
	v_cmp_ne_u32_e32 vcc_lo, 0, v42
	v_ashrrev_i32_e32 v51, 31, v51
	v_lshlrev_b32_e32 v50, 25, v37
	v_ashrrev_i32_e32 v39, 31, v39
	v_lshlrev_b32_e32 v42, 24, v37
	s_wait_alu 0xfffd
	v_xor_b32_e32 v38, vcc_lo, v38
	v_cmp_gt_i32_e32 vcc_lo, 0, v40
	v_not_b32_e32 v40, v41
	s_wait_alu 0xf1ff
	v_xor_b32_e32 v51, s18, v51
	v_cmp_gt_i32_e64 s18, 0, v41
	v_and_b32_e32 v38, exec_lo, v38
	v_not_b32_e32 v41, v43
	v_ashrrev_i32_e32 v40, 31, v40
	s_wait_alu 0xfffd
	v_xor_b32_e32 v39, vcc_lo, v39
	v_cmp_gt_i32_e32 vcc_lo, 0, v43
	v_and_b32_e32 v38, v38, v51
	v_not_b32_e32 v43, v44
	v_ashrrev_i32_e32 v41, 31, v41
	s_wait_alu 0xf1ff
	v_xor_b32_e32 v40, s18, v40
	v_cmp_gt_i32_e64 s18, 0, v44
	v_and_b32_e32 v38, v38, v39
	v_not_b32_e32 v39, v50
	v_ashrrev_i32_e32 v43, 31, v43
	s_wait_alu 0xfffd
	v_xor_b32_e32 v41, vcc_lo, v41
	v_cmp_gt_i32_e32 vcc_lo, 0, v50
	v_and_b32_e32 v38, v38, v40
	v_not_b32_e32 v40, v42
	v_ashrrev_i32_e32 v39, 31, v39
	s_wait_alu 0xf1ff
	v_xor_b32_e32 v43, s18, v43
	v_lshlrev_b32_e32 v37, 6, v37
	v_and_b32_e32 v38, v38, v41
	v_cmp_gt_i32_e64 s18, 0, v42
	v_ashrrev_i32_e32 v40, 31, v40
	s_wait_alu 0xfffd
	v_xor_b32_e32 v39, vcc_lo, v39
	v_add_nc_u32_e32 v52, v130, v37
	v_and_b32_e32 v38, v38, v43
	s_wait_alu 0xf1ff
	v_xor_b32_e32 v37, s18, v40
	ds_load_b32 v50, v52 offset:64
	v_and_b32_e32 v38, v38, v39
	; wave barrier
	s_delay_alu instid0(VALU_DEP_1) | instskip(NEXT) | instid1(VALU_DEP_1)
	v_and_b32_e32 v37, v38, v37
	v_mbcnt_lo_u32_b32 v51, v37, 0
	v_cmp_ne_u32_e64 s18, 0, v37
	s_delay_alu instid0(VALU_DEP_2)
	v_cmp_eq_u32_e32 vcc_lo, 0, v51
	s_and_b32 s22, s18, vcc_lo
	s_wait_alu 0xfffe
	s_and_saveexec_b32 s18, s22
	s_cbranch_execz .LBB140_38
; %bb.37:                               ;   in Loop: Header=BB140_32 Depth=1
	s_wait_dscnt 0x0
	v_bcnt_u32_b32 v37, v37, v50
	ds_store_b32 v52, v37 offset:64
.LBB140_38:                             ;   in Loop: Header=BB140_32 Depth=1
	s_wait_alu 0xfffe
	s_or_b32 exec_lo, exec_lo, s18
	v_lshrrev_b64 v[37:38], v70, v[101:102]
	; wave barrier
	s_delay_alu instid0(VALU_DEP_1) | instskip(NEXT) | instid1(VALU_DEP_1)
	v_and_b32_e32 v37, s21, v37
	v_and_b32_e32 v38, 1, v37
	v_lshlrev_b32_e32 v39, 30, v37
	v_lshlrev_b32_e32 v40, 29, v37
	;; [unrolled: 1-line block ×4, first 2 shown]
	v_add_co_u32 v38, s18, v38, -1
	s_wait_alu 0xf1ff
	v_cndmask_b32_e64 v42, 0, 1, s18
	v_not_b32_e32 v54, v39
	v_cmp_gt_i32_e64 s18, 0, v39
	v_not_b32_e32 v39, v40
	v_lshlrev_b32_e32 v44, 26, v37
	v_cmp_ne_u32_e32 vcc_lo, 0, v42
	v_ashrrev_i32_e32 v54, 31, v54
	v_lshlrev_b32_e32 v53, 25, v37
	v_ashrrev_i32_e32 v39, 31, v39
	v_lshlrev_b32_e32 v42, 24, v37
	s_wait_alu 0xfffd
	v_xor_b32_e32 v38, vcc_lo, v38
	v_cmp_gt_i32_e32 vcc_lo, 0, v40
	v_not_b32_e32 v40, v41
	s_wait_alu 0xf1ff
	v_xor_b32_e32 v54, s18, v54
	v_cmp_gt_i32_e64 s18, 0, v41
	v_and_b32_e32 v38, exec_lo, v38
	v_not_b32_e32 v41, v43
	v_ashrrev_i32_e32 v40, 31, v40
	s_wait_alu 0xfffd
	v_xor_b32_e32 v39, vcc_lo, v39
	v_cmp_gt_i32_e32 vcc_lo, 0, v43
	v_and_b32_e32 v38, v38, v54
	v_not_b32_e32 v43, v44
	v_ashrrev_i32_e32 v41, 31, v41
	s_wait_alu 0xf1ff
	v_xor_b32_e32 v40, s18, v40
	v_cmp_gt_i32_e64 s18, 0, v44
	v_and_b32_e32 v38, v38, v39
	v_not_b32_e32 v39, v53
	v_ashrrev_i32_e32 v43, 31, v43
	s_wait_alu 0xfffd
	v_xor_b32_e32 v41, vcc_lo, v41
	v_cmp_gt_i32_e32 vcc_lo, 0, v53
	v_and_b32_e32 v38, v38, v40
	v_not_b32_e32 v40, v42
	v_ashrrev_i32_e32 v39, 31, v39
	s_wait_alu 0xf1ff
	v_xor_b32_e32 v43, s18, v43
	v_lshlrev_b32_e32 v37, 6, v37
	v_and_b32_e32 v38, v38, v41
	v_cmp_gt_i32_e64 s18, 0, v42
	v_ashrrev_i32_e32 v40, 31, v40
	s_wait_alu 0xfffd
	v_xor_b32_e32 v39, vcc_lo, v39
	v_add_nc_u32_e32 v55, v130, v37
	v_and_b32_e32 v38, v38, v43
	s_wait_alu 0xf1ff
	v_xor_b32_e32 v37, s18, v40
	ds_load_b32 v53, v55 offset:64
	v_and_b32_e32 v38, v38, v39
	; wave barrier
	s_delay_alu instid0(VALU_DEP_1) | instskip(NEXT) | instid1(VALU_DEP_1)
	v_and_b32_e32 v37, v38, v37
	v_mbcnt_lo_u32_b32 v54, v37, 0
	v_cmp_ne_u32_e64 s18, 0, v37
	s_delay_alu instid0(VALU_DEP_2)
	v_cmp_eq_u32_e32 vcc_lo, 0, v54
	s_and_b32 s22, s18, vcc_lo
	s_wait_alu 0xfffe
	s_and_saveexec_b32 s18, s22
	s_cbranch_execz .LBB140_40
; %bb.39:                               ;   in Loop: Header=BB140_32 Depth=1
	s_wait_dscnt 0x0
	v_bcnt_u32_b32 v37, v37, v53
	ds_store_b32 v55, v37 offset:64
.LBB140_40:                             ;   in Loop: Header=BB140_32 Depth=1
	s_wait_alu 0xfffe
	s_or_b32 exec_lo, exec_lo, s18
	v_lshrrev_b64 v[37:38], v70, v[99:100]
	; wave barrier
	s_delay_alu instid0(VALU_DEP_1) | instskip(NEXT) | instid1(VALU_DEP_1)
	v_and_b32_e32 v37, s21, v37
	v_and_b32_e32 v38, 1, v37
	v_lshlrev_b32_e32 v39, 30, v37
	v_lshlrev_b32_e32 v40, 29, v37
	v_lshlrev_b32_e32 v41, 28, v37
	v_lshlrev_b32_e32 v43, 27, v37
	v_add_co_u32 v38, s18, v38, -1
	s_wait_alu 0xf1ff
	v_cndmask_b32_e64 v42, 0, 1, s18
	v_not_b32_e32 v57, v39
	v_cmp_gt_i32_e64 s18, 0, v39
	v_not_b32_e32 v39, v40
	v_lshlrev_b32_e32 v44, 26, v37
	v_cmp_ne_u32_e32 vcc_lo, 0, v42
	v_ashrrev_i32_e32 v57, 31, v57
	v_lshlrev_b32_e32 v56, 25, v37
	v_ashrrev_i32_e32 v39, 31, v39
	v_lshlrev_b32_e32 v42, 24, v37
	s_wait_alu 0xfffd
	v_xor_b32_e32 v38, vcc_lo, v38
	v_cmp_gt_i32_e32 vcc_lo, 0, v40
	v_not_b32_e32 v40, v41
	s_wait_alu 0xf1ff
	v_xor_b32_e32 v57, s18, v57
	v_cmp_gt_i32_e64 s18, 0, v41
	v_and_b32_e32 v38, exec_lo, v38
	v_not_b32_e32 v41, v43
	v_ashrrev_i32_e32 v40, 31, v40
	s_wait_alu 0xfffd
	v_xor_b32_e32 v39, vcc_lo, v39
	v_cmp_gt_i32_e32 vcc_lo, 0, v43
	v_and_b32_e32 v38, v38, v57
	v_not_b32_e32 v43, v44
	v_ashrrev_i32_e32 v41, 31, v41
	s_wait_alu 0xf1ff
	v_xor_b32_e32 v40, s18, v40
	v_cmp_gt_i32_e64 s18, 0, v44
	v_and_b32_e32 v38, v38, v39
	v_not_b32_e32 v39, v56
	v_ashrrev_i32_e32 v43, 31, v43
	s_wait_alu 0xfffd
	v_xor_b32_e32 v41, vcc_lo, v41
	v_cmp_gt_i32_e32 vcc_lo, 0, v56
	v_and_b32_e32 v38, v38, v40
	v_not_b32_e32 v40, v42
	v_ashrrev_i32_e32 v39, 31, v39
	s_wait_alu 0xf1ff
	v_xor_b32_e32 v43, s18, v43
	v_lshlrev_b32_e32 v37, 6, v37
	v_and_b32_e32 v38, v38, v41
	v_cmp_gt_i32_e64 s18, 0, v42
	v_ashrrev_i32_e32 v40, 31, v40
	s_wait_alu 0xfffd
	v_xor_b32_e32 v39, vcc_lo, v39
	v_add_nc_u32_e32 v58, v130, v37
	v_and_b32_e32 v38, v38, v43
	s_wait_alu 0xf1ff
	v_xor_b32_e32 v37, s18, v40
	ds_load_b32 v56, v58 offset:64
	v_and_b32_e32 v38, v38, v39
	; wave barrier
	s_delay_alu instid0(VALU_DEP_1) | instskip(NEXT) | instid1(VALU_DEP_1)
	v_and_b32_e32 v37, v38, v37
	v_mbcnt_lo_u32_b32 v57, v37, 0
	v_cmp_ne_u32_e64 s18, 0, v37
	s_delay_alu instid0(VALU_DEP_2)
	v_cmp_eq_u32_e32 vcc_lo, 0, v57
	s_and_b32 s22, s18, vcc_lo
	s_wait_alu 0xfffe
	s_and_saveexec_b32 s18, s22
	s_cbranch_execz .LBB140_42
; %bb.41:                               ;   in Loop: Header=BB140_32 Depth=1
	s_wait_dscnt 0x0
	v_bcnt_u32_b32 v37, v37, v56
	ds_store_b32 v58, v37 offset:64
.LBB140_42:                             ;   in Loop: Header=BB140_32 Depth=1
	s_wait_alu 0xfffe
	s_or_b32 exec_lo, exec_lo, s18
	v_lshrrev_b64 v[37:38], v70, v[81:82]
	; wave barrier
	s_delay_alu instid0(VALU_DEP_1) | instskip(NEXT) | instid1(VALU_DEP_1)
	v_and_b32_e32 v37, s21, v37
	v_and_b32_e32 v38, 1, v37
	v_lshlrev_b32_e32 v39, 30, v37
	v_lshlrev_b32_e32 v40, 29, v37
	;; [unrolled: 1-line block ×4, first 2 shown]
	v_add_co_u32 v38, s18, v38, -1
	s_wait_alu 0xf1ff
	v_cndmask_b32_e64 v42, 0, 1, s18
	v_not_b32_e32 v60, v39
	v_cmp_gt_i32_e64 s18, 0, v39
	v_not_b32_e32 v39, v40
	v_lshlrev_b32_e32 v44, 26, v37
	v_cmp_ne_u32_e32 vcc_lo, 0, v42
	v_ashrrev_i32_e32 v60, 31, v60
	v_lshlrev_b32_e32 v59, 25, v37
	v_ashrrev_i32_e32 v39, 31, v39
	v_lshlrev_b32_e32 v42, 24, v37
	s_wait_alu 0xfffd
	v_xor_b32_e32 v38, vcc_lo, v38
	v_cmp_gt_i32_e32 vcc_lo, 0, v40
	v_not_b32_e32 v40, v41
	s_wait_alu 0xf1ff
	v_xor_b32_e32 v60, s18, v60
	v_cmp_gt_i32_e64 s18, 0, v41
	v_and_b32_e32 v38, exec_lo, v38
	v_not_b32_e32 v41, v43
	v_ashrrev_i32_e32 v40, 31, v40
	s_wait_alu 0xfffd
	v_xor_b32_e32 v39, vcc_lo, v39
	v_cmp_gt_i32_e32 vcc_lo, 0, v43
	v_and_b32_e32 v38, v38, v60
	v_not_b32_e32 v43, v44
	v_ashrrev_i32_e32 v41, 31, v41
	s_wait_alu 0xf1ff
	v_xor_b32_e32 v40, s18, v40
	v_cmp_gt_i32_e64 s18, 0, v44
	v_and_b32_e32 v38, v38, v39
	v_not_b32_e32 v39, v59
	v_ashrrev_i32_e32 v43, 31, v43
	s_wait_alu 0xfffd
	v_xor_b32_e32 v41, vcc_lo, v41
	v_cmp_gt_i32_e32 vcc_lo, 0, v59
	v_and_b32_e32 v38, v38, v40
	v_not_b32_e32 v40, v42
	v_ashrrev_i32_e32 v39, 31, v39
	s_wait_alu 0xf1ff
	v_xor_b32_e32 v43, s18, v43
	v_lshlrev_b32_e32 v37, 6, v37
	v_and_b32_e32 v38, v38, v41
	v_cmp_gt_i32_e64 s18, 0, v42
	v_ashrrev_i32_e32 v40, 31, v40
	s_wait_alu 0xfffd
	v_xor_b32_e32 v39, vcc_lo, v39
	v_add_nc_u32_e32 v61, v130, v37
	v_and_b32_e32 v38, v38, v43
	s_wait_alu 0xf1ff
	v_xor_b32_e32 v37, s18, v40
	ds_load_b32 v59, v61 offset:64
	v_and_b32_e32 v38, v38, v39
	; wave barrier
	s_delay_alu instid0(VALU_DEP_1) | instskip(NEXT) | instid1(VALU_DEP_1)
	v_and_b32_e32 v37, v38, v37
	v_mbcnt_lo_u32_b32 v60, v37, 0
	v_cmp_ne_u32_e64 s18, 0, v37
	s_delay_alu instid0(VALU_DEP_2)
	v_cmp_eq_u32_e32 vcc_lo, 0, v60
	s_and_b32 s22, s18, vcc_lo
	s_wait_alu 0xfffe
	s_and_saveexec_b32 s18, s22
	s_cbranch_execz .LBB140_44
; %bb.43:                               ;   in Loop: Header=BB140_32 Depth=1
	s_wait_dscnt 0x0
	v_bcnt_u32_b32 v37, v37, v59
	ds_store_b32 v61, v37 offset:64
.LBB140_44:                             ;   in Loop: Header=BB140_32 Depth=1
	s_wait_alu 0xfffe
	s_or_b32 exec_lo, exec_lo, s18
	v_lshrrev_b64 v[37:38], v70, v[79:80]
	; wave barrier
	s_delay_alu instid0(VALU_DEP_1) | instskip(NEXT) | instid1(VALU_DEP_1)
	v_and_b32_e32 v37, s21, v37
	v_and_b32_e32 v38, 1, v37
	v_lshlrev_b32_e32 v39, 30, v37
	v_lshlrev_b32_e32 v40, 29, v37
	;; [unrolled: 1-line block ×4, first 2 shown]
	v_add_co_u32 v38, s18, v38, -1
	s_wait_alu 0xf1ff
	v_cndmask_b32_e64 v42, 0, 1, s18
	v_not_b32_e32 v63, v39
	v_cmp_gt_i32_e64 s18, 0, v39
	v_not_b32_e32 v39, v40
	v_lshlrev_b32_e32 v44, 26, v37
	v_cmp_ne_u32_e32 vcc_lo, 0, v42
	v_ashrrev_i32_e32 v63, 31, v63
	v_lshlrev_b32_e32 v62, 25, v37
	v_ashrrev_i32_e32 v39, 31, v39
	v_lshlrev_b32_e32 v42, 24, v37
	s_wait_alu 0xfffd
	v_xor_b32_e32 v38, vcc_lo, v38
	v_cmp_gt_i32_e32 vcc_lo, 0, v40
	v_not_b32_e32 v40, v41
	s_wait_alu 0xf1ff
	v_xor_b32_e32 v63, s18, v63
	v_cmp_gt_i32_e64 s18, 0, v41
	v_and_b32_e32 v38, exec_lo, v38
	v_not_b32_e32 v41, v43
	v_ashrrev_i32_e32 v40, 31, v40
	s_wait_alu 0xfffd
	v_xor_b32_e32 v39, vcc_lo, v39
	v_cmp_gt_i32_e32 vcc_lo, 0, v43
	v_and_b32_e32 v38, v38, v63
	v_not_b32_e32 v43, v44
	v_ashrrev_i32_e32 v41, 31, v41
	s_wait_alu 0xf1ff
	v_xor_b32_e32 v40, s18, v40
	v_cmp_gt_i32_e64 s18, 0, v44
	v_and_b32_e32 v38, v38, v39
	v_not_b32_e32 v39, v62
	v_ashrrev_i32_e32 v43, 31, v43
	s_wait_alu 0xfffd
	v_xor_b32_e32 v41, vcc_lo, v41
	v_cmp_gt_i32_e32 vcc_lo, 0, v62
	v_and_b32_e32 v38, v38, v40
	v_not_b32_e32 v40, v42
	v_ashrrev_i32_e32 v39, 31, v39
	s_wait_alu 0xf1ff
	v_xor_b32_e32 v43, s18, v43
	v_lshlrev_b32_e32 v37, 6, v37
	v_and_b32_e32 v38, v38, v41
	v_cmp_gt_i32_e64 s18, 0, v42
	v_ashrrev_i32_e32 v40, 31, v40
	s_wait_alu 0xfffd
	v_xor_b32_e32 v39, vcc_lo, v39
	v_add_nc_u32_e32 v64, v130, v37
	v_and_b32_e32 v38, v38, v43
	s_wait_alu 0xf1ff
	v_xor_b32_e32 v37, s18, v40
	ds_load_b32 v62, v64 offset:64
	v_and_b32_e32 v38, v38, v39
	; wave barrier
	s_delay_alu instid0(VALU_DEP_1) | instskip(NEXT) | instid1(VALU_DEP_1)
	v_and_b32_e32 v37, v38, v37
	v_mbcnt_lo_u32_b32 v63, v37, 0
	v_cmp_ne_u32_e64 s18, 0, v37
	s_delay_alu instid0(VALU_DEP_2)
	v_cmp_eq_u32_e32 vcc_lo, 0, v63
	s_and_b32 s22, s18, vcc_lo
	s_wait_alu 0xfffe
	s_and_saveexec_b32 s18, s22
	s_cbranch_execz .LBB140_46
; %bb.45:                               ;   in Loop: Header=BB140_32 Depth=1
	s_wait_dscnt 0x0
	v_bcnt_u32_b32 v37, v37, v62
	ds_store_b32 v64, v37 offset:64
.LBB140_46:                             ;   in Loop: Header=BB140_32 Depth=1
	s_wait_alu 0xfffe
	s_or_b32 exec_lo, exec_lo, s18
	v_lshrrev_b64 v[37:38], v70, v[77:78]
	; wave barrier
	s_delay_alu instid0(VALU_DEP_1) | instskip(NEXT) | instid1(VALU_DEP_1)
	v_and_b32_e32 v37, s21, v37
	v_and_b32_e32 v38, 1, v37
	v_lshlrev_b32_e32 v39, 30, v37
	v_lshlrev_b32_e32 v40, 29, v37
	;; [unrolled: 1-line block ×4, first 2 shown]
	v_add_co_u32 v38, s18, v38, -1
	s_wait_alu 0xf1ff
	v_cndmask_b32_e64 v42, 0, 1, s18
	v_not_b32_e32 v66, v39
	v_cmp_gt_i32_e64 s18, 0, v39
	v_not_b32_e32 v39, v40
	v_lshlrev_b32_e32 v44, 26, v37
	v_cmp_ne_u32_e32 vcc_lo, 0, v42
	v_ashrrev_i32_e32 v66, 31, v66
	v_lshlrev_b32_e32 v65, 25, v37
	v_ashrrev_i32_e32 v39, 31, v39
	v_lshlrev_b32_e32 v42, 24, v37
	s_wait_alu 0xfffd
	v_xor_b32_e32 v38, vcc_lo, v38
	v_cmp_gt_i32_e32 vcc_lo, 0, v40
	v_not_b32_e32 v40, v41
	s_wait_alu 0xf1ff
	v_xor_b32_e32 v66, s18, v66
	v_cmp_gt_i32_e64 s18, 0, v41
	v_and_b32_e32 v38, exec_lo, v38
	v_not_b32_e32 v41, v43
	v_ashrrev_i32_e32 v40, 31, v40
	s_wait_alu 0xfffd
	v_xor_b32_e32 v39, vcc_lo, v39
	v_cmp_gt_i32_e32 vcc_lo, 0, v43
	v_and_b32_e32 v38, v38, v66
	v_not_b32_e32 v43, v44
	v_ashrrev_i32_e32 v41, 31, v41
	s_wait_alu 0xf1ff
	v_xor_b32_e32 v40, s18, v40
	v_cmp_gt_i32_e64 s18, 0, v44
	v_and_b32_e32 v38, v38, v39
	v_not_b32_e32 v39, v65
	v_ashrrev_i32_e32 v43, 31, v43
	s_wait_alu 0xfffd
	v_xor_b32_e32 v41, vcc_lo, v41
	v_cmp_gt_i32_e32 vcc_lo, 0, v65
	v_and_b32_e32 v38, v38, v40
	v_not_b32_e32 v40, v42
	v_ashrrev_i32_e32 v39, 31, v39
	s_wait_alu 0xf1ff
	v_xor_b32_e32 v43, s18, v43
	v_lshlrev_b32_e32 v37, 6, v37
	v_and_b32_e32 v38, v38, v41
	v_cmp_gt_i32_e64 s18, 0, v42
	v_ashrrev_i32_e32 v40, 31, v40
	s_wait_alu 0xfffd
	v_xor_b32_e32 v39, vcc_lo, v39
	v_add_nc_u32_e32 v67, v130, v37
	v_and_b32_e32 v38, v38, v43
	s_wait_alu 0xf1ff
	v_xor_b32_e32 v37, s18, v40
	ds_load_b32 v65, v67 offset:64
	v_and_b32_e32 v38, v38, v39
	; wave barrier
	s_delay_alu instid0(VALU_DEP_1) | instskip(NEXT) | instid1(VALU_DEP_1)
	v_and_b32_e32 v37, v38, v37
	v_mbcnt_lo_u32_b32 v66, v37, 0
	v_cmp_ne_u32_e64 s18, 0, v37
	s_delay_alu instid0(VALU_DEP_2)
	v_cmp_eq_u32_e32 vcc_lo, 0, v66
	s_and_b32 s21, s18, vcc_lo
	s_wait_alu 0xfffe
	s_and_saveexec_b32 s18, s21
	s_cbranch_execz .LBB140_48
; %bb.47:                               ;   in Loop: Header=BB140_32 Depth=1
	s_wait_dscnt 0x0
	v_bcnt_u32_b32 v37, v37, v65
	ds_store_b32 v67, v37 offset:64
.LBB140_48:                             ;   in Loop: Header=BB140_32 Depth=1
	s_wait_alu 0xfffe
	s_or_b32 exec_lo, exec_lo, s18
	; wave barrier
	s_wait_loadcnt_dscnt 0x0
	s_barrier_signal -1
	s_barrier_wait -1
	global_inv scope:SCOPE_SE
	ds_load_b128 v[41:44], v116 offset:64
	ds_load_b128 v[37:40], v116 offset:80
	s_wait_dscnt 0x1
	v_add_nc_u32_e32 v68, v42, v41
	s_delay_alu instid0(VALU_DEP_1) | instskip(SKIP_1) | instid1(VALU_DEP_1)
	v_add3_u32 v68, v68, v43, v44
	s_wait_dscnt 0x0
	v_add3_u32 v68, v68, v37, v38
	s_delay_alu instid0(VALU_DEP_1) | instskip(NEXT) | instid1(VALU_DEP_1)
	v_add3_u32 v40, v68, v39, v40
	v_mov_b32_dpp v68, v40 row_shr:1 row_mask:0xf bank_mask:0xf
	s_delay_alu instid0(VALU_DEP_1) | instskip(NEXT) | instid1(VALU_DEP_1)
	v_cndmask_b32_e64 v68, v68, 0, s12
	v_add_nc_u32_e32 v40, v68, v40
	s_delay_alu instid0(VALU_DEP_1) | instskip(NEXT) | instid1(VALU_DEP_1)
	v_mov_b32_dpp v68, v40 row_shr:2 row_mask:0xf bank_mask:0xf
	v_cndmask_b32_e64 v68, 0, v68, s13
	s_delay_alu instid0(VALU_DEP_1) | instskip(NEXT) | instid1(VALU_DEP_1)
	v_add_nc_u32_e32 v40, v40, v68
	v_mov_b32_dpp v68, v40 row_shr:4 row_mask:0xf bank_mask:0xf
	s_delay_alu instid0(VALU_DEP_1) | instskip(NEXT) | instid1(VALU_DEP_1)
	v_cndmask_b32_e64 v68, 0, v68, s14
	v_add_nc_u32_e32 v40, v40, v68
	s_delay_alu instid0(VALU_DEP_1) | instskip(NEXT) | instid1(VALU_DEP_1)
	v_mov_b32_dpp v68, v40 row_shr:8 row_mask:0xf bank_mask:0xf
	v_cndmask_b32_e64 v68, 0, v68, s15
	s_delay_alu instid0(VALU_DEP_1) | instskip(SKIP_3) | instid1(VALU_DEP_1)
	v_add_nc_u32_e32 v40, v40, v68
	ds_swizzle_b32 v68, v40 offset:swizzle(BROADCAST,32,15)
	s_wait_dscnt 0x0
	v_cndmask_b32_e64 v68, v68, 0, s16
	v_add_nc_u32_e32 v40, v40, v68
	s_and_saveexec_b32 s18, s17
; %bb.49:                               ;   in Loop: Header=BB140_32 Depth=1
	ds_store_b32 v117, v40
; %bb.50:                               ;   in Loop: Header=BB140_32 Depth=1
	s_wait_alu 0xfffe
	s_or_b32 exec_lo, exec_lo, s18
	s_wait_loadcnt_dscnt 0x0
	s_barrier_signal -1
	s_barrier_wait -1
	global_inv scope:SCOPE_SE
	s_and_saveexec_b32 s18, s8
	s_cbranch_execz .LBB140_52
; %bb.51:                               ;   in Loop: Header=BB140_32 Depth=1
	ds_load_b32 v68, v131
	s_wait_dscnt 0x0
	v_mov_b32_dpp v132, v68 row_shr:1 row_mask:0xf bank_mask:0xf
	s_delay_alu instid0(VALU_DEP_1) | instskip(NEXT) | instid1(VALU_DEP_1)
	v_cndmask_b32_e64 v132, v132, 0, s12
	v_add_nc_u32_e32 v68, v132, v68
	s_delay_alu instid0(VALU_DEP_1) | instskip(NEXT) | instid1(VALU_DEP_1)
	v_mov_b32_dpp v132, v68 row_shr:2 row_mask:0xf bank_mask:0xf
	v_cndmask_b32_e64 v132, 0, v132, s13
	s_delay_alu instid0(VALU_DEP_1) | instskip(NEXT) | instid1(VALU_DEP_1)
	v_add_nc_u32_e32 v68, v68, v132
	v_mov_b32_dpp v132, v68 row_shr:4 row_mask:0xf bank_mask:0xf
	s_delay_alu instid0(VALU_DEP_1) | instskip(NEXT) | instid1(VALU_DEP_1)
	v_cndmask_b32_e64 v132, 0, v132, s14
	v_add_nc_u32_e32 v68, v68, v132
	s_delay_alu instid0(VALU_DEP_1) | instskip(NEXT) | instid1(VALU_DEP_1)
	v_mov_b32_dpp v132, v68 row_shr:8 row_mask:0xf bank_mask:0xf
	v_cndmask_b32_e64 v132, 0, v132, s15
	s_delay_alu instid0(VALU_DEP_1)
	v_add_nc_u32_e32 v68, v68, v132
	ds_store_b32 v131, v68
.LBB140_52:                             ;   in Loop: Header=BB140_32 Depth=1
	s_wait_alu 0xfffe
	s_or_b32 exec_lo, exec_lo, s18
	v_mov_b32_e32 v68, 0
	s_wait_loadcnt_dscnt 0x0
	s_barrier_signal -1
	s_barrier_wait -1
	global_inv scope:SCOPE_SE
	s_and_saveexec_b32 s18, s9
; %bb.53:                               ;   in Loop: Header=BB140_32 Depth=1
	ds_load_b32 v68, v128
; %bb.54:                               ;   in Loop: Header=BB140_32 Depth=1
	s_wait_alu 0xfffe
	s_or_b32 exec_lo, exec_lo, s18
	s_wait_dscnt 0x0
	v_add_nc_u32_e32 v40, v68, v40
	v_cmp_lt_u32_e32 vcc_lo, 55, v70
	s_mov_b32 s18, -1
	ds_bpermute_b32 v40, v127, v40
	s_and_b32 vcc_lo, exec_lo, vcc_lo
	s_wait_dscnt 0x0
	v_cndmask_b32_e64 v40, v40, v68, s11
	s_delay_alu instid0(VALU_DEP_1) | instskip(NEXT) | instid1(VALU_DEP_1)
	v_cndmask_b32_e64 v40, v40, 0, s10
	v_add_nc_u32_e32 v41, v40, v41
	s_delay_alu instid0(VALU_DEP_1) | instskip(NEXT) | instid1(VALU_DEP_1)
	v_add_nc_u32_e32 v42, v41, v42
	v_add_nc_u32_e32 v43, v42, v43
	s_delay_alu instid0(VALU_DEP_1) | instskip(NEXT) | instid1(VALU_DEP_1)
	v_add_nc_u32_e32 v132, v43, v44
	;; [unrolled: 3-line block ×3, first 2 shown]
	v_add_nc_u32_e32 v135, v134, v39
	ds_store_b128 v116, v[40:43] offset:64
	ds_store_b128 v116, v[132:135] offset:80
	s_wait_loadcnt_dscnt 0x0
	s_barrier_signal -1
	s_barrier_wait -1
	global_inv scope:SCOPE_SE
	ds_load_b32 v37, v46 offset:64
	ds_load_b32 v38, v49 offset:64
	;; [unrolled: 1-line block ×8, first 2 shown]
	s_wait_dscnt 0x7
	v_add_nc_u32_e32 v139, v37, v45
	s_wait_dscnt 0x6
	v_add3_u32 v138, v48, v47, v38
	s_wait_dscnt 0x5
	v_add3_u32 v137, v51, v50, v39
	;; [unrolled: 2-line block ×7, first 2 shown]
                                        ; implicit-def: $vgpr67_vgpr68
                                        ; implicit-def: $vgpr47_vgpr48
                                        ; implicit-def: $vgpr43_vgpr44
                                        ; implicit-def: $vgpr39_vgpr40
                                        ; implicit-def: $vgpr63_vgpr64
                                        ; implicit-def: $vgpr59_vgpr60
                                        ; implicit-def: $vgpr55_vgpr56
                                        ; implicit-def: $vgpr51_vgpr52
	s_wait_alu 0xfffe
	s_cbranch_vccnz .LBB140_31
; %bb.55:                               ;   in Loop: Header=BB140_32 Depth=1
	v_lshlrev_b32_e32 v49, 3, v139
	v_lshlrev_b32_e32 v52, 3, v136
	;; [unrolled: 1-line block ×8, first 2 shown]
	s_wait_loadcnt 0x0
	s_barrier_signal -1
	s_barrier_wait -1
	global_inv scope:SCOPE_SE
	ds_store_b64 v49, v[75:76]
	ds_store_b64 v50, v[105:106]
	;; [unrolled: 1-line block ×8, first 2 shown]
	s_wait_loadcnt_dscnt 0x0
	s_barrier_signal -1
	s_barrier_wait -1
	global_inv scope:SCOPE_SE
	ds_load_2addr_b64 v[37:40], v129 offset1:32
	ds_load_2addr_b64 v[41:44], v129 offset0:64 offset1:96
	ds_load_2addr_b64 v[45:48], v129 offset0:128 offset1:160
	;; [unrolled: 1-line block ×3, first 2 shown]
	s_wait_loadcnt_dscnt 0x0
	s_barrier_signal -1
	s_barrier_wait -1
	global_inv scope:SCOPE_SE
	ds_store_b64 v49, v[97:98]
	ds_store_b64 v50, v[95:96]
	;; [unrolled: 1-line block ×8, first 2 shown]
	s_wait_loadcnt_dscnt 0x0
	s_barrier_signal -1
	s_barrier_wait -1
	global_inv scope:SCOPE_SE
	ds_load_2addr_b64 v[49:52], v129 offset1:32
	ds_load_2addr_b64 v[53:56], v129 offset0:64 offset1:96
	ds_load_2addr_b64 v[57:60], v129 offset0:128 offset1:160
	;; [unrolled: 1-line block ×3, first 2 shown]
	v_add_co_u32 v70, vcc_lo, v70, 8
	s_wait_alu 0xfffd
	v_add_co_ci_u32_e64 v71, null, 0, v71, vcc_lo
	s_add_co_i32 s20, s20, -8
	s_mov_b32 s18, 0
	s_wait_loadcnt_dscnt 0x0
	s_barrier_signal -1
	s_barrier_wait -1
	global_inv scope:SCOPE_SE
	s_branch .LBB140_31
.LBB140_56:
	v_lshlrev_b64_e32 v[17:18], 3, v[69:70]
	v_mov_b32_e32 v71, v70
	v_dual_mov_b32 v19, v70 :: v_dual_mov_b32 v22, v70
	v_dual_mov_b32 v21, v70 :: v_dual_mov_b32 v24, v70
	s_wait_alu 0xfffe
	s_delay_alu instid0(VALU_DEP_4)
	v_add_co_u32 v17, vcc_lo, s24, v17
	s_wait_alu 0xfffd
	v_add_co_ci_u32_e64 v18, null, s25, v18, vcc_lo
	v_dual_mov_b32 v23, v70 :: v_dual_mov_b32 v26, v70
	v_dual_mov_b32 v25, v70 :: v_dual_mov_b32 v30, v70
	global_load_b64 v[27:28], v[17:18], off
	v_dual_mov_b32 v17, v70 :: v_dual_mov_b32 v20, v70
	v_dual_mov_b32 v18, v70 :: v_dual_mov_b32 v29, v70
	s_or_b32 exec_lo, exec_lo, s8
	s_and_saveexec_b32 s8, s1
	s_cbranch_execz .LBB140_22
.LBB140_57:
	v_mul_lo_u32 v39, s28, v31
	v_mov_b32_e32 v40, 0
	s_delay_alu instid0(VALU_DEP_1) | instskip(NEXT) | instid1(VALU_DEP_1)
	v_lshlrev_b64_e32 v[39:40], 3, v[39:40]
	v_add_co_u32 v39, vcc_lo, s24, v39
	s_wait_alu 0xfffd
	s_delay_alu instid0(VALU_DEP_2)
	v_add_co_ci_u32_e64 v40, null, s25, v40, vcc_lo
	global_load_b64 v[70:71], v[39:40], off
	s_wait_alu 0xfffe
	s_or_b32 exec_lo, exec_lo, s8
	s_and_saveexec_b32 s8, s2
	s_cbranch_execz .LBB140_23
.LBB140_58:
	v_mul_lo_u32 v17, s28, v32
	v_mov_b32_e32 v18, 0
	s_delay_alu instid0(VALU_DEP_1) | instskip(NEXT) | instid1(VALU_DEP_1)
	v_lshlrev_b64_e32 v[17:18], 3, v[17:18]
	v_add_co_u32 v17, vcc_lo, s24, v17
	s_wait_alu 0xfffd
	s_delay_alu instid0(VALU_DEP_2)
	v_add_co_ci_u32_e64 v18, null, s25, v18, vcc_lo
	global_load_b64 v[17:18], v[17:18], off
	s_wait_alu 0xfffe
	s_or_b32 exec_lo, exec_lo, s8
	s_and_saveexec_b32 s8, s3
	s_cbranch_execz .LBB140_24
.LBB140_59:
	v_mul_lo_u32 v19, s28, v34
	v_mov_b32_e32 v20, 0
	s_delay_alu instid0(VALU_DEP_1) | instskip(NEXT) | instid1(VALU_DEP_1)
	v_lshlrev_b64_e32 v[19:20], 3, v[19:20]
	v_add_co_u32 v19, vcc_lo, s24, v19
	s_wait_alu 0xfffd
	s_delay_alu instid0(VALU_DEP_2)
	v_add_co_ci_u32_e64 v20, null, s25, v20, vcc_lo
	global_load_b64 v[19:20], v[19:20], off
	s_wait_alu 0xfffe
	s_or_b32 exec_lo, exec_lo, s8
	s_and_saveexec_b32 s8, s4
	s_cbranch_execz .LBB140_25
.LBB140_60:
	v_mul_lo_u32 v21, s28, v35
	v_mov_b32_e32 v22, 0
	s_delay_alu instid0(VALU_DEP_1) | instskip(NEXT) | instid1(VALU_DEP_1)
	v_lshlrev_b64_e32 v[21:22], 3, v[21:22]
	v_add_co_u32 v21, vcc_lo, s24, v21
	s_wait_alu 0xfffd
	s_delay_alu instid0(VALU_DEP_2)
	v_add_co_ci_u32_e64 v22, null, s25, v22, vcc_lo
	global_load_b64 v[21:22], v[21:22], off
	s_wait_alu 0xfffe
	s_or_b32 exec_lo, exec_lo, s8
	s_and_saveexec_b32 s8, s5
	s_cbranch_execz .LBB140_26
.LBB140_61:
	v_mul_lo_u32 v23, s28, v36
	v_mov_b32_e32 v24, 0
	s_delay_alu instid0(VALU_DEP_1) | instskip(NEXT) | instid1(VALU_DEP_1)
	v_lshlrev_b64_e32 v[23:24], 3, v[23:24]
	v_add_co_u32 v23, vcc_lo, s24, v23
	s_wait_alu 0xfffd
	s_delay_alu instid0(VALU_DEP_2)
	v_add_co_ci_u32_e64 v24, null, s25, v24, vcc_lo
	global_load_b64 v[23:24], v[23:24], off
	s_wait_alu 0xfffe
	s_or_b32 exec_lo, exec_lo, s8
	s_and_saveexec_b32 s8, s6
	s_cbranch_execz .LBB140_27
.LBB140_62:
	v_mul_lo_u32 v25, s28, v37
	v_mov_b32_e32 v26, 0
	s_delay_alu instid0(VALU_DEP_1) | instskip(NEXT) | instid1(VALU_DEP_1)
	v_lshlrev_b64_e32 v[25:26], 3, v[25:26]
	v_add_co_u32 v25, vcc_lo, s24, v25
	s_wait_alu 0xfffd
	s_delay_alu instid0(VALU_DEP_2)
	v_add_co_ci_u32_e64 v26, null, s25, v26, vcc_lo
	global_load_b64 v[25:26], v[25:26], off
	s_wait_alu 0xfffe
	s_or_b32 exec_lo, exec_lo, s8
	s_xor_b32 s8, s20, -1
	s_and_saveexec_b32 s9, s7
	s_cbranch_execnz .LBB140_28
	s_branch .LBB140_29
.LBB140_63:
	v_lshlrev_b32_e32 v33, 3, v139
	v_lshlrev_b32_e32 v36, 3, v136
	;; [unrolled: 1-line block ×9, first 2 shown]
	s_wait_loadcnt 0x0
	s_barrier_signal -1
	s_barrier_wait -1
	global_inv scope:SCOPE_SE
	ds_store_b64 v33, v[75:76]
	ds_store_b64 v34, v[105:106]
	;; [unrolled: 1-line block ×8, first 2 shown]
	s_wait_loadcnt_dscnt 0x0
	s_barrier_signal -1
	s_barrier_wait -1
	global_inv scope:SCOPE_SE
	ds_load_b128 v[49:52], v65
	ds_load_b128 v[53:56], v65 offset:16
	ds_load_b128 v[57:60], v65 offset:32
	;; [unrolled: 1-line block ×3, first 2 shown]
	s_wait_loadcnt_dscnt 0x0
	s_barrier_signal -1
	s_barrier_wait -1
	global_inv scope:SCOPE_SE
	ds_store_b64 v33, v[97:98]
	ds_store_b64 v34, v[95:96]
	;; [unrolled: 1-line block ×8, first 2 shown]
	s_wait_loadcnt_dscnt 0x0
	s_barrier_signal -1
	s_barrier_wait -1
	global_inv scope:SCOPE_SE
	ds_load_b128 v[45:48], v65
	ds_load_b128 v[41:44], v65 offset:16
	ds_load_b128 v[37:40], v65 offset:32
	;; [unrolled: 1-line block ×3, first 2 shown]
	s_mov_b32 s11, 0
	v_xor_b32_e32 v50, 0x80000000, v50
	v_xor_b32_e32 v52, 0x80000000, v52
	;; [unrolled: 1-line block ×8, first 2 shown]
.LBB140_64:
	s_wait_alu 0xfffe
	s_and_b32 vcc_lo, exec_lo, s11
	s_wait_alu 0xfffe
	s_cbranch_vccz .LBB140_92
; %bb.65:
	v_xor_b32_e32 v14, 0x7fffffff, v14
	v_xor_b32_e32 v13, -1, v13
	v_xor_b32_e32 v16, 0x7fffffff, v16
	v_xor_b32_e32 v15, -1, v15
	;; [unrolled: 2-line block ×8, first 2 shown]
	ds_store_b128 v126, v[13:16]
	ds_store_b128 v126, v[9:12] offset:16
	ds_store_b128 v126, v[5:8] offset:32
	;; [unrolled: 1-line block ×3, first 2 shown]
	; wave barrier
	ds_load_2addr_b64 v[4:7], v125 offset1:32
	ds_load_2addr_b64 v[8:11], v125 offset0:64 offset1:96
	ds_load_2addr_b64 v[12:15], v125 offset0:128 offset1:160
	s_wait_dscnt 0x7
	ds_load_2addr_b64 v[33:36], v125 offset0:192 offset1:224
	; wave barrier
	ds_store_b128 v126, v[21:24]
	ds_store_b128 v126, v[17:20] offset:16
	ds_store_b128 v126, v[29:32] offset:32
	;; [unrolled: 1-line block ×3, first 2 shown]
	; wave barrier
	ds_load_2addr_b64 v[16:19], v125 offset1:32
	ds_load_2addr_b64 v[20:23], v125 offset0:64 offset1:96
	ds_load_2addr_b64 v[24:27], v125 offset0:128 offset1:160
	;; [unrolled: 1-line block ×3, first 2 shown]
	s_wait_loadcnt_dscnt 0x0
	s_barrier_signal -1
	s_barrier_wait -1
	global_inv scope:SCOPE_SE
	s_load_b32 s10, s[34:35], 0xc
	s_getpc_b64 s[8:9]
	s_wait_alu 0xfffe
	s_sext_i32_i16 s9, s9
	s_add_co_u32 s8, s8, _ZN7rocprim17ROCPRIM_400000_NS16block_radix_sortIlLj512ELj8ElLj1ELj1ELj0ELNS0_26block_radix_rank_algorithmE1ELNS0_18block_padding_hintE2ELNS0_4arch9wavefront6targetE0EE19radix_bits_per_passE@rel32@lo+12
	s_wait_alu 0xfffe
	s_add_co_ci_u32 s9, s9, _ZN7rocprim17ROCPRIM_400000_NS16block_radix_sortIlLj512ELj8ElLj1ELj1ELj0ELNS0_26block_radix_rank_algorithmE1ELNS0_18block_padding_hintE2ELNS0_4arch9wavefront6targetE0EE19radix_bits_per_passE@rel32@hi+24
	v_or_b32_e32 v3, 31, v122
	s_load_b32 s19, s[8:9], 0x0
	s_mov_b32 s20, 0
	v_cmp_lt_u32_e64 s9, 1, v120
	s_wait_alu 0xfffe
	s_mov_b32 s21, s20
	s_mov_b32 s22, s20
	s_mov_b32 s23, s20
	v_cmp_eq_u32_e64 s14, v74, v3
	v_cmp_lt_u32_e64 s12, 7, v120
	v_cmp_eq_u32_e64 s13, 0, v121
	v_mov_b32_e32 v37, 0
	v_cmp_gt_u32_e64 s15, 16, v74
	v_cmp_lt_u32_e64 s16, 31, v74
	v_cmp_eq_u32_e64 s17, 0, v74
	v_dual_mov_b32 v38, 0 :: v_dual_add_nc_u32 v77, v116, v119
	s_wait_kmcnt 0x0
	s_lshr_b32 s11, s10, 16
	s_and_b32 s8, s10, 0xffff
	s_wait_alu 0xfffe
	v_mad_u32_u24 v1, v124, s11, v123
	v_cmp_lt_u32_e64 s11, 3, v120
	s_delay_alu instid0(VALU_DEP_2) | instskip(SKIP_4) | instid1(VALU_DEP_4)
	v_mad_co_u64_u32 v[1:2], null, v1, s8, v[74:75]
	v_sub_co_u32 v2, s10, v118, 1
	v_lshl_add_u32 v75, v118, 3, v0
	v_cmp_eq_u32_e64 s8, 0, v120
	v_add_nc_u32_e32 v74, -4, v117
	v_cmp_gt_i32_e32 vcc_lo, 0, v2
	v_lshrrev_b32_e32 v1, 3, v1
	s_wait_alu 0xfffd
	v_cndmask_b32_e32 v2, v2, v118, vcc_lo
	s_delay_alu instid0(VALU_DEP_2) | instskip(NEXT) | instid1(VALU_DEP_2)
	v_and_b32_e32 v76, 0x1ffffffc, v1
	v_lshlrev_b32_e32 v32, 2, v2
	v_dual_mov_b32 v0, s20 :: v_dual_mov_b32 v1, s21
	v_dual_mov_b32 v2, s22 :: v_dual_mov_b32 v3, s23
	s_mov_b32 s20, 64
	s_branch .LBB140_67
.LBB140_66:                             ;   in Loop: Header=BB140_67 Depth=1
	s_wait_alu 0xfffe
	s_and_not1_b32 vcc_lo, exec_lo, s18
	s_wait_alu 0xfffe
	s_cbranch_vccz .LBB140_91
.LBB140_67:                             ; =>This Inner Loop Header: Depth=1
	v_dual_mov_b32 v40, v5 :: v_dual_mov_b32 v39, v4
	s_wait_alu 0xfffe
	s_min_u32 s18, s19, s20
	v_mov_b32_e32 v52, v27
	s_wait_alu 0xfffe
	s_lshl_b32 s18, -1, s18
	v_mov_b32_e32 v60, v19
	v_lshrrev_b64 v[4:5], v37, v[39:40]
	s_wait_alu 0xfffe
	s_not_b32 s21, s18
	v_mov_b32_e32 v50, v29
	v_mov_b32_e32 v54, v25
	;; [unrolled: 1-line block ×3, first 2 shown]
	s_wait_alu 0xfffe
	v_dual_mov_b32 v42, v36 :: v_dual_and_b32 v5, s21, v4
	v_dual_mov_b32 v41, v35 :: v_dual_mov_b32 v44, v34
	v_dual_mov_b32 v43, v33 :: v_dual_mov_b32 v46, v15
	s_delay_alu instid0(VALU_DEP_3) | instskip(SKIP_3) | instid1(VALU_DEP_4)
	v_dual_mov_b32 v45, v14 :: v_dual_and_b32 v4, 1, v5
	v_lshlrev_b32_e32 v14, 30, v5
	v_dual_mov_b32 v64, v13 :: v_dual_lshlrev_b32 v15, 29, v5
	v_mov_b32_e32 v63, v12
	v_add_co_u32 v4, s18, v4, -1
	s_wait_alu 0xf1ff
	v_cndmask_b32_e64 v34, 0, 1, s18
	v_not_b32_e32 v48, v14
	v_dual_mov_b32 v66, v11 :: v_dual_lshlrev_b32 v33, 28, v5
	v_cmp_gt_i32_e64 s18, 0, v14
	s_delay_alu instid0(VALU_DEP_4)
	v_cmp_ne_u32_e32 vcc_lo, 0, v34
	v_not_b32_e32 v14, v15
	v_ashrrev_i32_e32 v48, 31, v48
	v_dual_mov_b32 v68, v9 :: v_dual_lshlrev_b32 v35, 27, v5
	s_wait_alu 0xfffd
	v_xor_b32_e32 v4, vcc_lo, v4
	v_cmp_gt_i32_e32 vcc_lo, 0, v15
	v_not_b32_e32 v15, v33
	v_ashrrev_i32_e32 v14, 31, v14
	s_wait_alu 0xf1ff
	v_xor_b32_e32 v48, s18, v48
	v_dual_mov_b32 v71, v7 :: v_dual_and_b32 v4, exec_lo, v4
	v_dual_mov_b32 v65, v10 :: v_dual_lshlrev_b32 v36, 26, v5
	v_cmp_gt_i32_e64 s18, 0, v33
	v_not_b32_e32 v33, v35
	v_ashrrev_i32_e32 v15, 31, v15
	s_wait_alu 0xfffd
	v_xor_b32_e32 v14, vcc_lo, v14
	v_and_b32_e32 v4, v4, v48
	v_dual_mov_b32 v70, v6 :: v_dual_lshlrev_b32 v47, 25, v5
	v_cmp_gt_i32_e32 vcc_lo, 0, v35
	v_not_b32_e32 v35, v36
	v_ashrrev_i32_e32 v33, 31, v33
	s_wait_alu 0xf1ff
	v_xor_b32_e32 v15, s18, v15
	v_dual_mov_b32 v51, v26 :: v_dual_and_b32 v4, v4, v14
	v_dual_mov_b32 v67, v8 :: v_dual_lshlrev_b32 v34, 24, v5
	v_cmp_gt_i32_e64 s18, 0, v36
	v_not_b32_e32 v14, v47
	v_ashrrev_i32_e32 v35, 31, v35
	s_wait_alu 0xfffd
	v_xor_b32_e32 v33, vcc_lo, v33
	v_and_b32_e32 v4, v4, v15
	v_dual_mov_b32 v56, v23 :: v_dual_lshlrev_b32 v5, 6, v5
	v_cmp_gt_i32_e32 vcc_lo, 0, v47
	v_not_b32_e32 v15, v34
	v_ashrrev_i32_e32 v14, 31, v14
	s_wait_alu 0xf1ff
	v_xor_b32_e32 v35, s18, v35
	v_dual_mov_b32 v55, v22 :: v_dual_and_b32 v4, v4, v33
	v_mov_b32_e32 v59, v18
	v_cmp_gt_i32_e64 s18, 0, v34
	v_ashrrev_i32_e32 v12, 31, v15
	s_wait_alu 0xfffd
	v_xor_b32_e32 v13, vcc_lo, v14
	v_and_b32_e32 v4, v4, v35
	v_dual_mov_b32 v48, v31 :: v_dual_mov_b32 v49, v28
	s_wait_alu 0xf1ff
	v_xor_b32_e32 v6, s18, v12
	v_mov_b32_e32 v58, v21
	v_dual_mov_b32 v47, v30 :: v_dual_and_b32 v4, v4, v13
	v_mov_b32_e32 v53, v24
	v_mov_b32_e32 v57, v20
	;; [unrolled: 1-line block ×3, first 2 shown]
	s_delay_alu instid0(VALU_DEP_4)
	v_and_b32_e32 v4, v4, v6
	v_add_nc_u32_e32 v13, v76, v5
	ds_store_b128 v116, v[0:3] offset:64
	ds_store_b128 v116, v[0:3] offset:80
	s_wait_loadcnt_dscnt 0x0
	s_barrier_signal -1
	v_mbcnt_lo_u32_b32 v12, v4, 0
	v_cmp_ne_u32_e64 s18, 0, v4
	s_barrier_wait -1
	global_inv scope:SCOPE_SE
	v_cmp_eq_u32_e32 vcc_lo, 0, v12
	; wave barrier
	s_and_b32 s22, s18, vcc_lo
	s_wait_alu 0xfffe
	s_and_saveexec_b32 s18, s22
; %bb.68:                               ;   in Loop: Header=BB140_67 Depth=1
	v_bcnt_u32_b32 v4, v4, 0
	ds_store_b32 v13, v4 offset:64
; %bb.69:                               ;   in Loop: Header=BB140_67 Depth=1
	s_wait_alu 0xfffe
	s_or_b32 exec_lo, exec_lo, s18
	v_lshrrev_b64 v[4:5], v37, v[70:71]
	; wave barrier
	s_delay_alu instid0(VALU_DEP_1) | instskip(NEXT) | instid1(VALU_DEP_1)
	v_and_b32_e32 v4, s21, v4
	v_and_b32_e32 v5, 1, v4
	v_lshlrev_b32_e32 v6, 30, v4
	v_lshlrev_b32_e32 v7, 29, v4
	;; [unrolled: 1-line block ×4, first 2 shown]
	v_add_co_u32 v5, s18, v5, -1
	s_wait_alu 0xf1ff
	v_cndmask_b32_e64 v9, 0, 1, s18
	v_not_b32_e32 v15, v6
	v_cmp_gt_i32_e64 s18, 0, v6
	v_not_b32_e32 v6, v7
	v_lshlrev_b32_e32 v11, 26, v4
	v_cmp_ne_u32_e32 vcc_lo, 0, v9
	v_ashrrev_i32_e32 v15, 31, v15
	v_lshlrev_b32_e32 v14, 25, v4
	v_ashrrev_i32_e32 v6, 31, v6
	v_lshlrev_b32_e32 v9, 24, v4
	s_wait_alu 0xfffd
	v_xor_b32_e32 v5, vcc_lo, v5
	v_cmp_gt_i32_e32 vcc_lo, 0, v7
	v_not_b32_e32 v7, v8
	s_wait_alu 0xf1ff
	v_xor_b32_e32 v15, s18, v15
	v_cmp_gt_i32_e64 s18, 0, v8
	v_and_b32_e32 v5, exec_lo, v5
	v_not_b32_e32 v8, v10
	v_ashrrev_i32_e32 v7, 31, v7
	s_wait_alu 0xfffd
	v_xor_b32_e32 v6, vcc_lo, v6
	v_cmp_gt_i32_e32 vcc_lo, 0, v10
	v_and_b32_e32 v5, v5, v15
	v_not_b32_e32 v10, v11
	v_ashrrev_i32_e32 v8, 31, v8
	s_wait_alu 0xf1ff
	v_xor_b32_e32 v7, s18, v7
	v_cmp_gt_i32_e64 s18, 0, v11
	v_and_b32_e32 v5, v5, v6
	v_not_b32_e32 v6, v14
	v_ashrrev_i32_e32 v10, 31, v10
	s_wait_alu 0xfffd
	v_xor_b32_e32 v8, vcc_lo, v8
	v_cmp_gt_i32_e32 vcc_lo, 0, v14
	v_and_b32_e32 v5, v5, v7
	v_not_b32_e32 v7, v9
	v_ashrrev_i32_e32 v6, 31, v6
	s_wait_alu 0xf1ff
	v_xor_b32_e32 v10, s18, v10
	v_lshlrev_b32_e32 v4, 6, v4
	v_and_b32_e32 v5, v5, v8
	v_cmp_gt_i32_e64 s18, 0, v9
	v_ashrrev_i32_e32 v7, 31, v7
	s_wait_alu 0xfffd
	v_xor_b32_e32 v6, vcc_lo, v6
	v_add_nc_u32_e32 v16, v76, v4
	v_and_b32_e32 v5, v5, v10
	s_wait_alu 0xf1ff
	v_xor_b32_e32 v4, s18, v7
	ds_load_b32 v14, v16 offset:64
	v_and_b32_e32 v5, v5, v6
	; wave barrier
	s_delay_alu instid0(VALU_DEP_1) | instskip(NEXT) | instid1(VALU_DEP_1)
	v_and_b32_e32 v4, v5, v4
	v_mbcnt_lo_u32_b32 v15, v4, 0
	v_cmp_ne_u32_e64 s18, 0, v4
	s_delay_alu instid0(VALU_DEP_2)
	v_cmp_eq_u32_e32 vcc_lo, 0, v15
	s_and_b32 s22, s18, vcc_lo
	s_wait_alu 0xfffe
	s_and_saveexec_b32 s18, s22
	s_cbranch_execz .LBB140_71
; %bb.70:                               ;   in Loop: Header=BB140_67 Depth=1
	s_wait_dscnt 0x0
	v_bcnt_u32_b32 v4, v4, v14
	ds_store_b32 v16, v4 offset:64
.LBB140_71:                             ;   in Loop: Header=BB140_67 Depth=1
	s_wait_alu 0xfffe
	s_or_b32 exec_lo, exec_lo, s18
	v_lshrrev_b64 v[4:5], v37, v[67:68]
	; wave barrier
	s_delay_alu instid0(VALU_DEP_1) | instskip(NEXT) | instid1(VALU_DEP_1)
	v_and_b32_e32 v4, s21, v4
	v_and_b32_e32 v5, 1, v4
	v_lshlrev_b32_e32 v6, 30, v4
	v_lshlrev_b32_e32 v7, 29, v4
	;; [unrolled: 1-line block ×4, first 2 shown]
	v_add_co_u32 v5, s18, v5, -1
	s_wait_alu 0xf1ff
	v_cndmask_b32_e64 v9, 0, 1, s18
	v_not_b32_e32 v18, v6
	v_cmp_gt_i32_e64 s18, 0, v6
	v_not_b32_e32 v6, v7
	v_lshlrev_b32_e32 v11, 26, v4
	v_cmp_ne_u32_e32 vcc_lo, 0, v9
	v_ashrrev_i32_e32 v18, 31, v18
	v_lshlrev_b32_e32 v17, 25, v4
	v_ashrrev_i32_e32 v6, 31, v6
	v_lshlrev_b32_e32 v9, 24, v4
	s_wait_alu 0xfffd
	v_xor_b32_e32 v5, vcc_lo, v5
	v_cmp_gt_i32_e32 vcc_lo, 0, v7
	v_not_b32_e32 v7, v8
	s_wait_alu 0xf1ff
	v_xor_b32_e32 v18, s18, v18
	v_cmp_gt_i32_e64 s18, 0, v8
	v_and_b32_e32 v5, exec_lo, v5
	v_not_b32_e32 v8, v10
	v_ashrrev_i32_e32 v7, 31, v7
	s_wait_alu 0xfffd
	v_xor_b32_e32 v6, vcc_lo, v6
	v_cmp_gt_i32_e32 vcc_lo, 0, v10
	v_and_b32_e32 v5, v5, v18
	v_not_b32_e32 v10, v11
	v_ashrrev_i32_e32 v8, 31, v8
	s_wait_alu 0xf1ff
	v_xor_b32_e32 v7, s18, v7
	v_cmp_gt_i32_e64 s18, 0, v11
	v_and_b32_e32 v5, v5, v6
	v_not_b32_e32 v6, v17
	v_ashrrev_i32_e32 v10, 31, v10
	s_wait_alu 0xfffd
	v_xor_b32_e32 v8, vcc_lo, v8
	v_cmp_gt_i32_e32 vcc_lo, 0, v17
	v_and_b32_e32 v5, v5, v7
	v_not_b32_e32 v7, v9
	v_ashrrev_i32_e32 v6, 31, v6
	s_wait_alu 0xf1ff
	v_xor_b32_e32 v10, s18, v10
	v_lshlrev_b32_e32 v4, 6, v4
	v_and_b32_e32 v5, v5, v8
	v_cmp_gt_i32_e64 s18, 0, v9
	v_ashrrev_i32_e32 v7, 31, v7
	s_wait_alu 0xfffd
	v_xor_b32_e32 v6, vcc_lo, v6
	v_add_nc_u32_e32 v19, v76, v4
	v_and_b32_e32 v5, v5, v10
	s_wait_alu 0xf1ff
	v_xor_b32_e32 v4, s18, v7
	ds_load_b32 v17, v19 offset:64
	v_and_b32_e32 v5, v5, v6
	; wave barrier
	s_delay_alu instid0(VALU_DEP_1) | instskip(NEXT) | instid1(VALU_DEP_1)
	v_and_b32_e32 v4, v5, v4
	v_mbcnt_lo_u32_b32 v18, v4, 0
	v_cmp_ne_u32_e64 s18, 0, v4
	s_delay_alu instid0(VALU_DEP_2)
	v_cmp_eq_u32_e32 vcc_lo, 0, v18
	s_and_b32 s22, s18, vcc_lo
	s_wait_alu 0xfffe
	s_and_saveexec_b32 s18, s22
	s_cbranch_execz .LBB140_73
; %bb.72:                               ;   in Loop: Header=BB140_67 Depth=1
	s_wait_dscnt 0x0
	v_bcnt_u32_b32 v4, v4, v17
	ds_store_b32 v19, v4 offset:64
.LBB140_73:                             ;   in Loop: Header=BB140_67 Depth=1
	s_wait_alu 0xfffe
	s_or_b32 exec_lo, exec_lo, s18
	v_lshrrev_b64 v[4:5], v37, v[65:66]
	; wave barrier
	s_delay_alu instid0(VALU_DEP_1) | instskip(NEXT) | instid1(VALU_DEP_1)
	v_and_b32_e32 v4, s21, v4
	v_and_b32_e32 v5, 1, v4
	v_lshlrev_b32_e32 v6, 30, v4
	v_lshlrev_b32_e32 v7, 29, v4
	;; [unrolled: 1-line block ×4, first 2 shown]
	v_add_co_u32 v5, s18, v5, -1
	s_wait_alu 0xf1ff
	v_cndmask_b32_e64 v9, 0, 1, s18
	v_not_b32_e32 v21, v6
	v_cmp_gt_i32_e64 s18, 0, v6
	v_not_b32_e32 v6, v7
	v_lshlrev_b32_e32 v11, 26, v4
	v_cmp_ne_u32_e32 vcc_lo, 0, v9
	v_ashrrev_i32_e32 v21, 31, v21
	v_lshlrev_b32_e32 v20, 25, v4
	v_ashrrev_i32_e32 v6, 31, v6
	v_lshlrev_b32_e32 v9, 24, v4
	s_wait_alu 0xfffd
	v_xor_b32_e32 v5, vcc_lo, v5
	v_cmp_gt_i32_e32 vcc_lo, 0, v7
	v_not_b32_e32 v7, v8
	s_wait_alu 0xf1ff
	v_xor_b32_e32 v21, s18, v21
	v_cmp_gt_i32_e64 s18, 0, v8
	v_and_b32_e32 v5, exec_lo, v5
	v_not_b32_e32 v8, v10
	v_ashrrev_i32_e32 v7, 31, v7
	s_wait_alu 0xfffd
	v_xor_b32_e32 v6, vcc_lo, v6
	v_cmp_gt_i32_e32 vcc_lo, 0, v10
	v_and_b32_e32 v5, v5, v21
	v_not_b32_e32 v10, v11
	v_ashrrev_i32_e32 v8, 31, v8
	s_wait_alu 0xf1ff
	v_xor_b32_e32 v7, s18, v7
	v_cmp_gt_i32_e64 s18, 0, v11
	v_and_b32_e32 v5, v5, v6
	v_not_b32_e32 v6, v20
	v_ashrrev_i32_e32 v10, 31, v10
	s_wait_alu 0xfffd
	v_xor_b32_e32 v8, vcc_lo, v8
	v_cmp_gt_i32_e32 vcc_lo, 0, v20
	v_and_b32_e32 v5, v5, v7
	v_not_b32_e32 v7, v9
	v_ashrrev_i32_e32 v6, 31, v6
	s_wait_alu 0xf1ff
	v_xor_b32_e32 v10, s18, v10
	v_lshlrev_b32_e32 v4, 6, v4
	v_and_b32_e32 v5, v5, v8
	v_cmp_gt_i32_e64 s18, 0, v9
	v_ashrrev_i32_e32 v7, 31, v7
	s_wait_alu 0xfffd
	v_xor_b32_e32 v6, vcc_lo, v6
	v_add_nc_u32_e32 v22, v76, v4
	v_and_b32_e32 v5, v5, v10
	s_wait_alu 0xf1ff
	v_xor_b32_e32 v4, s18, v7
	ds_load_b32 v20, v22 offset:64
	v_and_b32_e32 v5, v5, v6
	; wave barrier
	s_delay_alu instid0(VALU_DEP_1) | instskip(NEXT) | instid1(VALU_DEP_1)
	v_and_b32_e32 v4, v5, v4
	v_mbcnt_lo_u32_b32 v21, v4, 0
	v_cmp_ne_u32_e64 s18, 0, v4
	s_delay_alu instid0(VALU_DEP_2)
	v_cmp_eq_u32_e32 vcc_lo, 0, v21
	s_and_b32 s22, s18, vcc_lo
	s_wait_alu 0xfffe
	s_and_saveexec_b32 s18, s22
	s_cbranch_execz .LBB140_75
; %bb.74:                               ;   in Loop: Header=BB140_67 Depth=1
	s_wait_dscnt 0x0
	v_bcnt_u32_b32 v4, v4, v20
	ds_store_b32 v22, v4 offset:64
.LBB140_75:                             ;   in Loop: Header=BB140_67 Depth=1
	s_wait_alu 0xfffe
	s_or_b32 exec_lo, exec_lo, s18
	v_lshrrev_b64 v[4:5], v37, v[63:64]
	; wave barrier
	s_delay_alu instid0(VALU_DEP_1) | instskip(NEXT) | instid1(VALU_DEP_1)
	v_and_b32_e32 v4, s21, v4
	v_and_b32_e32 v5, 1, v4
	v_lshlrev_b32_e32 v6, 30, v4
	v_lshlrev_b32_e32 v7, 29, v4
	;; [unrolled: 1-line block ×4, first 2 shown]
	v_add_co_u32 v5, s18, v5, -1
	s_wait_alu 0xf1ff
	v_cndmask_b32_e64 v9, 0, 1, s18
	v_not_b32_e32 v24, v6
	v_cmp_gt_i32_e64 s18, 0, v6
	v_not_b32_e32 v6, v7
	v_lshlrev_b32_e32 v11, 26, v4
	v_cmp_ne_u32_e32 vcc_lo, 0, v9
	v_ashrrev_i32_e32 v24, 31, v24
	v_lshlrev_b32_e32 v23, 25, v4
	v_ashrrev_i32_e32 v6, 31, v6
	v_lshlrev_b32_e32 v9, 24, v4
	s_wait_alu 0xfffd
	v_xor_b32_e32 v5, vcc_lo, v5
	v_cmp_gt_i32_e32 vcc_lo, 0, v7
	v_not_b32_e32 v7, v8
	s_wait_alu 0xf1ff
	v_xor_b32_e32 v24, s18, v24
	v_cmp_gt_i32_e64 s18, 0, v8
	v_and_b32_e32 v5, exec_lo, v5
	v_not_b32_e32 v8, v10
	v_ashrrev_i32_e32 v7, 31, v7
	s_wait_alu 0xfffd
	v_xor_b32_e32 v6, vcc_lo, v6
	v_cmp_gt_i32_e32 vcc_lo, 0, v10
	v_and_b32_e32 v5, v5, v24
	v_not_b32_e32 v10, v11
	v_ashrrev_i32_e32 v8, 31, v8
	s_wait_alu 0xf1ff
	v_xor_b32_e32 v7, s18, v7
	v_cmp_gt_i32_e64 s18, 0, v11
	v_and_b32_e32 v5, v5, v6
	v_not_b32_e32 v6, v23
	v_ashrrev_i32_e32 v10, 31, v10
	s_wait_alu 0xfffd
	v_xor_b32_e32 v8, vcc_lo, v8
	v_cmp_gt_i32_e32 vcc_lo, 0, v23
	v_and_b32_e32 v5, v5, v7
	v_not_b32_e32 v7, v9
	v_ashrrev_i32_e32 v6, 31, v6
	s_wait_alu 0xf1ff
	v_xor_b32_e32 v10, s18, v10
	v_lshlrev_b32_e32 v4, 6, v4
	v_and_b32_e32 v5, v5, v8
	v_cmp_gt_i32_e64 s18, 0, v9
	v_ashrrev_i32_e32 v7, 31, v7
	s_wait_alu 0xfffd
	v_xor_b32_e32 v6, vcc_lo, v6
	v_add_nc_u32_e32 v25, v76, v4
	v_and_b32_e32 v5, v5, v10
	s_wait_alu 0xf1ff
	v_xor_b32_e32 v4, s18, v7
	ds_load_b32 v23, v25 offset:64
	v_and_b32_e32 v5, v5, v6
	; wave barrier
	s_delay_alu instid0(VALU_DEP_1) | instskip(NEXT) | instid1(VALU_DEP_1)
	v_and_b32_e32 v4, v5, v4
	v_mbcnt_lo_u32_b32 v24, v4, 0
	v_cmp_ne_u32_e64 s18, 0, v4
	s_delay_alu instid0(VALU_DEP_2)
	v_cmp_eq_u32_e32 vcc_lo, 0, v24
	s_and_b32 s22, s18, vcc_lo
	s_wait_alu 0xfffe
	s_and_saveexec_b32 s18, s22
	s_cbranch_execz .LBB140_77
; %bb.76:                               ;   in Loop: Header=BB140_67 Depth=1
	s_wait_dscnt 0x0
	v_bcnt_u32_b32 v4, v4, v23
	ds_store_b32 v25, v4 offset:64
.LBB140_77:                             ;   in Loop: Header=BB140_67 Depth=1
	s_wait_alu 0xfffe
	s_or_b32 exec_lo, exec_lo, s18
	v_lshrrev_b64 v[4:5], v37, v[45:46]
	; wave barrier
	s_delay_alu instid0(VALU_DEP_1) | instskip(NEXT) | instid1(VALU_DEP_1)
	v_and_b32_e32 v4, s21, v4
	v_and_b32_e32 v5, 1, v4
	v_lshlrev_b32_e32 v6, 30, v4
	v_lshlrev_b32_e32 v7, 29, v4
	v_lshlrev_b32_e32 v8, 28, v4
	v_lshlrev_b32_e32 v10, 27, v4
	v_add_co_u32 v5, s18, v5, -1
	s_wait_alu 0xf1ff
	v_cndmask_b32_e64 v9, 0, 1, s18
	v_not_b32_e32 v27, v6
	v_cmp_gt_i32_e64 s18, 0, v6
	v_not_b32_e32 v6, v7
	v_lshlrev_b32_e32 v11, 26, v4
	v_cmp_ne_u32_e32 vcc_lo, 0, v9
	v_ashrrev_i32_e32 v27, 31, v27
	v_lshlrev_b32_e32 v26, 25, v4
	v_ashrrev_i32_e32 v6, 31, v6
	v_lshlrev_b32_e32 v9, 24, v4
	s_wait_alu 0xfffd
	v_xor_b32_e32 v5, vcc_lo, v5
	v_cmp_gt_i32_e32 vcc_lo, 0, v7
	v_not_b32_e32 v7, v8
	s_wait_alu 0xf1ff
	v_xor_b32_e32 v27, s18, v27
	v_cmp_gt_i32_e64 s18, 0, v8
	v_and_b32_e32 v5, exec_lo, v5
	v_not_b32_e32 v8, v10
	v_ashrrev_i32_e32 v7, 31, v7
	s_wait_alu 0xfffd
	v_xor_b32_e32 v6, vcc_lo, v6
	v_cmp_gt_i32_e32 vcc_lo, 0, v10
	v_and_b32_e32 v5, v5, v27
	v_not_b32_e32 v10, v11
	v_ashrrev_i32_e32 v8, 31, v8
	s_wait_alu 0xf1ff
	v_xor_b32_e32 v7, s18, v7
	v_cmp_gt_i32_e64 s18, 0, v11
	v_and_b32_e32 v5, v5, v6
	v_not_b32_e32 v6, v26
	v_ashrrev_i32_e32 v10, 31, v10
	s_wait_alu 0xfffd
	v_xor_b32_e32 v8, vcc_lo, v8
	v_cmp_gt_i32_e32 vcc_lo, 0, v26
	v_and_b32_e32 v5, v5, v7
	v_not_b32_e32 v7, v9
	v_ashrrev_i32_e32 v6, 31, v6
	s_wait_alu 0xf1ff
	v_xor_b32_e32 v10, s18, v10
	v_lshlrev_b32_e32 v4, 6, v4
	v_and_b32_e32 v5, v5, v8
	v_cmp_gt_i32_e64 s18, 0, v9
	v_ashrrev_i32_e32 v7, 31, v7
	s_wait_alu 0xfffd
	v_xor_b32_e32 v6, vcc_lo, v6
	v_add_nc_u32_e32 v28, v76, v4
	v_and_b32_e32 v5, v5, v10
	s_wait_alu 0xf1ff
	v_xor_b32_e32 v4, s18, v7
	ds_load_b32 v26, v28 offset:64
	v_and_b32_e32 v5, v5, v6
	; wave barrier
	s_delay_alu instid0(VALU_DEP_1) | instskip(NEXT) | instid1(VALU_DEP_1)
	v_and_b32_e32 v4, v5, v4
	v_mbcnt_lo_u32_b32 v27, v4, 0
	v_cmp_ne_u32_e64 s18, 0, v4
	s_delay_alu instid0(VALU_DEP_2)
	v_cmp_eq_u32_e32 vcc_lo, 0, v27
	s_and_b32 s22, s18, vcc_lo
	s_wait_alu 0xfffe
	s_and_saveexec_b32 s18, s22
	s_cbranch_execz .LBB140_79
; %bb.78:                               ;   in Loop: Header=BB140_67 Depth=1
	s_wait_dscnt 0x0
	v_bcnt_u32_b32 v4, v4, v26
	ds_store_b32 v28, v4 offset:64
.LBB140_79:                             ;   in Loop: Header=BB140_67 Depth=1
	s_wait_alu 0xfffe
	s_or_b32 exec_lo, exec_lo, s18
	v_lshrrev_b64 v[4:5], v37, v[43:44]
	; wave barrier
	s_delay_alu instid0(VALU_DEP_1) | instskip(NEXT) | instid1(VALU_DEP_1)
	v_and_b32_e32 v4, s21, v4
	v_and_b32_e32 v5, 1, v4
	v_lshlrev_b32_e32 v6, 30, v4
	v_lshlrev_b32_e32 v7, 29, v4
	;; [unrolled: 1-line block ×4, first 2 shown]
	v_add_co_u32 v5, s18, v5, -1
	s_wait_alu 0xf1ff
	v_cndmask_b32_e64 v9, 0, 1, s18
	v_not_b32_e32 v30, v6
	v_cmp_gt_i32_e64 s18, 0, v6
	v_not_b32_e32 v6, v7
	v_lshlrev_b32_e32 v11, 26, v4
	v_cmp_ne_u32_e32 vcc_lo, 0, v9
	v_ashrrev_i32_e32 v30, 31, v30
	v_lshlrev_b32_e32 v29, 25, v4
	v_ashrrev_i32_e32 v6, 31, v6
	v_lshlrev_b32_e32 v9, 24, v4
	s_wait_alu 0xfffd
	v_xor_b32_e32 v5, vcc_lo, v5
	v_cmp_gt_i32_e32 vcc_lo, 0, v7
	v_not_b32_e32 v7, v8
	s_wait_alu 0xf1ff
	v_xor_b32_e32 v30, s18, v30
	v_cmp_gt_i32_e64 s18, 0, v8
	v_and_b32_e32 v5, exec_lo, v5
	v_not_b32_e32 v8, v10
	v_ashrrev_i32_e32 v7, 31, v7
	s_wait_alu 0xfffd
	v_xor_b32_e32 v6, vcc_lo, v6
	v_cmp_gt_i32_e32 vcc_lo, 0, v10
	v_and_b32_e32 v5, v5, v30
	v_not_b32_e32 v10, v11
	v_ashrrev_i32_e32 v8, 31, v8
	s_wait_alu 0xf1ff
	v_xor_b32_e32 v7, s18, v7
	v_cmp_gt_i32_e64 s18, 0, v11
	v_and_b32_e32 v5, v5, v6
	v_not_b32_e32 v6, v29
	v_ashrrev_i32_e32 v10, 31, v10
	s_wait_alu 0xfffd
	v_xor_b32_e32 v8, vcc_lo, v8
	v_cmp_gt_i32_e32 vcc_lo, 0, v29
	v_and_b32_e32 v5, v5, v7
	v_not_b32_e32 v7, v9
	v_ashrrev_i32_e32 v6, 31, v6
	s_wait_alu 0xf1ff
	v_xor_b32_e32 v10, s18, v10
	v_lshlrev_b32_e32 v4, 6, v4
	v_and_b32_e32 v5, v5, v8
	v_cmp_gt_i32_e64 s18, 0, v9
	v_ashrrev_i32_e32 v7, 31, v7
	s_wait_alu 0xfffd
	v_xor_b32_e32 v6, vcc_lo, v6
	v_add_nc_u32_e32 v31, v76, v4
	v_and_b32_e32 v5, v5, v10
	s_wait_alu 0xf1ff
	v_xor_b32_e32 v4, s18, v7
	ds_load_b32 v29, v31 offset:64
	v_and_b32_e32 v5, v5, v6
	; wave barrier
	s_delay_alu instid0(VALU_DEP_1) | instskip(NEXT) | instid1(VALU_DEP_1)
	v_and_b32_e32 v4, v5, v4
	v_mbcnt_lo_u32_b32 v30, v4, 0
	v_cmp_ne_u32_e64 s18, 0, v4
	s_delay_alu instid0(VALU_DEP_2)
	v_cmp_eq_u32_e32 vcc_lo, 0, v30
	s_and_b32 s22, s18, vcc_lo
	s_wait_alu 0xfffe
	s_and_saveexec_b32 s18, s22
	s_cbranch_execz .LBB140_81
; %bb.80:                               ;   in Loop: Header=BB140_67 Depth=1
	s_wait_dscnt 0x0
	v_bcnt_u32_b32 v4, v4, v29
	ds_store_b32 v31, v4 offset:64
.LBB140_81:                             ;   in Loop: Header=BB140_67 Depth=1
	s_wait_alu 0xfffe
	s_or_b32 exec_lo, exec_lo, s18
	v_lshrrev_b64 v[4:5], v37, v[41:42]
	; wave barrier
	s_delay_alu instid0(VALU_DEP_1) | instskip(NEXT) | instid1(VALU_DEP_1)
	v_and_b32_e32 v4, s21, v4
	v_and_b32_e32 v5, 1, v4
	v_lshlrev_b32_e32 v6, 30, v4
	v_lshlrev_b32_e32 v7, 29, v4
	;; [unrolled: 1-line block ×4, first 2 shown]
	v_add_co_u32 v5, s18, v5, -1
	s_wait_alu 0xf1ff
	v_cndmask_b32_e64 v9, 0, 1, s18
	v_not_b32_e32 v34, v6
	v_cmp_gt_i32_e64 s18, 0, v6
	v_not_b32_e32 v6, v7
	v_lshlrev_b32_e32 v11, 26, v4
	v_cmp_ne_u32_e32 vcc_lo, 0, v9
	v_ashrrev_i32_e32 v34, 31, v34
	v_lshlrev_b32_e32 v33, 25, v4
	v_ashrrev_i32_e32 v6, 31, v6
	v_lshlrev_b32_e32 v9, 24, v4
	s_wait_alu 0xfffd
	v_xor_b32_e32 v5, vcc_lo, v5
	v_cmp_gt_i32_e32 vcc_lo, 0, v7
	v_not_b32_e32 v7, v8
	s_wait_alu 0xf1ff
	v_xor_b32_e32 v34, s18, v34
	v_cmp_gt_i32_e64 s18, 0, v8
	v_and_b32_e32 v5, exec_lo, v5
	v_not_b32_e32 v8, v10
	v_ashrrev_i32_e32 v7, 31, v7
	s_wait_alu 0xfffd
	v_xor_b32_e32 v6, vcc_lo, v6
	v_cmp_gt_i32_e32 vcc_lo, 0, v10
	v_and_b32_e32 v5, v5, v34
	v_not_b32_e32 v10, v11
	v_ashrrev_i32_e32 v8, 31, v8
	s_wait_alu 0xf1ff
	v_xor_b32_e32 v7, s18, v7
	v_cmp_gt_i32_e64 s18, 0, v11
	v_and_b32_e32 v5, v5, v6
	v_not_b32_e32 v6, v33
	v_ashrrev_i32_e32 v10, 31, v10
	s_wait_alu 0xfffd
	v_xor_b32_e32 v8, vcc_lo, v8
	v_cmp_gt_i32_e32 vcc_lo, 0, v33
	v_and_b32_e32 v5, v5, v7
	v_not_b32_e32 v7, v9
	v_ashrrev_i32_e32 v6, 31, v6
	s_wait_alu 0xf1ff
	v_xor_b32_e32 v10, s18, v10
	v_lshlrev_b32_e32 v4, 6, v4
	v_and_b32_e32 v5, v5, v8
	v_cmp_gt_i32_e64 s18, 0, v9
	v_ashrrev_i32_e32 v7, 31, v7
	s_wait_alu 0xfffd
	v_xor_b32_e32 v6, vcc_lo, v6
	v_add_nc_u32_e32 v35, v76, v4
	v_and_b32_e32 v5, v5, v10
	s_wait_alu 0xf1ff
	v_xor_b32_e32 v4, s18, v7
	ds_load_b32 v33, v35 offset:64
	v_and_b32_e32 v5, v5, v6
	; wave barrier
	s_delay_alu instid0(VALU_DEP_1) | instskip(NEXT) | instid1(VALU_DEP_1)
	v_and_b32_e32 v4, v5, v4
	v_mbcnt_lo_u32_b32 v34, v4, 0
	v_cmp_ne_u32_e64 s18, 0, v4
	s_delay_alu instid0(VALU_DEP_2)
	v_cmp_eq_u32_e32 vcc_lo, 0, v34
	s_and_b32 s21, s18, vcc_lo
	s_wait_alu 0xfffe
	s_and_saveexec_b32 s18, s21
	s_cbranch_execz .LBB140_83
; %bb.82:                               ;   in Loop: Header=BB140_67 Depth=1
	s_wait_dscnt 0x0
	v_bcnt_u32_b32 v4, v4, v33
	ds_store_b32 v35, v4 offset:64
.LBB140_83:                             ;   in Loop: Header=BB140_67 Depth=1
	s_wait_alu 0xfffe
	s_or_b32 exec_lo, exec_lo, s18
	; wave barrier
	s_wait_loadcnt_dscnt 0x0
	s_barrier_signal -1
	s_barrier_wait -1
	global_inv scope:SCOPE_SE
	ds_load_b128 v[8:11], v116 offset:64
	ds_load_b128 v[4:7], v116 offset:80
	s_wait_dscnt 0x1
	v_add_nc_u32_e32 v36, v9, v8
	s_delay_alu instid0(VALU_DEP_1) | instskip(SKIP_1) | instid1(VALU_DEP_1)
	v_add3_u32 v36, v36, v10, v11
	s_wait_dscnt 0x0
	v_add3_u32 v36, v36, v4, v5
	s_delay_alu instid0(VALU_DEP_1) | instskip(NEXT) | instid1(VALU_DEP_1)
	v_add3_u32 v7, v36, v6, v7
	v_mov_b32_dpp v36, v7 row_shr:1 row_mask:0xf bank_mask:0xf
	s_delay_alu instid0(VALU_DEP_1) | instskip(NEXT) | instid1(VALU_DEP_1)
	v_cndmask_b32_e64 v36, v36, 0, s8
	v_add_nc_u32_e32 v7, v36, v7
	s_delay_alu instid0(VALU_DEP_1) | instskip(NEXT) | instid1(VALU_DEP_1)
	v_mov_b32_dpp v36, v7 row_shr:2 row_mask:0xf bank_mask:0xf
	v_cndmask_b32_e64 v36, 0, v36, s9
	s_delay_alu instid0(VALU_DEP_1) | instskip(NEXT) | instid1(VALU_DEP_1)
	v_add_nc_u32_e32 v7, v7, v36
	v_mov_b32_dpp v36, v7 row_shr:4 row_mask:0xf bank_mask:0xf
	s_delay_alu instid0(VALU_DEP_1) | instskip(NEXT) | instid1(VALU_DEP_1)
	v_cndmask_b32_e64 v36, 0, v36, s11
	v_add_nc_u32_e32 v7, v7, v36
	s_delay_alu instid0(VALU_DEP_1) | instskip(NEXT) | instid1(VALU_DEP_1)
	v_mov_b32_dpp v36, v7 row_shr:8 row_mask:0xf bank_mask:0xf
	v_cndmask_b32_e64 v36, 0, v36, s12
	s_delay_alu instid0(VALU_DEP_1) | instskip(SKIP_3) | instid1(VALU_DEP_1)
	v_add_nc_u32_e32 v7, v7, v36
	ds_swizzle_b32 v36, v7 offset:swizzle(BROADCAST,32,15)
	s_wait_dscnt 0x0
	v_cndmask_b32_e64 v36, v36, 0, s13
	v_add_nc_u32_e32 v7, v7, v36
	s_and_saveexec_b32 s18, s14
; %bb.84:                               ;   in Loop: Header=BB140_67 Depth=1
	ds_store_b32 v117, v7
; %bb.85:                               ;   in Loop: Header=BB140_67 Depth=1
	s_wait_alu 0xfffe
	s_or_b32 exec_lo, exec_lo, s18
	s_wait_loadcnt_dscnt 0x0
	s_barrier_signal -1
	s_barrier_wait -1
	global_inv scope:SCOPE_SE
	s_and_saveexec_b32 s18, s15
	s_cbranch_execz .LBB140_87
; %bb.86:                               ;   in Loop: Header=BB140_67 Depth=1
	ds_load_b32 v36, v77
	s_wait_dscnt 0x0
	v_mov_b32_dpp v78, v36 row_shr:1 row_mask:0xf bank_mask:0xf
	s_delay_alu instid0(VALU_DEP_1) | instskip(NEXT) | instid1(VALU_DEP_1)
	v_cndmask_b32_e64 v78, v78, 0, s8
	v_add_nc_u32_e32 v36, v78, v36
	s_delay_alu instid0(VALU_DEP_1) | instskip(NEXT) | instid1(VALU_DEP_1)
	v_mov_b32_dpp v78, v36 row_shr:2 row_mask:0xf bank_mask:0xf
	v_cndmask_b32_e64 v78, 0, v78, s9
	s_delay_alu instid0(VALU_DEP_1) | instskip(NEXT) | instid1(VALU_DEP_1)
	v_add_nc_u32_e32 v36, v36, v78
	v_mov_b32_dpp v78, v36 row_shr:4 row_mask:0xf bank_mask:0xf
	s_delay_alu instid0(VALU_DEP_1) | instskip(NEXT) | instid1(VALU_DEP_1)
	v_cndmask_b32_e64 v78, 0, v78, s11
	v_add_nc_u32_e32 v36, v36, v78
	s_delay_alu instid0(VALU_DEP_1) | instskip(NEXT) | instid1(VALU_DEP_1)
	v_mov_b32_dpp v78, v36 row_shr:8 row_mask:0xf bank_mask:0xf
	v_cndmask_b32_e64 v78, 0, v78, s12
	s_delay_alu instid0(VALU_DEP_1)
	v_add_nc_u32_e32 v36, v36, v78
	ds_store_b32 v77, v36
.LBB140_87:                             ;   in Loop: Header=BB140_67 Depth=1
	s_wait_alu 0xfffe
	s_or_b32 exec_lo, exec_lo, s18
	v_mov_b32_e32 v36, 0
	s_wait_loadcnt_dscnt 0x0
	s_barrier_signal -1
	s_barrier_wait -1
	global_inv scope:SCOPE_SE
	s_and_saveexec_b32 s18, s16
; %bb.88:                               ;   in Loop: Header=BB140_67 Depth=1
	ds_load_b32 v36, v74
; %bb.89:                               ;   in Loop: Header=BB140_67 Depth=1
	s_wait_alu 0xfffe
	s_or_b32 exec_lo, exec_lo, s18
	s_wait_dscnt 0x0
	v_add_nc_u32_e32 v7, v36, v7
	v_cmp_lt_u32_e32 vcc_lo, 55, v37
	s_mov_b32 s18, -1
	ds_bpermute_b32 v7, v32, v7
	s_and_b32 vcc_lo, exec_lo, vcc_lo
	s_wait_dscnt 0x0
	v_cndmask_b32_e64 v7, v7, v36, s10
	s_delay_alu instid0(VALU_DEP_1) | instskip(NEXT) | instid1(VALU_DEP_1)
	v_cndmask_b32_e64 v7, v7, 0, s17
	v_add_nc_u32_e32 v8, v7, v8
	s_delay_alu instid0(VALU_DEP_1) | instskip(NEXT) | instid1(VALU_DEP_1)
	v_add_nc_u32_e32 v9, v8, v9
	v_add_nc_u32_e32 v10, v9, v10
	s_delay_alu instid0(VALU_DEP_1) | instskip(NEXT) | instid1(VALU_DEP_1)
	v_add_nc_u32_e32 v78, v10, v11
	;; [unrolled: 3-line block ×3, first 2 shown]
	v_add_nc_u32_e32 v81, v80, v6
	ds_store_b128 v116, v[7:10] offset:64
	ds_store_b128 v116, v[78:81] offset:80
	s_wait_loadcnt_dscnt 0x0
	s_barrier_signal -1
	s_barrier_wait -1
	global_inv scope:SCOPE_SE
	ds_load_b32 v4, v13 offset:64
	ds_load_b32 v5, v16 offset:64
	;; [unrolled: 1-line block ×8, first 2 shown]
	s_wait_dscnt 0x7
	v_add_nc_u32_e32 v85, v4, v12
	s_wait_dscnt 0x6
	v_add3_u32 v84, v15, v14, v5
	s_wait_dscnt 0x5
	v_add3_u32 v83, v18, v17, v6
	;; [unrolled: 2-line block ×7, first 2 shown]
                                        ; implicit-def: $vgpr35_vgpr36
                                        ; implicit-def: $vgpr14_vgpr15
                                        ; implicit-def: $vgpr10_vgpr11
                                        ; implicit-def: $vgpr6_vgpr7
                                        ; implicit-def: $vgpr30_vgpr31
                                        ; implicit-def: $vgpr26_vgpr27
                                        ; implicit-def: $vgpr22_vgpr23
                                        ; implicit-def: $vgpr18_vgpr19
	s_wait_alu 0xfffe
	s_cbranch_vccnz .LBB140_66
; %bb.90:                               ;   in Loop: Header=BB140_67 Depth=1
	v_lshlrev_b32_e32 v16, 3, v85
	v_lshlrev_b32_e32 v19, 3, v82
	;; [unrolled: 1-line block ×8, first 2 shown]
	s_wait_loadcnt 0x0
	s_barrier_signal -1
	s_barrier_wait -1
	global_inv scope:SCOPE_SE
	ds_store_b64 v16, v[39:40]
	ds_store_b64 v17, v[70:71]
	;; [unrolled: 1-line block ×8, first 2 shown]
	s_wait_loadcnt_dscnt 0x0
	s_barrier_signal -1
	s_barrier_wait -1
	global_inv scope:SCOPE_SE
	ds_load_2addr_b64 v[4:7], v75 offset1:32
	ds_load_2addr_b64 v[8:11], v75 offset0:64 offset1:96
	ds_load_2addr_b64 v[12:15], v75 offset0:128 offset1:160
	;; [unrolled: 1-line block ×3, first 2 shown]
	s_wait_loadcnt_dscnt 0x0
	s_barrier_signal -1
	s_barrier_wait -1
	global_inv scope:SCOPE_SE
	ds_store_b64 v16, v[61:62]
	ds_store_b64 v17, v[59:60]
	;; [unrolled: 1-line block ×8, first 2 shown]
	s_wait_loadcnt_dscnt 0x0
	s_barrier_signal -1
	s_barrier_wait -1
	global_inv scope:SCOPE_SE
	ds_load_2addr_b64 v[16:19], v75 offset1:32
	ds_load_2addr_b64 v[20:23], v75 offset0:64 offset1:96
	ds_load_2addr_b64 v[24:27], v75 offset0:128 offset1:160
	;; [unrolled: 1-line block ×3, first 2 shown]
	v_add_co_u32 v37, vcc_lo, v37, 8
	s_wait_alu 0xfffd
	v_add_co_ci_u32_e64 v38, null, 0, v38, vcc_lo
	s_add_co_i32 s20, s20, -8
	s_mov_b32 s18, 0
	s_wait_loadcnt_dscnt 0x0
	s_barrier_signal -1
	s_barrier_wait -1
	global_inv scope:SCOPE_SE
	s_branch .LBB140_66
.LBB140_91:
	v_lshlrev_b32_e32 v16, 3, v85
	v_lshlrev_b32_e32 v19, 3, v82
	;; [unrolled: 1-line block ×9, first 2 shown]
	s_wait_loadcnt 0x0
	s_barrier_signal -1
	s_barrier_wait -1
	global_inv scope:SCOPE_SE
	ds_store_b64 v16, v[39:40]
	ds_store_b64 v17, v[70:71]
	ds_store_b64 v18, v[67:68]
	ds_store_b64 v19, v[65:66]
	ds_store_b64 v20, v[63:64]
	ds_store_b64 v21, v[45:46]
	ds_store_b64 v22, v[43:44]
	ds_store_b64 v23, v[41:42]
	s_wait_loadcnt_dscnt 0x0
	s_barrier_signal -1
	s_barrier_wait -1
	global_inv scope:SCOPE_SE
	ds_load_b128 v[0:3], v24
	ds_load_b128 v[4:7], v24 offset:16
	ds_load_b128 v[8:11], v24 offset:32
	;; [unrolled: 1-line block ×3, first 2 shown]
	s_wait_loadcnt_dscnt 0x0
	s_barrier_signal -1
	s_barrier_wait -1
	global_inv scope:SCOPE_SE
	ds_store_b64 v16, v[61:62]
	ds_store_b64 v17, v[59:60]
	;; [unrolled: 1-line block ×8, first 2 shown]
	s_wait_loadcnt_dscnt 0x0
	s_barrier_signal -1
	s_barrier_wait -1
	global_inv scope:SCOPE_SE
	ds_load_b128 v[45:48], v24
	ds_load_b128 v[41:44], v24 offset:16
	ds_load_b128 v[37:40], v24 offset:32
	;; [unrolled: 1-line block ×3, first 2 shown]
	v_xor_b32_e32 v50, 0x7fffffff, v1
	v_xor_b32_e32 v49, -1, v0
	v_xor_b32_e32 v52, 0x7fffffff, v3
	v_xor_b32_e32 v51, -1, v2
	;; [unrolled: 2-line block ×8, first 2 shown]
.LBB140_92:
	s_wait_loadcnt_dscnt 0x0
	s_barrier_signal -1
	s_barrier_wait -1
	global_inv scope:SCOPE_SE
	ds_store_2addr_b64 v115, v[49:50], v[51:52] offset1:1
	ds_store_2addr_b64 v115, v[53:54], v[55:56] offset0:2 offset1:3
	ds_store_2addr_b64 v115, v[57:58], v[59:60] offset0:4 offset1:5
	;; [unrolled: 1-line block ×3, first 2 shown]
	s_wait_loadcnt_dscnt 0x0
	s_barrier_signal -1
	s_barrier_wait -1
	global_inv scope:SCOPE_SE
	ds_load_b64 v[14:15], v108 offset:4096
	ds_load_b64 v[12:13], v109 offset:8192
	;; [unrolled: 1-line block ×7, first 2 shown]
	v_mov_b32_e32 v73, 0
	s_delay_alu instid0(VALU_DEP_1) | instskip(NEXT) | instid1(VALU_DEP_1)
	v_lshlrev_b64_e32 v[2:3], 3, v[72:73]
	v_add_co_u32 v2, vcc_lo, s30, v2
	s_wait_alu 0xfffd
	s_delay_alu instid0(VALU_DEP_2)
	v_add_co_ci_u32_e64 v3, null, s31, v3, vcc_lo
	s_and_saveexec_b32 s8, s0
	s_cbranch_execnz .LBB140_111
; %bb.93:
	s_wait_alu 0xfffe
	s_or_b32 exec_lo, exec_lo, s8
	s_and_saveexec_b32 s8, s1
	s_cbranch_execnz .LBB140_112
.LBB140_94:
	s_wait_alu 0xfffe
	s_or_b32 exec_lo, exec_lo, s8
	s_and_saveexec_b32 s8, s2
	s_cbranch_execnz .LBB140_113
.LBB140_95:
	s_wait_alu 0xfffe
	s_or_b32 exec_lo, exec_lo, s8
	s_and_saveexec_b32 s8, s3
	s_cbranch_execnz .LBB140_114
.LBB140_96:
	s_wait_alu 0xfffe
	s_or_b32 exec_lo, exec_lo, s8
	s_and_saveexec_b32 s8, s4
	s_cbranch_execnz .LBB140_115
.LBB140_97:
	s_wait_alu 0xfffe
	s_or_b32 exec_lo, exec_lo, s8
	s_and_saveexec_b32 s8, s5
	s_cbranch_execnz .LBB140_116
.LBB140_98:
	s_wait_alu 0xfffe
	s_or_b32 exec_lo, exec_lo, s8
	s_and_saveexec_b32 s8, s6
	s_cbranch_execnz .LBB140_117
.LBB140_99:
	s_wait_alu 0xfffe
	s_or_b32 exec_lo, exec_lo, s8
	s_and_saveexec_b32 s8, s7
	s_cbranch_execz .LBB140_101
.LBB140_100:
	s_mul_i32 s10, s26, 0xe00
	s_mov_b32 s11, 0
	s_wait_alu 0xfffe
	s_lshl_b64 s[10:11], s[10:11], 3
	s_wait_alu 0xfffe
	v_add_co_u32 v2, vcc_lo, v2, s10
	s_wait_alu 0xfffd
	v_add_co_ci_u32_e64 v3, null, s11, v3, vcc_lo
	s_wait_dscnt 0x0
	global_store_b64 v[2:3], v[0:1], off
.LBB140_101:
	s_wait_alu 0xfffe
	s_or_b32 exec_lo, exec_lo, s8
	s_wait_storecnt 0x0
	s_wait_loadcnt_dscnt 0x0
	s_barrier_signal -1
	s_barrier_wait -1
	global_inv scope:SCOPE_SE
	ds_store_2addr_b64 v115, v[45:46], v[47:48] offset1:1
	ds_store_2addr_b64 v115, v[41:42], v[43:44] offset0:2 offset1:3
	ds_store_2addr_b64 v115, v[37:38], v[39:40] offset0:4 offset1:5
	;; [unrolled: 1-line block ×3, first 2 shown]
	s_wait_loadcnt_dscnt 0x0
	s_barrier_signal -1
	s_barrier_wait -1
	global_inv scope:SCOPE_SE
	ds_load_b64 v[14:15], v108 offset:4096
	ds_load_b64 v[12:13], v109 offset:8192
	;; [unrolled: 1-line block ×7, first 2 shown]
	v_mov_b32_e32 v70, 0
	s_delay_alu instid0(VALU_DEP_1) | instskip(NEXT) | instid1(VALU_DEP_1)
	v_lshlrev_b64_e32 v[2:3], 3, v[69:70]
	v_add_co_u32 v2, vcc_lo, s24, v2
	s_wait_alu 0xfffd
	s_delay_alu instid0(VALU_DEP_2)
	v_add_co_ci_u32_e64 v3, null, s25, v3, vcc_lo
	s_and_saveexec_b32 s8, s0
	s_cbranch_execnz .LBB140_118
; %bb.102:
	s_wait_alu 0xfffe
	s_or_b32 exec_lo, exec_lo, s8
	s_and_saveexec_b32 s0, s1
	s_cbranch_execnz .LBB140_119
.LBB140_103:
	s_or_b32 exec_lo, exec_lo, s0
	s_and_saveexec_b32 s0, s2
	s_cbranch_execnz .LBB140_120
.LBB140_104:
	s_or_b32 exec_lo, exec_lo, s0
	s_and_saveexec_b32 s0, s3
	s_cbranch_execnz .LBB140_121
.LBB140_105:
	s_or_b32 exec_lo, exec_lo, s0
	s_and_saveexec_b32 s0, s4
	s_cbranch_execnz .LBB140_122
.LBB140_106:
	s_or_b32 exec_lo, exec_lo, s0
	s_and_saveexec_b32 s0, s5
	s_cbranch_execnz .LBB140_123
.LBB140_107:
	s_or_b32 exec_lo, exec_lo, s0
	s_and_saveexec_b32 s0, s6
	s_cbranch_execnz .LBB140_124
.LBB140_108:
	s_or_b32 exec_lo, exec_lo, s0
	s_and_saveexec_b32 s0, s7
	s_cbranch_execz .LBB140_110
.LBB140_109:
	s_mul_i32 s0, s28, 0xe00
	s_mov_b32 s1, 0
	s_delay_alu instid0(SALU_CYCLE_1) | instskip(NEXT) | instid1(SALU_CYCLE_1)
	s_lshl_b64 s[0:1], s[0:1], 3
	v_add_co_u32 v2, vcc_lo, v2, s0
	s_wait_alu 0xfffd
	v_add_co_ci_u32_e64 v3, null, s1, v3, vcc_lo
	s_wait_dscnt 0x0
	global_store_b64 v[2:3], v[0:1], off
.LBB140_110:
	s_nop 0
	s_sendmsg sendmsg(MSG_DEALLOC_VGPRS)
	s_endpgm
.LBB140_111:
	ds_load_b64 v[16:17], v107
	s_wait_dscnt 0x0
	global_store_b64 v[2:3], v[16:17], off
	s_wait_alu 0xfffe
	s_or_b32 exec_lo, exec_lo, s8
	s_and_saveexec_b32 s8, s1
	s_cbranch_execz .LBB140_94
.LBB140_112:
	s_lshl_b32 s10, s26, 9
	s_mov_b32 s11, 0
	s_wait_alu 0xfffe
	s_lshl_b64 s[10:11], s[10:11], 3
	s_wait_alu 0xfffe
	v_add_co_u32 v16, vcc_lo, v2, s10
	s_wait_alu 0xfffd
	v_add_co_ci_u32_e64 v17, null, s11, v3, vcc_lo
	s_wait_dscnt 0x6
	global_store_b64 v[16:17], v[14:15], off
	s_or_b32 exec_lo, exec_lo, s8
	s_and_saveexec_b32 s8, s2
	s_cbranch_execz .LBB140_95
.LBB140_113:
	s_lshl_b32 s10, s26, 10
	s_mov_b32 s11, 0
	s_wait_alu 0xfffe
	s_lshl_b64 s[10:11], s[10:11], 3
	s_wait_dscnt 0x6
	s_wait_alu 0xfffe
	v_add_co_u32 v14, vcc_lo, v2, s10
	s_wait_alu 0xfffd
	v_add_co_ci_u32_e64 v15, null, s11, v3, vcc_lo
	s_wait_dscnt 0x5
	global_store_b64 v[14:15], v[12:13], off
	s_or_b32 exec_lo, exec_lo, s8
	s_and_saveexec_b32 s8, s3
	s_cbranch_execz .LBB140_96
.LBB140_114:
	s_mul_i32 s10, s26, 0x600
	s_mov_b32 s11, 0
	s_wait_alu 0xfffe
	s_lshl_b64 s[10:11], s[10:11], 3
	s_wait_dscnt 0x5
	s_wait_alu 0xfffe
	v_add_co_u32 v12, vcc_lo, v2, s10
	s_wait_alu 0xfffd
	v_add_co_ci_u32_e64 v13, null, s11, v3, vcc_lo
	s_wait_dscnt 0x4
	global_store_b64 v[12:13], v[10:11], off
	s_or_b32 exec_lo, exec_lo, s8
	s_and_saveexec_b32 s8, s4
	s_cbranch_execz .LBB140_97
.LBB140_115:
	s_lshl_b32 s10, s26, 11
	s_mov_b32 s11, 0
	s_wait_alu 0xfffe
	s_lshl_b64 s[10:11], s[10:11], 3
	s_wait_dscnt 0x4
	s_wait_alu 0xfffe
	v_add_co_u32 v10, vcc_lo, v2, s10
	s_wait_alu 0xfffd
	v_add_co_ci_u32_e64 v11, null, s11, v3, vcc_lo
	s_wait_dscnt 0x3
	global_store_b64 v[10:11], v[8:9], off
	s_or_b32 exec_lo, exec_lo, s8
	s_and_saveexec_b32 s8, s5
	s_cbranch_execz .LBB140_98
.LBB140_116:
	s_mul_i32 s10, s26, 0xa00
	s_mov_b32 s11, 0
	s_wait_alu 0xfffe
	s_lshl_b64 s[10:11], s[10:11], 3
	s_wait_dscnt 0x3
	s_wait_alu 0xfffe
	v_add_co_u32 v8, vcc_lo, v2, s10
	s_wait_alu 0xfffd
	v_add_co_ci_u32_e64 v9, null, s11, v3, vcc_lo
	s_wait_dscnt 0x2
	global_store_b64 v[8:9], v[6:7], off
	s_or_b32 exec_lo, exec_lo, s8
	s_and_saveexec_b32 s8, s6
	s_cbranch_execz .LBB140_99
.LBB140_117:
	s_mul_i32 s10, s26, 0xc00
	s_mov_b32 s11, 0
	s_wait_alu 0xfffe
	s_lshl_b64 s[10:11], s[10:11], 3
	s_wait_dscnt 0x2
	s_wait_alu 0xfffe
	v_add_co_u32 v6, vcc_lo, v2, s10
	s_wait_alu 0xfffd
	v_add_co_ci_u32_e64 v7, null, s11, v3, vcc_lo
	s_wait_dscnt 0x1
	global_store_b64 v[6:7], v[4:5], off
	s_or_b32 exec_lo, exec_lo, s8
	s_and_saveexec_b32 s8, s7
	s_cbranch_execnz .LBB140_100
	s_branch .LBB140_101
.LBB140_118:
	ds_load_b64 v[16:17], v107
	s_wait_dscnt 0x0
	global_store_b64 v[2:3], v[16:17], off
	s_wait_alu 0xfffe
	s_or_b32 exec_lo, exec_lo, s8
	s_and_saveexec_b32 s0, s1
	s_cbranch_execz .LBB140_103
.LBB140_119:
	s_lshl_b32 s8, s28, 9
	s_mov_b32 s9, 0
	s_wait_alu 0xfffe
	s_lshl_b64 s[8:9], s[8:9], 3
	s_wait_alu 0xfffe
	v_add_co_u32 v16, vcc_lo, v2, s8
	s_wait_alu 0xfffd
	v_add_co_ci_u32_e64 v17, null, s9, v3, vcc_lo
	s_wait_dscnt 0x6
	global_store_b64 v[16:17], v[14:15], off
	s_or_b32 exec_lo, exec_lo, s0
	s_and_saveexec_b32 s0, s2
	s_cbranch_execz .LBB140_104
.LBB140_120:
	s_lshl_b32 s8, s28, 10
	s_mov_b32 s9, 0
	s_wait_alu 0xfffe
	s_lshl_b64 s[8:9], s[8:9], 3
	s_wait_dscnt 0x6
	s_wait_alu 0xfffe
	v_add_co_u32 v14, vcc_lo, v2, s8
	s_wait_alu 0xfffd
	v_add_co_ci_u32_e64 v15, null, s9, v3, vcc_lo
	s_wait_dscnt 0x5
	global_store_b64 v[14:15], v[12:13], off
	s_or_b32 exec_lo, exec_lo, s0
	s_and_saveexec_b32 s0, s3
	s_cbranch_execz .LBB140_105
.LBB140_121:
	s_mul_i32 s2, s28, 0x600
	s_mov_b32 s3, 0
	s_delay_alu instid0(SALU_CYCLE_1)
	s_lshl_b64 s[2:3], s[2:3], 3
	s_wait_dscnt 0x5
	v_add_co_u32 v12, vcc_lo, v2, s2
	s_wait_alu 0xfffd
	v_add_co_ci_u32_e64 v13, null, s3, v3, vcc_lo
	s_wait_dscnt 0x4
	global_store_b64 v[12:13], v[10:11], off
	s_or_b32 exec_lo, exec_lo, s0
	s_and_saveexec_b32 s0, s4
	s_cbranch_execz .LBB140_106
.LBB140_122:
	s_lshl_b32 s2, s28, 11
	s_mov_b32 s3, 0
	s_wait_alu 0xfffe
	s_lshl_b64 s[2:3], s[2:3], 3
	s_wait_dscnt 0x4
	s_wait_alu 0xfffe
	v_add_co_u32 v10, vcc_lo, v2, s2
	s_wait_alu 0xfffd
	v_add_co_ci_u32_e64 v11, null, s3, v3, vcc_lo
	s_wait_dscnt 0x3
	global_store_b64 v[10:11], v[8:9], off
	s_or_b32 exec_lo, exec_lo, s0
	s_and_saveexec_b32 s0, s5
	s_cbranch_execz .LBB140_107
.LBB140_123:
	s_mul_i32 s2, s28, 0xa00
	s_mov_b32 s3, 0
	s_wait_alu 0xfffe
	s_lshl_b64 s[2:3], s[2:3], 3
	s_wait_dscnt 0x3
	s_wait_alu 0xfffe
	v_add_co_u32 v8, vcc_lo, v2, s2
	s_wait_alu 0xfffd
	v_add_co_ci_u32_e64 v9, null, s3, v3, vcc_lo
	s_wait_dscnt 0x2
	global_store_b64 v[8:9], v[6:7], off
	s_or_b32 exec_lo, exec_lo, s0
	s_and_saveexec_b32 s0, s6
	s_cbranch_execz .LBB140_108
.LBB140_124:
	s_mul_i32 s2, s28, 0xc00
	s_mov_b32 s3, 0
	s_wait_alu 0xfffe
	s_lshl_b64 s[2:3], s[2:3], 3
	s_wait_dscnt 0x2
	s_wait_alu 0xfffe
	v_add_co_u32 v6, vcc_lo, v2, s2
	s_wait_alu 0xfffd
	v_add_co_ci_u32_e64 v7, null, s3, v3, vcc_lo
	s_wait_dscnt 0x1
	global_store_b64 v[6:7], v[4:5], off
	s_or_b32 exec_lo, exec_lo, s0
	s_and_saveexec_b32 s0, s7
	s_cbranch_execnz .LBB140_109
	s_branch .LBB140_110
	.section	.rodata,"a",@progbits
	.p2align	6, 0x0
	.amdhsa_kernel _ZN2at6native18radixSortKVInPlaceILin2ELin1ELi512ELi8ElljEEvNS_4cuda6detail10TensorInfoIT3_T5_EES6_S6_S6_NS4_IT4_S6_EES6_b
		.amdhsa_group_segment_fixed_size 33792
		.amdhsa_private_segment_fixed_size 0
		.amdhsa_kernarg_size 712
		.amdhsa_user_sgpr_count 2
		.amdhsa_user_sgpr_dispatch_ptr 0
		.amdhsa_user_sgpr_queue_ptr 0
		.amdhsa_user_sgpr_kernarg_segment_ptr 1
		.amdhsa_user_sgpr_dispatch_id 0
		.amdhsa_user_sgpr_private_segment_size 0
		.amdhsa_wavefront_size32 1
		.amdhsa_uses_dynamic_stack 0
		.amdhsa_enable_private_segment 0
		.amdhsa_system_sgpr_workgroup_id_x 1
		.amdhsa_system_sgpr_workgroup_id_y 1
		.amdhsa_system_sgpr_workgroup_id_z 1
		.amdhsa_system_sgpr_workgroup_info 0
		.amdhsa_system_vgpr_workitem_id 2
		.amdhsa_next_free_vgpr 140
		.amdhsa_next_free_sgpr 36
		.amdhsa_reserve_vcc 1
		.amdhsa_float_round_mode_32 0
		.amdhsa_float_round_mode_16_64 0
		.amdhsa_float_denorm_mode_32 3
		.amdhsa_float_denorm_mode_16_64 3
		.amdhsa_fp16_overflow 0
		.amdhsa_workgroup_processor_mode 1
		.amdhsa_memory_ordered 1
		.amdhsa_forward_progress 1
		.amdhsa_inst_pref_size 115
		.amdhsa_round_robin_scheduling 0
		.amdhsa_exception_fp_ieee_invalid_op 0
		.amdhsa_exception_fp_denorm_src 0
		.amdhsa_exception_fp_ieee_div_zero 0
		.amdhsa_exception_fp_ieee_overflow 0
		.amdhsa_exception_fp_ieee_underflow 0
		.amdhsa_exception_fp_ieee_inexact 0
		.amdhsa_exception_int_div_zero 0
	.end_amdhsa_kernel
	.section	.text._ZN2at6native18radixSortKVInPlaceILin2ELin1ELi512ELi8ElljEEvNS_4cuda6detail10TensorInfoIT3_T5_EES6_S6_S6_NS4_IT4_S6_EES6_b,"axG",@progbits,_ZN2at6native18radixSortKVInPlaceILin2ELin1ELi512ELi8ElljEEvNS_4cuda6detail10TensorInfoIT3_T5_EES6_S6_S6_NS4_IT4_S6_EES6_b,comdat
.Lfunc_end140:
	.size	_ZN2at6native18radixSortKVInPlaceILin2ELin1ELi512ELi8ElljEEvNS_4cuda6detail10TensorInfoIT3_T5_EES6_S6_S6_NS4_IT4_S6_EES6_b, .Lfunc_end140-_ZN2at6native18radixSortKVInPlaceILin2ELin1ELi512ELi8ElljEEvNS_4cuda6detail10TensorInfoIT3_T5_EES6_S6_S6_NS4_IT4_S6_EES6_b
                                        ; -- End function
	.set _ZN2at6native18radixSortKVInPlaceILin2ELin1ELi512ELi8ElljEEvNS_4cuda6detail10TensorInfoIT3_T5_EES6_S6_S6_NS4_IT4_S6_EES6_b.num_vgpr, 140
	.set _ZN2at6native18radixSortKVInPlaceILin2ELin1ELi512ELi8ElljEEvNS_4cuda6detail10TensorInfoIT3_T5_EES6_S6_S6_NS4_IT4_S6_EES6_b.num_agpr, 0
	.set _ZN2at6native18radixSortKVInPlaceILin2ELin1ELi512ELi8ElljEEvNS_4cuda6detail10TensorInfoIT3_T5_EES6_S6_S6_NS4_IT4_S6_EES6_b.numbered_sgpr, 36
	.set _ZN2at6native18radixSortKVInPlaceILin2ELin1ELi512ELi8ElljEEvNS_4cuda6detail10TensorInfoIT3_T5_EES6_S6_S6_NS4_IT4_S6_EES6_b.num_named_barrier, 0
	.set _ZN2at6native18radixSortKVInPlaceILin2ELin1ELi512ELi8ElljEEvNS_4cuda6detail10TensorInfoIT3_T5_EES6_S6_S6_NS4_IT4_S6_EES6_b.private_seg_size, 0
	.set _ZN2at6native18radixSortKVInPlaceILin2ELin1ELi512ELi8ElljEEvNS_4cuda6detail10TensorInfoIT3_T5_EES6_S6_S6_NS4_IT4_S6_EES6_b.uses_vcc, 1
	.set _ZN2at6native18radixSortKVInPlaceILin2ELin1ELi512ELi8ElljEEvNS_4cuda6detail10TensorInfoIT3_T5_EES6_S6_S6_NS4_IT4_S6_EES6_b.uses_flat_scratch, 0
	.set _ZN2at6native18radixSortKVInPlaceILin2ELin1ELi512ELi8ElljEEvNS_4cuda6detail10TensorInfoIT3_T5_EES6_S6_S6_NS4_IT4_S6_EES6_b.has_dyn_sized_stack, 0
	.set _ZN2at6native18radixSortKVInPlaceILin2ELin1ELi512ELi8ElljEEvNS_4cuda6detail10TensorInfoIT3_T5_EES6_S6_S6_NS4_IT4_S6_EES6_b.has_recursion, 0
	.set _ZN2at6native18radixSortKVInPlaceILin2ELin1ELi512ELi8ElljEEvNS_4cuda6detail10TensorInfoIT3_T5_EES6_S6_S6_NS4_IT4_S6_EES6_b.has_indirect_call, 0
	.section	.AMDGPU.csdata,"",@progbits
; Kernel info:
; codeLenInByte = 14624
; TotalNumSgprs: 38
; NumVgprs: 140
; ScratchSize: 0
; MemoryBound: 0
; FloatMode: 240
; IeeeMode: 1
; LDSByteSize: 33792 bytes/workgroup (compile time only)
; SGPRBlocks: 0
; VGPRBlocks: 17
; NumSGPRsForWavesPerEU: 38
; NumVGPRsForWavesPerEU: 140
; Occupancy: 10
; WaveLimiterHint : 1
; COMPUTE_PGM_RSRC2:SCRATCH_EN: 0
; COMPUTE_PGM_RSRC2:USER_SGPR: 2
; COMPUTE_PGM_RSRC2:TRAP_HANDLER: 0
; COMPUTE_PGM_RSRC2:TGID_X_EN: 1
; COMPUTE_PGM_RSRC2:TGID_Y_EN: 1
; COMPUTE_PGM_RSRC2:TGID_Z_EN: 1
; COMPUTE_PGM_RSRC2:TIDIG_COMP_CNT: 2
	.section	.text._ZN2at6native18radixSortKVInPlaceILin2ELin1ELi256ELi8ElljEEvNS_4cuda6detail10TensorInfoIT3_T5_EES6_S6_S6_NS4_IT4_S6_EES6_b,"axG",@progbits,_ZN2at6native18radixSortKVInPlaceILin2ELin1ELi256ELi8ElljEEvNS_4cuda6detail10TensorInfoIT3_T5_EES6_S6_S6_NS4_IT4_S6_EES6_b,comdat
	.protected	_ZN2at6native18radixSortKVInPlaceILin2ELin1ELi256ELi8ElljEEvNS_4cuda6detail10TensorInfoIT3_T5_EES6_S6_S6_NS4_IT4_S6_EES6_b ; -- Begin function _ZN2at6native18radixSortKVInPlaceILin2ELin1ELi256ELi8ElljEEvNS_4cuda6detail10TensorInfoIT3_T5_EES6_S6_S6_NS4_IT4_S6_EES6_b
	.globl	_ZN2at6native18radixSortKVInPlaceILin2ELin1ELi256ELi8ElljEEvNS_4cuda6detail10TensorInfoIT3_T5_EES6_S6_S6_NS4_IT4_S6_EES6_b
	.p2align	8
	.type	_ZN2at6native18radixSortKVInPlaceILin2ELin1ELi256ELi8ElljEEvNS_4cuda6detail10TensorInfoIT3_T5_EES6_S6_S6_NS4_IT4_S6_EES6_b,@function
_ZN2at6native18radixSortKVInPlaceILin2ELin1ELi256ELi8ElljEEvNS_4cuda6detail10TensorInfoIT3_T5_EES6_S6_S6_NS4_IT4_S6_EES6_b: ; @_ZN2at6native18radixSortKVInPlaceILin2ELin1ELi256ELi8ElljEEvNS_4cuda6detail10TensorInfoIT3_T5_EES6_S6_S6_NS4_IT4_S6_EES6_b
; %bb.0:
	s_clause 0x1
	s_load_b64 s[2:3], s[0:1], 0x1c8
	s_load_b96 s[20:22], s[0:1], 0xd8
	s_lshr_b32 s4, ttmp7, 16
	s_wait_kmcnt 0x0
	s_mul_i32 s3, s3, s4
	s_and_b32 s4, ttmp7, 0xffff
	s_delay_alu instid0(SALU_CYCLE_1) | instskip(NEXT) | instid1(SALU_CYCLE_1)
	s_add_co_i32 s3, s3, s4
	s_mul_i32 s4, s3, s2
	s_delay_alu instid0(SALU_CYCLE_1) | instskip(NEXT) | instid1(SALU_CYCLE_1)
	s_add_co_i32 s4, s4, ttmp9
	s_cmp_ge_u32 s4, s20
	s_cbranch_scc1 .LBB141_110
; %bb.1:
	s_load_b32 s2, s[0:1], 0x1b8
	s_add_nc_u64 s[26:27], s[0:1], 0xe8
	s_mov_b32 s25, 0
	s_mov_b32 s23, s4
	s_wait_kmcnt 0x0
	s_cmp_lt_i32 s2, 2
	s_cbranch_scc1 .LBB141_4
; %bb.2:
	s_add_co_i32 s24, s2, -1
	s_add_co_i32 s5, s2, 1
	s_lshl_b64 s[6:7], s[24:25], 2
	s_mov_b32 s23, s4
	s_add_nc_u64 s[6:7], s[26:27], s[6:7]
	s_delay_alu instid0(SALU_CYCLE_1)
	s_add_nc_u64 s[2:3], s[6:7], 8
.LBB141_3:                              ; =>This Inner Loop Header: Depth=1
	s_clause 0x1
	s_load_b32 s6, s[2:3], 0x0
	s_load_b32 s7, s[2:3], 0x64
	s_mov_b32 s10, s23
	s_add_nc_u64 s[2:3], s[2:3], -4
	s_wait_kmcnt 0x0
	s_cvt_f32_u32 s8, s6
	s_sub_co_i32 s9, 0, s6
	s_wait_alu 0xfffe
	s_delay_alu instid0(SALU_CYCLE_1) | instskip(NEXT) | instid1(TRANS32_DEP_1)
	v_rcp_iflag_f32_e32 v1, s8
	v_readfirstlane_b32 s8, v1
	s_mul_f32 s8, s8, 0x4f7ffffe
	s_wait_alu 0xfffe
	s_delay_alu instid0(SALU_CYCLE_2) | instskip(SKIP_1) | instid1(SALU_CYCLE_2)
	s_cvt_u32_f32 s8, s8
	s_wait_alu 0xfffe
	s_mul_i32 s9, s9, s8
	s_wait_alu 0xfffe
	s_mul_hi_u32 s9, s8, s9
	s_wait_alu 0xfffe
	s_add_co_i32 s8, s8, s9
	s_wait_alu 0xfffe
	s_mul_hi_u32 s8, s23, s8
	s_wait_alu 0xfffe
	s_mul_i32 s9, s8, s6
	s_add_co_i32 s11, s8, 1
	s_wait_alu 0xfffe
	s_sub_co_i32 s9, s23, s9
	s_wait_alu 0xfffe
	s_sub_co_i32 s12, s9, s6
	s_cmp_ge_u32 s9, s6
	s_cselect_b32 s8, s11, s8
	s_cselect_b32 s9, s12, s9
	s_wait_alu 0xfffe
	s_add_co_i32 s11, s8, 1
	s_cmp_ge_u32 s9, s6
	s_cselect_b32 s23, s11, s8
	s_add_co_i32 s5, s5, -1
	s_mul_i32 s6, s23, s6
	s_delay_alu instid0(SALU_CYCLE_1) | instskip(NEXT) | instid1(SALU_CYCLE_1)
	s_sub_co_i32 s6, s10, s6
	s_mul_i32 s6, s7, s6
	s_delay_alu instid0(SALU_CYCLE_1)
	s_add_co_i32 s25, s6, s25
	s_cmp_gt_u32 s5, 2
	s_cbranch_scc1 .LBB141_3
.LBB141_4:
	s_clause 0x2
	s_load_b64 s[28:29], s[0:1], 0x1c0
	s_load_b64 s[2:3], s[0:1], 0x0
	s_load_b32 s5, s[0:1], 0x6c
	s_add_nc_u64 s[36:37], s[0:1], 0x1c8
	s_mov_b32 s1, 0
	s_wait_kmcnt 0x0
	s_bitcmp1_b32 s29, 0
	s_mul_i32 s0, s5, s4
	s_cselect_b32 s20, -1, 0
	s_brev_b32 s5, 1
	s_lshl_b64 s[30:31], s[0:1], 3
	s_and_b32 s0, s20, exec_lo
	s_cselect_b32 s4, 0, -1
	s_cselect_b32 s5, s5, 0x7fffffff
	s_mov_b32 s6, s4
	s_mov_b32 s7, s5
	;; [unrolled: 1-line block ×14, first 2 shown]
	v_dual_mov_b32 v1, s4 :: v_dual_and_b32 v74, 0x3ff, v0
	v_mov_b32_e32 v18, s5
	v_dual_mov_b32 v2, s5 :: v_dual_mov_b32 v3, s6
	s_delay_alu instid0(VALU_DEP_3)
	v_mul_lo_u32 v72, s22, v74
	v_cmp_gt_u32_e64 s0, s21, v74
	s_wait_alu 0xfffe
	v_dual_mov_b32 v4, s7 :: v_dual_mov_b32 v5, s8
	v_dual_mov_b32 v6, s9 :: v_dual_mov_b32 v7, s10
	;; [unrolled: 1-line block ×7, first 2 shown]
	s_add_nc_u64 s[30:31], s[2:3], s[30:31]
	s_and_saveexec_b32 s1, s0
	s_cbranch_execz .LBB141_6
; %bb.5:
	v_mov_b32_e32 v73, 0
	s_delay_alu instid0(VALU_DEP_1) | instskip(NEXT) | instid1(VALU_DEP_1)
	v_lshlrev_b64_e32 v[1:2], 3, v[72:73]
	v_add_co_u32 v1, vcc_lo, s30, v1
	s_delay_alu instid0(VALU_DEP_1)
	v_add_co_ci_u32_e64 v2, null, s31, v2, vcc_lo
	global_load_b64 v[17:18], v[1:2], off
	v_dual_mov_b32 v1, s4 :: v_dual_mov_b32 v4, s7
	v_dual_mov_b32 v3, s6 :: v_dual_mov_b32 v6, s9
	;; [unrolled: 1-line block ×8, first 2 shown]
.LBB141_6:
	s_or_b32 exec_lo, exec_lo, s1
	v_add_nc_u32_e32 v31, 0x100, v74
	s_delay_alu instid0(VALU_DEP_1)
	v_cmp_gt_u32_e64 s1, s21, v31
	s_and_saveexec_b32 s2, s1
	s_cbranch_execz .LBB141_8
; %bb.7:
	v_mul_lo_u32 v1, s22, v31
	v_mov_b32_e32 v2, 0
	s_delay_alu instid0(VALU_DEP_1) | instskip(NEXT) | instid1(VALU_DEP_1)
	v_lshlrev_b64_e32 v[1:2], 3, v[1:2]
	v_add_co_u32 v1, vcc_lo, s30, v1
	s_wait_alu 0xfffd
	s_delay_alu instid0(VALU_DEP_2)
	v_add_co_ci_u32_e64 v2, null, s31, v2, vcc_lo
	global_load_b64 v[3:4], v[1:2], off
.LBB141_8:
	s_or_b32 exec_lo, exec_lo, s2
	v_add_nc_u32_e32 v32, 0x200, v74
	s_delay_alu instid0(VALU_DEP_1)
	v_cmp_gt_u32_e64 s2, s21, v32
	s_and_saveexec_b32 s3, s2
	s_cbranch_execz .LBB141_10
; %bb.9:
	v_mul_lo_u32 v1, s22, v32
	v_mov_b32_e32 v2, 0
	s_delay_alu instid0(VALU_DEP_1) | instskip(NEXT) | instid1(VALU_DEP_1)
	v_lshlrev_b64_e32 v[1:2], 3, v[1:2]
	v_add_co_u32 v1, vcc_lo, s30, v1
	s_wait_alu 0xfffd
	s_delay_alu instid0(VALU_DEP_2)
	v_add_co_ci_u32_e64 v2, null, s31, v2, vcc_lo
	global_load_b64 v[5:6], v[1:2], off
.LBB141_10:
	;; [unrolled: 17-line block ×3, first 2 shown]
	s_wait_alu 0xfffe
	s_or_b32 exec_lo, exec_lo, s4
	v_or_b32_e32 v35, 0x400, v74
	s_delay_alu instid0(VALU_DEP_1)
	v_cmp_gt_u32_e64 s4, s21, v35
	s_and_saveexec_b32 s5, s4
	s_cbranch_execz .LBB141_14
; %bb.13:
	v_mul_lo_u32 v1, s22, v35
	v_mov_b32_e32 v2, 0
	s_delay_alu instid0(VALU_DEP_1) | instskip(NEXT) | instid1(VALU_DEP_1)
	v_lshlrev_b64_e32 v[1:2], 3, v[1:2]
	v_add_co_u32 v1, vcc_lo, s30, v1
	s_wait_alu 0xfffd
	s_delay_alu instid0(VALU_DEP_2)
	v_add_co_ci_u32_e64 v2, null, s31, v2, vcc_lo
	global_load_b64 v[9:10], v[1:2], off
.LBB141_14:
	s_wait_alu 0xfffe
	s_or_b32 exec_lo, exec_lo, s5
	v_add_nc_u32_e32 v36, 0x500, v74
	s_delay_alu instid0(VALU_DEP_1)
	v_cmp_gt_u32_e64 s5, s21, v36
	s_and_saveexec_b32 s6, s5
	s_cbranch_execz .LBB141_16
; %bb.15:
	v_mul_lo_u32 v1, s22, v36
	v_mov_b32_e32 v2, 0
	s_delay_alu instid0(VALU_DEP_1) | instskip(NEXT) | instid1(VALU_DEP_1)
	v_lshlrev_b64_e32 v[1:2], 3, v[1:2]
	v_add_co_u32 v1, vcc_lo, s30, v1
	s_wait_alu 0xfffd
	s_delay_alu instid0(VALU_DEP_2)
	v_add_co_ci_u32_e64 v2, null, s31, v2, vcc_lo
	global_load_b64 v[11:12], v[1:2], off
.LBB141_16:
	s_wait_alu 0xfffe
	s_or_b32 exec_lo, exec_lo, s6
	v_add_nc_u32_e32 v37, 0x600, v74
	s_delay_alu instid0(VALU_DEP_1)
	v_cmp_gt_u32_e64 s6, s21, v37
	s_and_saveexec_b32 s7, s6
	s_cbranch_execz .LBB141_18
; %bb.17:
	v_mul_lo_u32 v1, s22, v37
	v_mov_b32_e32 v2, 0
	s_delay_alu instid0(VALU_DEP_1) | instskip(NEXT) | instid1(VALU_DEP_1)
	v_lshlrev_b64_e32 v[1:2], 3, v[1:2]
	v_add_co_u32 v1, vcc_lo, s30, v1
	s_wait_alu 0xfffd
	s_delay_alu instid0(VALU_DEP_2)
	v_add_co_ci_u32_e64 v2, null, s31, v2, vcc_lo
	global_load_b64 v[13:14], v[1:2], off
.LBB141_18:
	s_wait_alu 0xfffe
	s_or_b32 exec_lo, exec_lo, s7
	s_clause 0x1
	s_load_b32 s10, s[26:27], 0x6c
	s_load_b64 s[8:9], s[26:27], 0x0
	v_add_nc_u32_e32 v38, 0x700, v74
	s_delay_alu instid0(VALU_DEP_1)
	v_cmp_gt_u32_e64 s7, s21, v38
	s_and_saveexec_b32 s11, s7
	s_cbranch_execz .LBB141_20
; %bb.19:
	v_mul_lo_u32 v1, s22, v38
	v_mov_b32_e32 v2, 0
	s_delay_alu instid0(VALU_DEP_1) | instskip(NEXT) | instid1(VALU_DEP_1)
	v_lshlrev_b64_e32 v[1:2], 3, v[1:2]
	v_add_co_u32 v1, vcc_lo, s30, v1
	s_wait_alu 0xfffd
	s_delay_alu instid0(VALU_DEP_2)
	v_add_co_ci_u32_e64 v2, null, s31, v2, vcc_lo
	global_load_b64 v[15:16], v[1:2], off
.LBB141_20:
	s_wait_alu 0xfffe
	s_or_b32 exec_lo, exec_lo, s11
	v_lshrrev_b32_e32 v2, 2, v32
	v_dual_mov_b32 v70, 0 :: v_dual_lshlrev_b32 v73, 3, v74
	v_lshrrev_b32_e32 v1, 2, v31
	v_lshrrev_b32_e32 v19, 2, v34
	s_delay_alu instid0(VALU_DEP_4)
	v_and_b32_e32 v2, 0x1f8, v2
	v_lshrrev_b32_e32 v33, 5, v74
	v_mov_b32_e32 v71, v70
	v_and_b32_e32 v1, 0x1f8, v1
	v_and_b32_e32 v19, 0x1f8, v19
	v_add_nc_u32_e32 v109, v2, v73
	v_lshrrev_b32_e32 v2, 2, v36
	v_lshl_add_u32 v107, v33, 3, v73
	v_add_nc_u32_e32 v108, v1, v73
	v_lshrrev_b32_e32 v1, 2, v35
	v_add_nc_u32_e32 v110, v19, v73
	v_dual_mov_b32 v21, v70 :: v_dual_and_b32 v2, 0x3f8, v2
	v_lshrrev_b32_e32 v19, 2, v37
	s_delay_alu instid0(VALU_DEP_4) | instskip(NEXT) | instid1(VALU_DEP_3)
	v_dual_mov_b32 v22, v70 :: v_dual_and_b32 v1, 0x1f8, v1
	v_dual_mov_b32 v27, 0 :: v_dual_add_nc_u32 v112, v2, v73
	v_mov_b32_e32 v28, 0
	s_wait_loadcnt 0x0
	ds_store_b64 v107, v[17:18]
	ds_store_b64 v108, v[3:4] offset:2048
	ds_store_b64 v109, v[5:6] offset:4096
	ds_store_b64 v110, v[7:8] offset:6144
	v_dual_mov_b32 v26, v70 :: v_dual_lshlrev_b32 v5, 1, v74
	v_lshrrev_b32_e32 v20, 2, v38
	v_dual_mov_b32 v30, v70 :: v_dual_add_nc_u32 v111, v1, v73
	s_delay_alu instid0(VALU_DEP_3) | instskip(SKIP_1) | instid1(VALU_DEP_4)
	v_and_b32_e32 v1, 0x7f8, v5
	v_dual_mov_b32 v24, v70 :: v_dual_and_b32 v3, 0x3f8, v19
	v_dual_mov_b32 v23, v70 :: v_dual_and_b32 v4, 0x3f8, v20
	s_delay_alu instid0(VALU_DEP_3) | instskip(NEXT) | instid1(VALU_DEP_3)
	v_lshl_add_u32 v115, v74, 6, v1
	v_add_nc_u32_e32 v113, v3, v73
	s_delay_alu instid0(VALU_DEP_3)
	v_dual_mov_b32 v25, v70 :: v_dual_add_nc_u32 v114, v4, v73
	ds_store_b64 v111, v[9:10] offset:8192
	ds_store_b64 v112, v[11:12] offset:10240
	;; [unrolled: 1-line block ×4, first 2 shown]
	s_wait_dscnt 0x0
	s_barrier_signal -1
	s_barrier_wait -1
	global_inv scope:SCOPE_SE
	ds_load_2addr_b64 v[13:16], v115 offset1:1
	ds_load_2addr_b64 v[9:12], v115 offset0:2 offset1:3
	ds_load_2addr_b64 v[5:8], v115 offset0:4 offset1:5
	;; [unrolled: 1-line block ×3, first 2 shown]
	s_wait_kmcnt 0x0
	s_mul_i32 s10, s10, s23
	v_mul_lo_u32 v69, s28, v74
	s_mov_b32 s11, 0
	s_wait_alu 0xfffe
	s_add_co_i32 s10, s10, s25
	v_dual_mov_b32 v17, v70 :: v_dual_mov_b32 v18, v70
	v_dual_mov_b32 v19, v70 :: v_dual_mov_b32 v20, v70
	v_mov_b32_e32 v29, v70
	s_wait_alu 0xfffe
	s_lshl_b64 s[10:11], s[10:11], 3
	s_wait_loadcnt_dscnt 0x0
	s_wait_alu 0xfffe
	s_add_nc_u64 s[34:35], s[8:9], s[10:11]
	s_barrier_signal -1
	s_barrier_wait -1
	global_inv scope:SCOPE_SE
	s_and_saveexec_b32 s8, s0
	s_cbranch_execnz .LBB141_56
; %bb.21:
	s_wait_alu 0xfffe
	s_or_b32 exec_lo, exec_lo, s8
	s_and_saveexec_b32 s8, s1
	s_cbranch_execnz .LBB141_57
.LBB141_22:
	s_wait_alu 0xfffe
	s_or_b32 exec_lo, exec_lo, s8
	s_and_saveexec_b32 s8, s2
	s_cbranch_execnz .LBB141_58
.LBB141_23:
	s_wait_alu 0xfffe
	s_or_b32 exec_lo, exec_lo, s8
	s_and_saveexec_b32 s8, s3
	s_cbranch_execnz .LBB141_59
.LBB141_24:
	s_wait_alu 0xfffe
	s_or_b32 exec_lo, exec_lo, s8
	s_and_saveexec_b32 s8, s4
	s_cbranch_execnz .LBB141_60
.LBB141_25:
	s_wait_alu 0xfffe
	s_or_b32 exec_lo, exec_lo, s8
	s_and_saveexec_b32 s8, s5
	s_cbranch_execnz .LBB141_61
.LBB141_26:
	s_wait_alu 0xfffe
	s_or_b32 exec_lo, exec_lo, s8
	s_and_saveexec_b32 s8, s6
	s_cbranch_execnz .LBB141_62
.LBB141_27:
	s_wait_alu 0xfffe
	s_or_b32 exec_lo, exec_lo, s8
	s_xor_b32 s8, s20, -1
	s_and_saveexec_b32 s9, s7
	s_cbranch_execz .LBB141_29
.LBB141_28:
	v_mul_lo_u32 v29, s28, v38
	v_mov_b32_e32 v30, 0
	s_delay_alu instid0(VALU_DEP_1) | instskip(NEXT) | instid1(VALU_DEP_1)
	v_lshlrev_b64_e32 v[29:30], 3, v[29:30]
	v_add_co_u32 v29, vcc_lo, s34, v29
	s_wait_alu 0xfffd
	s_delay_alu instid0(VALU_DEP_2)
	v_add_co_ci_u32_e64 v30, null, s35, v30, vcc_lo
	global_load_b64 v[29:30], v[29:30], off
.LBB141_29:
	s_wait_alu 0xfffe
	s_or_b32 exec_lo, exec_lo, s9
	s_wait_loadcnt 0x0
	ds_store_b64 v107, v[27:28]
	ds_store_b64 v108, v[70:71] offset:2048
	ds_store_b64 v109, v[17:18] offset:4096
	;; [unrolled: 1-line block ×7, first 2 shown]
	s_wait_dscnt 0x0
	s_barrier_signal -1
	s_barrier_wait -1
	global_inv scope:SCOPE_SE
	ds_load_2addr_b64 v[21:24], v115 offset1:1
	ds_load_2addr_b64 v[17:20], v115 offset0:2 offset1:3
	ds_load_2addr_b64 v[29:32], v115 offset0:4 offset1:5
	ds_load_2addr_b64 v[25:28], v115 offset0:6 offset1:7
	v_mbcnt_lo_u32_b32 v118, -1, 0
	v_and_b32_e32 v34, 0x3e0, v74
	v_and_b32_e32 v35, 0x1f00, v73
	s_and_b32 vcc_lo, exec_lo, s8
	v_bfe_u32 v124, v0, 10, 10
	v_bfe_u32 v125, v0, 20, 10
	v_or_b32_e32 v36, v118, v34
	v_or_b32_e32 v37, v118, v35
	v_lshlrev_b32_e32 v116, 2, v73
	v_and_b32_e32 v122, 15, v118
	v_and_b32_e32 v121, 16, v118
	v_lshlrev_b32_e32 v127, 6, v36
	v_lshlrev_b32_e32 v126, 3, v37
	v_min_u32_e32 v123, 0xe0, v34
	v_cmp_gt_u32_e64 s8, 8, v74
	v_cmp_lt_u32_e64 s9, 31, v74
	v_cmp_eq_u32_e64 s10, 0, v74
	v_lshlrev_b32_e32 v117, 2, v33
	v_mul_i32_i24_e32 v119, 0xffffffe4, v74
	v_and_b32_e32 v120, 7, v118
	v_lshlrev_b32_e32 v0, 3, v35
	s_mov_b32 s24, 0
	s_mov_b32 s11, -1
	s_wait_loadcnt_dscnt 0x0
	s_barrier_signal -1
	s_barrier_wait -1
	global_inv scope:SCOPE_SE
                                        ; implicit-def: $vgpr63_vgpr64
                                        ; implicit-def: $vgpr59_vgpr60
                                        ; implicit-def: $vgpr55_vgpr56
                                        ; implicit-def: $vgpr51_vgpr52
                                        ; implicit-def: $vgpr35_vgpr36
                                        ; implicit-def: $vgpr39_vgpr40
                                        ; implicit-def: $vgpr43_vgpr44
                                        ; implicit-def: $vgpr47_vgpr48
	s_wait_alu 0xfffe
	s_cbranch_vccz .LBB141_64
; %bb.30:
	v_xor_b32_e32 v34, 0x80000000, v14
	v_xor_b32_e32 v36, 0x80000000, v16
	v_mov_b32_e32 v33, v13
	v_dual_mov_b32 v35, v15 :: v_dual_mov_b32 v70, 0
	v_xor_b32_e32 v38, 0x80000000, v10
	v_xor_b32_e32 v40, 0x80000000, v12
	s_mov_b32 s25, s24
	s_mov_b32 s26, s24
	;; [unrolled: 1-line block ×3, first 2 shown]
	v_mov_b32_e32 v37, v9
	v_mov_b32_e32 v39, v11
	v_xor_b32_e32 v42, 0x80000000, v6
	v_xor_b32_e32 v44, 0x80000000, v8
	v_dual_mov_b32 v41, v5 :: v_dual_add_nc_u32 v132, v116, v119
	v_mov_b32_e32 v43, v7
	v_xor_b32_e32 v46, 0x80000000, v2
	v_xor_b32_e32 v48, 0x80000000, v4
	v_mov_b32_e32 v45, v1
	v_mov_b32_e32 v47, v3
	ds_store_b128 v127, v[33:36]
	ds_store_b128 v127, v[37:40] offset:16
	ds_store_b128 v127, v[41:44] offset:32
	;; [unrolled: 1-line block ×3, first 2 shown]
	; wave barrier
	ds_load_2addr_b64 v[37:40], v126 offset1:32
	ds_load_2addr_b64 v[41:44], v126 offset0:64 offset1:96
	ds_load_2addr_b64 v[45:48], v126 offset0:128 offset1:160
	;; [unrolled: 1-line block ×3, first 2 shown]
	; wave barrier
	ds_store_b128 v127, v[21:24]
	ds_store_b128 v127, v[17:20] offset:16
	ds_store_b128 v127, v[29:32] offset:32
	;; [unrolled: 1-line block ×3, first 2 shown]
	; wave barrier
	ds_load_2addr_b64 v[49:52], v126 offset1:32
	ds_load_2addr_b64 v[53:56], v126 offset0:64 offset1:96
	ds_load_2addr_b64 v[57:60], v126 offset0:128 offset1:160
	;; [unrolled: 1-line block ×3, first 2 shown]
	s_wait_loadcnt_dscnt 0x0
	s_barrier_signal -1
	s_barrier_wait -1
	global_inv scope:SCOPE_SE
	s_load_b32 s11, s[36:37], 0xc
	s_getpc_b64 s[12:13]
	s_wait_alu 0xfffe
	s_sext_i32_i16 s13, s13
	s_add_co_u32 s12, s12, _ZN7rocprim17ROCPRIM_400000_NS16block_radix_sortIlLj256ELj8ElLj1ELj1ELj0ELNS0_26block_radix_rank_algorithmE1ELNS0_18block_padding_hintE2ELNS0_4arch9wavefront6targetE0EE19radix_bits_per_passE@rel32@lo+12
	s_wait_alu 0xfffe
	s_add_co_ci_u32 s13, s13, _ZN7rocprim17ROCPRIM_400000_NS16block_radix_sortIlLj256ELj8ElLj1ELj1ELj0ELNS0_26block_radix_rank_algorithmE1ELNS0_18block_padding_hintE2ELNS0_4arch9wavefront6targetE0EE19radix_bits_per_passE@rel32@hi+24
	v_cmp_lt_u32_e64 s15, 7, v122
	s_load_b32 s23, s[12:13], 0x0
	v_cmp_lt_u32_e64 s13, 1, v122
	v_cmp_eq_u32_e64 s16, 0, v121
	v_cmp_eq_u32_e64 s18, 0, v120
	v_cmp_lt_u32_e64 s19, 1, v120
	v_cmp_lt_u32_e64 s20, 3, v120
	v_add_nc_u32_e32 v129, -4, v117
	v_lshl_add_u32 v130, v118, 3, v0
	v_mov_b32_e32 v71, 0
	s_wait_kmcnt 0x0
	s_lshr_b32 s14, s11, 16
	s_and_b32 s12, s11, 0xffff
	s_wait_alu 0xfffe
	v_mad_u32_u24 v33, v125, s14, v124
	v_sub_co_u32 v35, s11, v118, 1
	v_cmp_lt_u32_e64 s14, 3, v122
	s_delay_alu instid0(VALU_DEP_3) | instskip(NEXT) | instid1(VALU_DEP_3)
	v_mad_co_u64_u32 v[33:34], null, v33, s12, v[74:75]
	v_cmp_gt_i32_e32 vcc_lo, 0, v35
	v_or_b32_e32 v34, 31, v123
	v_cmp_eq_u32_e64 s12, 0, v122
	s_wait_alu 0xfffd
	v_cndmask_b32_e32 v35, v35, v118, vcc_lo
	v_lshrrev_b32_e32 v33, 3, v33
	v_cmp_eq_u32_e64 s17, v74, v34
	s_delay_alu instid0(VALU_DEP_3) | instskip(NEXT) | instid1(VALU_DEP_3)
	v_lshlrev_b32_e32 v128, 2, v35
	v_dual_mov_b32 v36, s27 :: v_dual_and_b32 v131, 0x1ffffffc, v33
	v_dual_mov_b32 v35, s26 :: v_dual_mov_b32 v34, s25
	v_mov_b32_e32 v33, s24
	s_mov_b32 s24, 64
	s_branch .LBB141_32
.LBB141_31:                             ;   in Loop: Header=BB141_32 Depth=1
	s_wait_alu 0xfffe
	s_and_not1_b32 vcc_lo, exec_lo, s21
	s_wait_alu 0xfffe
	s_cbranch_vccz .LBB141_63
.LBB141_32:                             ; =>This Inner Loop Header: Depth=1
	v_dual_mov_b32 v76, v38 :: v_dual_mov_b32 v75, v37
	s_wait_alu 0xfffe
	s_min_u32 s21, s23, s24
	v_mov_b32_e32 v78, v68
	s_wait_alu 0xfffe
	s_lshl_b32 s21, -1, s21
	v_mov_b32_e32 v80, v66
	v_lshrrev_b64 v[37:38], v70, v[75:76]
	s_wait_alu 0xfffe
	s_not_b32 s25, s21
	v_mov_b32_e32 v79, v65
	ds_store_b128 v116, v[33:36] offset:32
	ds_store_b128 v116, v[33:36] offset:48
	s_wait_loadcnt_dscnt 0x0
	s_wait_alu 0xfffe
	v_dual_mov_b32 v77, v67 :: v_dual_and_b32 v38, s25, v37
	v_dual_mov_b32 v82, v48 :: v_dual_mov_b32 v81, v47
	s_barrier_signal -1
	s_delay_alu instid0(VALU_DEP_2) | instskip(SKIP_3) | instid1(VALU_DEP_3)
	v_dual_mov_b32 v100, v46 :: v_dual_lshlrev_b32 v47, 30, v38
	v_and_b32_e32 v37, 1, v38
	v_dual_mov_b32 v99, v45 :: v_dual_lshlrev_b32 v48, 29, v38
	v_dual_mov_b32 v102, v44 :: v_dual_lshlrev_b32 v65, 28, v38
	v_add_co_u32 v37, s21, v37, -1
	s_wait_alu 0xf1ff
	v_cndmask_b32_e64 v66, 0, 1, s21
	v_not_b32_e32 v84, v47
	v_cmp_gt_i32_e64 s21, 0, v47
	v_not_b32_e32 v47, v48
	v_dual_mov_b32 v104, v42 :: v_dual_lshlrev_b32 v67, 27, v38
	v_cmp_ne_u32_e32 vcc_lo, 0, v66
	v_ashrrev_i32_e32 v84, 31, v84
	s_delay_alu instid0(VALU_DEP_4)
	v_ashrrev_i32_e32 v47, 31, v47
	v_dual_mov_b32 v101, v43 :: v_dual_lshlrev_b32 v68, 26, v38
	s_wait_alu 0xfffd
	v_xor_b32_e32 v37, vcc_lo, v37
	v_cmp_gt_i32_e32 vcc_lo, 0, v48
	v_not_b32_e32 v48, v65
	s_wait_alu 0xf1ff
	v_xor_b32_e32 v84, s21, v84
	v_cmp_gt_i32_e64 s21, 0, v65
	v_and_b32_e32 v37, exec_lo, v37
	v_not_b32_e32 v65, v67
	v_ashrrev_i32_e32 v48, 31, v48
	s_wait_alu 0xfffd
	v_xor_b32_e32 v47, vcc_lo, v47
	v_dual_mov_b32 v106, v40 :: v_dual_lshlrev_b32 v83, 25, v38
	v_dual_mov_b32 v86, v62 :: v_dual_and_b32 v37, v37, v84
	v_cmp_gt_i32_e32 vcc_lo, 0, v67
	v_not_b32_e32 v67, v68
	v_ashrrev_i32_e32 v65, 31, v65
	s_wait_alu 0xf1ff
	v_xor_b32_e32 v48, s21, v48
	v_dual_mov_b32 v88, v60 :: v_dual_and_b32 v37, v37, v47
	v_dual_mov_b32 v103, v41 :: v_dual_lshlrev_b32 v66, 24, v38
	v_cmp_gt_i32_e64 s21, 0, v68
	v_not_b32_e32 v47, v83
	v_ashrrev_i32_e32 v67, 31, v67
	s_wait_alu 0xfffd
	v_xor_b32_e32 v65, vcc_lo, v65
	v_dual_mov_b32 v90, v58 :: v_dual_and_b32 v37, v37, v48
	v_cmp_gt_i32_e32 vcc_lo, 0, v83
	v_not_b32_e32 v48, v66
	v_ashrrev_i32_e32 v47, 31, v47
	s_wait_alu 0xf1ff
	v_xor_b32_e32 v67, s21, v67
	v_dual_mov_b32 v92, v56 :: v_dual_and_b32 v37, v37, v65
	v_cmp_gt_i32_e64 s21, 0, v66
	v_ashrrev_i32_e32 v45, 31, v48
	s_wait_alu 0xfffd
	v_xor_b32_e32 v46, vcc_lo, v47
	v_dual_mov_b32 v94, v54 :: v_dual_and_b32 v37, v37, v67
	v_dual_mov_b32 v105, v39 :: v_dual_mov_b32 v96, v52
	s_wait_alu 0xf1ff
	v_xor_b32_e32 v39, s21, v45
	s_delay_alu instid0(VALU_DEP_3) | instskip(SKIP_2) | instid1(VALU_DEP_3)
	v_dual_mov_b32 v98, v50 :: v_dual_and_b32 v37, v37, v46
	v_dual_mov_b32 v84, v64 :: v_dual_mov_b32 v83, v63
	v_lshlrev_b32_e32 v38, 5, v38
	v_and_b32_e32 v37, v37, v39
	v_mov_b32_e32 v85, v61
	v_mov_b32_e32 v87, v59
	;; [unrolled: 1-line block ×4, first 2 shown]
	v_mbcnt_lo_u32_b32 v45, v37, 0
	v_cmp_ne_u32_e64 s21, 0, v37
	v_mov_b32_e32 v93, v53
	v_mov_b32_e32 v95, v51
	;; [unrolled: 1-line block ×3, first 2 shown]
	v_cmp_eq_u32_e32 vcc_lo, 0, v45
	v_add_nc_u32_e32 v46, v131, v38
	s_barrier_wait -1
	global_inv scope:SCOPE_SE
	s_and_b32 s26, s21, vcc_lo
	; wave barrier
	s_wait_alu 0xfffe
	s_and_saveexec_b32 s21, s26
; %bb.33:                               ;   in Loop: Header=BB141_32 Depth=1
	v_bcnt_u32_b32 v37, v37, 0
	ds_store_b32 v46, v37 offset:32
; %bb.34:                               ;   in Loop: Header=BB141_32 Depth=1
	s_wait_alu 0xfffe
	s_or_b32 exec_lo, exec_lo, s21
	v_lshrrev_b64 v[37:38], v70, v[105:106]
	; wave barrier
	s_delay_alu instid0(VALU_DEP_1) | instskip(NEXT) | instid1(VALU_DEP_1)
	v_and_b32_e32 v37, s25, v37
	v_and_b32_e32 v38, 1, v37
	v_lshlrev_b32_e32 v39, 30, v37
	v_lshlrev_b32_e32 v40, 29, v37
	;; [unrolled: 1-line block ×4, first 2 shown]
	v_add_co_u32 v38, s21, v38, -1
	s_wait_alu 0xf1ff
	v_cndmask_b32_e64 v42, 0, 1, s21
	v_not_b32_e32 v48, v39
	v_cmp_gt_i32_e64 s21, 0, v39
	v_not_b32_e32 v39, v40
	v_lshlrev_b32_e32 v44, 26, v37
	v_cmp_ne_u32_e32 vcc_lo, 0, v42
	v_ashrrev_i32_e32 v48, 31, v48
	v_lshlrev_b32_e32 v47, 25, v37
	v_ashrrev_i32_e32 v39, 31, v39
	v_lshlrev_b32_e32 v42, 24, v37
	s_wait_alu 0xfffd
	v_xor_b32_e32 v38, vcc_lo, v38
	v_cmp_gt_i32_e32 vcc_lo, 0, v40
	v_not_b32_e32 v40, v41
	s_wait_alu 0xf1ff
	v_xor_b32_e32 v48, s21, v48
	v_cmp_gt_i32_e64 s21, 0, v41
	v_and_b32_e32 v38, exec_lo, v38
	v_not_b32_e32 v41, v43
	v_ashrrev_i32_e32 v40, 31, v40
	s_wait_alu 0xfffd
	v_xor_b32_e32 v39, vcc_lo, v39
	v_cmp_gt_i32_e32 vcc_lo, 0, v43
	v_and_b32_e32 v38, v38, v48
	v_not_b32_e32 v43, v44
	v_ashrrev_i32_e32 v41, 31, v41
	s_wait_alu 0xf1ff
	v_xor_b32_e32 v40, s21, v40
	v_cmp_gt_i32_e64 s21, 0, v44
	v_and_b32_e32 v38, v38, v39
	v_not_b32_e32 v39, v47
	v_ashrrev_i32_e32 v43, 31, v43
	s_wait_alu 0xfffd
	v_xor_b32_e32 v41, vcc_lo, v41
	v_cmp_gt_i32_e32 vcc_lo, 0, v47
	v_and_b32_e32 v38, v38, v40
	v_not_b32_e32 v40, v42
	v_ashrrev_i32_e32 v39, 31, v39
	s_wait_alu 0xf1ff
	v_xor_b32_e32 v43, s21, v43
	v_lshlrev_b32_e32 v37, 5, v37
	v_and_b32_e32 v38, v38, v41
	v_cmp_gt_i32_e64 s21, 0, v42
	v_ashrrev_i32_e32 v40, 31, v40
	s_wait_alu 0xfffd
	v_xor_b32_e32 v39, vcc_lo, v39
	v_add_nc_u32_e32 v49, v131, v37
	v_and_b32_e32 v38, v38, v43
	s_wait_alu 0xf1ff
	v_xor_b32_e32 v37, s21, v40
	ds_load_b32 v47, v49 offset:32
	v_and_b32_e32 v38, v38, v39
	; wave barrier
	s_delay_alu instid0(VALU_DEP_1) | instskip(NEXT) | instid1(VALU_DEP_1)
	v_and_b32_e32 v37, v38, v37
	v_mbcnt_lo_u32_b32 v48, v37, 0
	v_cmp_ne_u32_e64 s21, 0, v37
	s_delay_alu instid0(VALU_DEP_2)
	v_cmp_eq_u32_e32 vcc_lo, 0, v48
	s_and_b32 s26, s21, vcc_lo
	s_wait_alu 0xfffe
	s_and_saveexec_b32 s21, s26
	s_cbranch_execz .LBB141_36
; %bb.35:                               ;   in Loop: Header=BB141_32 Depth=1
	s_wait_dscnt 0x0
	v_bcnt_u32_b32 v37, v37, v47
	ds_store_b32 v49, v37 offset:32
.LBB141_36:                             ;   in Loop: Header=BB141_32 Depth=1
	s_wait_alu 0xfffe
	s_or_b32 exec_lo, exec_lo, s21
	v_lshrrev_b64 v[37:38], v70, v[103:104]
	; wave barrier
	s_delay_alu instid0(VALU_DEP_1) | instskip(NEXT) | instid1(VALU_DEP_1)
	v_and_b32_e32 v37, s25, v37
	v_and_b32_e32 v38, 1, v37
	v_lshlrev_b32_e32 v39, 30, v37
	v_lshlrev_b32_e32 v40, 29, v37
	;; [unrolled: 1-line block ×4, first 2 shown]
	v_add_co_u32 v38, s21, v38, -1
	s_wait_alu 0xf1ff
	v_cndmask_b32_e64 v42, 0, 1, s21
	v_not_b32_e32 v51, v39
	v_cmp_gt_i32_e64 s21, 0, v39
	v_not_b32_e32 v39, v40
	v_lshlrev_b32_e32 v44, 26, v37
	v_cmp_ne_u32_e32 vcc_lo, 0, v42
	v_ashrrev_i32_e32 v51, 31, v51
	v_lshlrev_b32_e32 v50, 25, v37
	v_ashrrev_i32_e32 v39, 31, v39
	v_lshlrev_b32_e32 v42, 24, v37
	s_wait_alu 0xfffd
	v_xor_b32_e32 v38, vcc_lo, v38
	v_cmp_gt_i32_e32 vcc_lo, 0, v40
	v_not_b32_e32 v40, v41
	s_wait_alu 0xf1ff
	v_xor_b32_e32 v51, s21, v51
	v_cmp_gt_i32_e64 s21, 0, v41
	v_and_b32_e32 v38, exec_lo, v38
	v_not_b32_e32 v41, v43
	v_ashrrev_i32_e32 v40, 31, v40
	s_wait_alu 0xfffd
	v_xor_b32_e32 v39, vcc_lo, v39
	v_cmp_gt_i32_e32 vcc_lo, 0, v43
	v_and_b32_e32 v38, v38, v51
	v_not_b32_e32 v43, v44
	v_ashrrev_i32_e32 v41, 31, v41
	s_wait_alu 0xf1ff
	v_xor_b32_e32 v40, s21, v40
	v_cmp_gt_i32_e64 s21, 0, v44
	v_and_b32_e32 v38, v38, v39
	v_not_b32_e32 v39, v50
	v_ashrrev_i32_e32 v43, 31, v43
	s_wait_alu 0xfffd
	v_xor_b32_e32 v41, vcc_lo, v41
	v_cmp_gt_i32_e32 vcc_lo, 0, v50
	v_and_b32_e32 v38, v38, v40
	v_not_b32_e32 v40, v42
	v_ashrrev_i32_e32 v39, 31, v39
	s_wait_alu 0xf1ff
	v_xor_b32_e32 v43, s21, v43
	v_lshlrev_b32_e32 v37, 5, v37
	v_and_b32_e32 v38, v38, v41
	v_cmp_gt_i32_e64 s21, 0, v42
	v_ashrrev_i32_e32 v40, 31, v40
	s_wait_alu 0xfffd
	v_xor_b32_e32 v39, vcc_lo, v39
	v_add_nc_u32_e32 v52, v131, v37
	v_and_b32_e32 v38, v38, v43
	s_wait_alu 0xf1ff
	v_xor_b32_e32 v37, s21, v40
	ds_load_b32 v50, v52 offset:32
	v_and_b32_e32 v38, v38, v39
	; wave barrier
	s_delay_alu instid0(VALU_DEP_1) | instskip(NEXT) | instid1(VALU_DEP_1)
	v_and_b32_e32 v37, v38, v37
	v_mbcnt_lo_u32_b32 v51, v37, 0
	v_cmp_ne_u32_e64 s21, 0, v37
	s_delay_alu instid0(VALU_DEP_2)
	v_cmp_eq_u32_e32 vcc_lo, 0, v51
	s_and_b32 s26, s21, vcc_lo
	s_wait_alu 0xfffe
	s_and_saveexec_b32 s21, s26
	s_cbranch_execz .LBB141_38
; %bb.37:                               ;   in Loop: Header=BB141_32 Depth=1
	s_wait_dscnt 0x0
	v_bcnt_u32_b32 v37, v37, v50
	ds_store_b32 v52, v37 offset:32
.LBB141_38:                             ;   in Loop: Header=BB141_32 Depth=1
	s_wait_alu 0xfffe
	s_or_b32 exec_lo, exec_lo, s21
	v_lshrrev_b64 v[37:38], v70, v[101:102]
	; wave barrier
	s_delay_alu instid0(VALU_DEP_1) | instskip(NEXT) | instid1(VALU_DEP_1)
	v_and_b32_e32 v37, s25, v37
	v_and_b32_e32 v38, 1, v37
	v_lshlrev_b32_e32 v39, 30, v37
	v_lshlrev_b32_e32 v40, 29, v37
	;; [unrolled: 1-line block ×4, first 2 shown]
	v_add_co_u32 v38, s21, v38, -1
	s_wait_alu 0xf1ff
	v_cndmask_b32_e64 v42, 0, 1, s21
	v_not_b32_e32 v54, v39
	v_cmp_gt_i32_e64 s21, 0, v39
	v_not_b32_e32 v39, v40
	v_lshlrev_b32_e32 v44, 26, v37
	v_cmp_ne_u32_e32 vcc_lo, 0, v42
	v_ashrrev_i32_e32 v54, 31, v54
	v_lshlrev_b32_e32 v53, 25, v37
	v_ashrrev_i32_e32 v39, 31, v39
	v_lshlrev_b32_e32 v42, 24, v37
	s_wait_alu 0xfffd
	v_xor_b32_e32 v38, vcc_lo, v38
	v_cmp_gt_i32_e32 vcc_lo, 0, v40
	v_not_b32_e32 v40, v41
	s_wait_alu 0xf1ff
	v_xor_b32_e32 v54, s21, v54
	v_cmp_gt_i32_e64 s21, 0, v41
	v_and_b32_e32 v38, exec_lo, v38
	v_not_b32_e32 v41, v43
	v_ashrrev_i32_e32 v40, 31, v40
	s_wait_alu 0xfffd
	v_xor_b32_e32 v39, vcc_lo, v39
	v_cmp_gt_i32_e32 vcc_lo, 0, v43
	v_and_b32_e32 v38, v38, v54
	v_not_b32_e32 v43, v44
	v_ashrrev_i32_e32 v41, 31, v41
	s_wait_alu 0xf1ff
	v_xor_b32_e32 v40, s21, v40
	v_cmp_gt_i32_e64 s21, 0, v44
	v_and_b32_e32 v38, v38, v39
	v_not_b32_e32 v39, v53
	v_ashrrev_i32_e32 v43, 31, v43
	s_wait_alu 0xfffd
	v_xor_b32_e32 v41, vcc_lo, v41
	v_cmp_gt_i32_e32 vcc_lo, 0, v53
	v_and_b32_e32 v38, v38, v40
	v_not_b32_e32 v40, v42
	v_ashrrev_i32_e32 v39, 31, v39
	s_wait_alu 0xf1ff
	v_xor_b32_e32 v43, s21, v43
	v_lshlrev_b32_e32 v37, 5, v37
	v_and_b32_e32 v38, v38, v41
	v_cmp_gt_i32_e64 s21, 0, v42
	v_ashrrev_i32_e32 v40, 31, v40
	s_wait_alu 0xfffd
	v_xor_b32_e32 v39, vcc_lo, v39
	v_add_nc_u32_e32 v55, v131, v37
	v_and_b32_e32 v38, v38, v43
	s_wait_alu 0xf1ff
	v_xor_b32_e32 v37, s21, v40
	ds_load_b32 v53, v55 offset:32
	v_and_b32_e32 v38, v38, v39
	; wave barrier
	s_delay_alu instid0(VALU_DEP_1) | instskip(NEXT) | instid1(VALU_DEP_1)
	v_and_b32_e32 v37, v38, v37
	v_mbcnt_lo_u32_b32 v54, v37, 0
	v_cmp_ne_u32_e64 s21, 0, v37
	s_delay_alu instid0(VALU_DEP_2)
	v_cmp_eq_u32_e32 vcc_lo, 0, v54
	s_and_b32 s26, s21, vcc_lo
	s_wait_alu 0xfffe
	s_and_saveexec_b32 s21, s26
	s_cbranch_execz .LBB141_40
; %bb.39:                               ;   in Loop: Header=BB141_32 Depth=1
	s_wait_dscnt 0x0
	v_bcnt_u32_b32 v37, v37, v53
	ds_store_b32 v55, v37 offset:32
.LBB141_40:                             ;   in Loop: Header=BB141_32 Depth=1
	s_wait_alu 0xfffe
	s_or_b32 exec_lo, exec_lo, s21
	v_lshrrev_b64 v[37:38], v70, v[99:100]
	; wave barrier
	s_delay_alu instid0(VALU_DEP_1) | instskip(NEXT) | instid1(VALU_DEP_1)
	v_and_b32_e32 v37, s25, v37
	v_and_b32_e32 v38, 1, v37
	v_lshlrev_b32_e32 v39, 30, v37
	v_lshlrev_b32_e32 v40, 29, v37
	v_lshlrev_b32_e32 v41, 28, v37
	v_lshlrev_b32_e32 v43, 27, v37
	v_add_co_u32 v38, s21, v38, -1
	s_wait_alu 0xf1ff
	v_cndmask_b32_e64 v42, 0, 1, s21
	v_not_b32_e32 v57, v39
	v_cmp_gt_i32_e64 s21, 0, v39
	v_not_b32_e32 v39, v40
	v_lshlrev_b32_e32 v44, 26, v37
	v_cmp_ne_u32_e32 vcc_lo, 0, v42
	v_ashrrev_i32_e32 v57, 31, v57
	v_lshlrev_b32_e32 v56, 25, v37
	v_ashrrev_i32_e32 v39, 31, v39
	v_lshlrev_b32_e32 v42, 24, v37
	s_wait_alu 0xfffd
	v_xor_b32_e32 v38, vcc_lo, v38
	v_cmp_gt_i32_e32 vcc_lo, 0, v40
	v_not_b32_e32 v40, v41
	s_wait_alu 0xf1ff
	v_xor_b32_e32 v57, s21, v57
	v_cmp_gt_i32_e64 s21, 0, v41
	v_and_b32_e32 v38, exec_lo, v38
	v_not_b32_e32 v41, v43
	v_ashrrev_i32_e32 v40, 31, v40
	s_wait_alu 0xfffd
	v_xor_b32_e32 v39, vcc_lo, v39
	v_cmp_gt_i32_e32 vcc_lo, 0, v43
	v_and_b32_e32 v38, v38, v57
	v_not_b32_e32 v43, v44
	v_ashrrev_i32_e32 v41, 31, v41
	s_wait_alu 0xf1ff
	v_xor_b32_e32 v40, s21, v40
	v_cmp_gt_i32_e64 s21, 0, v44
	v_and_b32_e32 v38, v38, v39
	v_not_b32_e32 v39, v56
	v_ashrrev_i32_e32 v43, 31, v43
	s_wait_alu 0xfffd
	v_xor_b32_e32 v41, vcc_lo, v41
	v_cmp_gt_i32_e32 vcc_lo, 0, v56
	v_and_b32_e32 v38, v38, v40
	v_not_b32_e32 v40, v42
	v_ashrrev_i32_e32 v39, 31, v39
	s_wait_alu 0xf1ff
	v_xor_b32_e32 v43, s21, v43
	v_lshlrev_b32_e32 v37, 5, v37
	v_and_b32_e32 v38, v38, v41
	v_cmp_gt_i32_e64 s21, 0, v42
	v_ashrrev_i32_e32 v40, 31, v40
	s_wait_alu 0xfffd
	v_xor_b32_e32 v39, vcc_lo, v39
	v_add_nc_u32_e32 v58, v131, v37
	v_and_b32_e32 v38, v38, v43
	s_wait_alu 0xf1ff
	v_xor_b32_e32 v37, s21, v40
	ds_load_b32 v56, v58 offset:32
	v_and_b32_e32 v38, v38, v39
	; wave barrier
	s_delay_alu instid0(VALU_DEP_1) | instskip(NEXT) | instid1(VALU_DEP_1)
	v_and_b32_e32 v37, v38, v37
	v_mbcnt_lo_u32_b32 v57, v37, 0
	v_cmp_ne_u32_e64 s21, 0, v37
	s_delay_alu instid0(VALU_DEP_2)
	v_cmp_eq_u32_e32 vcc_lo, 0, v57
	s_and_b32 s26, s21, vcc_lo
	s_wait_alu 0xfffe
	s_and_saveexec_b32 s21, s26
	s_cbranch_execz .LBB141_42
; %bb.41:                               ;   in Loop: Header=BB141_32 Depth=1
	s_wait_dscnt 0x0
	v_bcnt_u32_b32 v37, v37, v56
	ds_store_b32 v58, v37 offset:32
.LBB141_42:                             ;   in Loop: Header=BB141_32 Depth=1
	s_wait_alu 0xfffe
	s_or_b32 exec_lo, exec_lo, s21
	v_lshrrev_b64 v[37:38], v70, v[81:82]
	; wave barrier
	s_delay_alu instid0(VALU_DEP_1) | instskip(NEXT) | instid1(VALU_DEP_1)
	v_and_b32_e32 v37, s25, v37
	v_and_b32_e32 v38, 1, v37
	v_lshlrev_b32_e32 v39, 30, v37
	v_lshlrev_b32_e32 v40, 29, v37
	v_lshlrev_b32_e32 v41, 28, v37
	v_lshlrev_b32_e32 v43, 27, v37
	v_add_co_u32 v38, s21, v38, -1
	s_wait_alu 0xf1ff
	v_cndmask_b32_e64 v42, 0, 1, s21
	v_not_b32_e32 v60, v39
	v_cmp_gt_i32_e64 s21, 0, v39
	v_not_b32_e32 v39, v40
	v_lshlrev_b32_e32 v44, 26, v37
	v_cmp_ne_u32_e32 vcc_lo, 0, v42
	v_ashrrev_i32_e32 v60, 31, v60
	v_lshlrev_b32_e32 v59, 25, v37
	v_ashrrev_i32_e32 v39, 31, v39
	v_lshlrev_b32_e32 v42, 24, v37
	s_wait_alu 0xfffd
	v_xor_b32_e32 v38, vcc_lo, v38
	v_cmp_gt_i32_e32 vcc_lo, 0, v40
	v_not_b32_e32 v40, v41
	s_wait_alu 0xf1ff
	v_xor_b32_e32 v60, s21, v60
	v_cmp_gt_i32_e64 s21, 0, v41
	v_and_b32_e32 v38, exec_lo, v38
	v_not_b32_e32 v41, v43
	v_ashrrev_i32_e32 v40, 31, v40
	s_wait_alu 0xfffd
	v_xor_b32_e32 v39, vcc_lo, v39
	v_cmp_gt_i32_e32 vcc_lo, 0, v43
	v_and_b32_e32 v38, v38, v60
	v_not_b32_e32 v43, v44
	v_ashrrev_i32_e32 v41, 31, v41
	s_wait_alu 0xf1ff
	v_xor_b32_e32 v40, s21, v40
	v_cmp_gt_i32_e64 s21, 0, v44
	v_and_b32_e32 v38, v38, v39
	v_not_b32_e32 v39, v59
	v_ashrrev_i32_e32 v43, 31, v43
	s_wait_alu 0xfffd
	v_xor_b32_e32 v41, vcc_lo, v41
	v_cmp_gt_i32_e32 vcc_lo, 0, v59
	v_and_b32_e32 v38, v38, v40
	v_not_b32_e32 v40, v42
	v_ashrrev_i32_e32 v39, 31, v39
	s_wait_alu 0xf1ff
	v_xor_b32_e32 v43, s21, v43
	v_lshlrev_b32_e32 v37, 5, v37
	v_and_b32_e32 v38, v38, v41
	v_cmp_gt_i32_e64 s21, 0, v42
	v_ashrrev_i32_e32 v40, 31, v40
	s_wait_alu 0xfffd
	v_xor_b32_e32 v39, vcc_lo, v39
	v_add_nc_u32_e32 v61, v131, v37
	v_and_b32_e32 v38, v38, v43
	s_wait_alu 0xf1ff
	v_xor_b32_e32 v37, s21, v40
	ds_load_b32 v59, v61 offset:32
	v_and_b32_e32 v38, v38, v39
	; wave barrier
	s_delay_alu instid0(VALU_DEP_1) | instskip(NEXT) | instid1(VALU_DEP_1)
	v_and_b32_e32 v37, v38, v37
	v_mbcnt_lo_u32_b32 v60, v37, 0
	v_cmp_ne_u32_e64 s21, 0, v37
	s_delay_alu instid0(VALU_DEP_2)
	v_cmp_eq_u32_e32 vcc_lo, 0, v60
	s_and_b32 s26, s21, vcc_lo
	s_wait_alu 0xfffe
	s_and_saveexec_b32 s21, s26
	s_cbranch_execz .LBB141_44
; %bb.43:                               ;   in Loop: Header=BB141_32 Depth=1
	s_wait_dscnt 0x0
	v_bcnt_u32_b32 v37, v37, v59
	ds_store_b32 v61, v37 offset:32
.LBB141_44:                             ;   in Loop: Header=BB141_32 Depth=1
	s_wait_alu 0xfffe
	s_or_b32 exec_lo, exec_lo, s21
	v_lshrrev_b64 v[37:38], v70, v[79:80]
	; wave barrier
	s_delay_alu instid0(VALU_DEP_1) | instskip(NEXT) | instid1(VALU_DEP_1)
	v_and_b32_e32 v37, s25, v37
	v_and_b32_e32 v38, 1, v37
	v_lshlrev_b32_e32 v39, 30, v37
	v_lshlrev_b32_e32 v40, 29, v37
	;; [unrolled: 1-line block ×4, first 2 shown]
	v_add_co_u32 v38, s21, v38, -1
	s_wait_alu 0xf1ff
	v_cndmask_b32_e64 v42, 0, 1, s21
	v_not_b32_e32 v63, v39
	v_cmp_gt_i32_e64 s21, 0, v39
	v_not_b32_e32 v39, v40
	v_lshlrev_b32_e32 v44, 26, v37
	v_cmp_ne_u32_e32 vcc_lo, 0, v42
	v_ashrrev_i32_e32 v63, 31, v63
	v_lshlrev_b32_e32 v62, 25, v37
	v_ashrrev_i32_e32 v39, 31, v39
	v_lshlrev_b32_e32 v42, 24, v37
	s_wait_alu 0xfffd
	v_xor_b32_e32 v38, vcc_lo, v38
	v_cmp_gt_i32_e32 vcc_lo, 0, v40
	v_not_b32_e32 v40, v41
	s_wait_alu 0xf1ff
	v_xor_b32_e32 v63, s21, v63
	v_cmp_gt_i32_e64 s21, 0, v41
	v_and_b32_e32 v38, exec_lo, v38
	v_not_b32_e32 v41, v43
	v_ashrrev_i32_e32 v40, 31, v40
	s_wait_alu 0xfffd
	v_xor_b32_e32 v39, vcc_lo, v39
	v_cmp_gt_i32_e32 vcc_lo, 0, v43
	v_and_b32_e32 v38, v38, v63
	v_not_b32_e32 v43, v44
	v_ashrrev_i32_e32 v41, 31, v41
	s_wait_alu 0xf1ff
	v_xor_b32_e32 v40, s21, v40
	v_cmp_gt_i32_e64 s21, 0, v44
	v_and_b32_e32 v38, v38, v39
	v_not_b32_e32 v39, v62
	v_ashrrev_i32_e32 v43, 31, v43
	s_wait_alu 0xfffd
	v_xor_b32_e32 v41, vcc_lo, v41
	v_cmp_gt_i32_e32 vcc_lo, 0, v62
	v_and_b32_e32 v38, v38, v40
	v_not_b32_e32 v40, v42
	v_ashrrev_i32_e32 v39, 31, v39
	s_wait_alu 0xf1ff
	v_xor_b32_e32 v43, s21, v43
	v_lshlrev_b32_e32 v37, 5, v37
	v_and_b32_e32 v38, v38, v41
	v_cmp_gt_i32_e64 s21, 0, v42
	v_ashrrev_i32_e32 v40, 31, v40
	s_wait_alu 0xfffd
	v_xor_b32_e32 v39, vcc_lo, v39
	v_add_nc_u32_e32 v64, v131, v37
	v_and_b32_e32 v38, v38, v43
	s_wait_alu 0xf1ff
	v_xor_b32_e32 v37, s21, v40
	ds_load_b32 v62, v64 offset:32
	v_and_b32_e32 v38, v38, v39
	; wave barrier
	s_delay_alu instid0(VALU_DEP_1) | instskip(NEXT) | instid1(VALU_DEP_1)
	v_and_b32_e32 v37, v38, v37
	v_mbcnt_lo_u32_b32 v63, v37, 0
	v_cmp_ne_u32_e64 s21, 0, v37
	s_delay_alu instid0(VALU_DEP_2)
	v_cmp_eq_u32_e32 vcc_lo, 0, v63
	s_and_b32 s26, s21, vcc_lo
	s_wait_alu 0xfffe
	s_and_saveexec_b32 s21, s26
	s_cbranch_execz .LBB141_46
; %bb.45:                               ;   in Loop: Header=BB141_32 Depth=1
	s_wait_dscnt 0x0
	v_bcnt_u32_b32 v37, v37, v62
	ds_store_b32 v64, v37 offset:32
.LBB141_46:                             ;   in Loop: Header=BB141_32 Depth=1
	s_wait_alu 0xfffe
	s_or_b32 exec_lo, exec_lo, s21
	v_lshrrev_b64 v[37:38], v70, v[77:78]
	; wave barrier
	s_delay_alu instid0(VALU_DEP_1) | instskip(NEXT) | instid1(VALU_DEP_1)
	v_and_b32_e32 v37, s25, v37
	v_and_b32_e32 v38, 1, v37
	v_lshlrev_b32_e32 v39, 30, v37
	v_lshlrev_b32_e32 v40, 29, v37
	;; [unrolled: 1-line block ×4, first 2 shown]
	v_add_co_u32 v38, s21, v38, -1
	s_wait_alu 0xf1ff
	v_cndmask_b32_e64 v42, 0, 1, s21
	v_not_b32_e32 v66, v39
	v_cmp_gt_i32_e64 s21, 0, v39
	v_not_b32_e32 v39, v40
	v_lshlrev_b32_e32 v44, 26, v37
	v_cmp_ne_u32_e32 vcc_lo, 0, v42
	v_ashrrev_i32_e32 v66, 31, v66
	v_lshlrev_b32_e32 v65, 25, v37
	v_ashrrev_i32_e32 v39, 31, v39
	v_lshlrev_b32_e32 v42, 24, v37
	s_wait_alu 0xfffd
	v_xor_b32_e32 v38, vcc_lo, v38
	v_cmp_gt_i32_e32 vcc_lo, 0, v40
	v_not_b32_e32 v40, v41
	s_wait_alu 0xf1ff
	v_xor_b32_e32 v66, s21, v66
	v_cmp_gt_i32_e64 s21, 0, v41
	v_and_b32_e32 v38, exec_lo, v38
	v_not_b32_e32 v41, v43
	v_ashrrev_i32_e32 v40, 31, v40
	s_wait_alu 0xfffd
	v_xor_b32_e32 v39, vcc_lo, v39
	v_cmp_gt_i32_e32 vcc_lo, 0, v43
	v_and_b32_e32 v38, v38, v66
	v_not_b32_e32 v43, v44
	v_ashrrev_i32_e32 v41, 31, v41
	s_wait_alu 0xf1ff
	v_xor_b32_e32 v40, s21, v40
	v_cmp_gt_i32_e64 s21, 0, v44
	v_and_b32_e32 v38, v38, v39
	v_not_b32_e32 v39, v65
	v_ashrrev_i32_e32 v43, 31, v43
	s_wait_alu 0xfffd
	v_xor_b32_e32 v41, vcc_lo, v41
	v_cmp_gt_i32_e32 vcc_lo, 0, v65
	v_and_b32_e32 v38, v38, v40
	v_not_b32_e32 v40, v42
	v_ashrrev_i32_e32 v39, 31, v39
	s_wait_alu 0xf1ff
	v_xor_b32_e32 v43, s21, v43
	v_lshlrev_b32_e32 v37, 5, v37
	v_and_b32_e32 v38, v38, v41
	v_cmp_gt_i32_e64 s21, 0, v42
	v_ashrrev_i32_e32 v40, 31, v40
	s_wait_alu 0xfffd
	v_xor_b32_e32 v39, vcc_lo, v39
	v_add_nc_u32_e32 v67, v131, v37
	v_and_b32_e32 v38, v38, v43
	s_wait_alu 0xf1ff
	v_xor_b32_e32 v37, s21, v40
	ds_load_b32 v65, v67 offset:32
	v_and_b32_e32 v38, v38, v39
	; wave barrier
	s_delay_alu instid0(VALU_DEP_1) | instskip(NEXT) | instid1(VALU_DEP_1)
	v_and_b32_e32 v37, v38, v37
	v_mbcnt_lo_u32_b32 v66, v37, 0
	v_cmp_ne_u32_e64 s21, 0, v37
	s_delay_alu instid0(VALU_DEP_2)
	v_cmp_eq_u32_e32 vcc_lo, 0, v66
	s_and_b32 s25, s21, vcc_lo
	s_wait_alu 0xfffe
	s_and_saveexec_b32 s21, s25
	s_cbranch_execz .LBB141_48
; %bb.47:                               ;   in Loop: Header=BB141_32 Depth=1
	s_wait_dscnt 0x0
	v_bcnt_u32_b32 v37, v37, v65
	ds_store_b32 v67, v37 offset:32
.LBB141_48:                             ;   in Loop: Header=BB141_32 Depth=1
	s_wait_alu 0xfffe
	s_or_b32 exec_lo, exec_lo, s21
	; wave barrier
	s_wait_loadcnt_dscnt 0x0
	s_barrier_signal -1
	s_barrier_wait -1
	global_inv scope:SCOPE_SE
	ds_load_b128 v[41:44], v116 offset:32
	ds_load_b128 v[37:40], v116 offset:48
	s_wait_dscnt 0x1
	v_add_nc_u32_e32 v68, v42, v41
	s_delay_alu instid0(VALU_DEP_1) | instskip(SKIP_1) | instid1(VALU_DEP_1)
	v_add3_u32 v68, v68, v43, v44
	s_wait_dscnt 0x0
	v_add3_u32 v68, v68, v37, v38
	s_delay_alu instid0(VALU_DEP_1) | instskip(NEXT) | instid1(VALU_DEP_1)
	v_add3_u32 v40, v68, v39, v40
	v_mov_b32_dpp v68, v40 row_shr:1 row_mask:0xf bank_mask:0xf
	s_delay_alu instid0(VALU_DEP_1) | instskip(NEXT) | instid1(VALU_DEP_1)
	v_cndmask_b32_e64 v68, v68, 0, s12
	v_add_nc_u32_e32 v40, v68, v40
	s_delay_alu instid0(VALU_DEP_1) | instskip(NEXT) | instid1(VALU_DEP_1)
	v_mov_b32_dpp v68, v40 row_shr:2 row_mask:0xf bank_mask:0xf
	v_cndmask_b32_e64 v68, 0, v68, s13
	s_delay_alu instid0(VALU_DEP_1) | instskip(NEXT) | instid1(VALU_DEP_1)
	v_add_nc_u32_e32 v40, v40, v68
	v_mov_b32_dpp v68, v40 row_shr:4 row_mask:0xf bank_mask:0xf
	s_delay_alu instid0(VALU_DEP_1) | instskip(NEXT) | instid1(VALU_DEP_1)
	v_cndmask_b32_e64 v68, 0, v68, s14
	v_add_nc_u32_e32 v40, v40, v68
	s_delay_alu instid0(VALU_DEP_1) | instskip(NEXT) | instid1(VALU_DEP_1)
	v_mov_b32_dpp v68, v40 row_shr:8 row_mask:0xf bank_mask:0xf
	v_cndmask_b32_e64 v68, 0, v68, s15
	s_delay_alu instid0(VALU_DEP_1) | instskip(SKIP_3) | instid1(VALU_DEP_1)
	v_add_nc_u32_e32 v40, v40, v68
	ds_swizzle_b32 v68, v40 offset:swizzle(BROADCAST,32,15)
	s_wait_dscnt 0x0
	v_cndmask_b32_e64 v68, v68, 0, s16
	v_add_nc_u32_e32 v40, v40, v68
	s_and_saveexec_b32 s21, s17
; %bb.49:                               ;   in Loop: Header=BB141_32 Depth=1
	ds_store_b32 v117, v40
; %bb.50:                               ;   in Loop: Header=BB141_32 Depth=1
	s_wait_alu 0xfffe
	s_or_b32 exec_lo, exec_lo, s21
	s_wait_loadcnt_dscnt 0x0
	s_barrier_signal -1
	s_barrier_wait -1
	global_inv scope:SCOPE_SE
	s_and_saveexec_b32 s21, s8
	s_cbranch_execz .LBB141_52
; %bb.51:                               ;   in Loop: Header=BB141_32 Depth=1
	ds_load_b32 v68, v132
	s_wait_dscnt 0x0
	v_mov_b32_dpp v133, v68 row_shr:1 row_mask:0xf bank_mask:0xf
	s_delay_alu instid0(VALU_DEP_1) | instskip(NEXT) | instid1(VALU_DEP_1)
	v_cndmask_b32_e64 v133, v133, 0, s18
	v_add_nc_u32_e32 v68, v133, v68
	s_delay_alu instid0(VALU_DEP_1) | instskip(NEXT) | instid1(VALU_DEP_1)
	v_mov_b32_dpp v133, v68 row_shr:2 row_mask:0xf bank_mask:0xf
	v_cndmask_b32_e64 v133, 0, v133, s19
	s_delay_alu instid0(VALU_DEP_1) | instskip(NEXT) | instid1(VALU_DEP_1)
	v_add_nc_u32_e32 v68, v68, v133
	v_mov_b32_dpp v133, v68 row_shr:4 row_mask:0xf bank_mask:0xf
	s_delay_alu instid0(VALU_DEP_1) | instskip(NEXT) | instid1(VALU_DEP_1)
	v_cndmask_b32_e64 v133, 0, v133, s20
	v_add_nc_u32_e32 v68, v68, v133
	ds_store_b32 v132, v68
.LBB141_52:                             ;   in Loop: Header=BB141_32 Depth=1
	s_wait_alu 0xfffe
	s_or_b32 exec_lo, exec_lo, s21
	v_mov_b32_e32 v68, 0
	s_wait_loadcnt_dscnt 0x0
	s_barrier_signal -1
	s_barrier_wait -1
	global_inv scope:SCOPE_SE
	s_and_saveexec_b32 s21, s9
; %bb.53:                               ;   in Loop: Header=BB141_32 Depth=1
	ds_load_b32 v68, v129
; %bb.54:                               ;   in Loop: Header=BB141_32 Depth=1
	s_wait_alu 0xfffe
	s_or_b32 exec_lo, exec_lo, s21
	s_wait_dscnt 0x0
	v_add_nc_u32_e32 v40, v68, v40
	v_cmp_lt_u32_e32 vcc_lo, 55, v70
	s_mov_b32 s21, -1
	ds_bpermute_b32 v40, v128, v40
	s_and_b32 vcc_lo, exec_lo, vcc_lo
	s_wait_dscnt 0x0
	v_cndmask_b32_e64 v40, v40, v68, s11
	s_delay_alu instid0(VALU_DEP_1) | instskip(NEXT) | instid1(VALU_DEP_1)
	v_cndmask_b32_e64 v40, v40, 0, s10
	v_add_nc_u32_e32 v41, v40, v41
	s_delay_alu instid0(VALU_DEP_1) | instskip(NEXT) | instid1(VALU_DEP_1)
	v_add_nc_u32_e32 v42, v41, v42
	v_add_nc_u32_e32 v43, v42, v43
	s_delay_alu instid0(VALU_DEP_1) | instskip(NEXT) | instid1(VALU_DEP_1)
	v_add_nc_u32_e32 v133, v43, v44
	;; [unrolled: 3-line block ×3, first 2 shown]
	v_add_nc_u32_e32 v136, v135, v39
	ds_store_b128 v116, v[40:43] offset:32
	ds_store_b128 v116, v[133:136] offset:48
	s_wait_loadcnt_dscnt 0x0
	s_barrier_signal -1
	s_barrier_wait -1
	global_inv scope:SCOPE_SE
	ds_load_b32 v37, v46 offset:32
	ds_load_b32 v38, v49 offset:32
	;; [unrolled: 1-line block ×8, first 2 shown]
	s_wait_dscnt 0x7
	v_add_nc_u32_e32 v140, v37, v45
	s_wait_dscnt 0x6
	v_add3_u32 v139, v48, v47, v38
	s_wait_dscnt 0x5
	v_add3_u32 v138, v51, v50, v39
	;; [unrolled: 2-line block ×7, first 2 shown]
                                        ; implicit-def: $vgpr67_vgpr68
                                        ; implicit-def: $vgpr47_vgpr48
                                        ; implicit-def: $vgpr43_vgpr44
                                        ; implicit-def: $vgpr39_vgpr40
                                        ; implicit-def: $vgpr63_vgpr64
                                        ; implicit-def: $vgpr59_vgpr60
                                        ; implicit-def: $vgpr55_vgpr56
                                        ; implicit-def: $vgpr51_vgpr52
	s_wait_alu 0xfffe
	s_cbranch_vccnz .LBB141_31
; %bb.55:                               ;   in Loop: Header=BB141_32 Depth=1
	v_lshlrev_b32_e32 v49, 3, v140
	v_lshlrev_b32_e32 v52, 3, v137
	;; [unrolled: 1-line block ×8, first 2 shown]
	s_wait_loadcnt 0x0
	s_barrier_signal -1
	s_barrier_wait -1
	global_inv scope:SCOPE_SE
	ds_store_b64 v49, v[75:76]
	ds_store_b64 v50, v[105:106]
	;; [unrolled: 1-line block ×8, first 2 shown]
	s_wait_loadcnt_dscnt 0x0
	s_barrier_signal -1
	s_barrier_wait -1
	global_inv scope:SCOPE_SE
	ds_load_2addr_b64 v[37:40], v130 offset1:32
	ds_load_2addr_b64 v[41:44], v130 offset0:64 offset1:96
	ds_load_2addr_b64 v[45:48], v130 offset0:128 offset1:160
	;; [unrolled: 1-line block ×3, first 2 shown]
	s_wait_loadcnt_dscnt 0x0
	s_barrier_signal -1
	s_barrier_wait -1
	global_inv scope:SCOPE_SE
	ds_store_b64 v49, v[97:98]
	ds_store_b64 v50, v[95:96]
	;; [unrolled: 1-line block ×8, first 2 shown]
	s_wait_loadcnt_dscnt 0x0
	s_barrier_signal -1
	s_barrier_wait -1
	global_inv scope:SCOPE_SE
	ds_load_2addr_b64 v[49:52], v130 offset1:32
	ds_load_2addr_b64 v[53:56], v130 offset0:64 offset1:96
	ds_load_2addr_b64 v[57:60], v130 offset0:128 offset1:160
	;; [unrolled: 1-line block ×3, first 2 shown]
	v_add_co_u32 v70, vcc_lo, v70, 8
	s_wait_alu 0xfffd
	v_add_co_ci_u32_e64 v71, null, 0, v71, vcc_lo
	s_add_co_i32 s24, s24, -8
	s_mov_b32 s21, 0
	s_wait_loadcnt_dscnt 0x0
	s_barrier_signal -1
	s_barrier_wait -1
	global_inv scope:SCOPE_SE
	s_branch .LBB141_31
.LBB141_56:
	v_lshlrev_b64_e32 v[17:18], 3, v[69:70]
	v_mov_b32_e32 v71, v70
	v_dual_mov_b32 v19, v70 :: v_dual_mov_b32 v22, v70
	v_dual_mov_b32 v21, v70 :: v_dual_mov_b32 v24, v70
	s_delay_alu instid0(VALU_DEP_4)
	v_add_co_u32 v17, vcc_lo, s34, v17
	s_wait_alu 0xfffd
	v_add_co_ci_u32_e64 v18, null, s35, v18, vcc_lo
	v_dual_mov_b32 v23, v70 :: v_dual_mov_b32 v26, v70
	v_dual_mov_b32 v25, v70 :: v_dual_mov_b32 v30, v70
	global_load_b64 v[27:28], v[17:18], off
	v_dual_mov_b32 v17, v70 :: v_dual_mov_b32 v20, v70
	v_dual_mov_b32 v18, v70 :: v_dual_mov_b32 v29, v70
	s_wait_alu 0xfffe
	s_or_b32 exec_lo, exec_lo, s8
	s_and_saveexec_b32 s8, s1
	s_cbranch_execz .LBB141_22
.LBB141_57:
	v_mul_lo_u32 v39, s28, v31
	v_mov_b32_e32 v40, 0
	s_delay_alu instid0(VALU_DEP_1) | instskip(NEXT) | instid1(VALU_DEP_1)
	v_lshlrev_b64_e32 v[39:40], 3, v[39:40]
	v_add_co_u32 v39, vcc_lo, s34, v39
	s_wait_alu 0xfffd
	s_delay_alu instid0(VALU_DEP_2)
	v_add_co_ci_u32_e64 v40, null, s35, v40, vcc_lo
	global_load_b64 v[70:71], v[39:40], off
	s_wait_alu 0xfffe
	s_or_b32 exec_lo, exec_lo, s8
	s_and_saveexec_b32 s8, s2
	s_cbranch_execz .LBB141_23
.LBB141_58:
	v_mul_lo_u32 v17, s28, v32
	v_mov_b32_e32 v18, 0
	s_delay_alu instid0(VALU_DEP_1) | instskip(NEXT) | instid1(VALU_DEP_1)
	v_lshlrev_b64_e32 v[17:18], 3, v[17:18]
	v_add_co_u32 v17, vcc_lo, s34, v17
	s_wait_alu 0xfffd
	s_delay_alu instid0(VALU_DEP_2)
	v_add_co_ci_u32_e64 v18, null, s35, v18, vcc_lo
	global_load_b64 v[17:18], v[17:18], off
	s_wait_alu 0xfffe
	s_or_b32 exec_lo, exec_lo, s8
	s_and_saveexec_b32 s8, s3
	s_cbranch_execz .LBB141_24
.LBB141_59:
	v_mul_lo_u32 v19, s28, v34
	v_mov_b32_e32 v20, 0
	s_delay_alu instid0(VALU_DEP_1) | instskip(NEXT) | instid1(VALU_DEP_1)
	v_lshlrev_b64_e32 v[19:20], 3, v[19:20]
	v_add_co_u32 v19, vcc_lo, s34, v19
	s_wait_alu 0xfffd
	s_delay_alu instid0(VALU_DEP_2)
	v_add_co_ci_u32_e64 v20, null, s35, v20, vcc_lo
	global_load_b64 v[19:20], v[19:20], off
	s_wait_alu 0xfffe
	s_or_b32 exec_lo, exec_lo, s8
	s_and_saveexec_b32 s8, s4
	s_cbranch_execz .LBB141_25
.LBB141_60:
	v_mul_lo_u32 v21, s28, v35
	v_mov_b32_e32 v22, 0
	s_delay_alu instid0(VALU_DEP_1) | instskip(NEXT) | instid1(VALU_DEP_1)
	v_lshlrev_b64_e32 v[21:22], 3, v[21:22]
	v_add_co_u32 v21, vcc_lo, s34, v21
	s_wait_alu 0xfffd
	s_delay_alu instid0(VALU_DEP_2)
	v_add_co_ci_u32_e64 v22, null, s35, v22, vcc_lo
	global_load_b64 v[21:22], v[21:22], off
	s_wait_alu 0xfffe
	s_or_b32 exec_lo, exec_lo, s8
	s_and_saveexec_b32 s8, s5
	s_cbranch_execz .LBB141_26
.LBB141_61:
	v_mul_lo_u32 v23, s28, v36
	v_mov_b32_e32 v24, 0
	s_delay_alu instid0(VALU_DEP_1) | instskip(NEXT) | instid1(VALU_DEP_1)
	v_lshlrev_b64_e32 v[23:24], 3, v[23:24]
	v_add_co_u32 v23, vcc_lo, s34, v23
	s_wait_alu 0xfffd
	s_delay_alu instid0(VALU_DEP_2)
	v_add_co_ci_u32_e64 v24, null, s35, v24, vcc_lo
	global_load_b64 v[23:24], v[23:24], off
	s_wait_alu 0xfffe
	s_or_b32 exec_lo, exec_lo, s8
	s_and_saveexec_b32 s8, s6
	s_cbranch_execz .LBB141_27
.LBB141_62:
	v_mul_lo_u32 v25, s28, v37
	v_mov_b32_e32 v26, 0
	s_delay_alu instid0(VALU_DEP_1) | instskip(NEXT) | instid1(VALU_DEP_1)
	v_lshlrev_b64_e32 v[25:26], 3, v[25:26]
	v_add_co_u32 v25, vcc_lo, s34, v25
	s_wait_alu 0xfffd
	s_delay_alu instid0(VALU_DEP_2)
	v_add_co_ci_u32_e64 v26, null, s35, v26, vcc_lo
	global_load_b64 v[25:26], v[25:26], off
	s_wait_alu 0xfffe
	s_or_b32 exec_lo, exec_lo, s8
	s_xor_b32 s8, s20, -1
	s_and_saveexec_b32 s9, s7
	s_cbranch_execnz .LBB141_28
	s_branch .LBB141_29
.LBB141_63:
	v_lshlrev_b32_e32 v33, 3, v140
	v_lshlrev_b32_e32 v36, 3, v137
	v_lshlrev_b32_e32 v65, 3, v73
	v_lshlrev_b32_e32 v34, 3, v139
	v_lshlrev_b32_e32 v37, 3, v136
	v_lshlrev_b32_e32 v35, 3, v138
	v_lshlrev_b32_e32 v38, 3, v135
	v_lshlrev_b32_e32 v39, 3, v134
	v_lshlrev_b32_e32 v40, 3, v133
	s_wait_loadcnt 0x0
	s_barrier_signal -1
	s_barrier_wait -1
	global_inv scope:SCOPE_SE
	ds_store_b64 v33, v[75:76]
	ds_store_b64 v34, v[105:106]
	;; [unrolled: 1-line block ×8, first 2 shown]
	s_wait_loadcnt_dscnt 0x0
	s_barrier_signal -1
	s_barrier_wait -1
	global_inv scope:SCOPE_SE
	ds_load_b128 v[49:52], v65
	ds_load_b128 v[53:56], v65 offset:16
	ds_load_b128 v[57:60], v65 offset:32
	;; [unrolled: 1-line block ×3, first 2 shown]
	s_wait_loadcnt_dscnt 0x0
	s_barrier_signal -1
	s_barrier_wait -1
	global_inv scope:SCOPE_SE
	ds_store_b64 v33, v[97:98]
	ds_store_b64 v34, v[95:96]
	;; [unrolled: 1-line block ×8, first 2 shown]
	s_wait_loadcnt_dscnt 0x0
	s_barrier_signal -1
	s_barrier_wait -1
	global_inv scope:SCOPE_SE
	ds_load_b128 v[45:48], v65
	ds_load_b128 v[41:44], v65 offset:16
	ds_load_b128 v[37:40], v65 offset:32
	;; [unrolled: 1-line block ×3, first 2 shown]
	s_mov_b32 s11, 0
	v_xor_b32_e32 v50, 0x80000000, v50
	v_xor_b32_e32 v52, 0x80000000, v52
	;; [unrolled: 1-line block ×8, first 2 shown]
.LBB141_64:
	s_wait_alu 0xfffe
	s_and_b32 vcc_lo, exec_lo, s11
	s_wait_alu 0xfffe
	s_cbranch_vccz .LBB141_92
; %bb.65:
	v_xor_b32_e32 v14, 0x7fffffff, v14
	v_xor_b32_e32 v13, -1, v13
	v_xor_b32_e32 v16, 0x7fffffff, v16
	v_xor_b32_e32 v15, -1, v15
	;; [unrolled: 2-line block ×8, first 2 shown]
	ds_store_b128 v127, v[13:16]
	ds_store_b128 v127, v[9:12] offset:16
	ds_store_b128 v127, v[5:8] offset:32
	;; [unrolled: 1-line block ×3, first 2 shown]
	; wave barrier
	ds_load_2addr_b64 v[4:7], v126 offset1:32
	ds_load_2addr_b64 v[8:11], v126 offset0:64 offset1:96
	ds_load_2addr_b64 v[12:15], v126 offset0:128 offset1:160
	s_wait_dscnt 0x7
	ds_load_2addr_b64 v[33:36], v126 offset0:192 offset1:224
	; wave barrier
	ds_store_b128 v127, v[21:24]
	ds_store_b128 v127, v[17:20] offset:16
	ds_store_b128 v127, v[29:32] offset:32
	;; [unrolled: 1-line block ×3, first 2 shown]
	; wave barrier
	ds_load_2addr_b64 v[16:19], v126 offset1:32
	ds_load_2addr_b64 v[20:23], v126 offset0:64 offset1:96
	ds_load_2addr_b64 v[24:27], v126 offset0:128 offset1:160
	;; [unrolled: 1-line block ×3, first 2 shown]
	s_wait_loadcnt_dscnt 0x0
	s_barrier_signal -1
	s_barrier_wait -1
	global_inv scope:SCOPE_SE
	s_load_b32 s10, s[36:37], 0xc
	s_getpc_b64 s[8:9]
	s_wait_alu 0xfffe
	s_sext_i32_i16 s9, s9
	s_add_co_u32 s8, s8, _ZN7rocprim17ROCPRIM_400000_NS16block_radix_sortIlLj256ELj8ElLj1ELj1ELj0ELNS0_26block_radix_rank_algorithmE1ELNS0_18block_padding_hintE2ELNS0_4arch9wavefront6targetE0EE19radix_bits_per_passE@rel32@lo+12
	s_wait_alu 0xfffe
	s_add_co_ci_u32 s9, s9, _ZN7rocprim17ROCPRIM_400000_NS16block_radix_sortIlLj256ELj8ElLj1ELj1ELj0ELNS0_26block_radix_rank_algorithmE1ELNS0_18block_padding_hintE2ELNS0_4arch9wavefront6targetE0EE19radix_bits_per_passE@rel32@hi+24
	v_or_b32_e32 v3, 31, v123
	s_load_b32 s23, s[8:9], 0x0
	s_mov_b32 s24, 0
	v_cmp_lt_u32_e64 s12, 7, v122
	s_wait_alu 0xfffe
	s_mov_b32 s25, s24
	s_mov_b32 s26, s24
	;; [unrolled: 1-line block ×3, first 2 shown]
	v_cmp_eq_u32_e64 s14, v74, v3
	v_cmp_eq_u32_e64 s13, 0, v121
	v_cmp_gt_u32_e64 s15, 8, v74
	v_mov_b32_e32 v37, 0
	v_cmp_lt_u32_e64 s16, 31, v74
	v_cmp_eq_u32_e64 s17, 0, v74
	v_cmp_eq_u32_e64 s18, 0, v120
	v_cmp_lt_u32_e64 s19, 1, v120
	v_cmp_lt_u32_e64 s20, 3, v120
	v_dual_mov_b32 v38, 0 :: v_dual_add_nc_u32 v77, v116, v119
	s_wait_kmcnt 0x0
	s_lshr_b32 s11, s10, 16
	s_and_b32 s8, s10, 0xffff
	s_wait_alu 0xfffe
	v_mad_u32_u24 v1, v125, s11, v124
	v_cmp_lt_u32_e64 s10, 1, v122
	v_cmp_lt_u32_e64 s11, 3, v122
	s_delay_alu instid0(VALU_DEP_3) | instskip(SKIP_4) | instid1(VALU_DEP_4)
	v_mad_co_u64_u32 v[1:2], null, v1, s8, v[74:75]
	v_sub_co_u32 v2, s9, v118, 1
	v_lshl_add_u32 v75, v118, 3, v0
	v_cmp_eq_u32_e64 s8, 0, v122
	v_add_nc_u32_e32 v74, -4, v117
	v_cmp_gt_i32_e32 vcc_lo, 0, v2
	v_lshrrev_b32_e32 v1, 3, v1
	s_wait_alu 0xfffd
	v_cndmask_b32_e32 v2, v2, v118, vcc_lo
	s_delay_alu instid0(VALU_DEP_2) | instskip(NEXT) | instid1(VALU_DEP_2)
	v_and_b32_e32 v76, 0x1ffffffc, v1
	v_lshlrev_b32_e32 v32, 2, v2
	v_dual_mov_b32 v0, s24 :: v_dual_mov_b32 v1, s25
	v_dual_mov_b32 v2, s26 :: v_dual_mov_b32 v3, s27
	s_mov_b32 s24, 64
	s_branch .LBB141_67
.LBB141_66:                             ;   in Loop: Header=BB141_67 Depth=1
	s_wait_alu 0xfffe
	s_and_not1_b32 vcc_lo, exec_lo, s21
	s_wait_alu 0xfffe
	s_cbranch_vccz .LBB141_91
.LBB141_67:                             ; =>This Inner Loop Header: Depth=1
	v_dual_mov_b32 v40, v5 :: v_dual_mov_b32 v39, v4
	s_wait_alu 0xfffe
	s_min_u32 s21, s23, s24
	v_mov_b32_e32 v52, v27
	s_wait_alu 0xfffe
	s_lshl_b32 s21, -1, s21
	v_mov_b32_e32 v60, v19
	v_lshrrev_b64 v[4:5], v37, v[39:40]
	s_wait_alu 0xfffe
	s_not_b32 s25, s21
	v_mov_b32_e32 v50, v29
	v_mov_b32_e32 v54, v25
	;; [unrolled: 1-line block ×3, first 2 shown]
	s_wait_alu 0xfffe
	v_dual_mov_b32 v42, v36 :: v_dual_and_b32 v5, s25, v4
	v_dual_mov_b32 v41, v35 :: v_dual_mov_b32 v44, v34
	v_dual_mov_b32 v43, v33 :: v_dual_mov_b32 v46, v15
	s_delay_alu instid0(VALU_DEP_3) | instskip(SKIP_3) | instid1(VALU_DEP_4)
	v_dual_mov_b32 v45, v14 :: v_dual_and_b32 v4, 1, v5
	v_lshlrev_b32_e32 v14, 30, v5
	v_dual_mov_b32 v64, v13 :: v_dual_lshlrev_b32 v15, 29, v5
	v_mov_b32_e32 v63, v12
	v_add_co_u32 v4, s21, v4, -1
	s_wait_alu 0xf1ff
	v_cndmask_b32_e64 v34, 0, 1, s21
	v_not_b32_e32 v48, v14
	v_dual_mov_b32 v66, v11 :: v_dual_lshlrev_b32 v33, 28, v5
	v_cmp_gt_i32_e64 s21, 0, v14
	s_delay_alu instid0(VALU_DEP_4)
	v_cmp_ne_u32_e32 vcc_lo, 0, v34
	v_not_b32_e32 v14, v15
	v_ashrrev_i32_e32 v48, 31, v48
	v_dual_mov_b32 v68, v9 :: v_dual_lshlrev_b32 v35, 27, v5
	s_wait_alu 0xfffd
	v_xor_b32_e32 v4, vcc_lo, v4
	v_cmp_gt_i32_e32 vcc_lo, 0, v15
	v_not_b32_e32 v15, v33
	v_ashrrev_i32_e32 v14, 31, v14
	s_wait_alu 0xf1ff
	v_xor_b32_e32 v48, s21, v48
	v_dual_mov_b32 v71, v7 :: v_dual_and_b32 v4, exec_lo, v4
	v_dual_mov_b32 v65, v10 :: v_dual_lshlrev_b32 v36, 26, v5
	v_cmp_gt_i32_e64 s21, 0, v33
	v_not_b32_e32 v33, v35
	v_ashrrev_i32_e32 v15, 31, v15
	s_wait_alu 0xfffd
	v_xor_b32_e32 v14, vcc_lo, v14
	v_and_b32_e32 v4, v4, v48
	v_dual_mov_b32 v70, v6 :: v_dual_lshlrev_b32 v47, 25, v5
	v_cmp_gt_i32_e32 vcc_lo, 0, v35
	v_not_b32_e32 v35, v36
	v_ashrrev_i32_e32 v33, 31, v33
	s_wait_alu 0xf1ff
	v_xor_b32_e32 v15, s21, v15
	v_dual_mov_b32 v51, v26 :: v_dual_and_b32 v4, v4, v14
	v_dual_mov_b32 v67, v8 :: v_dual_lshlrev_b32 v34, 24, v5
	v_cmp_gt_i32_e64 s21, 0, v36
	v_not_b32_e32 v14, v47
	v_ashrrev_i32_e32 v35, 31, v35
	s_wait_alu 0xfffd
	v_xor_b32_e32 v33, vcc_lo, v33
	v_and_b32_e32 v4, v4, v15
	v_dual_mov_b32 v56, v23 :: v_dual_lshlrev_b32 v5, 5, v5
	v_cmp_gt_i32_e32 vcc_lo, 0, v47
	v_not_b32_e32 v15, v34
	v_ashrrev_i32_e32 v14, 31, v14
	s_wait_alu 0xf1ff
	v_xor_b32_e32 v35, s21, v35
	v_dual_mov_b32 v55, v22 :: v_dual_and_b32 v4, v4, v33
	v_mov_b32_e32 v59, v18
	v_cmp_gt_i32_e64 s21, 0, v34
	v_ashrrev_i32_e32 v12, 31, v15
	s_wait_alu 0xfffd
	v_xor_b32_e32 v13, vcc_lo, v14
	v_and_b32_e32 v4, v4, v35
	v_dual_mov_b32 v48, v31 :: v_dual_mov_b32 v49, v28
	s_wait_alu 0xf1ff
	v_xor_b32_e32 v6, s21, v12
	v_mov_b32_e32 v58, v21
	v_dual_mov_b32 v47, v30 :: v_dual_and_b32 v4, v4, v13
	v_mov_b32_e32 v53, v24
	v_mov_b32_e32 v57, v20
	v_mov_b32_e32 v61, v16
	s_delay_alu instid0(VALU_DEP_4)
	v_and_b32_e32 v4, v4, v6
	v_add_nc_u32_e32 v13, v76, v5
	ds_store_b128 v116, v[0:3] offset:32
	ds_store_b128 v116, v[0:3] offset:48
	s_wait_loadcnt_dscnt 0x0
	s_barrier_signal -1
	v_mbcnt_lo_u32_b32 v12, v4, 0
	v_cmp_ne_u32_e64 s21, 0, v4
	s_barrier_wait -1
	global_inv scope:SCOPE_SE
	v_cmp_eq_u32_e32 vcc_lo, 0, v12
	; wave barrier
	s_and_b32 s26, s21, vcc_lo
	s_wait_alu 0xfffe
	s_and_saveexec_b32 s21, s26
; %bb.68:                               ;   in Loop: Header=BB141_67 Depth=1
	v_bcnt_u32_b32 v4, v4, 0
	ds_store_b32 v13, v4 offset:32
; %bb.69:                               ;   in Loop: Header=BB141_67 Depth=1
	s_wait_alu 0xfffe
	s_or_b32 exec_lo, exec_lo, s21
	v_lshrrev_b64 v[4:5], v37, v[70:71]
	; wave barrier
	s_delay_alu instid0(VALU_DEP_1) | instskip(NEXT) | instid1(VALU_DEP_1)
	v_and_b32_e32 v4, s25, v4
	v_and_b32_e32 v5, 1, v4
	v_lshlrev_b32_e32 v6, 30, v4
	v_lshlrev_b32_e32 v7, 29, v4
	;; [unrolled: 1-line block ×4, first 2 shown]
	v_add_co_u32 v5, s21, v5, -1
	s_wait_alu 0xf1ff
	v_cndmask_b32_e64 v9, 0, 1, s21
	v_not_b32_e32 v15, v6
	v_cmp_gt_i32_e64 s21, 0, v6
	v_not_b32_e32 v6, v7
	v_lshlrev_b32_e32 v11, 26, v4
	v_cmp_ne_u32_e32 vcc_lo, 0, v9
	v_ashrrev_i32_e32 v15, 31, v15
	v_lshlrev_b32_e32 v14, 25, v4
	v_ashrrev_i32_e32 v6, 31, v6
	v_lshlrev_b32_e32 v9, 24, v4
	s_wait_alu 0xfffd
	v_xor_b32_e32 v5, vcc_lo, v5
	v_cmp_gt_i32_e32 vcc_lo, 0, v7
	v_not_b32_e32 v7, v8
	s_wait_alu 0xf1ff
	v_xor_b32_e32 v15, s21, v15
	v_cmp_gt_i32_e64 s21, 0, v8
	v_and_b32_e32 v5, exec_lo, v5
	v_not_b32_e32 v8, v10
	v_ashrrev_i32_e32 v7, 31, v7
	s_wait_alu 0xfffd
	v_xor_b32_e32 v6, vcc_lo, v6
	v_cmp_gt_i32_e32 vcc_lo, 0, v10
	v_and_b32_e32 v5, v5, v15
	v_not_b32_e32 v10, v11
	v_ashrrev_i32_e32 v8, 31, v8
	s_wait_alu 0xf1ff
	v_xor_b32_e32 v7, s21, v7
	v_cmp_gt_i32_e64 s21, 0, v11
	v_and_b32_e32 v5, v5, v6
	v_not_b32_e32 v6, v14
	v_ashrrev_i32_e32 v10, 31, v10
	s_wait_alu 0xfffd
	v_xor_b32_e32 v8, vcc_lo, v8
	v_cmp_gt_i32_e32 vcc_lo, 0, v14
	v_and_b32_e32 v5, v5, v7
	v_not_b32_e32 v7, v9
	v_ashrrev_i32_e32 v6, 31, v6
	s_wait_alu 0xf1ff
	v_xor_b32_e32 v10, s21, v10
	v_lshlrev_b32_e32 v4, 5, v4
	v_and_b32_e32 v5, v5, v8
	v_cmp_gt_i32_e64 s21, 0, v9
	v_ashrrev_i32_e32 v7, 31, v7
	s_wait_alu 0xfffd
	v_xor_b32_e32 v6, vcc_lo, v6
	v_add_nc_u32_e32 v16, v76, v4
	v_and_b32_e32 v5, v5, v10
	s_wait_alu 0xf1ff
	v_xor_b32_e32 v4, s21, v7
	ds_load_b32 v14, v16 offset:32
	v_and_b32_e32 v5, v5, v6
	; wave barrier
	s_delay_alu instid0(VALU_DEP_1) | instskip(NEXT) | instid1(VALU_DEP_1)
	v_and_b32_e32 v4, v5, v4
	v_mbcnt_lo_u32_b32 v15, v4, 0
	v_cmp_ne_u32_e64 s21, 0, v4
	s_delay_alu instid0(VALU_DEP_2)
	v_cmp_eq_u32_e32 vcc_lo, 0, v15
	s_and_b32 s26, s21, vcc_lo
	s_wait_alu 0xfffe
	s_and_saveexec_b32 s21, s26
	s_cbranch_execz .LBB141_71
; %bb.70:                               ;   in Loop: Header=BB141_67 Depth=1
	s_wait_dscnt 0x0
	v_bcnt_u32_b32 v4, v4, v14
	ds_store_b32 v16, v4 offset:32
.LBB141_71:                             ;   in Loop: Header=BB141_67 Depth=1
	s_wait_alu 0xfffe
	s_or_b32 exec_lo, exec_lo, s21
	v_lshrrev_b64 v[4:5], v37, v[67:68]
	; wave barrier
	s_delay_alu instid0(VALU_DEP_1) | instskip(NEXT) | instid1(VALU_DEP_1)
	v_and_b32_e32 v4, s25, v4
	v_and_b32_e32 v5, 1, v4
	v_lshlrev_b32_e32 v6, 30, v4
	v_lshlrev_b32_e32 v7, 29, v4
	v_lshlrev_b32_e32 v8, 28, v4
	v_lshlrev_b32_e32 v10, 27, v4
	v_add_co_u32 v5, s21, v5, -1
	s_wait_alu 0xf1ff
	v_cndmask_b32_e64 v9, 0, 1, s21
	v_not_b32_e32 v18, v6
	v_cmp_gt_i32_e64 s21, 0, v6
	v_not_b32_e32 v6, v7
	v_lshlrev_b32_e32 v11, 26, v4
	v_cmp_ne_u32_e32 vcc_lo, 0, v9
	v_ashrrev_i32_e32 v18, 31, v18
	v_lshlrev_b32_e32 v17, 25, v4
	v_ashrrev_i32_e32 v6, 31, v6
	v_lshlrev_b32_e32 v9, 24, v4
	s_wait_alu 0xfffd
	v_xor_b32_e32 v5, vcc_lo, v5
	v_cmp_gt_i32_e32 vcc_lo, 0, v7
	v_not_b32_e32 v7, v8
	s_wait_alu 0xf1ff
	v_xor_b32_e32 v18, s21, v18
	v_cmp_gt_i32_e64 s21, 0, v8
	v_and_b32_e32 v5, exec_lo, v5
	v_not_b32_e32 v8, v10
	v_ashrrev_i32_e32 v7, 31, v7
	s_wait_alu 0xfffd
	v_xor_b32_e32 v6, vcc_lo, v6
	v_cmp_gt_i32_e32 vcc_lo, 0, v10
	v_and_b32_e32 v5, v5, v18
	v_not_b32_e32 v10, v11
	v_ashrrev_i32_e32 v8, 31, v8
	s_wait_alu 0xf1ff
	v_xor_b32_e32 v7, s21, v7
	v_cmp_gt_i32_e64 s21, 0, v11
	v_and_b32_e32 v5, v5, v6
	v_not_b32_e32 v6, v17
	v_ashrrev_i32_e32 v10, 31, v10
	s_wait_alu 0xfffd
	v_xor_b32_e32 v8, vcc_lo, v8
	v_cmp_gt_i32_e32 vcc_lo, 0, v17
	v_and_b32_e32 v5, v5, v7
	v_not_b32_e32 v7, v9
	v_ashrrev_i32_e32 v6, 31, v6
	s_wait_alu 0xf1ff
	v_xor_b32_e32 v10, s21, v10
	v_lshlrev_b32_e32 v4, 5, v4
	v_and_b32_e32 v5, v5, v8
	v_cmp_gt_i32_e64 s21, 0, v9
	v_ashrrev_i32_e32 v7, 31, v7
	s_wait_alu 0xfffd
	v_xor_b32_e32 v6, vcc_lo, v6
	v_add_nc_u32_e32 v19, v76, v4
	v_and_b32_e32 v5, v5, v10
	s_wait_alu 0xf1ff
	v_xor_b32_e32 v4, s21, v7
	ds_load_b32 v17, v19 offset:32
	v_and_b32_e32 v5, v5, v6
	; wave barrier
	s_delay_alu instid0(VALU_DEP_1) | instskip(NEXT) | instid1(VALU_DEP_1)
	v_and_b32_e32 v4, v5, v4
	v_mbcnt_lo_u32_b32 v18, v4, 0
	v_cmp_ne_u32_e64 s21, 0, v4
	s_delay_alu instid0(VALU_DEP_2)
	v_cmp_eq_u32_e32 vcc_lo, 0, v18
	s_and_b32 s26, s21, vcc_lo
	s_wait_alu 0xfffe
	s_and_saveexec_b32 s21, s26
	s_cbranch_execz .LBB141_73
; %bb.72:                               ;   in Loop: Header=BB141_67 Depth=1
	s_wait_dscnt 0x0
	v_bcnt_u32_b32 v4, v4, v17
	ds_store_b32 v19, v4 offset:32
.LBB141_73:                             ;   in Loop: Header=BB141_67 Depth=1
	s_wait_alu 0xfffe
	s_or_b32 exec_lo, exec_lo, s21
	v_lshrrev_b64 v[4:5], v37, v[65:66]
	; wave barrier
	s_delay_alu instid0(VALU_DEP_1) | instskip(NEXT) | instid1(VALU_DEP_1)
	v_and_b32_e32 v4, s25, v4
	v_and_b32_e32 v5, 1, v4
	v_lshlrev_b32_e32 v6, 30, v4
	v_lshlrev_b32_e32 v7, 29, v4
	;; [unrolled: 1-line block ×4, first 2 shown]
	v_add_co_u32 v5, s21, v5, -1
	s_wait_alu 0xf1ff
	v_cndmask_b32_e64 v9, 0, 1, s21
	v_not_b32_e32 v21, v6
	v_cmp_gt_i32_e64 s21, 0, v6
	v_not_b32_e32 v6, v7
	v_lshlrev_b32_e32 v11, 26, v4
	v_cmp_ne_u32_e32 vcc_lo, 0, v9
	v_ashrrev_i32_e32 v21, 31, v21
	v_lshlrev_b32_e32 v20, 25, v4
	v_ashrrev_i32_e32 v6, 31, v6
	v_lshlrev_b32_e32 v9, 24, v4
	s_wait_alu 0xfffd
	v_xor_b32_e32 v5, vcc_lo, v5
	v_cmp_gt_i32_e32 vcc_lo, 0, v7
	v_not_b32_e32 v7, v8
	s_wait_alu 0xf1ff
	v_xor_b32_e32 v21, s21, v21
	v_cmp_gt_i32_e64 s21, 0, v8
	v_and_b32_e32 v5, exec_lo, v5
	v_not_b32_e32 v8, v10
	v_ashrrev_i32_e32 v7, 31, v7
	s_wait_alu 0xfffd
	v_xor_b32_e32 v6, vcc_lo, v6
	v_cmp_gt_i32_e32 vcc_lo, 0, v10
	v_and_b32_e32 v5, v5, v21
	v_not_b32_e32 v10, v11
	v_ashrrev_i32_e32 v8, 31, v8
	s_wait_alu 0xf1ff
	v_xor_b32_e32 v7, s21, v7
	v_cmp_gt_i32_e64 s21, 0, v11
	v_and_b32_e32 v5, v5, v6
	v_not_b32_e32 v6, v20
	v_ashrrev_i32_e32 v10, 31, v10
	s_wait_alu 0xfffd
	v_xor_b32_e32 v8, vcc_lo, v8
	v_cmp_gt_i32_e32 vcc_lo, 0, v20
	v_and_b32_e32 v5, v5, v7
	v_not_b32_e32 v7, v9
	v_ashrrev_i32_e32 v6, 31, v6
	s_wait_alu 0xf1ff
	v_xor_b32_e32 v10, s21, v10
	v_lshlrev_b32_e32 v4, 5, v4
	v_and_b32_e32 v5, v5, v8
	v_cmp_gt_i32_e64 s21, 0, v9
	v_ashrrev_i32_e32 v7, 31, v7
	s_wait_alu 0xfffd
	v_xor_b32_e32 v6, vcc_lo, v6
	v_add_nc_u32_e32 v22, v76, v4
	v_and_b32_e32 v5, v5, v10
	s_wait_alu 0xf1ff
	v_xor_b32_e32 v4, s21, v7
	ds_load_b32 v20, v22 offset:32
	v_and_b32_e32 v5, v5, v6
	; wave barrier
	s_delay_alu instid0(VALU_DEP_1) | instskip(NEXT) | instid1(VALU_DEP_1)
	v_and_b32_e32 v4, v5, v4
	v_mbcnt_lo_u32_b32 v21, v4, 0
	v_cmp_ne_u32_e64 s21, 0, v4
	s_delay_alu instid0(VALU_DEP_2)
	v_cmp_eq_u32_e32 vcc_lo, 0, v21
	s_and_b32 s26, s21, vcc_lo
	s_wait_alu 0xfffe
	s_and_saveexec_b32 s21, s26
	s_cbranch_execz .LBB141_75
; %bb.74:                               ;   in Loop: Header=BB141_67 Depth=1
	s_wait_dscnt 0x0
	v_bcnt_u32_b32 v4, v4, v20
	ds_store_b32 v22, v4 offset:32
.LBB141_75:                             ;   in Loop: Header=BB141_67 Depth=1
	s_wait_alu 0xfffe
	s_or_b32 exec_lo, exec_lo, s21
	v_lshrrev_b64 v[4:5], v37, v[63:64]
	; wave barrier
	s_delay_alu instid0(VALU_DEP_1) | instskip(NEXT) | instid1(VALU_DEP_1)
	v_and_b32_e32 v4, s25, v4
	v_and_b32_e32 v5, 1, v4
	v_lshlrev_b32_e32 v6, 30, v4
	v_lshlrev_b32_e32 v7, 29, v4
	;; [unrolled: 1-line block ×4, first 2 shown]
	v_add_co_u32 v5, s21, v5, -1
	s_wait_alu 0xf1ff
	v_cndmask_b32_e64 v9, 0, 1, s21
	v_not_b32_e32 v24, v6
	v_cmp_gt_i32_e64 s21, 0, v6
	v_not_b32_e32 v6, v7
	v_lshlrev_b32_e32 v11, 26, v4
	v_cmp_ne_u32_e32 vcc_lo, 0, v9
	v_ashrrev_i32_e32 v24, 31, v24
	v_lshlrev_b32_e32 v23, 25, v4
	v_ashrrev_i32_e32 v6, 31, v6
	v_lshlrev_b32_e32 v9, 24, v4
	s_wait_alu 0xfffd
	v_xor_b32_e32 v5, vcc_lo, v5
	v_cmp_gt_i32_e32 vcc_lo, 0, v7
	v_not_b32_e32 v7, v8
	s_wait_alu 0xf1ff
	v_xor_b32_e32 v24, s21, v24
	v_cmp_gt_i32_e64 s21, 0, v8
	v_and_b32_e32 v5, exec_lo, v5
	v_not_b32_e32 v8, v10
	v_ashrrev_i32_e32 v7, 31, v7
	s_wait_alu 0xfffd
	v_xor_b32_e32 v6, vcc_lo, v6
	v_cmp_gt_i32_e32 vcc_lo, 0, v10
	v_and_b32_e32 v5, v5, v24
	v_not_b32_e32 v10, v11
	v_ashrrev_i32_e32 v8, 31, v8
	s_wait_alu 0xf1ff
	v_xor_b32_e32 v7, s21, v7
	v_cmp_gt_i32_e64 s21, 0, v11
	v_and_b32_e32 v5, v5, v6
	v_not_b32_e32 v6, v23
	v_ashrrev_i32_e32 v10, 31, v10
	s_wait_alu 0xfffd
	v_xor_b32_e32 v8, vcc_lo, v8
	v_cmp_gt_i32_e32 vcc_lo, 0, v23
	v_and_b32_e32 v5, v5, v7
	v_not_b32_e32 v7, v9
	v_ashrrev_i32_e32 v6, 31, v6
	s_wait_alu 0xf1ff
	v_xor_b32_e32 v10, s21, v10
	v_lshlrev_b32_e32 v4, 5, v4
	v_and_b32_e32 v5, v5, v8
	v_cmp_gt_i32_e64 s21, 0, v9
	v_ashrrev_i32_e32 v7, 31, v7
	s_wait_alu 0xfffd
	v_xor_b32_e32 v6, vcc_lo, v6
	v_add_nc_u32_e32 v25, v76, v4
	v_and_b32_e32 v5, v5, v10
	s_wait_alu 0xf1ff
	v_xor_b32_e32 v4, s21, v7
	ds_load_b32 v23, v25 offset:32
	v_and_b32_e32 v5, v5, v6
	; wave barrier
	s_delay_alu instid0(VALU_DEP_1) | instskip(NEXT) | instid1(VALU_DEP_1)
	v_and_b32_e32 v4, v5, v4
	v_mbcnt_lo_u32_b32 v24, v4, 0
	v_cmp_ne_u32_e64 s21, 0, v4
	s_delay_alu instid0(VALU_DEP_2)
	v_cmp_eq_u32_e32 vcc_lo, 0, v24
	s_and_b32 s26, s21, vcc_lo
	s_wait_alu 0xfffe
	s_and_saveexec_b32 s21, s26
	s_cbranch_execz .LBB141_77
; %bb.76:                               ;   in Loop: Header=BB141_67 Depth=1
	s_wait_dscnt 0x0
	v_bcnt_u32_b32 v4, v4, v23
	ds_store_b32 v25, v4 offset:32
.LBB141_77:                             ;   in Loop: Header=BB141_67 Depth=1
	s_wait_alu 0xfffe
	s_or_b32 exec_lo, exec_lo, s21
	v_lshrrev_b64 v[4:5], v37, v[45:46]
	; wave barrier
	s_delay_alu instid0(VALU_DEP_1) | instskip(NEXT) | instid1(VALU_DEP_1)
	v_and_b32_e32 v4, s25, v4
	v_and_b32_e32 v5, 1, v4
	v_lshlrev_b32_e32 v6, 30, v4
	v_lshlrev_b32_e32 v7, 29, v4
	;; [unrolled: 1-line block ×4, first 2 shown]
	v_add_co_u32 v5, s21, v5, -1
	s_wait_alu 0xf1ff
	v_cndmask_b32_e64 v9, 0, 1, s21
	v_not_b32_e32 v27, v6
	v_cmp_gt_i32_e64 s21, 0, v6
	v_not_b32_e32 v6, v7
	v_lshlrev_b32_e32 v11, 26, v4
	v_cmp_ne_u32_e32 vcc_lo, 0, v9
	v_ashrrev_i32_e32 v27, 31, v27
	v_lshlrev_b32_e32 v26, 25, v4
	v_ashrrev_i32_e32 v6, 31, v6
	v_lshlrev_b32_e32 v9, 24, v4
	s_wait_alu 0xfffd
	v_xor_b32_e32 v5, vcc_lo, v5
	v_cmp_gt_i32_e32 vcc_lo, 0, v7
	v_not_b32_e32 v7, v8
	s_wait_alu 0xf1ff
	v_xor_b32_e32 v27, s21, v27
	v_cmp_gt_i32_e64 s21, 0, v8
	v_and_b32_e32 v5, exec_lo, v5
	v_not_b32_e32 v8, v10
	v_ashrrev_i32_e32 v7, 31, v7
	s_wait_alu 0xfffd
	v_xor_b32_e32 v6, vcc_lo, v6
	v_cmp_gt_i32_e32 vcc_lo, 0, v10
	v_and_b32_e32 v5, v5, v27
	v_not_b32_e32 v10, v11
	v_ashrrev_i32_e32 v8, 31, v8
	s_wait_alu 0xf1ff
	v_xor_b32_e32 v7, s21, v7
	v_cmp_gt_i32_e64 s21, 0, v11
	v_and_b32_e32 v5, v5, v6
	v_not_b32_e32 v6, v26
	v_ashrrev_i32_e32 v10, 31, v10
	s_wait_alu 0xfffd
	v_xor_b32_e32 v8, vcc_lo, v8
	v_cmp_gt_i32_e32 vcc_lo, 0, v26
	v_and_b32_e32 v5, v5, v7
	v_not_b32_e32 v7, v9
	v_ashrrev_i32_e32 v6, 31, v6
	s_wait_alu 0xf1ff
	v_xor_b32_e32 v10, s21, v10
	v_lshlrev_b32_e32 v4, 5, v4
	v_and_b32_e32 v5, v5, v8
	v_cmp_gt_i32_e64 s21, 0, v9
	v_ashrrev_i32_e32 v7, 31, v7
	s_wait_alu 0xfffd
	v_xor_b32_e32 v6, vcc_lo, v6
	v_add_nc_u32_e32 v28, v76, v4
	v_and_b32_e32 v5, v5, v10
	s_wait_alu 0xf1ff
	v_xor_b32_e32 v4, s21, v7
	ds_load_b32 v26, v28 offset:32
	v_and_b32_e32 v5, v5, v6
	; wave barrier
	s_delay_alu instid0(VALU_DEP_1) | instskip(NEXT) | instid1(VALU_DEP_1)
	v_and_b32_e32 v4, v5, v4
	v_mbcnt_lo_u32_b32 v27, v4, 0
	v_cmp_ne_u32_e64 s21, 0, v4
	s_delay_alu instid0(VALU_DEP_2)
	v_cmp_eq_u32_e32 vcc_lo, 0, v27
	s_and_b32 s26, s21, vcc_lo
	s_wait_alu 0xfffe
	s_and_saveexec_b32 s21, s26
	s_cbranch_execz .LBB141_79
; %bb.78:                               ;   in Loop: Header=BB141_67 Depth=1
	s_wait_dscnt 0x0
	v_bcnt_u32_b32 v4, v4, v26
	ds_store_b32 v28, v4 offset:32
.LBB141_79:                             ;   in Loop: Header=BB141_67 Depth=1
	s_wait_alu 0xfffe
	s_or_b32 exec_lo, exec_lo, s21
	v_lshrrev_b64 v[4:5], v37, v[43:44]
	; wave barrier
	s_delay_alu instid0(VALU_DEP_1) | instskip(NEXT) | instid1(VALU_DEP_1)
	v_and_b32_e32 v4, s25, v4
	v_and_b32_e32 v5, 1, v4
	v_lshlrev_b32_e32 v6, 30, v4
	v_lshlrev_b32_e32 v7, 29, v4
	;; [unrolled: 1-line block ×4, first 2 shown]
	v_add_co_u32 v5, s21, v5, -1
	s_wait_alu 0xf1ff
	v_cndmask_b32_e64 v9, 0, 1, s21
	v_not_b32_e32 v30, v6
	v_cmp_gt_i32_e64 s21, 0, v6
	v_not_b32_e32 v6, v7
	v_lshlrev_b32_e32 v11, 26, v4
	v_cmp_ne_u32_e32 vcc_lo, 0, v9
	v_ashrrev_i32_e32 v30, 31, v30
	v_lshlrev_b32_e32 v29, 25, v4
	v_ashrrev_i32_e32 v6, 31, v6
	v_lshlrev_b32_e32 v9, 24, v4
	s_wait_alu 0xfffd
	v_xor_b32_e32 v5, vcc_lo, v5
	v_cmp_gt_i32_e32 vcc_lo, 0, v7
	v_not_b32_e32 v7, v8
	s_wait_alu 0xf1ff
	v_xor_b32_e32 v30, s21, v30
	v_cmp_gt_i32_e64 s21, 0, v8
	v_and_b32_e32 v5, exec_lo, v5
	v_not_b32_e32 v8, v10
	v_ashrrev_i32_e32 v7, 31, v7
	s_wait_alu 0xfffd
	v_xor_b32_e32 v6, vcc_lo, v6
	v_cmp_gt_i32_e32 vcc_lo, 0, v10
	v_and_b32_e32 v5, v5, v30
	v_not_b32_e32 v10, v11
	v_ashrrev_i32_e32 v8, 31, v8
	s_wait_alu 0xf1ff
	v_xor_b32_e32 v7, s21, v7
	v_cmp_gt_i32_e64 s21, 0, v11
	v_and_b32_e32 v5, v5, v6
	v_not_b32_e32 v6, v29
	v_ashrrev_i32_e32 v10, 31, v10
	s_wait_alu 0xfffd
	v_xor_b32_e32 v8, vcc_lo, v8
	v_cmp_gt_i32_e32 vcc_lo, 0, v29
	v_and_b32_e32 v5, v5, v7
	v_not_b32_e32 v7, v9
	v_ashrrev_i32_e32 v6, 31, v6
	s_wait_alu 0xf1ff
	v_xor_b32_e32 v10, s21, v10
	v_lshlrev_b32_e32 v4, 5, v4
	v_and_b32_e32 v5, v5, v8
	v_cmp_gt_i32_e64 s21, 0, v9
	v_ashrrev_i32_e32 v7, 31, v7
	s_wait_alu 0xfffd
	v_xor_b32_e32 v6, vcc_lo, v6
	v_add_nc_u32_e32 v31, v76, v4
	v_and_b32_e32 v5, v5, v10
	s_wait_alu 0xf1ff
	v_xor_b32_e32 v4, s21, v7
	ds_load_b32 v29, v31 offset:32
	v_and_b32_e32 v5, v5, v6
	; wave barrier
	s_delay_alu instid0(VALU_DEP_1) | instskip(NEXT) | instid1(VALU_DEP_1)
	v_and_b32_e32 v4, v5, v4
	v_mbcnt_lo_u32_b32 v30, v4, 0
	v_cmp_ne_u32_e64 s21, 0, v4
	s_delay_alu instid0(VALU_DEP_2)
	v_cmp_eq_u32_e32 vcc_lo, 0, v30
	s_and_b32 s26, s21, vcc_lo
	s_wait_alu 0xfffe
	s_and_saveexec_b32 s21, s26
	s_cbranch_execz .LBB141_81
; %bb.80:                               ;   in Loop: Header=BB141_67 Depth=1
	s_wait_dscnt 0x0
	v_bcnt_u32_b32 v4, v4, v29
	ds_store_b32 v31, v4 offset:32
.LBB141_81:                             ;   in Loop: Header=BB141_67 Depth=1
	s_wait_alu 0xfffe
	s_or_b32 exec_lo, exec_lo, s21
	v_lshrrev_b64 v[4:5], v37, v[41:42]
	; wave barrier
	s_delay_alu instid0(VALU_DEP_1) | instskip(NEXT) | instid1(VALU_DEP_1)
	v_and_b32_e32 v4, s25, v4
	v_and_b32_e32 v5, 1, v4
	v_lshlrev_b32_e32 v6, 30, v4
	v_lshlrev_b32_e32 v7, 29, v4
	;; [unrolled: 1-line block ×4, first 2 shown]
	v_add_co_u32 v5, s21, v5, -1
	s_wait_alu 0xf1ff
	v_cndmask_b32_e64 v9, 0, 1, s21
	v_not_b32_e32 v34, v6
	v_cmp_gt_i32_e64 s21, 0, v6
	v_not_b32_e32 v6, v7
	v_lshlrev_b32_e32 v11, 26, v4
	v_cmp_ne_u32_e32 vcc_lo, 0, v9
	v_ashrrev_i32_e32 v34, 31, v34
	v_lshlrev_b32_e32 v33, 25, v4
	v_ashrrev_i32_e32 v6, 31, v6
	v_lshlrev_b32_e32 v9, 24, v4
	s_wait_alu 0xfffd
	v_xor_b32_e32 v5, vcc_lo, v5
	v_cmp_gt_i32_e32 vcc_lo, 0, v7
	v_not_b32_e32 v7, v8
	s_wait_alu 0xf1ff
	v_xor_b32_e32 v34, s21, v34
	v_cmp_gt_i32_e64 s21, 0, v8
	v_and_b32_e32 v5, exec_lo, v5
	v_not_b32_e32 v8, v10
	v_ashrrev_i32_e32 v7, 31, v7
	s_wait_alu 0xfffd
	v_xor_b32_e32 v6, vcc_lo, v6
	v_cmp_gt_i32_e32 vcc_lo, 0, v10
	v_and_b32_e32 v5, v5, v34
	v_not_b32_e32 v10, v11
	v_ashrrev_i32_e32 v8, 31, v8
	s_wait_alu 0xf1ff
	v_xor_b32_e32 v7, s21, v7
	v_cmp_gt_i32_e64 s21, 0, v11
	v_and_b32_e32 v5, v5, v6
	v_not_b32_e32 v6, v33
	v_ashrrev_i32_e32 v10, 31, v10
	s_wait_alu 0xfffd
	v_xor_b32_e32 v8, vcc_lo, v8
	v_cmp_gt_i32_e32 vcc_lo, 0, v33
	v_and_b32_e32 v5, v5, v7
	v_not_b32_e32 v7, v9
	v_ashrrev_i32_e32 v6, 31, v6
	s_wait_alu 0xf1ff
	v_xor_b32_e32 v10, s21, v10
	v_lshlrev_b32_e32 v4, 5, v4
	v_and_b32_e32 v5, v5, v8
	v_cmp_gt_i32_e64 s21, 0, v9
	v_ashrrev_i32_e32 v7, 31, v7
	s_wait_alu 0xfffd
	v_xor_b32_e32 v6, vcc_lo, v6
	v_add_nc_u32_e32 v35, v76, v4
	v_and_b32_e32 v5, v5, v10
	s_wait_alu 0xf1ff
	v_xor_b32_e32 v4, s21, v7
	ds_load_b32 v33, v35 offset:32
	v_and_b32_e32 v5, v5, v6
	; wave barrier
	s_delay_alu instid0(VALU_DEP_1) | instskip(NEXT) | instid1(VALU_DEP_1)
	v_and_b32_e32 v4, v5, v4
	v_mbcnt_lo_u32_b32 v34, v4, 0
	v_cmp_ne_u32_e64 s21, 0, v4
	s_delay_alu instid0(VALU_DEP_2)
	v_cmp_eq_u32_e32 vcc_lo, 0, v34
	s_and_b32 s25, s21, vcc_lo
	s_wait_alu 0xfffe
	s_and_saveexec_b32 s21, s25
	s_cbranch_execz .LBB141_83
; %bb.82:                               ;   in Loop: Header=BB141_67 Depth=1
	s_wait_dscnt 0x0
	v_bcnt_u32_b32 v4, v4, v33
	ds_store_b32 v35, v4 offset:32
.LBB141_83:                             ;   in Loop: Header=BB141_67 Depth=1
	s_wait_alu 0xfffe
	s_or_b32 exec_lo, exec_lo, s21
	; wave barrier
	s_wait_loadcnt_dscnt 0x0
	s_barrier_signal -1
	s_barrier_wait -1
	global_inv scope:SCOPE_SE
	ds_load_b128 v[8:11], v116 offset:32
	ds_load_b128 v[4:7], v116 offset:48
	s_wait_dscnt 0x1
	v_add_nc_u32_e32 v36, v9, v8
	s_delay_alu instid0(VALU_DEP_1) | instskip(SKIP_1) | instid1(VALU_DEP_1)
	v_add3_u32 v36, v36, v10, v11
	s_wait_dscnt 0x0
	v_add3_u32 v36, v36, v4, v5
	s_delay_alu instid0(VALU_DEP_1) | instskip(NEXT) | instid1(VALU_DEP_1)
	v_add3_u32 v7, v36, v6, v7
	v_mov_b32_dpp v36, v7 row_shr:1 row_mask:0xf bank_mask:0xf
	s_delay_alu instid0(VALU_DEP_1) | instskip(NEXT) | instid1(VALU_DEP_1)
	v_cndmask_b32_e64 v36, v36, 0, s8
	v_add_nc_u32_e32 v7, v36, v7
	s_delay_alu instid0(VALU_DEP_1) | instskip(NEXT) | instid1(VALU_DEP_1)
	v_mov_b32_dpp v36, v7 row_shr:2 row_mask:0xf bank_mask:0xf
	v_cndmask_b32_e64 v36, 0, v36, s10
	s_delay_alu instid0(VALU_DEP_1) | instskip(NEXT) | instid1(VALU_DEP_1)
	v_add_nc_u32_e32 v7, v7, v36
	v_mov_b32_dpp v36, v7 row_shr:4 row_mask:0xf bank_mask:0xf
	s_delay_alu instid0(VALU_DEP_1) | instskip(NEXT) | instid1(VALU_DEP_1)
	v_cndmask_b32_e64 v36, 0, v36, s11
	v_add_nc_u32_e32 v7, v7, v36
	s_delay_alu instid0(VALU_DEP_1) | instskip(NEXT) | instid1(VALU_DEP_1)
	v_mov_b32_dpp v36, v7 row_shr:8 row_mask:0xf bank_mask:0xf
	v_cndmask_b32_e64 v36, 0, v36, s12
	s_delay_alu instid0(VALU_DEP_1) | instskip(SKIP_3) | instid1(VALU_DEP_1)
	v_add_nc_u32_e32 v7, v7, v36
	ds_swizzle_b32 v36, v7 offset:swizzle(BROADCAST,32,15)
	s_wait_dscnt 0x0
	v_cndmask_b32_e64 v36, v36, 0, s13
	v_add_nc_u32_e32 v7, v7, v36
	s_and_saveexec_b32 s21, s14
; %bb.84:                               ;   in Loop: Header=BB141_67 Depth=1
	ds_store_b32 v117, v7
; %bb.85:                               ;   in Loop: Header=BB141_67 Depth=1
	s_wait_alu 0xfffe
	s_or_b32 exec_lo, exec_lo, s21
	s_wait_loadcnt_dscnt 0x0
	s_barrier_signal -1
	s_barrier_wait -1
	global_inv scope:SCOPE_SE
	s_and_saveexec_b32 s21, s15
	s_cbranch_execz .LBB141_87
; %bb.86:                               ;   in Loop: Header=BB141_67 Depth=1
	ds_load_b32 v36, v77
	s_wait_dscnt 0x0
	v_mov_b32_dpp v78, v36 row_shr:1 row_mask:0xf bank_mask:0xf
	s_delay_alu instid0(VALU_DEP_1) | instskip(NEXT) | instid1(VALU_DEP_1)
	v_cndmask_b32_e64 v78, v78, 0, s18
	v_add_nc_u32_e32 v36, v78, v36
	s_delay_alu instid0(VALU_DEP_1) | instskip(NEXT) | instid1(VALU_DEP_1)
	v_mov_b32_dpp v78, v36 row_shr:2 row_mask:0xf bank_mask:0xf
	v_cndmask_b32_e64 v78, 0, v78, s19
	s_delay_alu instid0(VALU_DEP_1) | instskip(NEXT) | instid1(VALU_DEP_1)
	v_add_nc_u32_e32 v36, v36, v78
	v_mov_b32_dpp v78, v36 row_shr:4 row_mask:0xf bank_mask:0xf
	s_delay_alu instid0(VALU_DEP_1) | instskip(NEXT) | instid1(VALU_DEP_1)
	v_cndmask_b32_e64 v78, 0, v78, s20
	v_add_nc_u32_e32 v36, v36, v78
	ds_store_b32 v77, v36
.LBB141_87:                             ;   in Loop: Header=BB141_67 Depth=1
	s_wait_alu 0xfffe
	s_or_b32 exec_lo, exec_lo, s21
	v_mov_b32_e32 v36, 0
	s_wait_loadcnt_dscnt 0x0
	s_barrier_signal -1
	s_barrier_wait -1
	global_inv scope:SCOPE_SE
	s_and_saveexec_b32 s21, s16
; %bb.88:                               ;   in Loop: Header=BB141_67 Depth=1
	ds_load_b32 v36, v74
; %bb.89:                               ;   in Loop: Header=BB141_67 Depth=1
	s_wait_alu 0xfffe
	s_or_b32 exec_lo, exec_lo, s21
	s_wait_dscnt 0x0
	v_add_nc_u32_e32 v7, v36, v7
	v_cmp_lt_u32_e32 vcc_lo, 55, v37
	s_mov_b32 s21, -1
	ds_bpermute_b32 v7, v32, v7
	s_and_b32 vcc_lo, exec_lo, vcc_lo
	s_wait_dscnt 0x0
	v_cndmask_b32_e64 v7, v7, v36, s9
	s_delay_alu instid0(VALU_DEP_1) | instskip(NEXT) | instid1(VALU_DEP_1)
	v_cndmask_b32_e64 v7, v7, 0, s17
	v_add_nc_u32_e32 v8, v7, v8
	s_delay_alu instid0(VALU_DEP_1) | instskip(NEXT) | instid1(VALU_DEP_1)
	v_add_nc_u32_e32 v9, v8, v9
	v_add_nc_u32_e32 v10, v9, v10
	s_delay_alu instid0(VALU_DEP_1) | instskip(NEXT) | instid1(VALU_DEP_1)
	v_add_nc_u32_e32 v78, v10, v11
	;; [unrolled: 3-line block ×3, first 2 shown]
	v_add_nc_u32_e32 v81, v80, v6
	ds_store_b128 v116, v[7:10] offset:32
	ds_store_b128 v116, v[78:81] offset:48
	s_wait_loadcnt_dscnt 0x0
	s_barrier_signal -1
	s_barrier_wait -1
	global_inv scope:SCOPE_SE
	ds_load_b32 v4, v13 offset:32
	ds_load_b32 v5, v16 offset:32
	;; [unrolled: 1-line block ×8, first 2 shown]
	s_wait_dscnt 0x7
	v_add_nc_u32_e32 v85, v4, v12
	s_wait_dscnt 0x6
	v_add3_u32 v84, v15, v14, v5
	s_wait_dscnt 0x5
	v_add3_u32 v83, v18, v17, v6
	;; [unrolled: 2-line block ×7, first 2 shown]
                                        ; implicit-def: $vgpr35_vgpr36
                                        ; implicit-def: $vgpr14_vgpr15
                                        ; implicit-def: $vgpr10_vgpr11
                                        ; implicit-def: $vgpr6_vgpr7
                                        ; implicit-def: $vgpr30_vgpr31
                                        ; implicit-def: $vgpr26_vgpr27
                                        ; implicit-def: $vgpr22_vgpr23
                                        ; implicit-def: $vgpr18_vgpr19
	s_wait_alu 0xfffe
	s_cbranch_vccnz .LBB141_66
; %bb.90:                               ;   in Loop: Header=BB141_67 Depth=1
	v_lshlrev_b32_e32 v16, 3, v85
	v_lshlrev_b32_e32 v19, 3, v82
	;; [unrolled: 1-line block ×8, first 2 shown]
	s_wait_loadcnt 0x0
	s_barrier_signal -1
	s_barrier_wait -1
	global_inv scope:SCOPE_SE
	ds_store_b64 v16, v[39:40]
	ds_store_b64 v17, v[70:71]
	;; [unrolled: 1-line block ×8, first 2 shown]
	s_wait_loadcnt_dscnt 0x0
	s_barrier_signal -1
	s_barrier_wait -1
	global_inv scope:SCOPE_SE
	ds_load_2addr_b64 v[4:7], v75 offset1:32
	ds_load_2addr_b64 v[8:11], v75 offset0:64 offset1:96
	ds_load_2addr_b64 v[12:15], v75 offset0:128 offset1:160
	ds_load_2addr_b64 v[33:36], v75 offset0:192 offset1:224
	s_wait_loadcnt_dscnt 0x0
	s_barrier_signal -1
	s_barrier_wait -1
	global_inv scope:SCOPE_SE
	ds_store_b64 v16, v[61:62]
	ds_store_b64 v17, v[59:60]
	;; [unrolled: 1-line block ×8, first 2 shown]
	s_wait_loadcnt_dscnt 0x0
	s_barrier_signal -1
	s_barrier_wait -1
	global_inv scope:SCOPE_SE
	ds_load_2addr_b64 v[16:19], v75 offset1:32
	ds_load_2addr_b64 v[20:23], v75 offset0:64 offset1:96
	ds_load_2addr_b64 v[24:27], v75 offset0:128 offset1:160
	ds_load_2addr_b64 v[28:31], v75 offset0:192 offset1:224
	v_add_co_u32 v37, vcc_lo, v37, 8
	s_wait_alu 0xfffd
	v_add_co_ci_u32_e64 v38, null, 0, v38, vcc_lo
	s_add_co_i32 s24, s24, -8
	s_mov_b32 s21, 0
	s_wait_loadcnt_dscnt 0x0
	s_barrier_signal -1
	s_barrier_wait -1
	global_inv scope:SCOPE_SE
	s_branch .LBB141_66
.LBB141_91:
	v_lshlrev_b32_e32 v16, 3, v85
	v_lshlrev_b32_e32 v19, 3, v82
	;; [unrolled: 1-line block ×9, first 2 shown]
	s_wait_loadcnt 0x0
	s_barrier_signal -1
	s_barrier_wait -1
	global_inv scope:SCOPE_SE
	ds_store_b64 v16, v[39:40]
	ds_store_b64 v17, v[70:71]
	;; [unrolled: 1-line block ×8, first 2 shown]
	s_wait_loadcnt_dscnt 0x0
	s_barrier_signal -1
	s_barrier_wait -1
	global_inv scope:SCOPE_SE
	ds_load_b128 v[0:3], v24
	ds_load_b128 v[4:7], v24 offset:16
	ds_load_b128 v[8:11], v24 offset:32
	;; [unrolled: 1-line block ×3, first 2 shown]
	s_wait_loadcnt_dscnt 0x0
	s_barrier_signal -1
	s_barrier_wait -1
	global_inv scope:SCOPE_SE
	ds_store_b64 v16, v[61:62]
	ds_store_b64 v17, v[59:60]
	;; [unrolled: 1-line block ×8, first 2 shown]
	s_wait_loadcnt_dscnt 0x0
	s_barrier_signal -1
	s_barrier_wait -1
	global_inv scope:SCOPE_SE
	ds_load_b128 v[45:48], v24
	ds_load_b128 v[41:44], v24 offset:16
	ds_load_b128 v[37:40], v24 offset:32
	;; [unrolled: 1-line block ×3, first 2 shown]
	v_xor_b32_e32 v50, 0x7fffffff, v1
	v_xor_b32_e32 v49, -1, v0
	v_xor_b32_e32 v52, 0x7fffffff, v3
	v_xor_b32_e32 v51, -1, v2
	;; [unrolled: 2-line block ×8, first 2 shown]
.LBB141_92:
	s_wait_loadcnt_dscnt 0x0
	s_barrier_signal -1
	s_barrier_wait -1
	global_inv scope:SCOPE_SE
	ds_store_2addr_b64 v115, v[49:50], v[51:52] offset1:1
	ds_store_2addr_b64 v115, v[53:54], v[55:56] offset0:2 offset1:3
	ds_store_2addr_b64 v115, v[57:58], v[59:60] offset0:4 offset1:5
	;; [unrolled: 1-line block ×3, first 2 shown]
	s_wait_loadcnt_dscnt 0x0
	s_barrier_signal -1
	s_barrier_wait -1
	global_inv scope:SCOPE_SE
	ds_load_b64 v[14:15], v108 offset:2048
	ds_load_b64 v[12:13], v109 offset:4096
	;; [unrolled: 1-line block ×7, first 2 shown]
	v_mov_b32_e32 v73, 0
	s_delay_alu instid0(VALU_DEP_1) | instskip(NEXT) | instid1(VALU_DEP_1)
	v_lshlrev_b64_e32 v[2:3], 3, v[72:73]
	v_add_co_u32 v2, vcc_lo, s30, v2
	s_wait_alu 0xfffd
	s_delay_alu instid0(VALU_DEP_2)
	v_add_co_ci_u32_e64 v3, null, s31, v3, vcc_lo
	s_and_saveexec_b32 s8, s0
	s_cbranch_execnz .LBB141_111
; %bb.93:
	s_wait_alu 0xfffe
	s_or_b32 exec_lo, exec_lo, s8
	s_and_saveexec_b32 s8, s1
	s_cbranch_execnz .LBB141_112
.LBB141_94:
	s_wait_alu 0xfffe
	s_or_b32 exec_lo, exec_lo, s8
	s_and_saveexec_b32 s8, s2
	s_cbranch_execnz .LBB141_113
.LBB141_95:
	s_wait_alu 0xfffe
	s_or_b32 exec_lo, exec_lo, s8
	s_and_saveexec_b32 s8, s3
	s_cbranch_execnz .LBB141_114
.LBB141_96:
	s_wait_alu 0xfffe
	s_or_b32 exec_lo, exec_lo, s8
	s_and_saveexec_b32 s8, s4
	s_cbranch_execnz .LBB141_115
.LBB141_97:
	s_wait_alu 0xfffe
	s_or_b32 exec_lo, exec_lo, s8
	s_and_saveexec_b32 s8, s5
	s_cbranch_execnz .LBB141_116
.LBB141_98:
	s_wait_alu 0xfffe
	s_or_b32 exec_lo, exec_lo, s8
	s_and_saveexec_b32 s8, s6
	s_cbranch_execnz .LBB141_117
.LBB141_99:
	s_wait_alu 0xfffe
	s_or_b32 exec_lo, exec_lo, s8
	s_and_saveexec_b32 s8, s7
	s_cbranch_execz .LBB141_101
.LBB141_100:
	s_mul_i32 s10, s22, 0x700
	s_mov_b32 s11, 0
	s_wait_alu 0xfffe
	s_lshl_b64 s[10:11], s[10:11], 3
	s_wait_alu 0xfffe
	v_add_co_u32 v2, vcc_lo, v2, s10
	s_wait_alu 0xfffd
	v_add_co_ci_u32_e64 v3, null, s11, v3, vcc_lo
	s_wait_dscnt 0x0
	global_store_b64 v[2:3], v[0:1], off
.LBB141_101:
	s_wait_alu 0xfffe
	s_or_b32 exec_lo, exec_lo, s8
	s_wait_storecnt 0x0
	s_wait_loadcnt_dscnt 0x0
	s_barrier_signal -1
	s_barrier_wait -1
	global_inv scope:SCOPE_SE
	ds_store_2addr_b64 v115, v[45:46], v[47:48] offset1:1
	ds_store_2addr_b64 v115, v[41:42], v[43:44] offset0:2 offset1:3
	ds_store_2addr_b64 v115, v[37:38], v[39:40] offset0:4 offset1:5
	;; [unrolled: 1-line block ×3, first 2 shown]
	s_wait_loadcnt_dscnt 0x0
	s_barrier_signal -1
	s_barrier_wait -1
	global_inv scope:SCOPE_SE
	ds_load_b64 v[14:15], v108 offset:2048
	ds_load_b64 v[12:13], v109 offset:4096
	;; [unrolled: 1-line block ×7, first 2 shown]
	v_mov_b32_e32 v70, 0
	s_delay_alu instid0(VALU_DEP_1) | instskip(NEXT) | instid1(VALU_DEP_1)
	v_lshlrev_b64_e32 v[2:3], 3, v[69:70]
	v_add_co_u32 v2, vcc_lo, s34, v2
	s_wait_alu 0xfffd
	s_delay_alu instid0(VALU_DEP_2)
	v_add_co_ci_u32_e64 v3, null, s35, v3, vcc_lo
	s_and_saveexec_b32 s8, s0
	s_cbranch_execnz .LBB141_118
; %bb.102:
	s_wait_alu 0xfffe
	s_or_b32 exec_lo, exec_lo, s8
	s_and_saveexec_b32 s0, s1
	s_cbranch_execnz .LBB141_119
.LBB141_103:
	s_or_b32 exec_lo, exec_lo, s0
	s_and_saveexec_b32 s0, s2
	s_cbranch_execnz .LBB141_120
.LBB141_104:
	s_or_b32 exec_lo, exec_lo, s0
	s_and_saveexec_b32 s0, s3
	s_cbranch_execnz .LBB141_121
.LBB141_105:
	s_or_b32 exec_lo, exec_lo, s0
	s_and_saveexec_b32 s0, s4
	s_cbranch_execnz .LBB141_122
.LBB141_106:
	s_or_b32 exec_lo, exec_lo, s0
	s_and_saveexec_b32 s0, s5
	s_cbranch_execnz .LBB141_123
.LBB141_107:
	s_or_b32 exec_lo, exec_lo, s0
	s_and_saveexec_b32 s0, s6
	s_cbranch_execnz .LBB141_124
.LBB141_108:
	s_or_b32 exec_lo, exec_lo, s0
	s_and_saveexec_b32 s0, s7
	s_cbranch_execz .LBB141_110
.LBB141_109:
	s_mul_i32 s0, s28, 0x700
	s_mov_b32 s1, 0
	s_delay_alu instid0(SALU_CYCLE_1) | instskip(NEXT) | instid1(SALU_CYCLE_1)
	s_lshl_b64 s[0:1], s[0:1], 3
	v_add_co_u32 v2, vcc_lo, v2, s0
	s_wait_alu 0xfffd
	v_add_co_ci_u32_e64 v3, null, s1, v3, vcc_lo
	s_wait_dscnt 0x0
	global_store_b64 v[2:3], v[0:1], off
.LBB141_110:
	s_nop 0
	s_sendmsg sendmsg(MSG_DEALLOC_VGPRS)
	s_endpgm
.LBB141_111:
	ds_load_b64 v[16:17], v107
	s_wait_dscnt 0x0
	global_store_b64 v[2:3], v[16:17], off
	s_wait_alu 0xfffe
	s_or_b32 exec_lo, exec_lo, s8
	s_and_saveexec_b32 s8, s1
	s_cbranch_execz .LBB141_94
.LBB141_112:
	s_lshl_b32 s10, s22, 8
	s_mov_b32 s11, 0
	s_wait_alu 0xfffe
	s_lshl_b64 s[10:11], s[10:11], 3
	s_wait_alu 0xfffe
	v_add_co_u32 v16, vcc_lo, v2, s10
	s_wait_alu 0xfffd
	v_add_co_ci_u32_e64 v17, null, s11, v3, vcc_lo
	s_wait_dscnt 0x6
	global_store_b64 v[16:17], v[14:15], off
	s_or_b32 exec_lo, exec_lo, s8
	s_and_saveexec_b32 s8, s2
	s_cbranch_execz .LBB141_95
.LBB141_113:
	s_lshl_b32 s10, s22, 9
	s_mov_b32 s11, 0
	s_wait_alu 0xfffe
	s_lshl_b64 s[10:11], s[10:11], 3
	s_wait_dscnt 0x6
	s_wait_alu 0xfffe
	v_add_co_u32 v14, vcc_lo, v2, s10
	s_wait_alu 0xfffd
	v_add_co_ci_u32_e64 v15, null, s11, v3, vcc_lo
	s_wait_dscnt 0x5
	global_store_b64 v[14:15], v[12:13], off
	s_or_b32 exec_lo, exec_lo, s8
	s_and_saveexec_b32 s8, s3
	s_cbranch_execz .LBB141_96
.LBB141_114:
	s_mul_i32 s10, s22, 0x300
	s_mov_b32 s11, 0
	s_wait_alu 0xfffe
	s_lshl_b64 s[10:11], s[10:11], 3
	s_wait_dscnt 0x5
	s_wait_alu 0xfffe
	v_add_co_u32 v12, vcc_lo, v2, s10
	s_wait_alu 0xfffd
	v_add_co_ci_u32_e64 v13, null, s11, v3, vcc_lo
	s_wait_dscnt 0x4
	global_store_b64 v[12:13], v[10:11], off
	s_or_b32 exec_lo, exec_lo, s8
	s_and_saveexec_b32 s8, s4
	s_cbranch_execz .LBB141_97
.LBB141_115:
	s_lshl_b32 s10, s22, 10
	s_mov_b32 s11, 0
	s_wait_alu 0xfffe
	s_lshl_b64 s[10:11], s[10:11], 3
	s_wait_dscnt 0x4
	s_wait_alu 0xfffe
	v_add_co_u32 v10, vcc_lo, v2, s10
	s_wait_alu 0xfffd
	v_add_co_ci_u32_e64 v11, null, s11, v3, vcc_lo
	s_wait_dscnt 0x3
	global_store_b64 v[10:11], v[8:9], off
	s_or_b32 exec_lo, exec_lo, s8
	s_and_saveexec_b32 s8, s5
	s_cbranch_execz .LBB141_98
.LBB141_116:
	s_mul_i32 s10, s22, 0x500
	s_mov_b32 s11, 0
	s_wait_alu 0xfffe
	s_lshl_b64 s[10:11], s[10:11], 3
	s_wait_dscnt 0x3
	s_wait_alu 0xfffe
	v_add_co_u32 v8, vcc_lo, v2, s10
	s_wait_alu 0xfffd
	v_add_co_ci_u32_e64 v9, null, s11, v3, vcc_lo
	s_wait_dscnt 0x2
	global_store_b64 v[8:9], v[6:7], off
	s_or_b32 exec_lo, exec_lo, s8
	s_and_saveexec_b32 s8, s6
	s_cbranch_execz .LBB141_99
.LBB141_117:
	s_mul_i32 s10, s22, 0x600
	s_mov_b32 s11, 0
	s_wait_alu 0xfffe
	s_lshl_b64 s[10:11], s[10:11], 3
	s_wait_dscnt 0x2
	s_wait_alu 0xfffe
	v_add_co_u32 v6, vcc_lo, v2, s10
	s_wait_alu 0xfffd
	v_add_co_ci_u32_e64 v7, null, s11, v3, vcc_lo
	s_wait_dscnt 0x1
	global_store_b64 v[6:7], v[4:5], off
	s_or_b32 exec_lo, exec_lo, s8
	s_and_saveexec_b32 s8, s7
	s_cbranch_execnz .LBB141_100
	s_branch .LBB141_101
.LBB141_118:
	ds_load_b64 v[16:17], v107
	s_wait_dscnt 0x0
	global_store_b64 v[2:3], v[16:17], off
	s_wait_alu 0xfffe
	s_or_b32 exec_lo, exec_lo, s8
	s_and_saveexec_b32 s0, s1
	s_cbranch_execz .LBB141_103
.LBB141_119:
	s_lshl_b32 s8, s28, 8
	s_mov_b32 s9, 0
	s_wait_alu 0xfffe
	s_lshl_b64 s[8:9], s[8:9], 3
	s_wait_alu 0xfffe
	v_add_co_u32 v16, vcc_lo, v2, s8
	s_wait_alu 0xfffd
	v_add_co_ci_u32_e64 v17, null, s9, v3, vcc_lo
	s_wait_dscnt 0x6
	global_store_b64 v[16:17], v[14:15], off
	s_or_b32 exec_lo, exec_lo, s0
	s_and_saveexec_b32 s0, s2
	s_cbranch_execz .LBB141_104
.LBB141_120:
	s_lshl_b32 s8, s28, 9
	s_mov_b32 s9, 0
	s_wait_alu 0xfffe
	s_lshl_b64 s[8:9], s[8:9], 3
	s_wait_dscnt 0x6
	s_wait_alu 0xfffe
	v_add_co_u32 v14, vcc_lo, v2, s8
	s_wait_alu 0xfffd
	v_add_co_ci_u32_e64 v15, null, s9, v3, vcc_lo
	s_wait_dscnt 0x5
	global_store_b64 v[14:15], v[12:13], off
	s_or_b32 exec_lo, exec_lo, s0
	s_and_saveexec_b32 s0, s3
	s_cbranch_execz .LBB141_105
.LBB141_121:
	s_mul_i32 s2, s28, 0x300
	s_mov_b32 s3, 0
	s_delay_alu instid0(SALU_CYCLE_1)
	s_lshl_b64 s[2:3], s[2:3], 3
	s_wait_dscnt 0x5
	v_add_co_u32 v12, vcc_lo, v2, s2
	s_wait_alu 0xfffd
	v_add_co_ci_u32_e64 v13, null, s3, v3, vcc_lo
	s_wait_dscnt 0x4
	global_store_b64 v[12:13], v[10:11], off
	s_or_b32 exec_lo, exec_lo, s0
	s_and_saveexec_b32 s0, s4
	s_cbranch_execz .LBB141_106
.LBB141_122:
	s_lshl_b32 s2, s28, 10
	s_mov_b32 s3, 0
	s_wait_alu 0xfffe
	s_lshl_b64 s[2:3], s[2:3], 3
	s_wait_dscnt 0x4
	s_wait_alu 0xfffe
	v_add_co_u32 v10, vcc_lo, v2, s2
	s_wait_alu 0xfffd
	v_add_co_ci_u32_e64 v11, null, s3, v3, vcc_lo
	s_wait_dscnt 0x3
	global_store_b64 v[10:11], v[8:9], off
	s_or_b32 exec_lo, exec_lo, s0
	s_and_saveexec_b32 s0, s5
	s_cbranch_execz .LBB141_107
.LBB141_123:
	s_mul_i32 s2, s28, 0x500
	s_mov_b32 s3, 0
	s_wait_alu 0xfffe
	s_lshl_b64 s[2:3], s[2:3], 3
	s_wait_dscnt 0x3
	s_wait_alu 0xfffe
	v_add_co_u32 v8, vcc_lo, v2, s2
	s_wait_alu 0xfffd
	v_add_co_ci_u32_e64 v9, null, s3, v3, vcc_lo
	s_wait_dscnt 0x2
	global_store_b64 v[8:9], v[6:7], off
	s_or_b32 exec_lo, exec_lo, s0
	s_and_saveexec_b32 s0, s6
	s_cbranch_execz .LBB141_108
.LBB141_124:
	s_mul_i32 s2, s28, 0x600
	s_mov_b32 s3, 0
	s_wait_alu 0xfffe
	s_lshl_b64 s[2:3], s[2:3], 3
	s_wait_dscnt 0x2
	s_wait_alu 0xfffe
	v_add_co_u32 v6, vcc_lo, v2, s2
	s_wait_alu 0xfffd
	v_add_co_ci_u32_e64 v7, null, s3, v3, vcc_lo
	s_wait_dscnt 0x1
	global_store_b64 v[6:7], v[4:5], off
	s_or_b32 exec_lo, exec_lo, s0
	s_and_saveexec_b32 s0, s7
	s_cbranch_execnz .LBB141_109
	s_branch .LBB141_110
	.section	.rodata,"a",@progbits
	.p2align	6, 0x0
	.amdhsa_kernel _ZN2at6native18radixSortKVInPlaceILin2ELin1ELi256ELi8ElljEEvNS_4cuda6detail10TensorInfoIT3_T5_EES6_S6_S6_NS4_IT4_S6_EES6_b
		.amdhsa_group_segment_fixed_size 16896
		.amdhsa_private_segment_fixed_size 0
		.amdhsa_kernarg_size 712
		.amdhsa_user_sgpr_count 2
		.amdhsa_user_sgpr_dispatch_ptr 0
		.amdhsa_user_sgpr_queue_ptr 0
		.amdhsa_user_sgpr_kernarg_segment_ptr 1
		.amdhsa_user_sgpr_dispatch_id 0
		.amdhsa_user_sgpr_private_segment_size 0
		.amdhsa_wavefront_size32 1
		.amdhsa_uses_dynamic_stack 0
		.amdhsa_enable_private_segment 0
		.amdhsa_system_sgpr_workgroup_id_x 1
		.amdhsa_system_sgpr_workgroup_id_y 1
		.amdhsa_system_sgpr_workgroup_id_z 1
		.amdhsa_system_sgpr_workgroup_info 0
		.amdhsa_system_vgpr_workitem_id 2
		.amdhsa_next_free_vgpr 141
		.amdhsa_next_free_sgpr 38
		.amdhsa_reserve_vcc 1
		.amdhsa_float_round_mode_32 0
		.amdhsa_float_round_mode_16_64 0
		.amdhsa_float_denorm_mode_32 3
		.amdhsa_float_denorm_mode_16_64 3
		.amdhsa_fp16_overflow 0
		.amdhsa_workgroup_processor_mode 1
		.amdhsa_memory_ordered 1
		.amdhsa_forward_progress 1
		.amdhsa_inst_pref_size 115
		.amdhsa_round_robin_scheduling 0
		.amdhsa_exception_fp_ieee_invalid_op 0
		.amdhsa_exception_fp_denorm_src 0
		.amdhsa_exception_fp_ieee_div_zero 0
		.amdhsa_exception_fp_ieee_overflow 0
		.amdhsa_exception_fp_ieee_underflow 0
		.amdhsa_exception_fp_ieee_inexact 0
		.amdhsa_exception_int_div_zero 0
	.end_amdhsa_kernel
	.section	.text._ZN2at6native18radixSortKVInPlaceILin2ELin1ELi256ELi8ElljEEvNS_4cuda6detail10TensorInfoIT3_T5_EES6_S6_S6_NS4_IT4_S6_EES6_b,"axG",@progbits,_ZN2at6native18radixSortKVInPlaceILin2ELin1ELi256ELi8ElljEEvNS_4cuda6detail10TensorInfoIT3_T5_EES6_S6_S6_NS4_IT4_S6_EES6_b,comdat
.Lfunc_end141:
	.size	_ZN2at6native18radixSortKVInPlaceILin2ELin1ELi256ELi8ElljEEvNS_4cuda6detail10TensorInfoIT3_T5_EES6_S6_S6_NS4_IT4_S6_EES6_b, .Lfunc_end141-_ZN2at6native18radixSortKVInPlaceILin2ELin1ELi256ELi8ElljEEvNS_4cuda6detail10TensorInfoIT3_T5_EES6_S6_S6_NS4_IT4_S6_EES6_b
                                        ; -- End function
	.set _ZN2at6native18radixSortKVInPlaceILin2ELin1ELi256ELi8ElljEEvNS_4cuda6detail10TensorInfoIT3_T5_EES6_S6_S6_NS4_IT4_S6_EES6_b.num_vgpr, 141
	.set _ZN2at6native18radixSortKVInPlaceILin2ELin1ELi256ELi8ElljEEvNS_4cuda6detail10TensorInfoIT3_T5_EES6_S6_S6_NS4_IT4_S6_EES6_b.num_agpr, 0
	.set _ZN2at6native18radixSortKVInPlaceILin2ELin1ELi256ELi8ElljEEvNS_4cuda6detail10TensorInfoIT3_T5_EES6_S6_S6_NS4_IT4_S6_EES6_b.numbered_sgpr, 38
	.set _ZN2at6native18radixSortKVInPlaceILin2ELin1ELi256ELi8ElljEEvNS_4cuda6detail10TensorInfoIT3_T5_EES6_S6_S6_NS4_IT4_S6_EES6_b.num_named_barrier, 0
	.set _ZN2at6native18radixSortKVInPlaceILin2ELin1ELi256ELi8ElljEEvNS_4cuda6detail10TensorInfoIT3_T5_EES6_S6_S6_NS4_IT4_S6_EES6_b.private_seg_size, 0
	.set _ZN2at6native18radixSortKVInPlaceILin2ELin1ELi256ELi8ElljEEvNS_4cuda6detail10TensorInfoIT3_T5_EES6_S6_S6_NS4_IT4_S6_EES6_b.uses_vcc, 1
	.set _ZN2at6native18radixSortKVInPlaceILin2ELin1ELi256ELi8ElljEEvNS_4cuda6detail10TensorInfoIT3_T5_EES6_S6_S6_NS4_IT4_S6_EES6_b.uses_flat_scratch, 0
	.set _ZN2at6native18radixSortKVInPlaceILin2ELin1ELi256ELi8ElljEEvNS_4cuda6detail10TensorInfoIT3_T5_EES6_S6_S6_NS4_IT4_S6_EES6_b.has_dyn_sized_stack, 0
	.set _ZN2at6native18radixSortKVInPlaceILin2ELin1ELi256ELi8ElljEEvNS_4cuda6detail10TensorInfoIT3_T5_EES6_S6_S6_NS4_IT4_S6_EES6_b.has_recursion, 0
	.set _ZN2at6native18radixSortKVInPlaceILin2ELin1ELi256ELi8ElljEEvNS_4cuda6detail10TensorInfoIT3_T5_EES6_S6_S6_NS4_IT4_S6_EES6_b.has_indirect_call, 0
	.section	.AMDGPU.csdata,"",@progbits
; Kernel info:
; codeLenInByte = 14616
; TotalNumSgprs: 40
; NumVgprs: 141
; ScratchSize: 0
; MemoryBound: 0
; FloatMode: 240
; IeeeMode: 1
; LDSByteSize: 16896 bytes/workgroup (compile time only)
; SGPRBlocks: 0
; VGPRBlocks: 17
; NumSGPRsForWavesPerEU: 40
; NumVGPRsForWavesPerEU: 141
; Occupancy: 10
; WaveLimiterHint : 1
; COMPUTE_PGM_RSRC2:SCRATCH_EN: 0
; COMPUTE_PGM_RSRC2:USER_SGPR: 2
; COMPUTE_PGM_RSRC2:TRAP_HANDLER: 0
; COMPUTE_PGM_RSRC2:TGID_X_EN: 1
; COMPUTE_PGM_RSRC2:TGID_Y_EN: 1
; COMPUTE_PGM_RSRC2:TGID_Z_EN: 1
; COMPUTE_PGM_RSRC2:TIDIG_COMP_CNT: 2
	.section	.text._ZN2at6native18radixSortKVInPlaceILin2ELin1ELi128ELi8ElljEEvNS_4cuda6detail10TensorInfoIT3_T5_EES6_S6_S6_NS4_IT4_S6_EES6_b,"axG",@progbits,_ZN2at6native18radixSortKVInPlaceILin2ELin1ELi128ELi8ElljEEvNS_4cuda6detail10TensorInfoIT3_T5_EES6_S6_S6_NS4_IT4_S6_EES6_b,comdat
	.protected	_ZN2at6native18radixSortKVInPlaceILin2ELin1ELi128ELi8ElljEEvNS_4cuda6detail10TensorInfoIT3_T5_EES6_S6_S6_NS4_IT4_S6_EES6_b ; -- Begin function _ZN2at6native18radixSortKVInPlaceILin2ELin1ELi128ELi8ElljEEvNS_4cuda6detail10TensorInfoIT3_T5_EES6_S6_S6_NS4_IT4_S6_EES6_b
	.globl	_ZN2at6native18radixSortKVInPlaceILin2ELin1ELi128ELi8ElljEEvNS_4cuda6detail10TensorInfoIT3_T5_EES6_S6_S6_NS4_IT4_S6_EES6_b
	.p2align	8
	.type	_ZN2at6native18radixSortKVInPlaceILin2ELin1ELi128ELi8ElljEEvNS_4cuda6detail10TensorInfoIT3_T5_EES6_S6_S6_NS4_IT4_S6_EES6_b,@function
_ZN2at6native18radixSortKVInPlaceILin2ELin1ELi128ELi8ElljEEvNS_4cuda6detail10TensorInfoIT3_T5_EES6_S6_S6_NS4_IT4_S6_EES6_b: ; @_ZN2at6native18radixSortKVInPlaceILin2ELin1ELi128ELi8ElljEEvNS_4cuda6detail10TensorInfoIT3_T5_EES6_S6_S6_NS4_IT4_S6_EES6_b
; %bb.0:
	s_clause 0x1
	s_load_b64 s[2:3], s[0:1], 0x1c8
	s_load_b96 s[24:26], s[0:1], 0xd8
	s_lshr_b32 s4, ttmp7, 16
	s_wait_kmcnt 0x0
	s_mul_i32 s3, s3, s4
	s_and_b32 s4, ttmp7, 0xffff
	s_delay_alu instid0(SALU_CYCLE_1) | instskip(NEXT) | instid1(SALU_CYCLE_1)
	s_add_co_i32 s3, s3, s4
	s_mul_i32 s4, s3, s2
	s_delay_alu instid0(SALU_CYCLE_1) | instskip(NEXT) | instid1(SALU_CYCLE_1)
	s_add_co_i32 s4, s4, ttmp9
	s_cmp_ge_u32 s4, s24
	s_cbranch_scc1 .LBB142_110
; %bb.1:
	s_load_b32 s2, s[0:1], 0x1b8
	s_add_nc_u64 s[22:23], s[0:1], 0xe8
	s_mov_b32 s21, 0
	s_mov_b32 s24, s4
	s_wait_kmcnt 0x0
	s_cmp_lt_i32 s2, 2
	s_cbranch_scc1 .LBB142_4
; %bb.2:
	s_add_co_i32 s20, s2, -1
	s_add_co_i32 s5, s2, 1
	s_lshl_b64 s[6:7], s[20:21], 2
	s_mov_b32 s24, s4
	s_add_nc_u64 s[6:7], s[22:23], s[6:7]
	s_delay_alu instid0(SALU_CYCLE_1)
	s_add_nc_u64 s[2:3], s[6:7], 8
.LBB142_3:                              ; =>This Inner Loop Header: Depth=1
	s_clause 0x1
	s_load_b32 s6, s[2:3], 0x0
	s_load_b32 s7, s[2:3], 0x64
	s_mov_b32 s10, s24
	s_add_nc_u64 s[2:3], s[2:3], -4
	s_wait_kmcnt 0x0
	s_cvt_f32_u32 s8, s6
	s_sub_co_i32 s9, 0, s6
	s_wait_alu 0xfffe
	s_delay_alu instid0(SALU_CYCLE_1) | instskip(NEXT) | instid1(TRANS32_DEP_1)
	v_rcp_iflag_f32_e32 v1, s8
	v_readfirstlane_b32 s8, v1
	s_mul_f32 s8, s8, 0x4f7ffffe
	s_wait_alu 0xfffe
	s_delay_alu instid0(SALU_CYCLE_2) | instskip(SKIP_1) | instid1(SALU_CYCLE_2)
	s_cvt_u32_f32 s8, s8
	s_wait_alu 0xfffe
	s_mul_i32 s9, s9, s8
	s_wait_alu 0xfffe
	s_mul_hi_u32 s9, s8, s9
	s_wait_alu 0xfffe
	s_add_co_i32 s8, s8, s9
	s_wait_alu 0xfffe
	s_mul_hi_u32 s8, s24, s8
	s_wait_alu 0xfffe
	s_mul_i32 s9, s8, s6
	s_add_co_i32 s11, s8, 1
	s_wait_alu 0xfffe
	s_sub_co_i32 s9, s24, s9
	s_wait_alu 0xfffe
	s_sub_co_i32 s12, s9, s6
	s_cmp_ge_u32 s9, s6
	s_cselect_b32 s8, s11, s8
	s_cselect_b32 s9, s12, s9
	s_wait_alu 0xfffe
	s_add_co_i32 s11, s8, 1
	s_cmp_ge_u32 s9, s6
	s_cselect_b32 s24, s11, s8
	s_add_co_i32 s5, s5, -1
	s_mul_i32 s6, s24, s6
	s_delay_alu instid0(SALU_CYCLE_1) | instskip(NEXT) | instid1(SALU_CYCLE_1)
	s_sub_co_i32 s6, s10, s6
	s_mul_i32 s6, s7, s6
	s_delay_alu instid0(SALU_CYCLE_1)
	s_add_co_i32 s21, s6, s21
	s_cmp_gt_u32 s5, 2
	s_cbranch_scc1 .LBB142_3
.LBB142_4:
	s_clause 0x2
	s_load_b64 s[28:29], s[0:1], 0x1c0
	s_load_b64 s[2:3], s[0:1], 0x0
	s_load_b32 s5, s[0:1], 0x6c
	s_add_nc_u64 s[34:35], s[0:1], 0x1c8
	s_mov_b32 s1, 0
	s_wait_kmcnt 0x0
	s_bitcmp1_b32 s29, 0
	s_mul_i32 s0, s5, s4
	s_cselect_b32 s20, -1, 0
	s_brev_b32 s5, 1
	s_lshl_b64 s[30:31], s[0:1], 3
	s_and_b32 s0, s20, exec_lo
	s_cselect_b32 s4, 0, -1
	s_cselect_b32 s5, s5, 0x7fffffff
	s_mov_b32 s6, s4
	s_mov_b32 s7, s5
	s_mov_b32 s8, s4
	s_mov_b32 s9, s5
	s_mov_b32 s10, s4
	s_mov_b32 s11, s5
	s_mov_b32 s12, s4
	s_mov_b32 s13, s5
	s_mov_b32 s14, s4
	s_mov_b32 s15, s5
	s_mov_b32 s16, s4
	s_mov_b32 s17, s5
	s_mov_b32 s18, s4
	s_mov_b32 s19, s5
	v_dual_mov_b32 v1, s4 :: v_dual_and_b32 v74, 0x3ff, v0
	v_mov_b32_e32 v18, s5
	v_dual_mov_b32 v2, s5 :: v_dual_mov_b32 v3, s6
	s_delay_alu instid0(VALU_DEP_3)
	v_mul_lo_u32 v72, s26, v74
	v_cmp_gt_u32_e64 s0, s25, v74
	s_wait_alu 0xfffe
	v_dual_mov_b32 v4, s7 :: v_dual_mov_b32 v5, s8
	v_dual_mov_b32 v6, s9 :: v_dual_mov_b32 v7, s10
	v_dual_mov_b32 v8, s11 :: v_dual_mov_b32 v9, s12
	v_dual_mov_b32 v10, s13 :: v_dual_mov_b32 v11, s14
	v_dual_mov_b32 v12, s15 :: v_dual_mov_b32 v13, s16
	v_dual_mov_b32 v14, s17 :: v_dual_mov_b32 v15, s18
	v_dual_mov_b32 v16, s19 :: v_dual_mov_b32 v17, s4
	s_add_nc_u64 s[30:31], s[2:3], s[30:31]
	s_and_saveexec_b32 s1, s0
	s_cbranch_execz .LBB142_6
; %bb.5:
	v_mov_b32_e32 v73, 0
	s_delay_alu instid0(VALU_DEP_1) | instskip(NEXT) | instid1(VALU_DEP_1)
	v_lshlrev_b64_e32 v[1:2], 3, v[72:73]
	v_add_co_u32 v1, vcc_lo, s30, v1
	s_delay_alu instid0(VALU_DEP_1)
	v_add_co_ci_u32_e64 v2, null, s31, v2, vcc_lo
	global_load_b64 v[17:18], v[1:2], off
	v_dual_mov_b32 v1, s4 :: v_dual_mov_b32 v4, s7
	v_dual_mov_b32 v3, s6 :: v_dual_mov_b32 v6, s9
	;; [unrolled: 1-line block ×8, first 2 shown]
.LBB142_6:
	s_or_b32 exec_lo, exec_lo, s1
	v_add_nc_u32_e32 v31, 0x80, v74
	s_delay_alu instid0(VALU_DEP_1)
	v_cmp_gt_u32_e64 s1, s25, v31
	s_and_saveexec_b32 s2, s1
	s_cbranch_execz .LBB142_8
; %bb.7:
	v_mul_lo_u32 v1, s26, v31
	v_mov_b32_e32 v2, 0
	s_delay_alu instid0(VALU_DEP_1) | instskip(NEXT) | instid1(VALU_DEP_1)
	v_lshlrev_b64_e32 v[1:2], 3, v[1:2]
	v_add_co_u32 v1, vcc_lo, s30, v1
	s_wait_alu 0xfffd
	s_delay_alu instid0(VALU_DEP_2)
	v_add_co_ci_u32_e64 v2, null, s31, v2, vcc_lo
	global_load_b64 v[3:4], v[1:2], off
.LBB142_8:
	s_or_b32 exec_lo, exec_lo, s2
	v_add_nc_u32_e32 v32, 0x100, v74
	s_delay_alu instid0(VALU_DEP_1)
	v_cmp_gt_u32_e64 s2, s25, v32
	s_and_saveexec_b32 s3, s2
	s_cbranch_execz .LBB142_10
; %bb.9:
	v_mul_lo_u32 v1, s26, v32
	v_mov_b32_e32 v2, 0
	s_delay_alu instid0(VALU_DEP_1) | instskip(NEXT) | instid1(VALU_DEP_1)
	v_lshlrev_b64_e32 v[1:2], 3, v[1:2]
	v_add_co_u32 v1, vcc_lo, s30, v1
	s_wait_alu 0xfffd
	s_delay_alu instid0(VALU_DEP_2)
	v_add_co_ci_u32_e64 v2, null, s31, v2, vcc_lo
	global_load_b64 v[5:6], v[1:2], off
.LBB142_10:
	;; [unrolled: 17-line block ×3, first 2 shown]
	s_wait_alu 0xfffe
	s_or_b32 exec_lo, exec_lo, s4
	v_add_nc_u32_e32 v35, 0x200, v74
	s_delay_alu instid0(VALU_DEP_1)
	v_cmp_gt_u32_e64 s4, s25, v35
	s_and_saveexec_b32 s5, s4
	s_cbranch_execz .LBB142_14
; %bb.13:
	v_mul_lo_u32 v1, s26, v35
	v_mov_b32_e32 v2, 0
	s_delay_alu instid0(VALU_DEP_1) | instskip(NEXT) | instid1(VALU_DEP_1)
	v_lshlrev_b64_e32 v[1:2], 3, v[1:2]
	v_add_co_u32 v1, vcc_lo, s30, v1
	s_wait_alu 0xfffd
	s_delay_alu instid0(VALU_DEP_2)
	v_add_co_ci_u32_e64 v2, null, s31, v2, vcc_lo
	global_load_b64 v[9:10], v[1:2], off
.LBB142_14:
	s_wait_alu 0xfffe
	s_or_b32 exec_lo, exec_lo, s5
	v_add_nc_u32_e32 v36, 0x280, v74
	s_delay_alu instid0(VALU_DEP_1)
	v_cmp_gt_u32_e64 s5, s25, v36
	s_and_saveexec_b32 s6, s5
	s_cbranch_execz .LBB142_16
; %bb.15:
	v_mul_lo_u32 v1, s26, v36
	v_mov_b32_e32 v2, 0
	s_delay_alu instid0(VALU_DEP_1) | instskip(NEXT) | instid1(VALU_DEP_1)
	v_lshlrev_b64_e32 v[1:2], 3, v[1:2]
	v_add_co_u32 v1, vcc_lo, s30, v1
	s_wait_alu 0xfffd
	s_delay_alu instid0(VALU_DEP_2)
	v_add_co_ci_u32_e64 v2, null, s31, v2, vcc_lo
	global_load_b64 v[11:12], v[1:2], off
.LBB142_16:
	;; [unrolled: 18-line block ×3, first 2 shown]
	s_wait_alu 0xfffe
	s_or_b32 exec_lo, exec_lo, s7
	s_clause 0x1
	s_load_b32 s10, s[22:23], 0x6c
	s_load_b64 s[8:9], s[22:23], 0x0
	v_add_nc_u32_e32 v38, 0x380, v74
	s_delay_alu instid0(VALU_DEP_1)
	v_cmp_gt_u32_e64 s7, s25, v38
	s_and_saveexec_b32 s11, s7
	s_cbranch_execz .LBB142_20
; %bb.19:
	v_mul_lo_u32 v1, s26, v38
	v_mov_b32_e32 v2, 0
	s_delay_alu instid0(VALU_DEP_1) | instskip(NEXT) | instid1(VALU_DEP_1)
	v_lshlrev_b64_e32 v[1:2], 3, v[1:2]
	v_add_co_u32 v1, vcc_lo, s30, v1
	s_wait_alu 0xfffd
	s_delay_alu instid0(VALU_DEP_2)
	v_add_co_ci_u32_e64 v2, null, s31, v2, vcc_lo
	global_load_b64 v[15:16], v[1:2], off
.LBB142_20:
	s_wait_alu 0xfffe
	s_or_b32 exec_lo, exec_lo, s11
	v_lshrrev_b32_e32 v2, 2, v32
	v_dual_mov_b32 v70, 0 :: v_dual_lshlrev_b32 v73, 3, v74
	v_lshrrev_b32_e32 v1, 2, v31
	v_lshrrev_b32_e32 v19, 2, v34
	s_delay_alu instid0(VALU_DEP_4)
	v_and_b32_e32 v2, 0x1f8, v2
	v_lshrrev_b32_e32 v33, 5, v74
	v_mov_b32_e32 v71, v70
	v_and_b32_e32 v1, 0x1f8, v1
	v_and_b32_e32 v19, 0x1f8, v19
	v_add_nc_u32_e32 v109, v2, v73
	v_lshrrev_b32_e32 v2, 2, v36
	v_lshl_add_u32 v107, v33, 3, v73
	v_add_nc_u32_e32 v108, v1, v73
	v_lshrrev_b32_e32 v1, 2, v35
	v_add_nc_u32_e32 v110, v19, v73
	v_dual_mov_b32 v21, v70 :: v_dual_and_b32 v2, 0x1f8, v2
	v_lshrrev_b32_e32 v19, 2, v37
	s_delay_alu instid0(VALU_DEP_4) | instskip(NEXT) | instid1(VALU_DEP_3)
	v_dual_mov_b32 v22, v70 :: v_dual_and_b32 v1, 0x1f8, v1
	v_dual_mov_b32 v27, 0 :: v_dual_add_nc_u32 v112, v2, v73
	v_mov_b32_e32 v28, 0
	s_wait_loadcnt 0x0
	ds_store_b64 v107, v[17:18]
	ds_store_b64 v108, v[3:4] offset:1024
	ds_store_b64 v109, v[5:6] offset:2048
	ds_store_b64 v110, v[7:8] offset:3072
	v_dual_mov_b32 v26, v70 :: v_dual_lshlrev_b32 v5, 1, v74
	v_lshrrev_b32_e32 v20, 2, v38
	v_dual_mov_b32 v30, v70 :: v_dual_add_nc_u32 v111, v1, v73
	s_delay_alu instid0(VALU_DEP_3) | instskip(SKIP_1) | instid1(VALU_DEP_4)
	v_and_b32_e32 v1, 0x7f8, v5
	v_dual_mov_b32 v24, v70 :: v_dual_and_b32 v3, 0x1f8, v19
	v_dual_mov_b32 v23, v70 :: v_dual_and_b32 v4, 0x1f8, v20
	s_delay_alu instid0(VALU_DEP_3) | instskip(NEXT) | instid1(VALU_DEP_3)
	v_lshl_add_u32 v115, v74, 6, v1
	v_add_nc_u32_e32 v113, v3, v73
	s_delay_alu instid0(VALU_DEP_3)
	v_dual_mov_b32 v25, v70 :: v_dual_add_nc_u32 v114, v4, v73
	ds_store_b64 v111, v[9:10] offset:4096
	ds_store_b64 v112, v[11:12] offset:5120
	ds_store_b64 v113, v[13:14] offset:6144
	ds_store_b64 v114, v[15:16] offset:7168
	s_wait_dscnt 0x0
	s_barrier_signal -1
	s_barrier_wait -1
	global_inv scope:SCOPE_SE
	ds_load_2addr_b64 v[13:16], v115 offset1:1
	ds_load_2addr_b64 v[9:12], v115 offset0:2 offset1:3
	ds_load_2addr_b64 v[5:8], v115 offset0:4 offset1:5
	;; [unrolled: 1-line block ×3, first 2 shown]
	s_wait_kmcnt 0x0
	s_mul_i32 s10, s10, s24
	v_mul_lo_u32 v69, s28, v74
	s_mov_b32 s11, 0
	s_wait_alu 0xfffe
	s_add_co_i32 s10, s10, s21
	v_dual_mov_b32 v17, v70 :: v_dual_mov_b32 v18, v70
	v_dual_mov_b32 v19, v70 :: v_dual_mov_b32 v20, v70
	v_mov_b32_e32 v29, v70
	s_wait_alu 0xfffe
	s_lshl_b64 s[10:11], s[10:11], 3
	s_wait_loadcnt_dscnt 0x0
	s_wait_alu 0xfffe
	s_add_nc_u64 s[24:25], s[8:9], s[10:11]
	s_barrier_signal -1
	s_barrier_wait -1
	global_inv scope:SCOPE_SE
	s_and_saveexec_b32 s8, s0
	s_cbranch_execnz .LBB142_56
; %bb.21:
	s_wait_alu 0xfffe
	s_or_b32 exec_lo, exec_lo, s8
	s_and_saveexec_b32 s8, s1
	s_cbranch_execnz .LBB142_57
.LBB142_22:
	s_wait_alu 0xfffe
	s_or_b32 exec_lo, exec_lo, s8
	s_and_saveexec_b32 s8, s2
	s_cbranch_execnz .LBB142_58
.LBB142_23:
	s_wait_alu 0xfffe
	s_or_b32 exec_lo, exec_lo, s8
	s_and_saveexec_b32 s8, s3
	s_cbranch_execnz .LBB142_59
.LBB142_24:
	s_wait_alu 0xfffe
	s_or_b32 exec_lo, exec_lo, s8
	s_and_saveexec_b32 s8, s4
	s_cbranch_execnz .LBB142_60
.LBB142_25:
	s_wait_alu 0xfffe
	s_or_b32 exec_lo, exec_lo, s8
	s_and_saveexec_b32 s8, s5
	s_cbranch_execnz .LBB142_61
.LBB142_26:
	s_wait_alu 0xfffe
	s_or_b32 exec_lo, exec_lo, s8
	s_and_saveexec_b32 s8, s6
	s_cbranch_execnz .LBB142_62
.LBB142_27:
	s_wait_alu 0xfffe
	s_or_b32 exec_lo, exec_lo, s8
	s_xor_b32 s8, s20, -1
	s_and_saveexec_b32 s9, s7
	s_cbranch_execz .LBB142_29
.LBB142_28:
	v_mul_lo_u32 v29, s28, v38
	v_mov_b32_e32 v30, 0
	s_delay_alu instid0(VALU_DEP_1) | instskip(NEXT) | instid1(VALU_DEP_1)
	v_lshlrev_b64_e32 v[29:30], 3, v[29:30]
	v_add_co_u32 v29, vcc_lo, s24, v29
	s_wait_alu 0xfffd
	s_delay_alu instid0(VALU_DEP_2)
	v_add_co_ci_u32_e64 v30, null, s25, v30, vcc_lo
	global_load_b64 v[29:30], v[29:30], off
.LBB142_29:
	s_wait_alu 0xfffe
	s_or_b32 exec_lo, exec_lo, s9
	s_wait_loadcnt 0x0
	ds_store_b64 v107, v[27:28]
	ds_store_b64 v108, v[70:71] offset:1024
	ds_store_b64 v109, v[17:18] offset:2048
	;; [unrolled: 1-line block ×7, first 2 shown]
	s_wait_dscnt 0x0
	s_barrier_signal -1
	s_barrier_wait -1
	global_inv scope:SCOPE_SE
	ds_load_2addr_b64 v[21:24], v115 offset1:1
	ds_load_2addr_b64 v[17:20], v115 offset0:2 offset1:3
	ds_load_2addr_b64 v[29:32], v115 offset0:4 offset1:5
	;; [unrolled: 1-line block ×3, first 2 shown]
	v_mbcnt_lo_u32_b32 v118, -1, 0
	v_and_b32_e32 v34, 0x3e0, v74
	v_and_b32_e32 v35, 0x1f00, v73
	s_and_b32 vcc_lo, exec_lo, s8
	v_bfe_u32 v124, v0, 10, 10
	v_bfe_u32 v125, v0, 20, 10
	v_or_b32_e32 v36, v118, v34
	v_or_b32_e32 v37, v118, v35
	v_lshlrev_b32_e32 v116, 2, v73
	v_and_b32_e32 v122, 15, v118
	v_and_b32_e32 v121, 16, v118
	v_lshlrev_b32_e32 v127, 6, v36
	v_lshlrev_b32_e32 v126, 3, v37
	v_min_u32_e32 v123, 0x60, v34
	v_cmp_gt_u32_e64 s8, 4, v74
	v_cmp_lt_u32_e64 s9, 31, v74
	v_cmp_eq_u32_e64 s10, 0, v74
	v_lshlrev_b32_e32 v117, 2, v33
	v_mul_i32_i24_e32 v119, 0xffffffe4, v74
	v_and_b32_e32 v120, 3, v118
	v_lshlrev_b32_e32 v0, 3, v35
	s_mov_b32 s20, 0
	s_mov_b32 s11, -1
	s_wait_loadcnt_dscnt 0x0
	s_barrier_signal -1
	s_barrier_wait -1
	global_inv scope:SCOPE_SE
                                        ; implicit-def: $vgpr63_vgpr64
                                        ; implicit-def: $vgpr59_vgpr60
                                        ; implicit-def: $vgpr55_vgpr56
                                        ; implicit-def: $vgpr51_vgpr52
                                        ; implicit-def: $vgpr35_vgpr36
                                        ; implicit-def: $vgpr39_vgpr40
                                        ; implicit-def: $vgpr43_vgpr44
                                        ; implicit-def: $vgpr47_vgpr48
	s_wait_alu 0xfffe
	s_cbranch_vccz .LBB142_64
; %bb.30:
	v_xor_b32_e32 v34, 0x80000000, v14
	v_xor_b32_e32 v36, 0x80000000, v16
	v_mov_b32_e32 v33, v13
	v_dual_mov_b32 v35, v15 :: v_dual_mov_b32 v70, 0
	v_xor_b32_e32 v38, 0x80000000, v10
	v_xor_b32_e32 v40, 0x80000000, v12
	s_mov_b32 s21, s20
	s_mov_b32 s22, s20
	;; [unrolled: 1-line block ×3, first 2 shown]
	v_mov_b32_e32 v37, v9
	v_mov_b32_e32 v39, v11
	v_xor_b32_e32 v42, 0x80000000, v6
	v_xor_b32_e32 v44, 0x80000000, v8
	v_dual_mov_b32 v41, v5 :: v_dual_add_nc_u32 v132, v116, v119
	v_mov_b32_e32 v43, v7
	v_xor_b32_e32 v46, 0x80000000, v2
	v_xor_b32_e32 v48, 0x80000000, v4
	v_mov_b32_e32 v45, v1
	v_mov_b32_e32 v47, v3
	ds_store_b128 v127, v[33:36]
	ds_store_b128 v127, v[37:40] offset:16
	ds_store_b128 v127, v[41:44] offset:32
	;; [unrolled: 1-line block ×3, first 2 shown]
	; wave barrier
	ds_load_2addr_b64 v[37:40], v126 offset1:32
	ds_load_2addr_b64 v[41:44], v126 offset0:64 offset1:96
	ds_load_2addr_b64 v[45:48], v126 offset0:128 offset1:160
	;; [unrolled: 1-line block ×3, first 2 shown]
	; wave barrier
	ds_store_b128 v127, v[21:24]
	ds_store_b128 v127, v[17:20] offset:16
	ds_store_b128 v127, v[29:32] offset:32
	;; [unrolled: 1-line block ×3, first 2 shown]
	; wave barrier
	ds_load_2addr_b64 v[49:52], v126 offset1:32
	ds_load_2addr_b64 v[53:56], v126 offset0:64 offset1:96
	ds_load_2addr_b64 v[57:60], v126 offset0:128 offset1:160
	;; [unrolled: 1-line block ×3, first 2 shown]
	s_wait_loadcnt_dscnt 0x0
	s_barrier_signal -1
	s_barrier_wait -1
	global_inv scope:SCOPE_SE
	s_load_b32 s11, s[34:35], 0xc
	s_getpc_b64 s[12:13]
	s_wait_alu 0xfffe
	s_sext_i32_i16 s13, s13
	s_add_co_u32 s12, s12, _ZN7rocprim17ROCPRIM_400000_NS16block_radix_sortIlLj128ELj8ElLj1ELj1ELj0ELNS0_26block_radix_rank_algorithmE1ELNS0_18block_padding_hintE2ELNS0_4arch9wavefront6targetE0EE19radix_bits_per_passE@rel32@lo+12
	s_wait_alu 0xfffe
	s_add_co_ci_u32 s13, s13, _ZN7rocprim17ROCPRIM_400000_NS16block_radix_sortIlLj128ELj8ElLj1ELj1ELj0ELNS0_26block_radix_rank_algorithmE1ELNS0_18block_padding_hintE2ELNS0_4arch9wavefront6targetE0EE19radix_bits_per_passE@rel32@hi+24
	v_cmp_lt_u32_e64 s15, 7, v122
	s_load_b32 s27, s[12:13], 0x0
	v_cmp_lt_u32_e64 s13, 1, v122
	v_cmp_eq_u32_e64 s16, 0, v121
	v_cmp_eq_u32_e64 s18, 0, v120
	v_cmp_lt_u32_e64 s19, 1, v120
	v_add_nc_u32_e32 v129, -4, v117
	v_lshl_add_u32 v130, v118, 3, v0
	v_mov_b32_e32 v71, 0
	s_wait_kmcnt 0x0
	s_lshr_b32 s14, s11, 16
	s_and_b32 s12, s11, 0xffff
	s_wait_alu 0xfffe
	v_mad_u32_u24 v33, v125, s14, v124
	v_sub_co_u32 v35, s11, v118, 1
	v_cmp_lt_u32_e64 s14, 3, v122
	s_delay_alu instid0(VALU_DEP_3) | instskip(NEXT) | instid1(VALU_DEP_3)
	v_mad_co_u64_u32 v[33:34], null, v33, s12, v[74:75]
	v_cmp_gt_i32_e32 vcc_lo, 0, v35
	v_or_b32_e32 v34, 31, v123
	v_cmp_eq_u32_e64 s12, 0, v122
	s_wait_alu 0xfffd
	v_cndmask_b32_e32 v35, v35, v118, vcc_lo
	v_lshrrev_b32_e32 v33, 3, v33
	v_cmp_eq_u32_e64 s17, v74, v34
	s_delay_alu instid0(VALU_DEP_3) | instskip(NEXT) | instid1(VALU_DEP_3)
	v_lshlrev_b32_e32 v128, 2, v35
	v_dual_mov_b32 v36, s23 :: v_dual_and_b32 v131, 0x1ffffffc, v33
	v_dual_mov_b32 v35, s22 :: v_dual_mov_b32 v34, s21
	v_mov_b32_e32 v33, s20
	s_mov_b32 s21, 64
	s_branch .LBB142_32
.LBB142_31:                             ;   in Loop: Header=BB142_32 Depth=1
	s_wait_alu 0xfffe
	s_and_not1_b32 vcc_lo, exec_lo, s20
	s_wait_alu 0xfffe
	s_cbranch_vccz .LBB142_63
.LBB142_32:                             ; =>This Inner Loop Header: Depth=1
	v_dual_mov_b32 v76, v38 :: v_dual_mov_b32 v75, v37
	s_wait_alu 0xfffe
	s_min_u32 s20, s27, s21
	v_mov_b32_e32 v78, v68
	s_wait_alu 0xfffe
	s_lshl_b32 s20, -1, s20
	v_mov_b32_e32 v80, v66
	v_lshrrev_b64 v[37:38], v70, v[75:76]
	s_wait_alu 0xfffe
	s_not_b32 s22, s20
	v_mov_b32_e32 v79, v65
	ds_store_b128 v116, v[33:36] offset:16
	ds_store_b128 v116, v[33:36] offset:32
	s_wait_loadcnt_dscnt 0x0
	s_wait_alu 0xfffe
	v_dual_mov_b32 v77, v67 :: v_dual_and_b32 v38, s22, v37
	v_dual_mov_b32 v82, v48 :: v_dual_mov_b32 v81, v47
	s_barrier_signal -1
	s_delay_alu instid0(VALU_DEP_2) | instskip(SKIP_3) | instid1(VALU_DEP_3)
	v_dual_mov_b32 v100, v46 :: v_dual_lshlrev_b32 v47, 30, v38
	v_and_b32_e32 v37, 1, v38
	v_dual_mov_b32 v99, v45 :: v_dual_lshlrev_b32 v48, 29, v38
	v_dual_mov_b32 v102, v44 :: v_dual_lshlrev_b32 v65, 28, v38
	v_add_co_u32 v37, s20, v37, -1
	s_wait_alu 0xf1ff
	v_cndmask_b32_e64 v66, 0, 1, s20
	v_not_b32_e32 v84, v47
	v_cmp_gt_i32_e64 s20, 0, v47
	v_not_b32_e32 v47, v48
	v_dual_mov_b32 v104, v42 :: v_dual_lshlrev_b32 v67, 27, v38
	v_cmp_ne_u32_e32 vcc_lo, 0, v66
	v_ashrrev_i32_e32 v84, 31, v84
	s_delay_alu instid0(VALU_DEP_4)
	v_ashrrev_i32_e32 v47, 31, v47
	v_dual_mov_b32 v101, v43 :: v_dual_lshlrev_b32 v68, 26, v38
	s_wait_alu 0xfffd
	v_xor_b32_e32 v37, vcc_lo, v37
	v_cmp_gt_i32_e32 vcc_lo, 0, v48
	v_not_b32_e32 v48, v65
	s_wait_alu 0xf1ff
	v_xor_b32_e32 v84, s20, v84
	v_cmp_gt_i32_e64 s20, 0, v65
	v_and_b32_e32 v37, exec_lo, v37
	v_not_b32_e32 v65, v67
	v_ashrrev_i32_e32 v48, 31, v48
	s_wait_alu 0xfffd
	v_xor_b32_e32 v47, vcc_lo, v47
	v_dual_mov_b32 v106, v40 :: v_dual_lshlrev_b32 v83, 25, v38
	v_dual_mov_b32 v86, v62 :: v_dual_and_b32 v37, v37, v84
	v_cmp_gt_i32_e32 vcc_lo, 0, v67
	v_not_b32_e32 v67, v68
	v_ashrrev_i32_e32 v65, 31, v65
	s_wait_alu 0xf1ff
	v_xor_b32_e32 v48, s20, v48
	v_dual_mov_b32 v88, v60 :: v_dual_and_b32 v37, v37, v47
	v_dual_mov_b32 v103, v41 :: v_dual_lshlrev_b32 v66, 24, v38
	v_cmp_gt_i32_e64 s20, 0, v68
	v_not_b32_e32 v47, v83
	v_ashrrev_i32_e32 v67, 31, v67
	s_wait_alu 0xfffd
	v_xor_b32_e32 v65, vcc_lo, v65
	v_dual_mov_b32 v90, v58 :: v_dual_and_b32 v37, v37, v48
	v_cmp_gt_i32_e32 vcc_lo, 0, v83
	v_not_b32_e32 v48, v66
	v_ashrrev_i32_e32 v47, 31, v47
	s_wait_alu 0xf1ff
	v_xor_b32_e32 v67, s20, v67
	v_dual_mov_b32 v92, v56 :: v_dual_and_b32 v37, v37, v65
	v_cmp_gt_i32_e64 s20, 0, v66
	v_ashrrev_i32_e32 v45, 31, v48
	s_wait_alu 0xfffd
	v_xor_b32_e32 v46, vcc_lo, v47
	v_dual_mov_b32 v94, v54 :: v_dual_and_b32 v37, v37, v67
	v_dual_mov_b32 v105, v39 :: v_dual_mov_b32 v96, v52
	s_wait_alu 0xf1ff
	v_xor_b32_e32 v39, s20, v45
	s_delay_alu instid0(VALU_DEP_3) | instskip(SKIP_2) | instid1(VALU_DEP_3)
	v_dual_mov_b32 v98, v50 :: v_dual_and_b32 v37, v37, v46
	v_dual_mov_b32 v84, v64 :: v_dual_mov_b32 v83, v63
	v_lshlrev_b32_e32 v38, 4, v38
	v_and_b32_e32 v37, v37, v39
	v_mov_b32_e32 v85, v61
	v_mov_b32_e32 v87, v59
	;; [unrolled: 1-line block ×4, first 2 shown]
	v_mbcnt_lo_u32_b32 v45, v37, 0
	v_cmp_ne_u32_e64 s20, 0, v37
	v_mov_b32_e32 v93, v53
	v_mov_b32_e32 v95, v51
	;; [unrolled: 1-line block ×3, first 2 shown]
	v_cmp_eq_u32_e32 vcc_lo, 0, v45
	v_add_nc_u32_e32 v46, v131, v38
	s_barrier_wait -1
	global_inv scope:SCOPE_SE
	s_and_b32 s23, s20, vcc_lo
	; wave barrier
	s_wait_alu 0xfffe
	s_and_saveexec_b32 s20, s23
; %bb.33:                               ;   in Loop: Header=BB142_32 Depth=1
	v_bcnt_u32_b32 v37, v37, 0
	ds_store_b32 v46, v37 offset:16
; %bb.34:                               ;   in Loop: Header=BB142_32 Depth=1
	s_wait_alu 0xfffe
	s_or_b32 exec_lo, exec_lo, s20
	v_lshrrev_b64 v[37:38], v70, v[105:106]
	; wave barrier
	s_delay_alu instid0(VALU_DEP_1) | instskip(NEXT) | instid1(VALU_DEP_1)
	v_and_b32_e32 v37, s22, v37
	v_and_b32_e32 v38, 1, v37
	v_lshlrev_b32_e32 v39, 30, v37
	v_lshlrev_b32_e32 v40, 29, v37
	;; [unrolled: 1-line block ×4, first 2 shown]
	v_add_co_u32 v38, s20, v38, -1
	s_wait_alu 0xf1ff
	v_cndmask_b32_e64 v42, 0, 1, s20
	v_not_b32_e32 v48, v39
	v_cmp_gt_i32_e64 s20, 0, v39
	v_not_b32_e32 v39, v40
	v_lshlrev_b32_e32 v44, 26, v37
	v_cmp_ne_u32_e32 vcc_lo, 0, v42
	v_ashrrev_i32_e32 v48, 31, v48
	v_lshlrev_b32_e32 v47, 25, v37
	v_ashrrev_i32_e32 v39, 31, v39
	v_lshlrev_b32_e32 v42, 24, v37
	s_wait_alu 0xfffd
	v_xor_b32_e32 v38, vcc_lo, v38
	v_cmp_gt_i32_e32 vcc_lo, 0, v40
	v_not_b32_e32 v40, v41
	s_wait_alu 0xf1ff
	v_xor_b32_e32 v48, s20, v48
	v_cmp_gt_i32_e64 s20, 0, v41
	v_and_b32_e32 v38, exec_lo, v38
	v_not_b32_e32 v41, v43
	v_ashrrev_i32_e32 v40, 31, v40
	s_wait_alu 0xfffd
	v_xor_b32_e32 v39, vcc_lo, v39
	v_cmp_gt_i32_e32 vcc_lo, 0, v43
	v_and_b32_e32 v38, v38, v48
	v_not_b32_e32 v43, v44
	v_ashrrev_i32_e32 v41, 31, v41
	s_wait_alu 0xf1ff
	v_xor_b32_e32 v40, s20, v40
	v_cmp_gt_i32_e64 s20, 0, v44
	v_and_b32_e32 v38, v38, v39
	v_not_b32_e32 v39, v47
	v_ashrrev_i32_e32 v43, 31, v43
	s_wait_alu 0xfffd
	v_xor_b32_e32 v41, vcc_lo, v41
	v_cmp_gt_i32_e32 vcc_lo, 0, v47
	v_and_b32_e32 v38, v38, v40
	v_not_b32_e32 v40, v42
	v_ashrrev_i32_e32 v39, 31, v39
	s_wait_alu 0xf1ff
	v_xor_b32_e32 v43, s20, v43
	v_lshlrev_b32_e32 v37, 4, v37
	v_and_b32_e32 v38, v38, v41
	v_cmp_gt_i32_e64 s20, 0, v42
	v_ashrrev_i32_e32 v40, 31, v40
	s_wait_alu 0xfffd
	v_xor_b32_e32 v39, vcc_lo, v39
	v_add_nc_u32_e32 v49, v131, v37
	v_and_b32_e32 v38, v38, v43
	s_wait_alu 0xf1ff
	v_xor_b32_e32 v37, s20, v40
	ds_load_b32 v47, v49 offset:16
	v_and_b32_e32 v38, v38, v39
	; wave barrier
	s_delay_alu instid0(VALU_DEP_1) | instskip(NEXT) | instid1(VALU_DEP_1)
	v_and_b32_e32 v37, v38, v37
	v_mbcnt_lo_u32_b32 v48, v37, 0
	v_cmp_ne_u32_e64 s20, 0, v37
	s_delay_alu instid0(VALU_DEP_2)
	v_cmp_eq_u32_e32 vcc_lo, 0, v48
	s_and_b32 s23, s20, vcc_lo
	s_wait_alu 0xfffe
	s_and_saveexec_b32 s20, s23
	s_cbranch_execz .LBB142_36
; %bb.35:                               ;   in Loop: Header=BB142_32 Depth=1
	s_wait_dscnt 0x0
	v_bcnt_u32_b32 v37, v37, v47
	ds_store_b32 v49, v37 offset:16
.LBB142_36:                             ;   in Loop: Header=BB142_32 Depth=1
	s_wait_alu 0xfffe
	s_or_b32 exec_lo, exec_lo, s20
	v_lshrrev_b64 v[37:38], v70, v[103:104]
	; wave barrier
	s_delay_alu instid0(VALU_DEP_1) | instskip(NEXT) | instid1(VALU_DEP_1)
	v_and_b32_e32 v37, s22, v37
	v_and_b32_e32 v38, 1, v37
	v_lshlrev_b32_e32 v39, 30, v37
	v_lshlrev_b32_e32 v40, 29, v37
	;; [unrolled: 1-line block ×4, first 2 shown]
	v_add_co_u32 v38, s20, v38, -1
	s_wait_alu 0xf1ff
	v_cndmask_b32_e64 v42, 0, 1, s20
	v_not_b32_e32 v51, v39
	v_cmp_gt_i32_e64 s20, 0, v39
	v_not_b32_e32 v39, v40
	v_lshlrev_b32_e32 v44, 26, v37
	v_cmp_ne_u32_e32 vcc_lo, 0, v42
	v_ashrrev_i32_e32 v51, 31, v51
	v_lshlrev_b32_e32 v50, 25, v37
	v_ashrrev_i32_e32 v39, 31, v39
	v_lshlrev_b32_e32 v42, 24, v37
	s_wait_alu 0xfffd
	v_xor_b32_e32 v38, vcc_lo, v38
	v_cmp_gt_i32_e32 vcc_lo, 0, v40
	v_not_b32_e32 v40, v41
	s_wait_alu 0xf1ff
	v_xor_b32_e32 v51, s20, v51
	v_cmp_gt_i32_e64 s20, 0, v41
	v_and_b32_e32 v38, exec_lo, v38
	v_not_b32_e32 v41, v43
	v_ashrrev_i32_e32 v40, 31, v40
	s_wait_alu 0xfffd
	v_xor_b32_e32 v39, vcc_lo, v39
	v_cmp_gt_i32_e32 vcc_lo, 0, v43
	v_and_b32_e32 v38, v38, v51
	v_not_b32_e32 v43, v44
	v_ashrrev_i32_e32 v41, 31, v41
	s_wait_alu 0xf1ff
	v_xor_b32_e32 v40, s20, v40
	v_cmp_gt_i32_e64 s20, 0, v44
	v_and_b32_e32 v38, v38, v39
	v_not_b32_e32 v39, v50
	v_ashrrev_i32_e32 v43, 31, v43
	s_wait_alu 0xfffd
	v_xor_b32_e32 v41, vcc_lo, v41
	v_cmp_gt_i32_e32 vcc_lo, 0, v50
	v_and_b32_e32 v38, v38, v40
	v_not_b32_e32 v40, v42
	v_ashrrev_i32_e32 v39, 31, v39
	s_wait_alu 0xf1ff
	v_xor_b32_e32 v43, s20, v43
	v_lshlrev_b32_e32 v37, 4, v37
	v_and_b32_e32 v38, v38, v41
	v_cmp_gt_i32_e64 s20, 0, v42
	v_ashrrev_i32_e32 v40, 31, v40
	s_wait_alu 0xfffd
	v_xor_b32_e32 v39, vcc_lo, v39
	v_add_nc_u32_e32 v52, v131, v37
	v_and_b32_e32 v38, v38, v43
	s_wait_alu 0xf1ff
	v_xor_b32_e32 v37, s20, v40
	ds_load_b32 v50, v52 offset:16
	v_and_b32_e32 v38, v38, v39
	; wave barrier
	s_delay_alu instid0(VALU_DEP_1) | instskip(NEXT) | instid1(VALU_DEP_1)
	v_and_b32_e32 v37, v38, v37
	v_mbcnt_lo_u32_b32 v51, v37, 0
	v_cmp_ne_u32_e64 s20, 0, v37
	s_delay_alu instid0(VALU_DEP_2)
	v_cmp_eq_u32_e32 vcc_lo, 0, v51
	s_and_b32 s23, s20, vcc_lo
	s_wait_alu 0xfffe
	s_and_saveexec_b32 s20, s23
	s_cbranch_execz .LBB142_38
; %bb.37:                               ;   in Loop: Header=BB142_32 Depth=1
	s_wait_dscnt 0x0
	v_bcnt_u32_b32 v37, v37, v50
	ds_store_b32 v52, v37 offset:16
.LBB142_38:                             ;   in Loop: Header=BB142_32 Depth=1
	s_wait_alu 0xfffe
	s_or_b32 exec_lo, exec_lo, s20
	v_lshrrev_b64 v[37:38], v70, v[101:102]
	; wave barrier
	s_delay_alu instid0(VALU_DEP_1) | instskip(NEXT) | instid1(VALU_DEP_1)
	v_and_b32_e32 v37, s22, v37
	v_and_b32_e32 v38, 1, v37
	v_lshlrev_b32_e32 v39, 30, v37
	v_lshlrev_b32_e32 v40, 29, v37
	;; [unrolled: 1-line block ×4, first 2 shown]
	v_add_co_u32 v38, s20, v38, -1
	s_wait_alu 0xf1ff
	v_cndmask_b32_e64 v42, 0, 1, s20
	v_not_b32_e32 v54, v39
	v_cmp_gt_i32_e64 s20, 0, v39
	v_not_b32_e32 v39, v40
	v_lshlrev_b32_e32 v44, 26, v37
	v_cmp_ne_u32_e32 vcc_lo, 0, v42
	v_ashrrev_i32_e32 v54, 31, v54
	v_lshlrev_b32_e32 v53, 25, v37
	v_ashrrev_i32_e32 v39, 31, v39
	v_lshlrev_b32_e32 v42, 24, v37
	s_wait_alu 0xfffd
	v_xor_b32_e32 v38, vcc_lo, v38
	v_cmp_gt_i32_e32 vcc_lo, 0, v40
	v_not_b32_e32 v40, v41
	s_wait_alu 0xf1ff
	v_xor_b32_e32 v54, s20, v54
	v_cmp_gt_i32_e64 s20, 0, v41
	v_and_b32_e32 v38, exec_lo, v38
	v_not_b32_e32 v41, v43
	v_ashrrev_i32_e32 v40, 31, v40
	s_wait_alu 0xfffd
	v_xor_b32_e32 v39, vcc_lo, v39
	v_cmp_gt_i32_e32 vcc_lo, 0, v43
	v_and_b32_e32 v38, v38, v54
	v_not_b32_e32 v43, v44
	v_ashrrev_i32_e32 v41, 31, v41
	s_wait_alu 0xf1ff
	v_xor_b32_e32 v40, s20, v40
	v_cmp_gt_i32_e64 s20, 0, v44
	v_and_b32_e32 v38, v38, v39
	v_not_b32_e32 v39, v53
	v_ashrrev_i32_e32 v43, 31, v43
	s_wait_alu 0xfffd
	v_xor_b32_e32 v41, vcc_lo, v41
	v_cmp_gt_i32_e32 vcc_lo, 0, v53
	v_and_b32_e32 v38, v38, v40
	v_not_b32_e32 v40, v42
	v_ashrrev_i32_e32 v39, 31, v39
	s_wait_alu 0xf1ff
	v_xor_b32_e32 v43, s20, v43
	v_lshlrev_b32_e32 v37, 4, v37
	v_and_b32_e32 v38, v38, v41
	v_cmp_gt_i32_e64 s20, 0, v42
	v_ashrrev_i32_e32 v40, 31, v40
	s_wait_alu 0xfffd
	v_xor_b32_e32 v39, vcc_lo, v39
	v_add_nc_u32_e32 v55, v131, v37
	v_and_b32_e32 v38, v38, v43
	s_wait_alu 0xf1ff
	v_xor_b32_e32 v37, s20, v40
	ds_load_b32 v53, v55 offset:16
	v_and_b32_e32 v38, v38, v39
	; wave barrier
	s_delay_alu instid0(VALU_DEP_1) | instskip(NEXT) | instid1(VALU_DEP_1)
	v_and_b32_e32 v37, v38, v37
	v_mbcnt_lo_u32_b32 v54, v37, 0
	v_cmp_ne_u32_e64 s20, 0, v37
	s_delay_alu instid0(VALU_DEP_2)
	v_cmp_eq_u32_e32 vcc_lo, 0, v54
	s_and_b32 s23, s20, vcc_lo
	s_wait_alu 0xfffe
	s_and_saveexec_b32 s20, s23
	s_cbranch_execz .LBB142_40
; %bb.39:                               ;   in Loop: Header=BB142_32 Depth=1
	s_wait_dscnt 0x0
	v_bcnt_u32_b32 v37, v37, v53
	ds_store_b32 v55, v37 offset:16
.LBB142_40:                             ;   in Loop: Header=BB142_32 Depth=1
	s_wait_alu 0xfffe
	s_or_b32 exec_lo, exec_lo, s20
	v_lshrrev_b64 v[37:38], v70, v[99:100]
	; wave barrier
	s_delay_alu instid0(VALU_DEP_1) | instskip(NEXT) | instid1(VALU_DEP_1)
	v_and_b32_e32 v37, s22, v37
	v_and_b32_e32 v38, 1, v37
	v_lshlrev_b32_e32 v39, 30, v37
	v_lshlrev_b32_e32 v40, 29, v37
	;; [unrolled: 1-line block ×4, first 2 shown]
	v_add_co_u32 v38, s20, v38, -1
	s_wait_alu 0xf1ff
	v_cndmask_b32_e64 v42, 0, 1, s20
	v_not_b32_e32 v57, v39
	v_cmp_gt_i32_e64 s20, 0, v39
	v_not_b32_e32 v39, v40
	v_lshlrev_b32_e32 v44, 26, v37
	v_cmp_ne_u32_e32 vcc_lo, 0, v42
	v_ashrrev_i32_e32 v57, 31, v57
	v_lshlrev_b32_e32 v56, 25, v37
	v_ashrrev_i32_e32 v39, 31, v39
	v_lshlrev_b32_e32 v42, 24, v37
	s_wait_alu 0xfffd
	v_xor_b32_e32 v38, vcc_lo, v38
	v_cmp_gt_i32_e32 vcc_lo, 0, v40
	v_not_b32_e32 v40, v41
	s_wait_alu 0xf1ff
	v_xor_b32_e32 v57, s20, v57
	v_cmp_gt_i32_e64 s20, 0, v41
	v_and_b32_e32 v38, exec_lo, v38
	v_not_b32_e32 v41, v43
	v_ashrrev_i32_e32 v40, 31, v40
	s_wait_alu 0xfffd
	v_xor_b32_e32 v39, vcc_lo, v39
	v_cmp_gt_i32_e32 vcc_lo, 0, v43
	v_and_b32_e32 v38, v38, v57
	v_not_b32_e32 v43, v44
	v_ashrrev_i32_e32 v41, 31, v41
	s_wait_alu 0xf1ff
	v_xor_b32_e32 v40, s20, v40
	v_cmp_gt_i32_e64 s20, 0, v44
	v_and_b32_e32 v38, v38, v39
	v_not_b32_e32 v39, v56
	v_ashrrev_i32_e32 v43, 31, v43
	s_wait_alu 0xfffd
	v_xor_b32_e32 v41, vcc_lo, v41
	v_cmp_gt_i32_e32 vcc_lo, 0, v56
	v_and_b32_e32 v38, v38, v40
	v_not_b32_e32 v40, v42
	v_ashrrev_i32_e32 v39, 31, v39
	s_wait_alu 0xf1ff
	v_xor_b32_e32 v43, s20, v43
	v_lshlrev_b32_e32 v37, 4, v37
	v_and_b32_e32 v38, v38, v41
	v_cmp_gt_i32_e64 s20, 0, v42
	v_ashrrev_i32_e32 v40, 31, v40
	s_wait_alu 0xfffd
	v_xor_b32_e32 v39, vcc_lo, v39
	v_add_nc_u32_e32 v58, v131, v37
	v_and_b32_e32 v38, v38, v43
	s_wait_alu 0xf1ff
	v_xor_b32_e32 v37, s20, v40
	ds_load_b32 v56, v58 offset:16
	v_and_b32_e32 v38, v38, v39
	; wave barrier
	s_delay_alu instid0(VALU_DEP_1) | instskip(NEXT) | instid1(VALU_DEP_1)
	v_and_b32_e32 v37, v38, v37
	v_mbcnt_lo_u32_b32 v57, v37, 0
	v_cmp_ne_u32_e64 s20, 0, v37
	s_delay_alu instid0(VALU_DEP_2)
	v_cmp_eq_u32_e32 vcc_lo, 0, v57
	s_and_b32 s23, s20, vcc_lo
	s_wait_alu 0xfffe
	s_and_saveexec_b32 s20, s23
	s_cbranch_execz .LBB142_42
; %bb.41:                               ;   in Loop: Header=BB142_32 Depth=1
	s_wait_dscnt 0x0
	v_bcnt_u32_b32 v37, v37, v56
	ds_store_b32 v58, v37 offset:16
.LBB142_42:                             ;   in Loop: Header=BB142_32 Depth=1
	s_wait_alu 0xfffe
	s_or_b32 exec_lo, exec_lo, s20
	v_lshrrev_b64 v[37:38], v70, v[81:82]
	; wave barrier
	s_delay_alu instid0(VALU_DEP_1) | instskip(NEXT) | instid1(VALU_DEP_1)
	v_and_b32_e32 v37, s22, v37
	v_and_b32_e32 v38, 1, v37
	v_lshlrev_b32_e32 v39, 30, v37
	v_lshlrev_b32_e32 v40, 29, v37
	v_lshlrev_b32_e32 v41, 28, v37
	v_lshlrev_b32_e32 v43, 27, v37
	v_add_co_u32 v38, s20, v38, -1
	s_wait_alu 0xf1ff
	v_cndmask_b32_e64 v42, 0, 1, s20
	v_not_b32_e32 v60, v39
	v_cmp_gt_i32_e64 s20, 0, v39
	v_not_b32_e32 v39, v40
	v_lshlrev_b32_e32 v44, 26, v37
	v_cmp_ne_u32_e32 vcc_lo, 0, v42
	v_ashrrev_i32_e32 v60, 31, v60
	v_lshlrev_b32_e32 v59, 25, v37
	v_ashrrev_i32_e32 v39, 31, v39
	v_lshlrev_b32_e32 v42, 24, v37
	s_wait_alu 0xfffd
	v_xor_b32_e32 v38, vcc_lo, v38
	v_cmp_gt_i32_e32 vcc_lo, 0, v40
	v_not_b32_e32 v40, v41
	s_wait_alu 0xf1ff
	v_xor_b32_e32 v60, s20, v60
	v_cmp_gt_i32_e64 s20, 0, v41
	v_and_b32_e32 v38, exec_lo, v38
	v_not_b32_e32 v41, v43
	v_ashrrev_i32_e32 v40, 31, v40
	s_wait_alu 0xfffd
	v_xor_b32_e32 v39, vcc_lo, v39
	v_cmp_gt_i32_e32 vcc_lo, 0, v43
	v_and_b32_e32 v38, v38, v60
	v_not_b32_e32 v43, v44
	v_ashrrev_i32_e32 v41, 31, v41
	s_wait_alu 0xf1ff
	v_xor_b32_e32 v40, s20, v40
	v_cmp_gt_i32_e64 s20, 0, v44
	v_and_b32_e32 v38, v38, v39
	v_not_b32_e32 v39, v59
	v_ashrrev_i32_e32 v43, 31, v43
	s_wait_alu 0xfffd
	v_xor_b32_e32 v41, vcc_lo, v41
	v_cmp_gt_i32_e32 vcc_lo, 0, v59
	v_and_b32_e32 v38, v38, v40
	v_not_b32_e32 v40, v42
	v_ashrrev_i32_e32 v39, 31, v39
	s_wait_alu 0xf1ff
	v_xor_b32_e32 v43, s20, v43
	v_lshlrev_b32_e32 v37, 4, v37
	v_and_b32_e32 v38, v38, v41
	v_cmp_gt_i32_e64 s20, 0, v42
	v_ashrrev_i32_e32 v40, 31, v40
	s_wait_alu 0xfffd
	v_xor_b32_e32 v39, vcc_lo, v39
	v_add_nc_u32_e32 v61, v131, v37
	v_and_b32_e32 v38, v38, v43
	s_wait_alu 0xf1ff
	v_xor_b32_e32 v37, s20, v40
	ds_load_b32 v59, v61 offset:16
	v_and_b32_e32 v38, v38, v39
	; wave barrier
	s_delay_alu instid0(VALU_DEP_1) | instskip(NEXT) | instid1(VALU_DEP_1)
	v_and_b32_e32 v37, v38, v37
	v_mbcnt_lo_u32_b32 v60, v37, 0
	v_cmp_ne_u32_e64 s20, 0, v37
	s_delay_alu instid0(VALU_DEP_2)
	v_cmp_eq_u32_e32 vcc_lo, 0, v60
	s_and_b32 s23, s20, vcc_lo
	s_wait_alu 0xfffe
	s_and_saveexec_b32 s20, s23
	s_cbranch_execz .LBB142_44
; %bb.43:                               ;   in Loop: Header=BB142_32 Depth=1
	s_wait_dscnt 0x0
	v_bcnt_u32_b32 v37, v37, v59
	ds_store_b32 v61, v37 offset:16
.LBB142_44:                             ;   in Loop: Header=BB142_32 Depth=1
	s_wait_alu 0xfffe
	s_or_b32 exec_lo, exec_lo, s20
	v_lshrrev_b64 v[37:38], v70, v[79:80]
	; wave barrier
	s_delay_alu instid0(VALU_DEP_1) | instskip(NEXT) | instid1(VALU_DEP_1)
	v_and_b32_e32 v37, s22, v37
	v_and_b32_e32 v38, 1, v37
	v_lshlrev_b32_e32 v39, 30, v37
	v_lshlrev_b32_e32 v40, 29, v37
	;; [unrolled: 1-line block ×4, first 2 shown]
	v_add_co_u32 v38, s20, v38, -1
	s_wait_alu 0xf1ff
	v_cndmask_b32_e64 v42, 0, 1, s20
	v_not_b32_e32 v63, v39
	v_cmp_gt_i32_e64 s20, 0, v39
	v_not_b32_e32 v39, v40
	v_lshlrev_b32_e32 v44, 26, v37
	v_cmp_ne_u32_e32 vcc_lo, 0, v42
	v_ashrrev_i32_e32 v63, 31, v63
	v_lshlrev_b32_e32 v62, 25, v37
	v_ashrrev_i32_e32 v39, 31, v39
	v_lshlrev_b32_e32 v42, 24, v37
	s_wait_alu 0xfffd
	v_xor_b32_e32 v38, vcc_lo, v38
	v_cmp_gt_i32_e32 vcc_lo, 0, v40
	v_not_b32_e32 v40, v41
	s_wait_alu 0xf1ff
	v_xor_b32_e32 v63, s20, v63
	v_cmp_gt_i32_e64 s20, 0, v41
	v_and_b32_e32 v38, exec_lo, v38
	v_not_b32_e32 v41, v43
	v_ashrrev_i32_e32 v40, 31, v40
	s_wait_alu 0xfffd
	v_xor_b32_e32 v39, vcc_lo, v39
	v_cmp_gt_i32_e32 vcc_lo, 0, v43
	v_and_b32_e32 v38, v38, v63
	v_not_b32_e32 v43, v44
	v_ashrrev_i32_e32 v41, 31, v41
	s_wait_alu 0xf1ff
	v_xor_b32_e32 v40, s20, v40
	v_cmp_gt_i32_e64 s20, 0, v44
	v_and_b32_e32 v38, v38, v39
	v_not_b32_e32 v39, v62
	v_ashrrev_i32_e32 v43, 31, v43
	s_wait_alu 0xfffd
	v_xor_b32_e32 v41, vcc_lo, v41
	v_cmp_gt_i32_e32 vcc_lo, 0, v62
	v_and_b32_e32 v38, v38, v40
	v_not_b32_e32 v40, v42
	v_ashrrev_i32_e32 v39, 31, v39
	s_wait_alu 0xf1ff
	v_xor_b32_e32 v43, s20, v43
	v_lshlrev_b32_e32 v37, 4, v37
	v_and_b32_e32 v38, v38, v41
	v_cmp_gt_i32_e64 s20, 0, v42
	v_ashrrev_i32_e32 v40, 31, v40
	s_wait_alu 0xfffd
	v_xor_b32_e32 v39, vcc_lo, v39
	v_add_nc_u32_e32 v64, v131, v37
	v_and_b32_e32 v38, v38, v43
	s_wait_alu 0xf1ff
	v_xor_b32_e32 v37, s20, v40
	ds_load_b32 v62, v64 offset:16
	v_and_b32_e32 v38, v38, v39
	; wave barrier
	s_delay_alu instid0(VALU_DEP_1) | instskip(NEXT) | instid1(VALU_DEP_1)
	v_and_b32_e32 v37, v38, v37
	v_mbcnt_lo_u32_b32 v63, v37, 0
	v_cmp_ne_u32_e64 s20, 0, v37
	s_delay_alu instid0(VALU_DEP_2)
	v_cmp_eq_u32_e32 vcc_lo, 0, v63
	s_and_b32 s23, s20, vcc_lo
	s_wait_alu 0xfffe
	s_and_saveexec_b32 s20, s23
	s_cbranch_execz .LBB142_46
; %bb.45:                               ;   in Loop: Header=BB142_32 Depth=1
	s_wait_dscnt 0x0
	v_bcnt_u32_b32 v37, v37, v62
	ds_store_b32 v64, v37 offset:16
.LBB142_46:                             ;   in Loop: Header=BB142_32 Depth=1
	s_wait_alu 0xfffe
	s_or_b32 exec_lo, exec_lo, s20
	v_lshrrev_b64 v[37:38], v70, v[77:78]
	; wave barrier
	s_delay_alu instid0(VALU_DEP_1) | instskip(NEXT) | instid1(VALU_DEP_1)
	v_and_b32_e32 v37, s22, v37
	v_and_b32_e32 v38, 1, v37
	v_lshlrev_b32_e32 v39, 30, v37
	v_lshlrev_b32_e32 v40, 29, v37
	;; [unrolled: 1-line block ×4, first 2 shown]
	v_add_co_u32 v38, s20, v38, -1
	s_wait_alu 0xf1ff
	v_cndmask_b32_e64 v42, 0, 1, s20
	v_not_b32_e32 v66, v39
	v_cmp_gt_i32_e64 s20, 0, v39
	v_not_b32_e32 v39, v40
	v_lshlrev_b32_e32 v44, 26, v37
	v_cmp_ne_u32_e32 vcc_lo, 0, v42
	v_ashrrev_i32_e32 v66, 31, v66
	v_lshlrev_b32_e32 v65, 25, v37
	v_ashrrev_i32_e32 v39, 31, v39
	v_lshlrev_b32_e32 v42, 24, v37
	s_wait_alu 0xfffd
	v_xor_b32_e32 v38, vcc_lo, v38
	v_cmp_gt_i32_e32 vcc_lo, 0, v40
	v_not_b32_e32 v40, v41
	s_wait_alu 0xf1ff
	v_xor_b32_e32 v66, s20, v66
	v_cmp_gt_i32_e64 s20, 0, v41
	v_and_b32_e32 v38, exec_lo, v38
	v_not_b32_e32 v41, v43
	v_ashrrev_i32_e32 v40, 31, v40
	s_wait_alu 0xfffd
	v_xor_b32_e32 v39, vcc_lo, v39
	v_cmp_gt_i32_e32 vcc_lo, 0, v43
	v_and_b32_e32 v38, v38, v66
	v_not_b32_e32 v43, v44
	v_ashrrev_i32_e32 v41, 31, v41
	s_wait_alu 0xf1ff
	v_xor_b32_e32 v40, s20, v40
	v_cmp_gt_i32_e64 s20, 0, v44
	v_and_b32_e32 v38, v38, v39
	v_not_b32_e32 v39, v65
	v_ashrrev_i32_e32 v43, 31, v43
	s_wait_alu 0xfffd
	v_xor_b32_e32 v41, vcc_lo, v41
	v_cmp_gt_i32_e32 vcc_lo, 0, v65
	v_and_b32_e32 v38, v38, v40
	v_not_b32_e32 v40, v42
	v_ashrrev_i32_e32 v39, 31, v39
	s_wait_alu 0xf1ff
	v_xor_b32_e32 v43, s20, v43
	v_lshlrev_b32_e32 v37, 4, v37
	v_and_b32_e32 v38, v38, v41
	v_cmp_gt_i32_e64 s20, 0, v42
	v_ashrrev_i32_e32 v40, 31, v40
	s_wait_alu 0xfffd
	v_xor_b32_e32 v39, vcc_lo, v39
	v_add_nc_u32_e32 v67, v131, v37
	v_and_b32_e32 v38, v38, v43
	s_wait_alu 0xf1ff
	v_xor_b32_e32 v37, s20, v40
	ds_load_b32 v65, v67 offset:16
	v_and_b32_e32 v38, v38, v39
	; wave barrier
	s_delay_alu instid0(VALU_DEP_1) | instskip(NEXT) | instid1(VALU_DEP_1)
	v_and_b32_e32 v37, v38, v37
	v_mbcnt_lo_u32_b32 v66, v37, 0
	v_cmp_ne_u32_e64 s20, 0, v37
	s_delay_alu instid0(VALU_DEP_2)
	v_cmp_eq_u32_e32 vcc_lo, 0, v66
	s_and_b32 s22, s20, vcc_lo
	s_wait_alu 0xfffe
	s_and_saveexec_b32 s20, s22
	s_cbranch_execz .LBB142_48
; %bb.47:                               ;   in Loop: Header=BB142_32 Depth=1
	s_wait_dscnt 0x0
	v_bcnt_u32_b32 v37, v37, v65
	ds_store_b32 v67, v37 offset:16
.LBB142_48:                             ;   in Loop: Header=BB142_32 Depth=1
	s_wait_alu 0xfffe
	s_or_b32 exec_lo, exec_lo, s20
	; wave barrier
	s_wait_loadcnt_dscnt 0x0
	s_barrier_signal -1
	s_barrier_wait -1
	global_inv scope:SCOPE_SE
	ds_load_b128 v[41:44], v116 offset:16
	ds_load_b128 v[37:40], v116 offset:32
	s_wait_dscnt 0x1
	v_add_nc_u32_e32 v68, v42, v41
	s_delay_alu instid0(VALU_DEP_1) | instskip(SKIP_1) | instid1(VALU_DEP_1)
	v_add3_u32 v68, v68, v43, v44
	s_wait_dscnt 0x0
	v_add3_u32 v68, v68, v37, v38
	s_delay_alu instid0(VALU_DEP_1) | instskip(NEXT) | instid1(VALU_DEP_1)
	v_add3_u32 v40, v68, v39, v40
	v_mov_b32_dpp v68, v40 row_shr:1 row_mask:0xf bank_mask:0xf
	s_delay_alu instid0(VALU_DEP_1) | instskip(NEXT) | instid1(VALU_DEP_1)
	v_cndmask_b32_e64 v68, v68, 0, s12
	v_add_nc_u32_e32 v40, v68, v40
	s_delay_alu instid0(VALU_DEP_1) | instskip(NEXT) | instid1(VALU_DEP_1)
	v_mov_b32_dpp v68, v40 row_shr:2 row_mask:0xf bank_mask:0xf
	v_cndmask_b32_e64 v68, 0, v68, s13
	s_delay_alu instid0(VALU_DEP_1) | instskip(NEXT) | instid1(VALU_DEP_1)
	v_add_nc_u32_e32 v40, v40, v68
	v_mov_b32_dpp v68, v40 row_shr:4 row_mask:0xf bank_mask:0xf
	s_delay_alu instid0(VALU_DEP_1) | instskip(NEXT) | instid1(VALU_DEP_1)
	v_cndmask_b32_e64 v68, 0, v68, s14
	v_add_nc_u32_e32 v40, v40, v68
	s_delay_alu instid0(VALU_DEP_1) | instskip(NEXT) | instid1(VALU_DEP_1)
	v_mov_b32_dpp v68, v40 row_shr:8 row_mask:0xf bank_mask:0xf
	v_cndmask_b32_e64 v68, 0, v68, s15
	s_delay_alu instid0(VALU_DEP_1) | instskip(SKIP_3) | instid1(VALU_DEP_1)
	v_add_nc_u32_e32 v40, v40, v68
	ds_swizzle_b32 v68, v40 offset:swizzle(BROADCAST,32,15)
	s_wait_dscnt 0x0
	v_cndmask_b32_e64 v68, v68, 0, s16
	v_add_nc_u32_e32 v40, v40, v68
	s_and_saveexec_b32 s20, s17
; %bb.49:                               ;   in Loop: Header=BB142_32 Depth=1
	ds_store_b32 v117, v40
; %bb.50:                               ;   in Loop: Header=BB142_32 Depth=1
	s_wait_alu 0xfffe
	s_or_b32 exec_lo, exec_lo, s20
	s_wait_loadcnt_dscnt 0x0
	s_barrier_signal -1
	s_barrier_wait -1
	global_inv scope:SCOPE_SE
	s_and_saveexec_b32 s20, s8
	s_cbranch_execz .LBB142_52
; %bb.51:                               ;   in Loop: Header=BB142_32 Depth=1
	ds_load_b32 v68, v132
	s_wait_dscnt 0x0
	v_mov_b32_dpp v133, v68 row_shr:1 row_mask:0xf bank_mask:0xf
	s_delay_alu instid0(VALU_DEP_1) | instskip(NEXT) | instid1(VALU_DEP_1)
	v_cndmask_b32_e64 v133, v133, 0, s18
	v_add_nc_u32_e32 v68, v133, v68
	s_delay_alu instid0(VALU_DEP_1) | instskip(NEXT) | instid1(VALU_DEP_1)
	v_mov_b32_dpp v133, v68 row_shr:2 row_mask:0xf bank_mask:0xf
	v_cndmask_b32_e64 v133, 0, v133, s19
	s_delay_alu instid0(VALU_DEP_1)
	v_add_nc_u32_e32 v68, v68, v133
	ds_store_b32 v132, v68
.LBB142_52:                             ;   in Loop: Header=BB142_32 Depth=1
	s_wait_alu 0xfffe
	s_or_b32 exec_lo, exec_lo, s20
	v_mov_b32_e32 v68, 0
	s_wait_loadcnt_dscnt 0x0
	s_barrier_signal -1
	s_barrier_wait -1
	global_inv scope:SCOPE_SE
	s_and_saveexec_b32 s20, s9
; %bb.53:                               ;   in Loop: Header=BB142_32 Depth=1
	ds_load_b32 v68, v129
; %bb.54:                               ;   in Loop: Header=BB142_32 Depth=1
	s_wait_alu 0xfffe
	s_or_b32 exec_lo, exec_lo, s20
	s_wait_dscnt 0x0
	v_add_nc_u32_e32 v40, v68, v40
	v_cmp_lt_u32_e32 vcc_lo, 55, v70
	s_mov_b32 s20, -1
	ds_bpermute_b32 v40, v128, v40
	s_and_b32 vcc_lo, exec_lo, vcc_lo
	s_wait_dscnt 0x0
	v_cndmask_b32_e64 v40, v40, v68, s11
	s_delay_alu instid0(VALU_DEP_1) | instskip(NEXT) | instid1(VALU_DEP_1)
	v_cndmask_b32_e64 v40, v40, 0, s10
	v_add_nc_u32_e32 v41, v40, v41
	s_delay_alu instid0(VALU_DEP_1) | instskip(NEXT) | instid1(VALU_DEP_1)
	v_add_nc_u32_e32 v42, v41, v42
	v_add_nc_u32_e32 v43, v42, v43
	s_delay_alu instid0(VALU_DEP_1) | instskip(NEXT) | instid1(VALU_DEP_1)
	v_add_nc_u32_e32 v133, v43, v44
	;; [unrolled: 3-line block ×3, first 2 shown]
	v_add_nc_u32_e32 v136, v135, v39
	ds_store_b128 v116, v[40:43] offset:16
	ds_store_b128 v116, v[133:136] offset:32
	s_wait_loadcnt_dscnt 0x0
	s_barrier_signal -1
	s_barrier_wait -1
	global_inv scope:SCOPE_SE
	ds_load_b32 v37, v46 offset:16
	ds_load_b32 v38, v49 offset:16
	;; [unrolled: 1-line block ×8, first 2 shown]
	s_wait_dscnt 0x7
	v_add_nc_u32_e32 v140, v37, v45
	s_wait_dscnt 0x6
	v_add3_u32 v139, v48, v47, v38
	s_wait_dscnt 0x5
	v_add3_u32 v138, v51, v50, v39
	;; [unrolled: 2-line block ×7, first 2 shown]
                                        ; implicit-def: $vgpr67_vgpr68
                                        ; implicit-def: $vgpr47_vgpr48
                                        ; implicit-def: $vgpr43_vgpr44
                                        ; implicit-def: $vgpr39_vgpr40
                                        ; implicit-def: $vgpr63_vgpr64
                                        ; implicit-def: $vgpr59_vgpr60
                                        ; implicit-def: $vgpr55_vgpr56
                                        ; implicit-def: $vgpr51_vgpr52
	s_wait_alu 0xfffe
	s_cbranch_vccnz .LBB142_31
; %bb.55:                               ;   in Loop: Header=BB142_32 Depth=1
	v_lshlrev_b32_e32 v49, 3, v140
	v_lshlrev_b32_e32 v52, 3, v137
	;; [unrolled: 1-line block ×8, first 2 shown]
	s_wait_loadcnt 0x0
	s_barrier_signal -1
	s_barrier_wait -1
	global_inv scope:SCOPE_SE
	ds_store_b64 v49, v[75:76]
	ds_store_b64 v50, v[105:106]
	;; [unrolled: 1-line block ×8, first 2 shown]
	s_wait_loadcnt_dscnt 0x0
	s_barrier_signal -1
	s_barrier_wait -1
	global_inv scope:SCOPE_SE
	ds_load_2addr_b64 v[37:40], v130 offset1:32
	ds_load_2addr_b64 v[41:44], v130 offset0:64 offset1:96
	ds_load_2addr_b64 v[45:48], v130 offset0:128 offset1:160
	;; [unrolled: 1-line block ×3, first 2 shown]
	s_wait_loadcnt_dscnt 0x0
	s_barrier_signal -1
	s_barrier_wait -1
	global_inv scope:SCOPE_SE
	ds_store_b64 v49, v[97:98]
	ds_store_b64 v50, v[95:96]
	;; [unrolled: 1-line block ×8, first 2 shown]
	s_wait_loadcnt_dscnt 0x0
	s_barrier_signal -1
	s_barrier_wait -1
	global_inv scope:SCOPE_SE
	ds_load_2addr_b64 v[49:52], v130 offset1:32
	ds_load_2addr_b64 v[53:56], v130 offset0:64 offset1:96
	ds_load_2addr_b64 v[57:60], v130 offset0:128 offset1:160
	;; [unrolled: 1-line block ×3, first 2 shown]
	v_add_co_u32 v70, vcc_lo, v70, 8
	s_wait_alu 0xfffd
	v_add_co_ci_u32_e64 v71, null, 0, v71, vcc_lo
	s_add_co_i32 s21, s21, -8
	s_mov_b32 s20, 0
	s_wait_loadcnt_dscnt 0x0
	s_barrier_signal -1
	s_barrier_wait -1
	global_inv scope:SCOPE_SE
	s_branch .LBB142_31
.LBB142_56:
	v_lshlrev_b64_e32 v[17:18], 3, v[69:70]
	v_mov_b32_e32 v71, v70
	v_dual_mov_b32 v19, v70 :: v_dual_mov_b32 v22, v70
	v_dual_mov_b32 v21, v70 :: v_dual_mov_b32 v24, v70
	s_wait_alu 0xfffe
	s_delay_alu instid0(VALU_DEP_4)
	v_add_co_u32 v17, vcc_lo, s24, v17
	s_wait_alu 0xfffd
	v_add_co_ci_u32_e64 v18, null, s25, v18, vcc_lo
	v_dual_mov_b32 v23, v70 :: v_dual_mov_b32 v26, v70
	v_dual_mov_b32 v25, v70 :: v_dual_mov_b32 v30, v70
	global_load_b64 v[27:28], v[17:18], off
	v_dual_mov_b32 v17, v70 :: v_dual_mov_b32 v20, v70
	v_dual_mov_b32 v18, v70 :: v_dual_mov_b32 v29, v70
	s_or_b32 exec_lo, exec_lo, s8
	s_and_saveexec_b32 s8, s1
	s_cbranch_execz .LBB142_22
.LBB142_57:
	v_mul_lo_u32 v39, s28, v31
	v_mov_b32_e32 v40, 0
	s_delay_alu instid0(VALU_DEP_1) | instskip(NEXT) | instid1(VALU_DEP_1)
	v_lshlrev_b64_e32 v[39:40], 3, v[39:40]
	v_add_co_u32 v39, vcc_lo, s24, v39
	s_wait_alu 0xfffd
	s_delay_alu instid0(VALU_DEP_2)
	v_add_co_ci_u32_e64 v40, null, s25, v40, vcc_lo
	global_load_b64 v[70:71], v[39:40], off
	s_wait_alu 0xfffe
	s_or_b32 exec_lo, exec_lo, s8
	s_and_saveexec_b32 s8, s2
	s_cbranch_execz .LBB142_23
.LBB142_58:
	v_mul_lo_u32 v17, s28, v32
	v_mov_b32_e32 v18, 0
	s_delay_alu instid0(VALU_DEP_1) | instskip(NEXT) | instid1(VALU_DEP_1)
	v_lshlrev_b64_e32 v[17:18], 3, v[17:18]
	v_add_co_u32 v17, vcc_lo, s24, v17
	s_wait_alu 0xfffd
	s_delay_alu instid0(VALU_DEP_2)
	v_add_co_ci_u32_e64 v18, null, s25, v18, vcc_lo
	global_load_b64 v[17:18], v[17:18], off
	s_wait_alu 0xfffe
	s_or_b32 exec_lo, exec_lo, s8
	s_and_saveexec_b32 s8, s3
	s_cbranch_execz .LBB142_24
.LBB142_59:
	v_mul_lo_u32 v19, s28, v34
	v_mov_b32_e32 v20, 0
	s_delay_alu instid0(VALU_DEP_1) | instskip(NEXT) | instid1(VALU_DEP_1)
	v_lshlrev_b64_e32 v[19:20], 3, v[19:20]
	v_add_co_u32 v19, vcc_lo, s24, v19
	s_wait_alu 0xfffd
	s_delay_alu instid0(VALU_DEP_2)
	v_add_co_ci_u32_e64 v20, null, s25, v20, vcc_lo
	global_load_b64 v[19:20], v[19:20], off
	s_wait_alu 0xfffe
	s_or_b32 exec_lo, exec_lo, s8
	s_and_saveexec_b32 s8, s4
	s_cbranch_execz .LBB142_25
.LBB142_60:
	v_mul_lo_u32 v21, s28, v35
	v_mov_b32_e32 v22, 0
	s_delay_alu instid0(VALU_DEP_1) | instskip(NEXT) | instid1(VALU_DEP_1)
	v_lshlrev_b64_e32 v[21:22], 3, v[21:22]
	v_add_co_u32 v21, vcc_lo, s24, v21
	s_wait_alu 0xfffd
	s_delay_alu instid0(VALU_DEP_2)
	v_add_co_ci_u32_e64 v22, null, s25, v22, vcc_lo
	global_load_b64 v[21:22], v[21:22], off
	s_wait_alu 0xfffe
	s_or_b32 exec_lo, exec_lo, s8
	s_and_saveexec_b32 s8, s5
	s_cbranch_execz .LBB142_26
.LBB142_61:
	v_mul_lo_u32 v23, s28, v36
	v_mov_b32_e32 v24, 0
	s_delay_alu instid0(VALU_DEP_1) | instskip(NEXT) | instid1(VALU_DEP_1)
	v_lshlrev_b64_e32 v[23:24], 3, v[23:24]
	v_add_co_u32 v23, vcc_lo, s24, v23
	s_wait_alu 0xfffd
	s_delay_alu instid0(VALU_DEP_2)
	v_add_co_ci_u32_e64 v24, null, s25, v24, vcc_lo
	global_load_b64 v[23:24], v[23:24], off
	s_wait_alu 0xfffe
	s_or_b32 exec_lo, exec_lo, s8
	s_and_saveexec_b32 s8, s6
	s_cbranch_execz .LBB142_27
.LBB142_62:
	v_mul_lo_u32 v25, s28, v37
	v_mov_b32_e32 v26, 0
	s_delay_alu instid0(VALU_DEP_1) | instskip(NEXT) | instid1(VALU_DEP_1)
	v_lshlrev_b64_e32 v[25:26], 3, v[25:26]
	v_add_co_u32 v25, vcc_lo, s24, v25
	s_wait_alu 0xfffd
	s_delay_alu instid0(VALU_DEP_2)
	v_add_co_ci_u32_e64 v26, null, s25, v26, vcc_lo
	global_load_b64 v[25:26], v[25:26], off
	s_wait_alu 0xfffe
	s_or_b32 exec_lo, exec_lo, s8
	s_xor_b32 s8, s20, -1
	s_and_saveexec_b32 s9, s7
	s_cbranch_execnz .LBB142_28
	s_branch .LBB142_29
.LBB142_63:
	v_lshlrev_b32_e32 v33, 3, v140
	v_lshlrev_b32_e32 v36, 3, v137
	;; [unrolled: 1-line block ×9, first 2 shown]
	s_wait_loadcnt 0x0
	s_barrier_signal -1
	s_barrier_wait -1
	global_inv scope:SCOPE_SE
	ds_store_b64 v33, v[75:76]
	ds_store_b64 v34, v[105:106]
	;; [unrolled: 1-line block ×8, first 2 shown]
	s_wait_loadcnt_dscnt 0x0
	s_barrier_signal -1
	s_barrier_wait -1
	global_inv scope:SCOPE_SE
	ds_load_b128 v[49:52], v65
	ds_load_b128 v[53:56], v65 offset:16
	ds_load_b128 v[57:60], v65 offset:32
	;; [unrolled: 1-line block ×3, first 2 shown]
	s_wait_loadcnt_dscnt 0x0
	s_barrier_signal -1
	s_barrier_wait -1
	global_inv scope:SCOPE_SE
	ds_store_b64 v33, v[97:98]
	ds_store_b64 v34, v[95:96]
	;; [unrolled: 1-line block ×8, first 2 shown]
	s_wait_loadcnt_dscnt 0x0
	s_barrier_signal -1
	s_barrier_wait -1
	global_inv scope:SCOPE_SE
	ds_load_b128 v[45:48], v65
	ds_load_b128 v[41:44], v65 offset:16
	ds_load_b128 v[37:40], v65 offset:32
	ds_load_b128 v[33:36], v65 offset:48
	s_mov_b32 s11, 0
	v_xor_b32_e32 v50, 0x80000000, v50
	v_xor_b32_e32 v52, 0x80000000, v52
	;; [unrolled: 1-line block ×8, first 2 shown]
.LBB142_64:
	s_wait_alu 0xfffe
	s_and_b32 vcc_lo, exec_lo, s11
	s_wait_alu 0xfffe
	s_cbranch_vccz .LBB142_92
; %bb.65:
	v_xor_b32_e32 v14, 0x7fffffff, v14
	v_xor_b32_e32 v13, -1, v13
	v_xor_b32_e32 v16, 0x7fffffff, v16
	v_xor_b32_e32 v15, -1, v15
	;; [unrolled: 2-line block ×8, first 2 shown]
	ds_store_b128 v127, v[13:16]
	ds_store_b128 v127, v[9:12] offset:16
	ds_store_b128 v127, v[5:8] offset:32
	;; [unrolled: 1-line block ×3, first 2 shown]
	; wave barrier
	ds_load_2addr_b64 v[4:7], v126 offset1:32
	ds_load_2addr_b64 v[8:11], v126 offset0:64 offset1:96
	ds_load_2addr_b64 v[12:15], v126 offset0:128 offset1:160
	s_wait_dscnt 0x7
	ds_load_2addr_b64 v[33:36], v126 offset0:192 offset1:224
	; wave barrier
	ds_store_b128 v127, v[21:24]
	ds_store_b128 v127, v[17:20] offset:16
	ds_store_b128 v127, v[29:32] offset:32
	;; [unrolled: 1-line block ×3, first 2 shown]
	; wave barrier
	ds_load_2addr_b64 v[16:19], v126 offset1:32
	ds_load_2addr_b64 v[20:23], v126 offset0:64 offset1:96
	ds_load_2addr_b64 v[24:27], v126 offset0:128 offset1:160
	;; [unrolled: 1-line block ×3, first 2 shown]
	s_wait_loadcnt_dscnt 0x0
	s_barrier_signal -1
	s_barrier_wait -1
	global_inv scope:SCOPE_SE
	s_load_b32 s10, s[34:35], 0xc
	s_getpc_b64 s[8:9]
	s_wait_alu 0xfffe
	s_sext_i32_i16 s9, s9
	s_add_co_u32 s8, s8, _ZN7rocprim17ROCPRIM_400000_NS16block_radix_sortIlLj128ELj8ElLj1ELj1ELj0ELNS0_26block_radix_rank_algorithmE1ELNS0_18block_padding_hintE2ELNS0_4arch9wavefront6targetE0EE19radix_bits_per_passE@rel32@lo+12
	s_wait_alu 0xfffe
	s_add_co_ci_u32 s9, s9, _ZN7rocprim17ROCPRIM_400000_NS16block_radix_sortIlLj128ELj8ElLj1ELj1ELj0ELNS0_26block_radix_rank_algorithmE1ELNS0_18block_padding_hintE2ELNS0_4arch9wavefront6targetE0EE19radix_bits_per_passE@rel32@hi+24
	v_or_b32_e32 v3, 31, v123
	s_load_b32 s21, s[8:9], 0x0
	s_mov_b32 s36, 0
	v_cmp_lt_u32_e64 s12, 7, v122
	s_mov_b32 s37, s36
	s_mov_b32 s38, s36
	;; [unrolled: 1-line block ×3, first 2 shown]
	v_cmp_eq_u32_e64 s14, v74, v3
	v_cmp_eq_u32_e64 s13, 0, v121
	v_cmp_gt_u32_e64 s15, 4, v74
	v_mov_b32_e32 v37, 0
	v_cmp_lt_u32_e64 s16, 31, v74
	v_cmp_eq_u32_e64 s17, 0, v74
	v_cmp_eq_u32_e64 s18, 0, v120
	v_cmp_lt_u32_e64 s19, 1, v120
	v_dual_mov_b32 v38, 0 :: v_dual_add_nc_u32 v77, v116, v119
	s_mov_b32 s22, 64
	s_wait_kmcnt 0x0
	s_lshr_b32 s11, s10, 16
	s_and_b32 s8, s10, 0xffff
	s_wait_alu 0xfffe
	v_mad_u32_u24 v1, v125, s11, v124
	v_cmp_lt_u32_e64 s10, 1, v122
	v_cmp_lt_u32_e64 s11, 3, v122
	s_delay_alu instid0(VALU_DEP_3) | instskip(SKIP_4) | instid1(VALU_DEP_4)
	v_mad_co_u64_u32 v[1:2], null, v1, s8, v[74:75]
	v_sub_co_u32 v2, s9, v118, 1
	v_lshl_add_u32 v75, v118, 3, v0
	v_cmp_eq_u32_e64 s8, 0, v122
	v_add_nc_u32_e32 v74, -4, v117
	v_cmp_gt_i32_e32 vcc_lo, 0, v2
	v_lshrrev_b32_e32 v1, 3, v1
	s_wait_alu 0xfffd
	v_cndmask_b32_e32 v2, v2, v118, vcc_lo
	s_delay_alu instid0(VALU_DEP_2) | instskip(NEXT) | instid1(VALU_DEP_2)
	v_and_b32_e32 v76, 0x1ffffffc, v1
	v_lshlrev_b32_e32 v32, 2, v2
	v_dual_mov_b32 v0, s36 :: v_dual_mov_b32 v1, s37
	v_dual_mov_b32 v2, s38 :: v_dual_mov_b32 v3, s39
	s_branch .LBB142_67
.LBB142_66:                             ;   in Loop: Header=BB142_67 Depth=1
	s_wait_alu 0xfffe
	s_and_not1_b32 vcc_lo, exec_lo, s20
	s_wait_alu 0xfffe
	s_cbranch_vccz .LBB142_91
.LBB142_67:                             ; =>This Inner Loop Header: Depth=1
	v_dual_mov_b32 v40, v5 :: v_dual_mov_b32 v39, v4
	s_min_u32 s20, s21, s22
	v_mov_b32_e32 v52, v27
	s_wait_alu 0xfffe
	s_lshl_b32 s20, -1, s20
	v_mov_b32_e32 v60, v19
	v_lshrrev_b64 v[4:5], v37, v[39:40]
	s_wait_alu 0xfffe
	s_not_b32 s23, s20
	v_mov_b32_e32 v50, v29
	v_mov_b32_e32 v54, v25
	;; [unrolled: 1-line block ×3, first 2 shown]
	s_wait_alu 0xfffe
	v_dual_mov_b32 v42, v36 :: v_dual_and_b32 v5, s23, v4
	v_dual_mov_b32 v41, v35 :: v_dual_mov_b32 v44, v34
	v_dual_mov_b32 v43, v33 :: v_dual_mov_b32 v46, v15
	s_delay_alu instid0(VALU_DEP_3) | instskip(SKIP_3) | instid1(VALU_DEP_4)
	v_dual_mov_b32 v45, v14 :: v_dual_and_b32 v4, 1, v5
	v_lshlrev_b32_e32 v14, 30, v5
	v_dual_mov_b32 v64, v13 :: v_dual_lshlrev_b32 v15, 29, v5
	v_mov_b32_e32 v63, v12
	v_add_co_u32 v4, s20, v4, -1
	s_wait_alu 0xf1ff
	v_cndmask_b32_e64 v34, 0, 1, s20
	v_not_b32_e32 v48, v14
	v_dual_mov_b32 v66, v11 :: v_dual_lshlrev_b32 v33, 28, v5
	v_cmp_gt_i32_e64 s20, 0, v14
	s_delay_alu instid0(VALU_DEP_4)
	v_cmp_ne_u32_e32 vcc_lo, 0, v34
	v_not_b32_e32 v14, v15
	v_ashrrev_i32_e32 v48, 31, v48
	v_dual_mov_b32 v68, v9 :: v_dual_lshlrev_b32 v35, 27, v5
	s_wait_alu 0xfffd
	v_xor_b32_e32 v4, vcc_lo, v4
	v_cmp_gt_i32_e32 vcc_lo, 0, v15
	v_not_b32_e32 v15, v33
	v_ashrrev_i32_e32 v14, 31, v14
	s_wait_alu 0xf1ff
	v_xor_b32_e32 v48, s20, v48
	v_dual_mov_b32 v71, v7 :: v_dual_and_b32 v4, exec_lo, v4
	v_dual_mov_b32 v65, v10 :: v_dual_lshlrev_b32 v36, 26, v5
	v_cmp_gt_i32_e64 s20, 0, v33
	v_not_b32_e32 v33, v35
	v_ashrrev_i32_e32 v15, 31, v15
	s_wait_alu 0xfffd
	v_xor_b32_e32 v14, vcc_lo, v14
	v_and_b32_e32 v4, v4, v48
	v_dual_mov_b32 v70, v6 :: v_dual_lshlrev_b32 v47, 25, v5
	v_cmp_gt_i32_e32 vcc_lo, 0, v35
	v_not_b32_e32 v35, v36
	v_ashrrev_i32_e32 v33, 31, v33
	s_wait_alu 0xf1ff
	v_xor_b32_e32 v15, s20, v15
	v_dual_mov_b32 v51, v26 :: v_dual_and_b32 v4, v4, v14
	v_dual_mov_b32 v67, v8 :: v_dual_lshlrev_b32 v34, 24, v5
	v_cmp_gt_i32_e64 s20, 0, v36
	v_not_b32_e32 v14, v47
	v_ashrrev_i32_e32 v35, 31, v35
	s_wait_alu 0xfffd
	v_xor_b32_e32 v33, vcc_lo, v33
	v_and_b32_e32 v4, v4, v15
	v_dual_mov_b32 v56, v23 :: v_dual_lshlrev_b32 v5, 4, v5
	v_cmp_gt_i32_e32 vcc_lo, 0, v47
	v_not_b32_e32 v15, v34
	v_ashrrev_i32_e32 v14, 31, v14
	s_wait_alu 0xf1ff
	v_xor_b32_e32 v35, s20, v35
	v_dual_mov_b32 v55, v22 :: v_dual_and_b32 v4, v4, v33
	v_mov_b32_e32 v59, v18
	v_cmp_gt_i32_e64 s20, 0, v34
	v_ashrrev_i32_e32 v12, 31, v15
	s_wait_alu 0xfffd
	v_xor_b32_e32 v13, vcc_lo, v14
	v_and_b32_e32 v4, v4, v35
	v_dual_mov_b32 v48, v31 :: v_dual_mov_b32 v49, v28
	s_wait_alu 0xf1ff
	v_xor_b32_e32 v6, s20, v12
	v_mov_b32_e32 v58, v21
	v_dual_mov_b32 v47, v30 :: v_dual_and_b32 v4, v4, v13
	v_mov_b32_e32 v53, v24
	v_mov_b32_e32 v57, v20
	;; [unrolled: 1-line block ×3, first 2 shown]
	s_delay_alu instid0(VALU_DEP_4)
	v_and_b32_e32 v4, v4, v6
	v_add_nc_u32_e32 v13, v76, v5
	ds_store_b128 v116, v[0:3] offset:16
	ds_store_b128 v116, v[0:3] offset:32
	s_wait_loadcnt_dscnt 0x0
	s_barrier_signal -1
	v_mbcnt_lo_u32_b32 v12, v4, 0
	v_cmp_ne_u32_e64 s20, 0, v4
	s_barrier_wait -1
	global_inv scope:SCOPE_SE
	v_cmp_eq_u32_e32 vcc_lo, 0, v12
	; wave barrier
	s_and_b32 s27, s20, vcc_lo
	s_wait_alu 0xfffe
	s_and_saveexec_b32 s20, s27
; %bb.68:                               ;   in Loop: Header=BB142_67 Depth=1
	v_bcnt_u32_b32 v4, v4, 0
	ds_store_b32 v13, v4 offset:16
; %bb.69:                               ;   in Loop: Header=BB142_67 Depth=1
	s_wait_alu 0xfffe
	s_or_b32 exec_lo, exec_lo, s20
	v_lshrrev_b64 v[4:5], v37, v[70:71]
	; wave barrier
	s_delay_alu instid0(VALU_DEP_1) | instskip(NEXT) | instid1(VALU_DEP_1)
	v_and_b32_e32 v4, s23, v4
	v_and_b32_e32 v5, 1, v4
	v_lshlrev_b32_e32 v6, 30, v4
	v_lshlrev_b32_e32 v7, 29, v4
	;; [unrolled: 1-line block ×4, first 2 shown]
	v_add_co_u32 v5, s20, v5, -1
	s_wait_alu 0xf1ff
	v_cndmask_b32_e64 v9, 0, 1, s20
	v_not_b32_e32 v15, v6
	v_cmp_gt_i32_e64 s20, 0, v6
	v_not_b32_e32 v6, v7
	v_lshlrev_b32_e32 v11, 26, v4
	v_cmp_ne_u32_e32 vcc_lo, 0, v9
	v_ashrrev_i32_e32 v15, 31, v15
	v_lshlrev_b32_e32 v14, 25, v4
	v_ashrrev_i32_e32 v6, 31, v6
	v_lshlrev_b32_e32 v9, 24, v4
	s_wait_alu 0xfffd
	v_xor_b32_e32 v5, vcc_lo, v5
	v_cmp_gt_i32_e32 vcc_lo, 0, v7
	v_not_b32_e32 v7, v8
	s_wait_alu 0xf1ff
	v_xor_b32_e32 v15, s20, v15
	v_cmp_gt_i32_e64 s20, 0, v8
	v_and_b32_e32 v5, exec_lo, v5
	v_not_b32_e32 v8, v10
	v_ashrrev_i32_e32 v7, 31, v7
	s_wait_alu 0xfffd
	v_xor_b32_e32 v6, vcc_lo, v6
	v_cmp_gt_i32_e32 vcc_lo, 0, v10
	v_and_b32_e32 v5, v5, v15
	v_not_b32_e32 v10, v11
	v_ashrrev_i32_e32 v8, 31, v8
	s_wait_alu 0xf1ff
	v_xor_b32_e32 v7, s20, v7
	v_cmp_gt_i32_e64 s20, 0, v11
	v_and_b32_e32 v5, v5, v6
	v_not_b32_e32 v6, v14
	v_ashrrev_i32_e32 v10, 31, v10
	s_wait_alu 0xfffd
	v_xor_b32_e32 v8, vcc_lo, v8
	v_cmp_gt_i32_e32 vcc_lo, 0, v14
	v_and_b32_e32 v5, v5, v7
	v_not_b32_e32 v7, v9
	v_ashrrev_i32_e32 v6, 31, v6
	s_wait_alu 0xf1ff
	v_xor_b32_e32 v10, s20, v10
	v_lshlrev_b32_e32 v4, 4, v4
	v_and_b32_e32 v5, v5, v8
	v_cmp_gt_i32_e64 s20, 0, v9
	v_ashrrev_i32_e32 v7, 31, v7
	s_wait_alu 0xfffd
	v_xor_b32_e32 v6, vcc_lo, v6
	v_add_nc_u32_e32 v16, v76, v4
	v_and_b32_e32 v5, v5, v10
	s_wait_alu 0xf1ff
	v_xor_b32_e32 v4, s20, v7
	ds_load_b32 v14, v16 offset:16
	v_and_b32_e32 v5, v5, v6
	; wave barrier
	s_delay_alu instid0(VALU_DEP_1) | instskip(NEXT) | instid1(VALU_DEP_1)
	v_and_b32_e32 v4, v5, v4
	v_mbcnt_lo_u32_b32 v15, v4, 0
	v_cmp_ne_u32_e64 s20, 0, v4
	s_delay_alu instid0(VALU_DEP_2)
	v_cmp_eq_u32_e32 vcc_lo, 0, v15
	s_and_b32 s27, s20, vcc_lo
	s_wait_alu 0xfffe
	s_and_saveexec_b32 s20, s27
	s_cbranch_execz .LBB142_71
; %bb.70:                               ;   in Loop: Header=BB142_67 Depth=1
	s_wait_dscnt 0x0
	v_bcnt_u32_b32 v4, v4, v14
	ds_store_b32 v16, v4 offset:16
.LBB142_71:                             ;   in Loop: Header=BB142_67 Depth=1
	s_wait_alu 0xfffe
	s_or_b32 exec_lo, exec_lo, s20
	v_lshrrev_b64 v[4:5], v37, v[67:68]
	; wave barrier
	s_delay_alu instid0(VALU_DEP_1) | instskip(NEXT) | instid1(VALU_DEP_1)
	v_and_b32_e32 v4, s23, v4
	v_and_b32_e32 v5, 1, v4
	v_lshlrev_b32_e32 v6, 30, v4
	v_lshlrev_b32_e32 v7, 29, v4
	;; [unrolled: 1-line block ×4, first 2 shown]
	v_add_co_u32 v5, s20, v5, -1
	s_wait_alu 0xf1ff
	v_cndmask_b32_e64 v9, 0, 1, s20
	v_not_b32_e32 v18, v6
	v_cmp_gt_i32_e64 s20, 0, v6
	v_not_b32_e32 v6, v7
	v_lshlrev_b32_e32 v11, 26, v4
	v_cmp_ne_u32_e32 vcc_lo, 0, v9
	v_ashrrev_i32_e32 v18, 31, v18
	v_lshlrev_b32_e32 v17, 25, v4
	v_ashrrev_i32_e32 v6, 31, v6
	v_lshlrev_b32_e32 v9, 24, v4
	s_wait_alu 0xfffd
	v_xor_b32_e32 v5, vcc_lo, v5
	v_cmp_gt_i32_e32 vcc_lo, 0, v7
	v_not_b32_e32 v7, v8
	s_wait_alu 0xf1ff
	v_xor_b32_e32 v18, s20, v18
	v_cmp_gt_i32_e64 s20, 0, v8
	v_and_b32_e32 v5, exec_lo, v5
	v_not_b32_e32 v8, v10
	v_ashrrev_i32_e32 v7, 31, v7
	s_wait_alu 0xfffd
	v_xor_b32_e32 v6, vcc_lo, v6
	v_cmp_gt_i32_e32 vcc_lo, 0, v10
	v_and_b32_e32 v5, v5, v18
	v_not_b32_e32 v10, v11
	v_ashrrev_i32_e32 v8, 31, v8
	s_wait_alu 0xf1ff
	v_xor_b32_e32 v7, s20, v7
	v_cmp_gt_i32_e64 s20, 0, v11
	v_and_b32_e32 v5, v5, v6
	v_not_b32_e32 v6, v17
	v_ashrrev_i32_e32 v10, 31, v10
	s_wait_alu 0xfffd
	v_xor_b32_e32 v8, vcc_lo, v8
	v_cmp_gt_i32_e32 vcc_lo, 0, v17
	v_and_b32_e32 v5, v5, v7
	v_not_b32_e32 v7, v9
	v_ashrrev_i32_e32 v6, 31, v6
	s_wait_alu 0xf1ff
	v_xor_b32_e32 v10, s20, v10
	v_lshlrev_b32_e32 v4, 4, v4
	v_and_b32_e32 v5, v5, v8
	v_cmp_gt_i32_e64 s20, 0, v9
	v_ashrrev_i32_e32 v7, 31, v7
	s_wait_alu 0xfffd
	v_xor_b32_e32 v6, vcc_lo, v6
	v_add_nc_u32_e32 v19, v76, v4
	v_and_b32_e32 v5, v5, v10
	s_wait_alu 0xf1ff
	v_xor_b32_e32 v4, s20, v7
	ds_load_b32 v17, v19 offset:16
	v_and_b32_e32 v5, v5, v6
	; wave barrier
	s_delay_alu instid0(VALU_DEP_1) | instskip(NEXT) | instid1(VALU_DEP_1)
	v_and_b32_e32 v4, v5, v4
	v_mbcnt_lo_u32_b32 v18, v4, 0
	v_cmp_ne_u32_e64 s20, 0, v4
	s_delay_alu instid0(VALU_DEP_2)
	v_cmp_eq_u32_e32 vcc_lo, 0, v18
	s_and_b32 s27, s20, vcc_lo
	s_wait_alu 0xfffe
	s_and_saveexec_b32 s20, s27
	s_cbranch_execz .LBB142_73
; %bb.72:                               ;   in Loop: Header=BB142_67 Depth=1
	s_wait_dscnt 0x0
	v_bcnt_u32_b32 v4, v4, v17
	ds_store_b32 v19, v4 offset:16
.LBB142_73:                             ;   in Loop: Header=BB142_67 Depth=1
	s_wait_alu 0xfffe
	s_or_b32 exec_lo, exec_lo, s20
	v_lshrrev_b64 v[4:5], v37, v[65:66]
	; wave barrier
	s_delay_alu instid0(VALU_DEP_1) | instskip(NEXT) | instid1(VALU_DEP_1)
	v_and_b32_e32 v4, s23, v4
	v_and_b32_e32 v5, 1, v4
	v_lshlrev_b32_e32 v6, 30, v4
	v_lshlrev_b32_e32 v7, 29, v4
	;; [unrolled: 1-line block ×4, first 2 shown]
	v_add_co_u32 v5, s20, v5, -1
	s_wait_alu 0xf1ff
	v_cndmask_b32_e64 v9, 0, 1, s20
	v_not_b32_e32 v21, v6
	v_cmp_gt_i32_e64 s20, 0, v6
	v_not_b32_e32 v6, v7
	v_lshlrev_b32_e32 v11, 26, v4
	v_cmp_ne_u32_e32 vcc_lo, 0, v9
	v_ashrrev_i32_e32 v21, 31, v21
	v_lshlrev_b32_e32 v20, 25, v4
	v_ashrrev_i32_e32 v6, 31, v6
	v_lshlrev_b32_e32 v9, 24, v4
	s_wait_alu 0xfffd
	v_xor_b32_e32 v5, vcc_lo, v5
	v_cmp_gt_i32_e32 vcc_lo, 0, v7
	v_not_b32_e32 v7, v8
	s_wait_alu 0xf1ff
	v_xor_b32_e32 v21, s20, v21
	v_cmp_gt_i32_e64 s20, 0, v8
	v_and_b32_e32 v5, exec_lo, v5
	v_not_b32_e32 v8, v10
	v_ashrrev_i32_e32 v7, 31, v7
	s_wait_alu 0xfffd
	v_xor_b32_e32 v6, vcc_lo, v6
	v_cmp_gt_i32_e32 vcc_lo, 0, v10
	v_and_b32_e32 v5, v5, v21
	v_not_b32_e32 v10, v11
	v_ashrrev_i32_e32 v8, 31, v8
	s_wait_alu 0xf1ff
	v_xor_b32_e32 v7, s20, v7
	v_cmp_gt_i32_e64 s20, 0, v11
	v_and_b32_e32 v5, v5, v6
	v_not_b32_e32 v6, v20
	v_ashrrev_i32_e32 v10, 31, v10
	s_wait_alu 0xfffd
	v_xor_b32_e32 v8, vcc_lo, v8
	v_cmp_gt_i32_e32 vcc_lo, 0, v20
	v_and_b32_e32 v5, v5, v7
	v_not_b32_e32 v7, v9
	v_ashrrev_i32_e32 v6, 31, v6
	s_wait_alu 0xf1ff
	v_xor_b32_e32 v10, s20, v10
	v_lshlrev_b32_e32 v4, 4, v4
	v_and_b32_e32 v5, v5, v8
	v_cmp_gt_i32_e64 s20, 0, v9
	v_ashrrev_i32_e32 v7, 31, v7
	s_wait_alu 0xfffd
	v_xor_b32_e32 v6, vcc_lo, v6
	v_add_nc_u32_e32 v22, v76, v4
	v_and_b32_e32 v5, v5, v10
	s_wait_alu 0xf1ff
	v_xor_b32_e32 v4, s20, v7
	ds_load_b32 v20, v22 offset:16
	v_and_b32_e32 v5, v5, v6
	; wave barrier
	s_delay_alu instid0(VALU_DEP_1) | instskip(NEXT) | instid1(VALU_DEP_1)
	v_and_b32_e32 v4, v5, v4
	v_mbcnt_lo_u32_b32 v21, v4, 0
	v_cmp_ne_u32_e64 s20, 0, v4
	s_delay_alu instid0(VALU_DEP_2)
	v_cmp_eq_u32_e32 vcc_lo, 0, v21
	s_and_b32 s27, s20, vcc_lo
	s_wait_alu 0xfffe
	s_and_saveexec_b32 s20, s27
	s_cbranch_execz .LBB142_75
; %bb.74:                               ;   in Loop: Header=BB142_67 Depth=1
	s_wait_dscnt 0x0
	v_bcnt_u32_b32 v4, v4, v20
	ds_store_b32 v22, v4 offset:16
.LBB142_75:                             ;   in Loop: Header=BB142_67 Depth=1
	s_wait_alu 0xfffe
	s_or_b32 exec_lo, exec_lo, s20
	v_lshrrev_b64 v[4:5], v37, v[63:64]
	; wave barrier
	s_delay_alu instid0(VALU_DEP_1) | instskip(NEXT) | instid1(VALU_DEP_1)
	v_and_b32_e32 v4, s23, v4
	v_and_b32_e32 v5, 1, v4
	v_lshlrev_b32_e32 v6, 30, v4
	v_lshlrev_b32_e32 v7, 29, v4
	;; [unrolled: 1-line block ×4, first 2 shown]
	v_add_co_u32 v5, s20, v5, -1
	s_wait_alu 0xf1ff
	v_cndmask_b32_e64 v9, 0, 1, s20
	v_not_b32_e32 v24, v6
	v_cmp_gt_i32_e64 s20, 0, v6
	v_not_b32_e32 v6, v7
	v_lshlrev_b32_e32 v11, 26, v4
	v_cmp_ne_u32_e32 vcc_lo, 0, v9
	v_ashrrev_i32_e32 v24, 31, v24
	v_lshlrev_b32_e32 v23, 25, v4
	v_ashrrev_i32_e32 v6, 31, v6
	v_lshlrev_b32_e32 v9, 24, v4
	s_wait_alu 0xfffd
	v_xor_b32_e32 v5, vcc_lo, v5
	v_cmp_gt_i32_e32 vcc_lo, 0, v7
	v_not_b32_e32 v7, v8
	s_wait_alu 0xf1ff
	v_xor_b32_e32 v24, s20, v24
	v_cmp_gt_i32_e64 s20, 0, v8
	v_and_b32_e32 v5, exec_lo, v5
	v_not_b32_e32 v8, v10
	v_ashrrev_i32_e32 v7, 31, v7
	s_wait_alu 0xfffd
	v_xor_b32_e32 v6, vcc_lo, v6
	v_cmp_gt_i32_e32 vcc_lo, 0, v10
	v_and_b32_e32 v5, v5, v24
	v_not_b32_e32 v10, v11
	v_ashrrev_i32_e32 v8, 31, v8
	s_wait_alu 0xf1ff
	v_xor_b32_e32 v7, s20, v7
	v_cmp_gt_i32_e64 s20, 0, v11
	v_and_b32_e32 v5, v5, v6
	v_not_b32_e32 v6, v23
	v_ashrrev_i32_e32 v10, 31, v10
	s_wait_alu 0xfffd
	v_xor_b32_e32 v8, vcc_lo, v8
	v_cmp_gt_i32_e32 vcc_lo, 0, v23
	v_and_b32_e32 v5, v5, v7
	v_not_b32_e32 v7, v9
	v_ashrrev_i32_e32 v6, 31, v6
	s_wait_alu 0xf1ff
	v_xor_b32_e32 v10, s20, v10
	v_lshlrev_b32_e32 v4, 4, v4
	v_and_b32_e32 v5, v5, v8
	v_cmp_gt_i32_e64 s20, 0, v9
	v_ashrrev_i32_e32 v7, 31, v7
	s_wait_alu 0xfffd
	v_xor_b32_e32 v6, vcc_lo, v6
	v_add_nc_u32_e32 v25, v76, v4
	v_and_b32_e32 v5, v5, v10
	s_wait_alu 0xf1ff
	v_xor_b32_e32 v4, s20, v7
	ds_load_b32 v23, v25 offset:16
	v_and_b32_e32 v5, v5, v6
	; wave barrier
	s_delay_alu instid0(VALU_DEP_1) | instskip(NEXT) | instid1(VALU_DEP_1)
	v_and_b32_e32 v4, v5, v4
	v_mbcnt_lo_u32_b32 v24, v4, 0
	v_cmp_ne_u32_e64 s20, 0, v4
	s_delay_alu instid0(VALU_DEP_2)
	v_cmp_eq_u32_e32 vcc_lo, 0, v24
	s_and_b32 s27, s20, vcc_lo
	s_wait_alu 0xfffe
	s_and_saveexec_b32 s20, s27
	s_cbranch_execz .LBB142_77
; %bb.76:                               ;   in Loop: Header=BB142_67 Depth=1
	s_wait_dscnt 0x0
	v_bcnt_u32_b32 v4, v4, v23
	ds_store_b32 v25, v4 offset:16
.LBB142_77:                             ;   in Loop: Header=BB142_67 Depth=1
	s_wait_alu 0xfffe
	s_or_b32 exec_lo, exec_lo, s20
	v_lshrrev_b64 v[4:5], v37, v[45:46]
	; wave barrier
	s_delay_alu instid0(VALU_DEP_1) | instskip(NEXT) | instid1(VALU_DEP_1)
	v_and_b32_e32 v4, s23, v4
	v_and_b32_e32 v5, 1, v4
	v_lshlrev_b32_e32 v6, 30, v4
	v_lshlrev_b32_e32 v7, 29, v4
	v_lshlrev_b32_e32 v8, 28, v4
	v_lshlrev_b32_e32 v10, 27, v4
	v_add_co_u32 v5, s20, v5, -1
	s_wait_alu 0xf1ff
	v_cndmask_b32_e64 v9, 0, 1, s20
	v_not_b32_e32 v27, v6
	v_cmp_gt_i32_e64 s20, 0, v6
	v_not_b32_e32 v6, v7
	v_lshlrev_b32_e32 v11, 26, v4
	v_cmp_ne_u32_e32 vcc_lo, 0, v9
	v_ashrrev_i32_e32 v27, 31, v27
	v_lshlrev_b32_e32 v26, 25, v4
	v_ashrrev_i32_e32 v6, 31, v6
	v_lshlrev_b32_e32 v9, 24, v4
	s_wait_alu 0xfffd
	v_xor_b32_e32 v5, vcc_lo, v5
	v_cmp_gt_i32_e32 vcc_lo, 0, v7
	v_not_b32_e32 v7, v8
	s_wait_alu 0xf1ff
	v_xor_b32_e32 v27, s20, v27
	v_cmp_gt_i32_e64 s20, 0, v8
	v_and_b32_e32 v5, exec_lo, v5
	v_not_b32_e32 v8, v10
	v_ashrrev_i32_e32 v7, 31, v7
	s_wait_alu 0xfffd
	v_xor_b32_e32 v6, vcc_lo, v6
	v_cmp_gt_i32_e32 vcc_lo, 0, v10
	v_and_b32_e32 v5, v5, v27
	v_not_b32_e32 v10, v11
	v_ashrrev_i32_e32 v8, 31, v8
	s_wait_alu 0xf1ff
	v_xor_b32_e32 v7, s20, v7
	v_cmp_gt_i32_e64 s20, 0, v11
	v_and_b32_e32 v5, v5, v6
	v_not_b32_e32 v6, v26
	v_ashrrev_i32_e32 v10, 31, v10
	s_wait_alu 0xfffd
	v_xor_b32_e32 v8, vcc_lo, v8
	v_cmp_gt_i32_e32 vcc_lo, 0, v26
	v_and_b32_e32 v5, v5, v7
	v_not_b32_e32 v7, v9
	v_ashrrev_i32_e32 v6, 31, v6
	s_wait_alu 0xf1ff
	v_xor_b32_e32 v10, s20, v10
	v_lshlrev_b32_e32 v4, 4, v4
	v_and_b32_e32 v5, v5, v8
	v_cmp_gt_i32_e64 s20, 0, v9
	v_ashrrev_i32_e32 v7, 31, v7
	s_wait_alu 0xfffd
	v_xor_b32_e32 v6, vcc_lo, v6
	v_add_nc_u32_e32 v28, v76, v4
	v_and_b32_e32 v5, v5, v10
	s_wait_alu 0xf1ff
	v_xor_b32_e32 v4, s20, v7
	ds_load_b32 v26, v28 offset:16
	v_and_b32_e32 v5, v5, v6
	; wave barrier
	s_delay_alu instid0(VALU_DEP_1) | instskip(NEXT) | instid1(VALU_DEP_1)
	v_and_b32_e32 v4, v5, v4
	v_mbcnt_lo_u32_b32 v27, v4, 0
	v_cmp_ne_u32_e64 s20, 0, v4
	s_delay_alu instid0(VALU_DEP_2)
	v_cmp_eq_u32_e32 vcc_lo, 0, v27
	s_and_b32 s27, s20, vcc_lo
	s_wait_alu 0xfffe
	s_and_saveexec_b32 s20, s27
	s_cbranch_execz .LBB142_79
; %bb.78:                               ;   in Loop: Header=BB142_67 Depth=1
	s_wait_dscnt 0x0
	v_bcnt_u32_b32 v4, v4, v26
	ds_store_b32 v28, v4 offset:16
.LBB142_79:                             ;   in Loop: Header=BB142_67 Depth=1
	s_wait_alu 0xfffe
	s_or_b32 exec_lo, exec_lo, s20
	v_lshrrev_b64 v[4:5], v37, v[43:44]
	; wave barrier
	s_delay_alu instid0(VALU_DEP_1) | instskip(NEXT) | instid1(VALU_DEP_1)
	v_and_b32_e32 v4, s23, v4
	v_and_b32_e32 v5, 1, v4
	v_lshlrev_b32_e32 v6, 30, v4
	v_lshlrev_b32_e32 v7, 29, v4
	;; [unrolled: 1-line block ×4, first 2 shown]
	v_add_co_u32 v5, s20, v5, -1
	s_wait_alu 0xf1ff
	v_cndmask_b32_e64 v9, 0, 1, s20
	v_not_b32_e32 v30, v6
	v_cmp_gt_i32_e64 s20, 0, v6
	v_not_b32_e32 v6, v7
	v_lshlrev_b32_e32 v11, 26, v4
	v_cmp_ne_u32_e32 vcc_lo, 0, v9
	v_ashrrev_i32_e32 v30, 31, v30
	v_lshlrev_b32_e32 v29, 25, v4
	v_ashrrev_i32_e32 v6, 31, v6
	v_lshlrev_b32_e32 v9, 24, v4
	s_wait_alu 0xfffd
	v_xor_b32_e32 v5, vcc_lo, v5
	v_cmp_gt_i32_e32 vcc_lo, 0, v7
	v_not_b32_e32 v7, v8
	s_wait_alu 0xf1ff
	v_xor_b32_e32 v30, s20, v30
	v_cmp_gt_i32_e64 s20, 0, v8
	v_and_b32_e32 v5, exec_lo, v5
	v_not_b32_e32 v8, v10
	v_ashrrev_i32_e32 v7, 31, v7
	s_wait_alu 0xfffd
	v_xor_b32_e32 v6, vcc_lo, v6
	v_cmp_gt_i32_e32 vcc_lo, 0, v10
	v_and_b32_e32 v5, v5, v30
	v_not_b32_e32 v10, v11
	v_ashrrev_i32_e32 v8, 31, v8
	s_wait_alu 0xf1ff
	v_xor_b32_e32 v7, s20, v7
	v_cmp_gt_i32_e64 s20, 0, v11
	v_and_b32_e32 v5, v5, v6
	v_not_b32_e32 v6, v29
	v_ashrrev_i32_e32 v10, 31, v10
	s_wait_alu 0xfffd
	v_xor_b32_e32 v8, vcc_lo, v8
	v_cmp_gt_i32_e32 vcc_lo, 0, v29
	v_and_b32_e32 v5, v5, v7
	v_not_b32_e32 v7, v9
	v_ashrrev_i32_e32 v6, 31, v6
	s_wait_alu 0xf1ff
	v_xor_b32_e32 v10, s20, v10
	v_lshlrev_b32_e32 v4, 4, v4
	v_and_b32_e32 v5, v5, v8
	v_cmp_gt_i32_e64 s20, 0, v9
	v_ashrrev_i32_e32 v7, 31, v7
	s_wait_alu 0xfffd
	v_xor_b32_e32 v6, vcc_lo, v6
	v_add_nc_u32_e32 v31, v76, v4
	v_and_b32_e32 v5, v5, v10
	s_wait_alu 0xf1ff
	v_xor_b32_e32 v4, s20, v7
	ds_load_b32 v29, v31 offset:16
	v_and_b32_e32 v5, v5, v6
	; wave barrier
	s_delay_alu instid0(VALU_DEP_1) | instskip(NEXT) | instid1(VALU_DEP_1)
	v_and_b32_e32 v4, v5, v4
	v_mbcnt_lo_u32_b32 v30, v4, 0
	v_cmp_ne_u32_e64 s20, 0, v4
	s_delay_alu instid0(VALU_DEP_2)
	v_cmp_eq_u32_e32 vcc_lo, 0, v30
	s_and_b32 s27, s20, vcc_lo
	s_wait_alu 0xfffe
	s_and_saveexec_b32 s20, s27
	s_cbranch_execz .LBB142_81
; %bb.80:                               ;   in Loop: Header=BB142_67 Depth=1
	s_wait_dscnt 0x0
	v_bcnt_u32_b32 v4, v4, v29
	ds_store_b32 v31, v4 offset:16
.LBB142_81:                             ;   in Loop: Header=BB142_67 Depth=1
	s_wait_alu 0xfffe
	s_or_b32 exec_lo, exec_lo, s20
	v_lshrrev_b64 v[4:5], v37, v[41:42]
	; wave barrier
	s_delay_alu instid0(VALU_DEP_1) | instskip(NEXT) | instid1(VALU_DEP_1)
	v_and_b32_e32 v4, s23, v4
	v_and_b32_e32 v5, 1, v4
	v_lshlrev_b32_e32 v6, 30, v4
	v_lshlrev_b32_e32 v7, 29, v4
	v_lshlrev_b32_e32 v8, 28, v4
	v_lshlrev_b32_e32 v10, 27, v4
	v_add_co_u32 v5, s20, v5, -1
	s_wait_alu 0xf1ff
	v_cndmask_b32_e64 v9, 0, 1, s20
	v_not_b32_e32 v34, v6
	v_cmp_gt_i32_e64 s20, 0, v6
	v_not_b32_e32 v6, v7
	v_lshlrev_b32_e32 v11, 26, v4
	v_cmp_ne_u32_e32 vcc_lo, 0, v9
	v_ashrrev_i32_e32 v34, 31, v34
	v_lshlrev_b32_e32 v33, 25, v4
	v_ashrrev_i32_e32 v6, 31, v6
	v_lshlrev_b32_e32 v9, 24, v4
	s_wait_alu 0xfffd
	v_xor_b32_e32 v5, vcc_lo, v5
	v_cmp_gt_i32_e32 vcc_lo, 0, v7
	v_not_b32_e32 v7, v8
	s_wait_alu 0xf1ff
	v_xor_b32_e32 v34, s20, v34
	v_cmp_gt_i32_e64 s20, 0, v8
	v_and_b32_e32 v5, exec_lo, v5
	v_not_b32_e32 v8, v10
	v_ashrrev_i32_e32 v7, 31, v7
	s_wait_alu 0xfffd
	v_xor_b32_e32 v6, vcc_lo, v6
	v_cmp_gt_i32_e32 vcc_lo, 0, v10
	v_and_b32_e32 v5, v5, v34
	v_not_b32_e32 v10, v11
	v_ashrrev_i32_e32 v8, 31, v8
	s_wait_alu 0xf1ff
	v_xor_b32_e32 v7, s20, v7
	v_cmp_gt_i32_e64 s20, 0, v11
	v_and_b32_e32 v5, v5, v6
	v_not_b32_e32 v6, v33
	v_ashrrev_i32_e32 v10, 31, v10
	s_wait_alu 0xfffd
	v_xor_b32_e32 v8, vcc_lo, v8
	v_cmp_gt_i32_e32 vcc_lo, 0, v33
	v_and_b32_e32 v5, v5, v7
	v_not_b32_e32 v7, v9
	v_ashrrev_i32_e32 v6, 31, v6
	s_wait_alu 0xf1ff
	v_xor_b32_e32 v10, s20, v10
	v_lshlrev_b32_e32 v4, 4, v4
	v_and_b32_e32 v5, v5, v8
	v_cmp_gt_i32_e64 s20, 0, v9
	v_ashrrev_i32_e32 v7, 31, v7
	s_wait_alu 0xfffd
	v_xor_b32_e32 v6, vcc_lo, v6
	v_add_nc_u32_e32 v35, v76, v4
	v_and_b32_e32 v5, v5, v10
	s_wait_alu 0xf1ff
	v_xor_b32_e32 v4, s20, v7
	ds_load_b32 v33, v35 offset:16
	v_and_b32_e32 v5, v5, v6
	; wave barrier
	s_delay_alu instid0(VALU_DEP_1) | instskip(NEXT) | instid1(VALU_DEP_1)
	v_and_b32_e32 v4, v5, v4
	v_mbcnt_lo_u32_b32 v34, v4, 0
	v_cmp_ne_u32_e64 s20, 0, v4
	s_delay_alu instid0(VALU_DEP_2)
	v_cmp_eq_u32_e32 vcc_lo, 0, v34
	s_and_b32 s23, s20, vcc_lo
	s_wait_alu 0xfffe
	s_and_saveexec_b32 s20, s23
	s_cbranch_execz .LBB142_83
; %bb.82:                               ;   in Loop: Header=BB142_67 Depth=1
	s_wait_dscnt 0x0
	v_bcnt_u32_b32 v4, v4, v33
	ds_store_b32 v35, v4 offset:16
.LBB142_83:                             ;   in Loop: Header=BB142_67 Depth=1
	s_wait_alu 0xfffe
	s_or_b32 exec_lo, exec_lo, s20
	; wave barrier
	s_wait_loadcnt_dscnt 0x0
	s_barrier_signal -1
	s_barrier_wait -1
	global_inv scope:SCOPE_SE
	ds_load_b128 v[8:11], v116 offset:16
	ds_load_b128 v[4:7], v116 offset:32
	s_wait_dscnt 0x1
	v_add_nc_u32_e32 v36, v9, v8
	s_delay_alu instid0(VALU_DEP_1) | instskip(SKIP_1) | instid1(VALU_DEP_1)
	v_add3_u32 v36, v36, v10, v11
	s_wait_dscnt 0x0
	v_add3_u32 v36, v36, v4, v5
	s_delay_alu instid0(VALU_DEP_1) | instskip(NEXT) | instid1(VALU_DEP_1)
	v_add3_u32 v7, v36, v6, v7
	v_mov_b32_dpp v36, v7 row_shr:1 row_mask:0xf bank_mask:0xf
	s_delay_alu instid0(VALU_DEP_1) | instskip(NEXT) | instid1(VALU_DEP_1)
	v_cndmask_b32_e64 v36, v36, 0, s8
	v_add_nc_u32_e32 v7, v36, v7
	s_delay_alu instid0(VALU_DEP_1) | instskip(NEXT) | instid1(VALU_DEP_1)
	v_mov_b32_dpp v36, v7 row_shr:2 row_mask:0xf bank_mask:0xf
	v_cndmask_b32_e64 v36, 0, v36, s10
	s_delay_alu instid0(VALU_DEP_1) | instskip(NEXT) | instid1(VALU_DEP_1)
	v_add_nc_u32_e32 v7, v7, v36
	v_mov_b32_dpp v36, v7 row_shr:4 row_mask:0xf bank_mask:0xf
	s_delay_alu instid0(VALU_DEP_1) | instskip(NEXT) | instid1(VALU_DEP_1)
	v_cndmask_b32_e64 v36, 0, v36, s11
	v_add_nc_u32_e32 v7, v7, v36
	s_delay_alu instid0(VALU_DEP_1) | instskip(NEXT) | instid1(VALU_DEP_1)
	v_mov_b32_dpp v36, v7 row_shr:8 row_mask:0xf bank_mask:0xf
	v_cndmask_b32_e64 v36, 0, v36, s12
	s_delay_alu instid0(VALU_DEP_1) | instskip(SKIP_3) | instid1(VALU_DEP_1)
	v_add_nc_u32_e32 v7, v7, v36
	ds_swizzle_b32 v36, v7 offset:swizzle(BROADCAST,32,15)
	s_wait_dscnt 0x0
	v_cndmask_b32_e64 v36, v36, 0, s13
	v_add_nc_u32_e32 v7, v7, v36
	s_and_saveexec_b32 s20, s14
; %bb.84:                               ;   in Loop: Header=BB142_67 Depth=1
	ds_store_b32 v117, v7
; %bb.85:                               ;   in Loop: Header=BB142_67 Depth=1
	s_wait_alu 0xfffe
	s_or_b32 exec_lo, exec_lo, s20
	s_wait_loadcnt_dscnt 0x0
	s_barrier_signal -1
	s_barrier_wait -1
	global_inv scope:SCOPE_SE
	s_and_saveexec_b32 s20, s15
	s_cbranch_execz .LBB142_87
; %bb.86:                               ;   in Loop: Header=BB142_67 Depth=1
	ds_load_b32 v36, v77
	s_wait_dscnt 0x0
	v_mov_b32_dpp v78, v36 row_shr:1 row_mask:0xf bank_mask:0xf
	s_delay_alu instid0(VALU_DEP_1) | instskip(NEXT) | instid1(VALU_DEP_1)
	v_cndmask_b32_e64 v78, v78, 0, s18
	v_add_nc_u32_e32 v36, v78, v36
	s_delay_alu instid0(VALU_DEP_1) | instskip(NEXT) | instid1(VALU_DEP_1)
	v_mov_b32_dpp v78, v36 row_shr:2 row_mask:0xf bank_mask:0xf
	v_cndmask_b32_e64 v78, 0, v78, s19
	s_delay_alu instid0(VALU_DEP_1)
	v_add_nc_u32_e32 v36, v36, v78
	ds_store_b32 v77, v36
.LBB142_87:                             ;   in Loop: Header=BB142_67 Depth=1
	s_wait_alu 0xfffe
	s_or_b32 exec_lo, exec_lo, s20
	v_mov_b32_e32 v36, 0
	s_wait_loadcnt_dscnt 0x0
	s_barrier_signal -1
	s_barrier_wait -1
	global_inv scope:SCOPE_SE
	s_and_saveexec_b32 s20, s16
; %bb.88:                               ;   in Loop: Header=BB142_67 Depth=1
	ds_load_b32 v36, v74
; %bb.89:                               ;   in Loop: Header=BB142_67 Depth=1
	s_wait_alu 0xfffe
	s_or_b32 exec_lo, exec_lo, s20
	s_wait_dscnt 0x0
	v_add_nc_u32_e32 v7, v36, v7
	v_cmp_lt_u32_e32 vcc_lo, 55, v37
	s_mov_b32 s20, -1
	ds_bpermute_b32 v7, v32, v7
	s_and_b32 vcc_lo, exec_lo, vcc_lo
	s_wait_dscnt 0x0
	v_cndmask_b32_e64 v7, v7, v36, s9
	s_delay_alu instid0(VALU_DEP_1) | instskip(NEXT) | instid1(VALU_DEP_1)
	v_cndmask_b32_e64 v7, v7, 0, s17
	v_add_nc_u32_e32 v8, v7, v8
	s_delay_alu instid0(VALU_DEP_1) | instskip(NEXT) | instid1(VALU_DEP_1)
	v_add_nc_u32_e32 v9, v8, v9
	v_add_nc_u32_e32 v10, v9, v10
	s_delay_alu instid0(VALU_DEP_1) | instskip(NEXT) | instid1(VALU_DEP_1)
	v_add_nc_u32_e32 v78, v10, v11
	;; [unrolled: 3-line block ×3, first 2 shown]
	v_add_nc_u32_e32 v81, v80, v6
	ds_store_b128 v116, v[7:10] offset:16
	ds_store_b128 v116, v[78:81] offset:32
	s_wait_loadcnt_dscnt 0x0
	s_barrier_signal -1
	s_barrier_wait -1
	global_inv scope:SCOPE_SE
	ds_load_b32 v4, v13 offset:16
	ds_load_b32 v5, v16 offset:16
	;; [unrolled: 1-line block ×8, first 2 shown]
	s_wait_dscnt 0x7
	v_add_nc_u32_e32 v85, v4, v12
	s_wait_dscnt 0x6
	v_add3_u32 v84, v15, v14, v5
	s_wait_dscnt 0x5
	v_add3_u32 v83, v18, v17, v6
	;; [unrolled: 2-line block ×7, first 2 shown]
                                        ; implicit-def: $vgpr35_vgpr36
                                        ; implicit-def: $vgpr14_vgpr15
                                        ; implicit-def: $vgpr10_vgpr11
                                        ; implicit-def: $vgpr6_vgpr7
                                        ; implicit-def: $vgpr30_vgpr31
                                        ; implicit-def: $vgpr26_vgpr27
                                        ; implicit-def: $vgpr22_vgpr23
                                        ; implicit-def: $vgpr18_vgpr19
	s_wait_alu 0xfffe
	s_cbranch_vccnz .LBB142_66
; %bb.90:                               ;   in Loop: Header=BB142_67 Depth=1
	v_lshlrev_b32_e32 v16, 3, v85
	v_lshlrev_b32_e32 v19, 3, v82
	;; [unrolled: 1-line block ×8, first 2 shown]
	s_wait_loadcnt 0x0
	s_barrier_signal -1
	s_barrier_wait -1
	global_inv scope:SCOPE_SE
	ds_store_b64 v16, v[39:40]
	ds_store_b64 v17, v[70:71]
	;; [unrolled: 1-line block ×8, first 2 shown]
	s_wait_loadcnt_dscnt 0x0
	s_barrier_signal -1
	s_barrier_wait -1
	global_inv scope:SCOPE_SE
	ds_load_2addr_b64 v[4:7], v75 offset1:32
	ds_load_2addr_b64 v[8:11], v75 offset0:64 offset1:96
	ds_load_2addr_b64 v[12:15], v75 offset0:128 offset1:160
	;; [unrolled: 1-line block ×3, first 2 shown]
	s_wait_loadcnt_dscnt 0x0
	s_barrier_signal -1
	s_barrier_wait -1
	global_inv scope:SCOPE_SE
	ds_store_b64 v16, v[61:62]
	ds_store_b64 v17, v[59:60]
	;; [unrolled: 1-line block ×8, first 2 shown]
	s_wait_loadcnt_dscnt 0x0
	s_barrier_signal -1
	s_barrier_wait -1
	global_inv scope:SCOPE_SE
	ds_load_2addr_b64 v[16:19], v75 offset1:32
	ds_load_2addr_b64 v[20:23], v75 offset0:64 offset1:96
	ds_load_2addr_b64 v[24:27], v75 offset0:128 offset1:160
	;; [unrolled: 1-line block ×3, first 2 shown]
	v_add_co_u32 v37, vcc_lo, v37, 8
	s_wait_alu 0xfffd
	v_add_co_ci_u32_e64 v38, null, 0, v38, vcc_lo
	s_add_co_i32 s22, s22, -8
	s_mov_b32 s20, 0
	s_wait_loadcnt_dscnt 0x0
	s_barrier_signal -1
	s_barrier_wait -1
	global_inv scope:SCOPE_SE
	s_branch .LBB142_66
.LBB142_91:
	v_lshlrev_b32_e32 v16, 3, v85
	v_lshlrev_b32_e32 v19, 3, v82
	;; [unrolled: 1-line block ×9, first 2 shown]
	s_wait_loadcnt 0x0
	s_barrier_signal -1
	s_barrier_wait -1
	global_inv scope:SCOPE_SE
	ds_store_b64 v16, v[39:40]
	ds_store_b64 v17, v[70:71]
	;; [unrolled: 1-line block ×8, first 2 shown]
	s_wait_loadcnt_dscnt 0x0
	s_barrier_signal -1
	s_barrier_wait -1
	global_inv scope:SCOPE_SE
	ds_load_b128 v[0:3], v24
	ds_load_b128 v[4:7], v24 offset:16
	ds_load_b128 v[8:11], v24 offset:32
	ds_load_b128 v[12:15], v24 offset:48
	s_wait_loadcnt_dscnt 0x0
	s_barrier_signal -1
	s_barrier_wait -1
	global_inv scope:SCOPE_SE
	ds_store_b64 v16, v[61:62]
	ds_store_b64 v17, v[59:60]
	;; [unrolled: 1-line block ×8, first 2 shown]
	s_wait_loadcnt_dscnt 0x0
	s_barrier_signal -1
	s_barrier_wait -1
	global_inv scope:SCOPE_SE
	ds_load_b128 v[45:48], v24
	ds_load_b128 v[41:44], v24 offset:16
	ds_load_b128 v[37:40], v24 offset:32
	;; [unrolled: 1-line block ×3, first 2 shown]
	v_xor_b32_e32 v50, 0x7fffffff, v1
	v_xor_b32_e32 v49, -1, v0
	v_xor_b32_e32 v52, 0x7fffffff, v3
	v_xor_b32_e32 v51, -1, v2
	;; [unrolled: 2-line block ×8, first 2 shown]
.LBB142_92:
	s_wait_loadcnt_dscnt 0x0
	s_barrier_signal -1
	s_barrier_wait -1
	global_inv scope:SCOPE_SE
	ds_store_2addr_b64 v115, v[49:50], v[51:52] offset1:1
	ds_store_2addr_b64 v115, v[53:54], v[55:56] offset0:2 offset1:3
	ds_store_2addr_b64 v115, v[57:58], v[59:60] offset0:4 offset1:5
	;; [unrolled: 1-line block ×3, first 2 shown]
	s_wait_loadcnt_dscnt 0x0
	s_barrier_signal -1
	s_barrier_wait -1
	global_inv scope:SCOPE_SE
	ds_load_b64 v[14:15], v108 offset:1024
	ds_load_b64 v[12:13], v109 offset:2048
	;; [unrolled: 1-line block ×7, first 2 shown]
	v_mov_b32_e32 v73, 0
	s_delay_alu instid0(VALU_DEP_1) | instskip(NEXT) | instid1(VALU_DEP_1)
	v_lshlrev_b64_e32 v[2:3], 3, v[72:73]
	v_add_co_u32 v2, vcc_lo, s30, v2
	s_wait_alu 0xfffd
	s_delay_alu instid0(VALU_DEP_2)
	v_add_co_ci_u32_e64 v3, null, s31, v3, vcc_lo
	s_and_saveexec_b32 s8, s0
	s_cbranch_execnz .LBB142_111
; %bb.93:
	s_wait_alu 0xfffe
	s_or_b32 exec_lo, exec_lo, s8
	s_and_saveexec_b32 s8, s1
	s_cbranch_execnz .LBB142_112
.LBB142_94:
	s_wait_alu 0xfffe
	s_or_b32 exec_lo, exec_lo, s8
	s_and_saveexec_b32 s8, s2
	s_cbranch_execnz .LBB142_113
.LBB142_95:
	s_wait_alu 0xfffe
	s_or_b32 exec_lo, exec_lo, s8
	s_and_saveexec_b32 s8, s3
	s_cbranch_execnz .LBB142_114
.LBB142_96:
	s_wait_alu 0xfffe
	s_or_b32 exec_lo, exec_lo, s8
	s_and_saveexec_b32 s8, s4
	s_cbranch_execnz .LBB142_115
.LBB142_97:
	s_wait_alu 0xfffe
	s_or_b32 exec_lo, exec_lo, s8
	s_and_saveexec_b32 s8, s5
	s_cbranch_execnz .LBB142_116
.LBB142_98:
	s_wait_alu 0xfffe
	s_or_b32 exec_lo, exec_lo, s8
	s_and_saveexec_b32 s8, s6
	s_cbranch_execnz .LBB142_117
.LBB142_99:
	s_wait_alu 0xfffe
	s_or_b32 exec_lo, exec_lo, s8
	s_and_saveexec_b32 s8, s7
	s_cbranch_execz .LBB142_101
.LBB142_100:
	s_mul_i32 s10, s26, 0x380
	s_mov_b32 s11, 0
	s_wait_alu 0xfffe
	s_lshl_b64 s[10:11], s[10:11], 3
	s_wait_alu 0xfffe
	v_add_co_u32 v2, vcc_lo, v2, s10
	s_wait_alu 0xfffd
	v_add_co_ci_u32_e64 v3, null, s11, v3, vcc_lo
	s_wait_dscnt 0x0
	global_store_b64 v[2:3], v[0:1], off
.LBB142_101:
	s_wait_alu 0xfffe
	s_or_b32 exec_lo, exec_lo, s8
	s_wait_storecnt 0x0
	s_wait_loadcnt_dscnt 0x0
	s_barrier_signal -1
	s_barrier_wait -1
	global_inv scope:SCOPE_SE
	ds_store_2addr_b64 v115, v[45:46], v[47:48] offset1:1
	ds_store_2addr_b64 v115, v[41:42], v[43:44] offset0:2 offset1:3
	ds_store_2addr_b64 v115, v[37:38], v[39:40] offset0:4 offset1:5
	;; [unrolled: 1-line block ×3, first 2 shown]
	s_wait_loadcnt_dscnt 0x0
	s_barrier_signal -1
	s_barrier_wait -1
	global_inv scope:SCOPE_SE
	ds_load_b64 v[14:15], v108 offset:1024
	ds_load_b64 v[12:13], v109 offset:2048
	;; [unrolled: 1-line block ×7, first 2 shown]
	v_mov_b32_e32 v70, 0
	s_delay_alu instid0(VALU_DEP_1) | instskip(NEXT) | instid1(VALU_DEP_1)
	v_lshlrev_b64_e32 v[2:3], 3, v[69:70]
	v_add_co_u32 v2, vcc_lo, s24, v2
	s_wait_alu 0xfffd
	s_delay_alu instid0(VALU_DEP_2)
	v_add_co_ci_u32_e64 v3, null, s25, v3, vcc_lo
	s_and_saveexec_b32 s8, s0
	s_cbranch_execnz .LBB142_118
; %bb.102:
	s_wait_alu 0xfffe
	s_or_b32 exec_lo, exec_lo, s8
	s_and_saveexec_b32 s0, s1
	s_cbranch_execnz .LBB142_119
.LBB142_103:
	s_or_b32 exec_lo, exec_lo, s0
	s_and_saveexec_b32 s0, s2
	s_cbranch_execnz .LBB142_120
.LBB142_104:
	s_or_b32 exec_lo, exec_lo, s0
	s_and_saveexec_b32 s0, s3
	s_cbranch_execnz .LBB142_121
.LBB142_105:
	s_or_b32 exec_lo, exec_lo, s0
	s_and_saveexec_b32 s0, s4
	s_cbranch_execnz .LBB142_122
.LBB142_106:
	s_or_b32 exec_lo, exec_lo, s0
	s_and_saveexec_b32 s0, s5
	s_cbranch_execnz .LBB142_123
.LBB142_107:
	s_or_b32 exec_lo, exec_lo, s0
	s_and_saveexec_b32 s0, s6
	s_cbranch_execnz .LBB142_124
.LBB142_108:
	s_or_b32 exec_lo, exec_lo, s0
	s_and_saveexec_b32 s0, s7
	s_cbranch_execz .LBB142_110
.LBB142_109:
	s_mul_i32 s0, s28, 0x380
	s_mov_b32 s1, 0
	s_delay_alu instid0(SALU_CYCLE_1) | instskip(NEXT) | instid1(SALU_CYCLE_1)
	s_lshl_b64 s[0:1], s[0:1], 3
	v_add_co_u32 v2, vcc_lo, v2, s0
	s_wait_alu 0xfffd
	v_add_co_ci_u32_e64 v3, null, s1, v3, vcc_lo
	s_wait_dscnt 0x0
	global_store_b64 v[2:3], v[0:1], off
.LBB142_110:
	s_nop 0
	s_sendmsg sendmsg(MSG_DEALLOC_VGPRS)
	s_endpgm
.LBB142_111:
	ds_load_b64 v[16:17], v107
	s_wait_dscnt 0x0
	global_store_b64 v[2:3], v[16:17], off
	s_wait_alu 0xfffe
	s_or_b32 exec_lo, exec_lo, s8
	s_and_saveexec_b32 s8, s1
	s_cbranch_execz .LBB142_94
.LBB142_112:
	s_lshl_b32 s10, s26, 7
	s_mov_b32 s11, 0
	s_wait_alu 0xfffe
	s_lshl_b64 s[10:11], s[10:11], 3
	s_wait_alu 0xfffe
	v_add_co_u32 v16, vcc_lo, v2, s10
	s_wait_alu 0xfffd
	v_add_co_ci_u32_e64 v17, null, s11, v3, vcc_lo
	s_wait_dscnt 0x6
	global_store_b64 v[16:17], v[14:15], off
	s_or_b32 exec_lo, exec_lo, s8
	s_and_saveexec_b32 s8, s2
	s_cbranch_execz .LBB142_95
.LBB142_113:
	s_lshl_b32 s10, s26, 8
	s_mov_b32 s11, 0
	s_wait_alu 0xfffe
	s_lshl_b64 s[10:11], s[10:11], 3
	s_wait_dscnt 0x6
	s_wait_alu 0xfffe
	v_add_co_u32 v14, vcc_lo, v2, s10
	s_wait_alu 0xfffd
	v_add_co_ci_u32_e64 v15, null, s11, v3, vcc_lo
	s_wait_dscnt 0x5
	global_store_b64 v[14:15], v[12:13], off
	s_or_b32 exec_lo, exec_lo, s8
	s_and_saveexec_b32 s8, s3
	s_cbranch_execz .LBB142_96
.LBB142_114:
	s_mul_i32 s10, s26, 0x180
	s_mov_b32 s11, 0
	s_wait_alu 0xfffe
	s_lshl_b64 s[10:11], s[10:11], 3
	s_wait_dscnt 0x5
	s_wait_alu 0xfffe
	v_add_co_u32 v12, vcc_lo, v2, s10
	s_wait_alu 0xfffd
	v_add_co_ci_u32_e64 v13, null, s11, v3, vcc_lo
	s_wait_dscnt 0x4
	global_store_b64 v[12:13], v[10:11], off
	s_or_b32 exec_lo, exec_lo, s8
	s_and_saveexec_b32 s8, s4
	s_cbranch_execz .LBB142_97
.LBB142_115:
	s_lshl_b32 s10, s26, 9
	s_mov_b32 s11, 0
	s_wait_alu 0xfffe
	s_lshl_b64 s[10:11], s[10:11], 3
	s_wait_dscnt 0x4
	s_wait_alu 0xfffe
	v_add_co_u32 v10, vcc_lo, v2, s10
	s_wait_alu 0xfffd
	v_add_co_ci_u32_e64 v11, null, s11, v3, vcc_lo
	s_wait_dscnt 0x3
	global_store_b64 v[10:11], v[8:9], off
	s_or_b32 exec_lo, exec_lo, s8
	s_and_saveexec_b32 s8, s5
	s_cbranch_execz .LBB142_98
.LBB142_116:
	s_mul_i32 s10, s26, 0x280
	s_mov_b32 s11, 0
	s_wait_alu 0xfffe
	s_lshl_b64 s[10:11], s[10:11], 3
	s_wait_dscnt 0x3
	s_wait_alu 0xfffe
	v_add_co_u32 v8, vcc_lo, v2, s10
	s_wait_alu 0xfffd
	v_add_co_ci_u32_e64 v9, null, s11, v3, vcc_lo
	s_wait_dscnt 0x2
	global_store_b64 v[8:9], v[6:7], off
	s_or_b32 exec_lo, exec_lo, s8
	s_and_saveexec_b32 s8, s6
	s_cbranch_execz .LBB142_99
.LBB142_117:
	s_mul_i32 s10, s26, 0x300
	s_mov_b32 s11, 0
	s_wait_alu 0xfffe
	s_lshl_b64 s[10:11], s[10:11], 3
	s_wait_dscnt 0x2
	s_wait_alu 0xfffe
	v_add_co_u32 v6, vcc_lo, v2, s10
	s_wait_alu 0xfffd
	v_add_co_ci_u32_e64 v7, null, s11, v3, vcc_lo
	s_wait_dscnt 0x1
	global_store_b64 v[6:7], v[4:5], off
	s_or_b32 exec_lo, exec_lo, s8
	s_and_saveexec_b32 s8, s7
	s_cbranch_execnz .LBB142_100
	s_branch .LBB142_101
.LBB142_118:
	ds_load_b64 v[16:17], v107
	s_wait_dscnt 0x0
	global_store_b64 v[2:3], v[16:17], off
	s_wait_alu 0xfffe
	s_or_b32 exec_lo, exec_lo, s8
	s_and_saveexec_b32 s0, s1
	s_cbranch_execz .LBB142_103
.LBB142_119:
	s_lshl_b32 s8, s28, 7
	s_mov_b32 s9, 0
	s_wait_alu 0xfffe
	s_lshl_b64 s[8:9], s[8:9], 3
	s_wait_alu 0xfffe
	v_add_co_u32 v16, vcc_lo, v2, s8
	s_wait_alu 0xfffd
	v_add_co_ci_u32_e64 v17, null, s9, v3, vcc_lo
	s_wait_dscnt 0x6
	global_store_b64 v[16:17], v[14:15], off
	s_or_b32 exec_lo, exec_lo, s0
	s_and_saveexec_b32 s0, s2
	s_cbranch_execz .LBB142_104
.LBB142_120:
	s_lshl_b32 s8, s28, 8
	s_mov_b32 s9, 0
	s_wait_alu 0xfffe
	s_lshl_b64 s[8:9], s[8:9], 3
	s_wait_dscnt 0x6
	s_wait_alu 0xfffe
	v_add_co_u32 v14, vcc_lo, v2, s8
	s_wait_alu 0xfffd
	v_add_co_ci_u32_e64 v15, null, s9, v3, vcc_lo
	s_wait_dscnt 0x5
	global_store_b64 v[14:15], v[12:13], off
	s_or_b32 exec_lo, exec_lo, s0
	s_and_saveexec_b32 s0, s3
	s_cbranch_execz .LBB142_105
.LBB142_121:
	s_mul_i32 s2, s28, 0x180
	s_mov_b32 s3, 0
	s_delay_alu instid0(SALU_CYCLE_1)
	s_lshl_b64 s[2:3], s[2:3], 3
	s_wait_dscnt 0x5
	v_add_co_u32 v12, vcc_lo, v2, s2
	s_wait_alu 0xfffd
	v_add_co_ci_u32_e64 v13, null, s3, v3, vcc_lo
	s_wait_dscnt 0x4
	global_store_b64 v[12:13], v[10:11], off
	s_or_b32 exec_lo, exec_lo, s0
	s_and_saveexec_b32 s0, s4
	s_cbranch_execz .LBB142_106
.LBB142_122:
	s_lshl_b32 s2, s28, 9
	s_mov_b32 s3, 0
	s_wait_alu 0xfffe
	s_lshl_b64 s[2:3], s[2:3], 3
	s_wait_dscnt 0x4
	s_wait_alu 0xfffe
	v_add_co_u32 v10, vcc_lo, v2, s2
	s_wait_alu 0xfffd
	v_add_co_ci_u32_e64 v11, null, s3, v3, vcc_lo
	s_wait_dscnt 0x3
	global_store_b64 v[10:11], v[8:9], off
	s_or_b32 exec_lo, exec_lo, s0
	s_and_saveexec_b32 s0, s5
	s_cbranch_execz .LBB142_107
.LBB142_123:
	s_mul_i32 s2, s28, 0x280
	s_mov_b32 s3, 0
	s_wait_alu 0xfffe
	s_lshl_b64 s[2:3], s[2:3], 3
	s_wait_dscnt 0x3
	s_wait_alu 0xfffe
	v_add_co_u32 v8, vcc_lo, v2, s2
	s_wait_alu 0xfffd
	v_add_co_ci_u32_e64 v9, null, s3, v3, vcc_lo
	s_wait_dscnt 0x2
	global_store_b64 v[8:9], v[6:7], off
	s_or_b32 exec_lo, exec_lo, s0
	s_and_saveexec_b32 s0, s6
	s_cbranch_execz .LBB142_108
.LBB142_124:
	s_mul_i32 s2, s28, 0x300
	s_mov_b32 s3, 0
	s_wait_alu 0xfffe
	s_lshl_b64 s[2:3], s[2:3], 3
	s_wait_dscnt 0x2
	s_wait_alu 0xfffe
	v_add_co_u32 v6, vcc_lo, v2, s2
	s_wait_alu 0xfffd
	v_add_co_ci_u32_e64 v7, null, s3, v3, vcc_lo
	s_wait_dscnt 0x1
	global_store_b64 v[6:7], v[4:5], off
	s_or_b32 exec_lo, exec_lo, s0
	s_and_saveexec_b32 s0, s7
	s_cbranch_execnz .LBB142_109
	s_branch .LBB142_110
	.section	.rodata,"a",@progbits
	.p2align	6, 0x0
	.amdhsa_kernel _ZN2at6native18radixSortKVInPlaceILin2ELin1ELi128ELi8ElljEEvNS_4cuda6detail10TensorInfoIT3_T5_EES6_S6_S6_NS4_IT4_S6_EES6_b
		.amdhsa_group_segment_fixed_size 8448
		.amdhsa_private_segment_fixed_size 0
		.amdhsa_kernarg_size 712
		.amdhsa_user_sgpr_count 2
		.amdhsa_user_sgpr_dispatch_ptr 0
		.amdhsa_user_sgpr_queue_ptr 0
		.amdhsa_user_sgpr_kernarg_segment_ptr 1
		.amdhsa_user_sgpr_dispatch_id 0
		.amdhsa_user_sgpr_private_segment_size 0
		.amdhsa_wavefront_size32 1
		.amdhsa_uses_dynamic_stack 0
		.amdhsa_enable_private_segment 0
		.amdhsa_system_sgpr_workgroup_id_x 1
		.amdhsa_system_sgpr_workgroup_id_y 1
		.amdhsa_system_sgpr_workgroup_id_z 1
		.amdhsa_system_sgpr_workgroup_info 0
		.amdhsa_system_vgpr_workitem_id 2
		.amdhsa_next_free_vgpr 141
		.amdhsa_next_free_sgpr 40
		.amdhsa_reserve_vcc 1
		.amdhsa_float_round_mode_32 0
		.amdhsa_float_round_mode_16_64 0
		.amdhsa_float_denorm_mode_32 3
		.amdhsa_float_denorm_mode_16_64 3
		.amdhsa_fp16_overflow 0
		.amdhsa_workgroup_processor_mode 1
		.amdhsa_memory_ordered 1
		.amdhsa_forward_progress 1
		.amdhsa_inst_pref_size 114
		.amdhsa_round_robin_scheduling 0
		.amdhsa_exception_fp_ieee_invalid_op 0
		.amdhsa_exception_fp_denorm_src 0
		.amdhsa_exception_fp_ieee_div_zero 0
		.amdhsa_exception_fp_ieee_overflow 0
		.amdhsa_exception_fp_ieee_underflow 0
		.amdhsa_exception_fp_ieee_inexact 0
		.amdhsa_exception_int_div_zero 0
	.end_amdhsa_kernel
	.section	.text._ZN2at6native18radixSortKVInPlaceILin2ELin1ELi128ELi8ElljEEvNS_4cuda6detail10TensorInfoIT3_T5_EES6_S6_S6_NS4_IT4_S6_EES6_b,"axG",@progbits,_ZN2at6native18radixSortKVInPlaceILin2ELin1ELi128ELi8ElljEEvNS_4cuda6detail10TensorInfoIT3_T5_EES6_S6_S6_NS4_IT4_S6_EES6_b,comdat
.Lfunc_end142:
	.size	_ZN2at6native18radixSortKVInPlaceILin2ELin1ELi128ELi8ElljEEvNS_4cuda6detail10TensorInfoIT3_T5_EES6_S6_S6_NS4_IT4_S6_EES6_b, .Lfunc_end142-_ZN2at6native18radixSortKVInPlaceILin2ELin1ELi128ELi8ElljEEvNS_4cuda6detail10TensorInfoIT3_T5_EES6_S6_S6_NS4_IT4_S6_EES6_b
                                        ; -- End function
	.set _ZN2at6native18radixSortKVInPlaceILin2ELin1ELi128ELi8ElljEEvNS_4cuda6detail10TensorInfoIT3_T5_EES6_S6_S6_NS4_IT4_S6_EES6_b.num_vgpr, 141
	.set _ZN2at6native18radixSortKVInPlaceILin2ELin1ELi128ELi8ElljEEvNS_4cuda6detail10TensorInfoIT3_T5_EES6_S6_S6_NS4_IT4_S6_EES6_b.num_agpr, 0
	.set _ZN2at6native18radixSortKVInPlaceILin2ELin1ELi128ELi8ElljEEvNS_4cuda6detail10TensorInfoIT3_T5_EES6_S6_S6_NS4_IT4_S6_EES6_b.numbered_sgpr, 40
	.set _ZN2at6native18radixSortKVInPlaceILin2ELin1ELi128ELi8ElljEEvNS_4cuda6detail10TensorInfoIT3_T5_EES6_S6_S6_NS4_IT4_S6_EES6_b.num_named_barrier, 0
	.set _ZN2at6native18radixSortKVInPlaceILin2ELin1ELi128ELi8ElljEEvNS_4cuda6detail10TensorInfoIT3_T5_EES6_S6_S6_NS4_IT4_S6_EES6_b.private_seg_size, 0
	.set _ZN2at6native18radixSortKVInPlaceILin2ELin1ELi128ELi8ElljEEvNS_4cuda6detail10TensorInfoIT3_T5_EES6_S6_S6_NS4_IT4_S6_EES6_b.uses_vcc, 1
	.set _ZN2at6native18radixSortKVInPlaceILin2ELin1ELi128ELi8ElljEEvNS_4cuda6detail10TensorInfoIT3_T5_EES6_S6_S6_NS4_IT4_S6_EES6_b.uses_flat_scratch, 0
	.set _ZN2at6native18radixSortKVInPlaceILin2ELin1ELi128ELi8ElljEEvNS_4cuda6detail10TensorInfoIT3_T5_EES6_S6_S6_NS4_IT4_S6_EES6_b.has_dyn_sized_stack, 0
	.set _ZN2at6native18radixSortKVInPlaceILin2ELin1ELi128ELi8ElljEEvNS_4cuda6detail10TensorInfoIT3_T5_EES6_S6_S6_NS4_IT4_S6_EES6_b.has_recursion, 0
	.set _ZN2at6native18radixSortKVInPlaceILin2ELin1ELi128ELi8ElljEEvNS_4cuda6detail10TensorInfoIT3_T5_EES6_S6_S6_NS4_IT4_S6_EES6_b.has_indirect_call, 0
	.section	.AMDGPU.csdata,"",@progbits
; Kernel info:
; codeLenInByte = 14544
; TotalNumSgprs: 42
; NumVgprs: 141
; ScratchSize: 0
; MemoryBound: 0
; FloatMode: 240
; IeeeMode: 1
; LDSByteSize: 8448 bytes/workgroup (compile time only)
; SGPRBlocks: 0
; VGPRBlocks: 17
; NumSGPRsForWavesPerEU: 42
; NumVGPRsForWavesPerEU: 141
; Occupancy: 10
; WaveLimiterHint : 1
; COMPUTE_PGM_RSRC2:SCRATCH_EN: 0
; COMPUTE_PGM_RSRC2:USER_SGPR: 2
; COMPUTE_PGM_RSRC2:TRAP_HANDLER: 0
; COMPUTE_PGM_RSRC2:TGID_X_EN: 1
; COMPUTE_PGM_RSRC2:TGID_Y_EN: 1
; COMPUTE_PGM_RSRC2:TGID_Z_EN: 1
; COMPUTE_PGM_RSRC2:TIDIG_COMP_CNT: 2
	.section	.text._ZN2at6native18radixSortKVInPlaceILin2ELin1ELi32ELi4ElljEEvNS_4cuda6detail10TensorInfoIT3_T5_EES6_S6_S6_NS4_IT4_S6_EES6_b,"axG",@progbits,_ZN2at6native18radixSortKVInPlaceILin2ELin1ELi32ELi4ElljEEvNS_4cuda6detail10TensorInfoIT3_T5_EES6_S6_S6_NS4_IT4_S6_EES6_b,comdat
	.protected	_ZN2at6native18radixSortKVInPlaceILin2ELin1ELi32ELi4ElljEEvNS_4cuda6detail10TensorInfoIT3_T5_EES6_S6_S6_NS4_IT4_S6_EES6_b ; -- Begin function _ZN2at6native18radixSortKVInPlaceILin2ELin1ELi32ELi4ElljEEvNS_4cuda6detail10TensorInfoIT3_T5_EES6_S6_S6_NS4_IT4_S6_EES6_b
	.globl	_ZN2at6native18radixSortKVInPlaceILin2ELin1ELi32ELi4ElljEEvNS_4cuda6detail10TensorInfoIT3_T5_EES6_S6_S6_NS4_IT4_S6_EES6_b
	.p2align	8
	.type	_ZN2at6native18radixSortKVInPlaceILin2ELin1ELi32ELi4ElljEEvNS_4cuda6detail10TensorInfoIT3_T5_EES6_S6_S6_NS4_IT4_S6_EES6_b,@function
_ZN2at6native18radixSortKVInPlaceILin2ELin1ELi32ELi4ElljEEvNS_4cuda6detail10TensorInfoIT3_T5_EES6_S6_S6_NS4_IT4_S6_EES6_b: ; @_ZN2at6native18radixSortKVInPlaceILin2ELin1ELi32ELi4ElljEEvNS_4cuda6detail10TensorInfoIT3_T5_EES6_S6_S6_NS4_IT4_S6_EES6_b
; %bb.0:
	s_clause 0x1
	s_load_b64 s[2:3], s[0:1], 0x1c8
	s_load_b96 s[12:14], s[0:1], 0xd8
	s_lshr_b32 s4, ttmp7, 16
	s_wait_kmcnt 0x0
	s_mul_i32 s3, s3, s4
	s_and_b32 s4, ttmp7, 0xffff
	s_delay_alu instid0(SALU_CYCLE_1) | instskip(NEXT) | instid1(SALU_CYCLE_1)
	s_add_co_i32 s3, s3, s4
	s_mul_i32 s4, s3, s2
	s_delay_alu instid0(SALU_CYCLE_1) | instskip(NEXT) | instid1(SALU_CYCLE_1)
	s_add_co_i32 s4, s4, ttmp9
	s_cmp_ge_u32 s4, s12
	s_cbranch_scc1 .LBB143_62
; %bb.1:
	s_load_b32 s2, s[0:1], 0x1b8
	s_add_nc_u64 s[24:25], s[0:1], 0xe8
	s_mov_b32 s23, 0
	s_mov_b32 s12, s4
	s_wait_kmcnt 0x0
	s_cmp_lt_i32 s2, 2
	s_cbranch_scc1 .LBB143_4
; %bb.2:
	s_add_co_i32 s22, s2, -1
	s_add_co_i32 s5, s2, 1
	s_lshl_b64 s[6:7], s[22:23], 2
	s_mov_b32 s12, s4
	s_add_nc_u64 s[6:7], s[24:25], s[6:7]
	s_delay_alu instid0(SALU_CYCLE_1)
	s_add_nc_u64 s[2:3], s[6:7], 8
.LBB143_3:                              ; =>This Inner Loop Header: Depth=1
	s_clause 0x1
	s_load_b32 s6, s[2:3], 0x0
	s_load_b32 s7, s[2:3], 0x64
	s_mov_b32 s10, s12
	s_add_nc_u64 s[2:3], s[2:3], -4
	s_wait_kmcnt 0x0
	s_cvt_f32_u32 s8, s6
	s_sub_co_i32 s9, 0, s6
	s_wait_alu 0xfffe
	s_delay_alu instid0(SALU_CYCLE_1) | instskip(NEXT) | instid1(TRANS32_DEP_1)
	v_rcp_iflag_f32_e32 v1, s8
	v_readfirstlane_b32 s8, v1
	s_mul_f32 s8, s8, 0x4f7ffffe
	s_wait_alu 0xfffe
	s_delay_alu instid0(SALU_CYCLE_2) | instskip(SKIP_1) | instid1(SALU_CYCLE_2)
	s_cvt_u32_f32 s8, s8
	s_wait_alu 0xfffe
	s_mul_i32 s9, s9, s8
	s_wait_alu 0xfffe
	s_mul_hi_u32 s9, s8, s9
	s_wait_alu 0xfffe
	s_add_co_i32 s8, s8, s9
	s_wait_alu 0xfffe
	s_mul_hi_u32 s8, s12, s8
	s_wait_alu 0xfffe
	s_mul_i32 s9, s8, s6
	s_add_co_i32 s11, s8, 1
	s_wait_alu 0xfffe
	s_sub_co_i32 s9, s12, s9
	s_wait_alu 0xfffe
	s_sub_co_i32 s12, s9, s6
	s_cmp_ge_u32 s9, s6
	s_cselect_b32 s8, s11, s8
	s_cselect_b32 s9, s12, s9
	s_wait_alu 0xfffe
	s_add_co_i32 s11, s8, 1
	s_cmp_ge_u32 s9, s6
	s_cselect_b32 s12, s11, s8
	s_add_co_i32 s5, s5, -1
	s_mul_i32 s6, s12, s6
	s_delay_alu instid0(SALU_CYCLE_1) | instskip(NEXT) | instid1(SALU_CYCLE_1)
	s_sub_co_i32 s6, s10, s6
	s_mul_i32 s6, s7, s6
	s_delay_alu instid0(SALU_CYCLE_1)
	s_add_co_i32 s23, s6, s23
	s_cmp_gt_u32 s5, 2
	s_cbranch_scc1 .LBB143_3
.LBB143_4:
	s_clause 0x2
	s_load_b64 s[16:17], s[0:1], 0x1c0
	s_load_b64 s[2:3], s[0:1], 0x0
	s_load_b32 s5, s[0:1], 0x6c
	s_add_nc_u64 s[20:21], s[0:1], 0x1c8
	s_mov_b32 s1, 0
	s_wait_kmcnt 0x0
	s_bitcmp1_b32 s17, 0
	s_mul_i32 s0, s5, s4
	s_cselect_b32 s15, -1, 0
	s_brev_b32 s5, 1
	s_lshl_b64 s[18:19], s[0:1], 3
	s_and_b32 s0, s15, exec_lo
	s_cselect_b32 s4, 0, -1
	s_cselect_b32 s5, s5, 0x7fffffff
	s_mov_b32 s6, s4
	s_mov_b32 s7, s5
	;; [unrolled: 1-line block ×6, first 2 shown]
	v_and_b32_e32 v37, 0x3ff, v0
	v_dual_mov_b32 v1, s4 :: v_dual_mov_b32 v4, s7
	v_dual_mov_b32 v2, s5 :: v_dual_mov_b32 v7, s10
	v_mov_b32_e32 v10, s5
	s_delay_alu instid0(VALU_DEP_4)
	v_mul_lo_u32 v33, s14, v37
	v_cmp_gt_u32_e64 s0, s13, v37
	s_wait_alu 0xfffe
	v_dual_mov_b32 v3, s6 :: v_dual_mov_b32 v6, s9
	v_dual_mov_b32 v5, s8 :: v_dual_mov_b32 v8, s11
	v_mov_b32_e32 v9, s4
	s_add_nc_u64 s[18:19], s[2:3], s[18:19]
	s_and_saveexec_b32 s1, s0
	s_cbranch_execz .LBB143_6
; %bb.5:
	v_mov_b32_e32 v34, 0
	s_delay_alu instid0(VALU_DEP_1) | instskip(NEXT) | instid1(VALU_DEP_1)
	v_lshlrev_b64_e32 v[1:2], 3, v[33:34]
	v_add_co_u32 v1, vcc_lo, s18, v1
	s_delay_alu instid0(VALU_DEP_1)
	v_add_co_ci_u32_e64 v2, null, s19, v2, vcc_lo
	global_load_b64 v[9:10], v[1:2], off
	v_dual_mov_b32 v1, s4 :: v_dual_mov_b32 v2, s5
	v_dual_mov_b32 v3, s6 :: v_dual_mov_b32 v4, s7
	v_dual_mov_b32 v5, s8 :: v_dual_mov_b32 v6, s9
	v_dual_mov_b32 v7, s10 :: v_dual_mov_b32 v8, s11
.LBB143_6:
	s_or_b32 exec_lo, exec_lo, s1
	v_add_nc_u32_e32 v17, 32, v37
	s_delay_alu instid0(VALU_DEP_1)
	v_cmp_gt_u32_e64 s1, s13, v17
	s_and_saveexec_b32 s2, s1
	s_cbranch_execz .LBB143_8
; %bb.7:
	v_mul_lo_u32 v1, s14, v17
	v_mov_b32_e32 v2, 0
	s_delay_alu instid0(VALU_DEP_1) | instskip(NEXT) | instid1(VALU_DEP_1)
	v_lshlrev_b64_e32 v[1:2], 3, v[1:2]
	v_add_co_u32 v1, vcc_lo, s18, v1
	s_wait_alu 0xfffd
	s_delay_alu instid0(VALU_DEP_2)
	v_add_co_ci_u32_e64 v2, null, s19, v2, vcc_lo
	global_load_b64 v[3:4], v[1:2], off
.LBB143_8:
	s_or_b32 exec_lo, exec_lo, s2
	v_add_nc_u32_e32 v18, 64, v37
	s_delay_alu instid0(VALU_DEP_1)
	v_cmp_gt_u32_e64 s2, s13, v18
	s_and_saveexec_b32 s3, s2
	s_cbranch_execz .LBB143_10
; %bb.9:
	v_mul_lo_u32 v1, s14, v18
	v_mov_b32_e32 v2, 0
	s_delay_alu instid0(VALU_DEP_1) | instskip(NEXT) | instid1(VALU_DEP_1)
	v_lshlrev_b64_e32 v[1:2], 3, v[1:2]
	v_add_co_u32 v1, vcc_lo, s18, v1
	s_wait_alu 0xfffd
	s_delay_alu instid0(VALU_DEP_2)
	v_add_co_ci_u32_e64 v2, null, s19, v2, vcc_lo
	global_load_b64 v[5:6], v[1:2], off
.LBB143_10:
	s_or_b32 exec_lo, exec_lo, s3
	s_clause 0x1
	s_load_b32 s6, s[24:25], 0x6c
	s_load_b64 s[4:5], s[24:25], 0x0
	v_add_nc_u32_e32 v19, 0x60, v37
	s_delay_alu instid0(VALU_DEP_1)
	v_cmp_gt_u32_e64 s3, s13, v19
	s_and_saveexec_b32 s7, s3
	s_cbranch_execz .LBB143_12
; %bb.11:
	v_mul_lo_u32 v1, s14, v19
	v_mov_b32_e32 v2, 0
	s_delay_alu instid0(VALU_DEP_1) | instskip(NEXT) | instid1(VALU_DEP_1)
	v_lshlrev_b64_e32 v[1:2], 3, v[1:2]
	v_add_co_u32 v1, vcc_lo, s18, v1
	s_wait_alu 0xfffd
	s_delay_alu instid0(VALU_DEP_2)
	v_add_co_ci_u32_e64 v2, null, s19, v2, vcc_lo
	global_load_b64 v[7:8], v[1:2], off
.LBB143_12:
	s_wait_alu 0xfffe
	s_or_b32 exec_lo, exec_lo, s7
	v_lshrrev_b32_e32 v1, 2, v37
	v_lshrrev_b32_e32 v2, 2, v17
	v_lshlrev_b32_e32 v11, 3, v37
	v_lshrrev_b32_e32 v12, 2, v18
	v_lshrrev_b32_e32 v13, 2, v19
	v_and_b32_e32 v1, 0xf8, v1
	v_and_b32_e32 v2, 0x1f8, v2
	s_wait_kmcnt 0x0
	s_mul_i32 s6, s6, s12
	v_and_b32_e32 v12, 0x1f8, v12
	v_and_b32_e32 v13, 0x1f8, v13
	v_add_nc_u32_e32 v56, v1, v11
	v_and_b32_e32 v1, 0x3f8, v37
	v_add_nc_u32_e32 v57, v2, v11
	v_mul_lo_u32 v35, s16, v37
	s_wait_alu 0xfffe
	s_add_co_i32 s6, s6, s23
	s_wait_loadcnt 0x0
	ds_store_b64 v56, v[9:10]
	ds_store_b64 v57, v[3:4] offset:256
	v_lshl_add_u32 v60, v37, 5, v1
	v_mov_b32_e32 v1, 0
	v_mov_b32_e32 v2, 0
	v_add_nc_u32_e32 v58, v12, v11
	v_add_nc_u32_e32 v59, v13, v11
	ds_store_b64 v58, v[5:6] offset:512
	ds_store_b64 v59, v[7:8] offset:768
	s_wait_dscnt 0x0
	; wave barrier
	global_inv scope:SCOPE_SE
	ds_load_2addr_b64 v[13:16], v60 offset1:1
	ds_load_2addr_b64 v[9:12], v60 offset0:2 offset1:3
	s_mov_b32 s7, 0
	v_mov_b32_e32 v3, 0
	v_mov_b32_e32 v4, 0
	s_wait_alu 0xfffe
	s_lshl_b64 s[6:7], s[6:7], 3
	s_wait_loadcnt_dscnt 0x0
	s_wait_alu 0xfffe
	s_add_nc_u64 s[12:13], s[4:5], s[6:7]
	; wave barrier
	global_inv scope:SCOPE_SE
	s_and_saveexec_b32 s4, s0
	s_cbranch_execz .LBB143_14
; %bb.13:
	v_mov_b32_e32 v36, 0
	s_delay_alu instid0(VALU_DEP_1) | instskip(SKIP_1) | instid1(VALU_DEP_1)
	v_lshlrev_b64_e32 v[3:4], 3, v[35:36]
	s_wait_alu 0xfffe
	v_add_co_u32 v3, vcc_lo, s12, v3
	s_wait_alu 0xfffd
	s_delay_alu instid0(VALU_DEP_2)
	v_add_co_ci_u32_e64 v4, null, s13, v4, vcc_lo
	global_load_b64 v[3:4], v[3:4], off
.LBB143_14:
	s_wait_alu 0xfffe
	s_or_b32 exec_lo, exec_lo, s4
	s_and_saveexec_b32 s4, s1
	s_cbranch_execz .LBB143_16
; %bb.15:
	v_mul_lo_u32 v1, s16, v17
	v_mov_b32_e32 v2, 0
	s_delay_alu instid0(VALU_DEP_1) | instskip(NEXT) | instid1(VALU_DEP_1)
	v_lshlrev_b64_e32 v[1:2], 3, v[1:2]
	v_add_co_u32 v1, vcc_lo, s12, v1
	s_wait_alu 0xfffd
	s_delay_alu instid0(VALU_DEP_2)
	v_add_co_ci_u32_e64 v2, null, s13, v2, vcc_lo
	global_load_b64 v[1:2], v[1:2], off
.LBB143_16:
	s_wait_alu 0xfffe
	s_or_b32 exec_lo, exec_lo, s4
	v_mov_b32_e32 v5, 0
	v_dual_mov_b32 v6, 0 :: v_dual_mov_b32 v7, 0
	v_mov_b32_e32 v8, 0
	s_and_saveexec_b32 s4, s2
	s_cbranch_execz .LBB143_18
; %bb.17:
	v_mul_lo_u32 v7, s16, v18
	v_mov_b32_e32 v8, 0
	s_delay_alu instid0(VALU_DEP_1) | instskip(NEXT) | instid1(VALU_DEP_1)
	v_lshlrev_b64_e32 v[7:8], 3, v[7:8]
	v_add_co_u32 v7, vcc_lo, s12, v7
	s_wait_alu 0xfffd
	s_delay_alu instid0(VALU_DEP_2)
	v_add_co_ci_u32_e64 v8, null, s13, v8, vcc_lo
	global_load_b64 v[7:8], v[7:8], off
.LBB143_18:
	s_wait_alu 0xfffe
	s_or_b32 exec_lo, exec_lo, s4
	s_xor_b32 s4, s15, -1
	s_and_saveexec_b32 s5, s3
	s_cbranch_execz .LBB143_20
; %bb.19:
	v_mul_lo_u32 v5, s16, v19
	v_mov_b32_e32 v6, 0
	s_delay_alu instid0(VALU_DEP_1) | instskip(NEXT) | instid1(VALU_DEP_1)
	v_lshlrev_b64_e32 v[5:6], 3, v[5:6]
	v_add_co_u32 v5, vcc_lo, s12, v5
	s_wait_alu 0xfffd
	s_delay_alu instid0(VALU_DEP_2)
	v_add_co_ci_u32_e64 v6, null, s13, v6, vcc_lo
	global_load_b64 v[5:6], v[5:6], off
.LBB143_20:
	s_wait_alu 0xfffe
	s_or_b32 exec_lo, exec_lo, s5
	s_wait_loadcnt 0x0
	ds_store_b64 v56, v[3:4]
	ds_store_b64 v57, v[1:2] offset:256
	ds_store_b64 v58, v[7:8] offset:512
	;; [unrolled: 1-line block ×3, first 2 shown]
	s_wait_dscnt 0x0
	; wave barrier
	global_inv scope:SCOPE_SE
	ds_load_2addr_b64 v[5:8], v60 offset1:1
	ds_load_2addr_b64 v[1:4], v60 offset0:2 offset1:3
	v_lshlrev_b32_e32 v34, 2, v37
	s_and_b32 vcc_lo, exec_lo, s4
	v_bfe_u32 v62, v0, 10, 10
	v_bfe_u32 v63, v0, 20, 10
	v_mbcnt_lo_u32_b32 v36, -1, 0
	v_lshlrev_b32_e32 v61, 5, v37
	v_cmp_eq_u32_e64 s4, 31, v37
	v_cmp_eq_u32_e64 s10, 0, v37
	; wave barrier
	s_wait_loadcnt_dscnt 0x0
	global_inv scope:SCOPE_SE
	s_wait_alu 0xfffe
	s_cbranch_vccz .LBB143_35
; %bb.21:
	v_and_b32_e32 v21, 3, v36
	v_xor_b32_e32 v17, 0x80000000, v14
	v_xor_b32_e32 v19, 0x80000000, v16
	;; [unrolled: 1-line block ×4, first 2 shown]
	v_cmp_eq_u32_e32 vcc_lo, 0, v21
	v_and_b32_e32 v0, 28, v36
	s_wait_loadcnt 0x0
	; wave barrier
	global_inv scope:SCOPE_SE
	s_load_b32 s15, s[20:21], 0xc
	s_getpc_b64 s[8:9]
	s_wait_alu 0xfffe
	s_sext_i32_i16 s9, s9
	s_add_co_u32 s8, s8, _ZN7rocprim17ROCPRIM_400000_NS16block_radix_sortIlLj32ELj4ElLj1ELj1ELj0ELNS0_26block_radix_rank_algorithmE1ELNS0_18block_padding_hintE2ELNS0_4arch9wavefront6targetE0EE19radix_bits_per_passE@rel32@lo+12
	s_wait_alu 0xfffe
	s_add_co_ci_u32 s9, s9, _ZN7rocprim17ROCPRIM_400000_NS16block_radix_sortIlLj32ELj4ElLj1ELj1ELj0ELNS0_26block_radix_rank_algorithmE1ELNS0_18block_padding_hintE2ELNS0_4arch9wavefront6targetE0EE19radix_bits_per_passE@rel32@hi+24
	ds_bpermute_b32 v31, v0, v17 offset:32
	s_load_b32 s11, s[8:9], 0x0
	s_mov_b32 s17, 64
	s_wait_dscnt 0x0
	v_dual_mov_b32 v66, 0 :: v_dual_cndmask_b32 v31, 0, v31
	ds_bpermute_b32 v18, v0, v13
	ds_bpermute_b32 v20, v0, v17
	;; [unrolled: 1-line block ×5, first 2 shown]
	ds_bpermute_b32 v38, v0, v19 offset:32
	ds_bpermute_b32 v27, v0, v23
	ds_bpermute_b32 v29, v0, v11
	ds_bpermute_b32 v40, v0, v23 offset:32
	ds_bpermute_b32 v30, v0, v24
	ds_bpermute_b32 v43, v0, v13 offset:64
	ds_bpermute_b32 v28, v0, v13 offset:32
	;; [unrolled: 1-line block ×10, first 2 shown]
	s_wait_dscnt 0x13
	v_cndmask_b32_e32 v18, 0, v18, vcc_lo
	v_cmp_eq_u32_e64 s5, 1, v21
	v_cmp_eq_u32_e64 s6, 2, v21
	;; [unrolled: 1-line block ×3, first 2 shown]
	ds_bpermute_b32 v21, v0, v17 offset:96
	s_wait_dscnt 0x13
	v_cndmask_b32_e32 v20, 0, v20, vcc_lo
	s_wait_dscnt 0x12
	s_wait_alu 0xf1ff
	v_cndmask_b32_e64 v18, v18, v25, s5
	s_wait_dscnt 0xf
	v_cndmask_b32_e64 v17, v31, v38, s5
	ds_bpermute_b32 v31, v0, v19 offset:96
	ds_bpermute_b32 v25, v0, v23 offset:64
	ds_bpermute_b32 v23, v0, v23 offset:96
	v_cndmask_b32_e64 v26, v18, v26, s6
	s_wait_dscnt 0xf
	v_cndmask_b32_e64 v19, v17, v40, s6
	ds_bpermute_b32 v38, v0, v8
	ds_bpermute_b32 v40, v0, v5 offset:32
	ds_bpermute_b32 v24, v0, v24 offset:96
	v_cndmask_b32_e64 v17, v26, v29, s7
	ds_bpermute_b32 v29, v0, v6
	s_wait_dscnt 0x10
	v_cndmask_b32_e32 v28, 0, v28, vcc_lo
	ds_bpermute_b32 v48, v0, v8 offset:32
	ds_bpermute_b32 v50, v0, v1 offset:96
	;; [unrolled: 1-line block ×4, first 2 shown]
	s_wait_dscnt 0xb
	v_cndmask_b32_e32 v21, 0, v21, vcc_lo
	v_cndmask_b32_e64 v20, v20, v22, s5
	ds_bpermute_b32 v22, v0, v15 offset:64
	s_wait_dscnt 0xb
	v_cndmask_b32_e64 v31, v21, v31, s5
	v_cndmask_b32_e64 v20, v20, v27, s6
	ds_bpermute_b32 v27, v0, v11 offset:32
	s_wait_dscnt 0xa
	v_cndmask_b32_e64 v23, v31, v23, s6
	v_cndmask_b32_e64 v18, v20, v30, s7
	v_cndmask_b32_e32 v30, 0, v43, vcc_lo
	ds_bpermute_b32 v43, v0, v6 offset:32
	v_cndmask_b32_e32 v20, 0, v41, vcc_lo
	s_wait_dscnt 0x7
	v_cndmask_b32_e32 v29, 0, v29, vcc_lo
	v_cndmask_b32_e64 v28, v28, v32, s5
	ds_bpermute_b32 v41, v0, v2
	ds_bpermute_b32 v32, v0, v9 offset:96
	v_cndmask_b32_e64 v24, v23, v24, s7
	v_cndmask_b32_e64 v28, v28, v39, s6
	s_wait_dscnt 0x4
	v_cndmask_b32_e64 v22, v30, v22, s5
	ds_bpermute_b32 v30, v0, v5
	ds_bpermute_b32 v39, v0, v7
	v_cndmask_b32_e64 v26, v22, v45, s6
	ds_bpermute_b32 v45, v0, v7 offset:32
	s_wait_dscnt 0x5
	v_cndmask_b32_e32 v31, 0, v43, vcc_lo
	v_cndmask_b32_e64 v20, v20, v44, s5
	ds_bpermute_b32 v44, v0, v11 offset:96
	ds_bpermute_b32 v43, v0, v8 offset:96
	v_cndmask_b32_e64 v25, v20, v25, s6
	v_cndmask_b32_e64 v20, v19, v42, s7
	v_cndmask_b32_e64 v19, v28, v27, s7
	ds_bpermute_b32 v27, v0, v11 offset:64
	ds_bpermute_b32 v42, v0, v1
	v_cndmask_b32_e64 v22, v25, v46, s7
	ds_bpermute_b32 v25, v0, v15 offset:96
	s_wait_dscnt 0x7
	v_cndmask_b32_e32 v30, 0, v30, vcc_lo
	ds_bpermute_b32 v46, v0, v4
	s_wait_dscnt 0x3
	v_cndmask_b32_e64 v21, v26, v27, s7
	v_cndmask_b32_e64 v26, v29, v38, s5
	v_cndmask_b32_e64 v27, v30, v39, s5
	v_cndmask_b32_e32 v30, 0, v40, vcc_lo
	ds_bpermute_b32 v29, v0, v6 offset:64
	ds_bpermute_b32 v39, v0, v6 offset:96
	v_cndmask_b32_e64 v26, v26, v41, s6
	ds_bpermute_b32 v41, v0, v5 offset:96
	v_cndmask_b32_e32 v28, 0, v47, vcc_lo
	ds_bpermute_b32 v47, v0, v3
	s_wait_dscnt 0x6
	v_cndmask_b32_e64 v27, v27, v42, s6
	v_cndmask_b32_e64 v30, v30, v45, s5
	ds_bpermute_b32 v38, v0, v4 offset:32
	s_wait_dscnt 0x6
	v_cndmask_b32_e64 v25, v28, v25, s5
	ds_bpermute_b32 v28, v0, v1 offset:32
	ds_bpermute_b32 v40, v0, v8 offset:64
	;; [unrolled: 1-line block ×4, first 2 shown]
	v_cndmask_b32_e64 v25, v25, v32, s6
	s_wait_dscnt 0x9
	v_cndmask_b32_e64 v26, v26, v46, s7
	ds_bpermute_b32 v32, v0, v3 offset:32
	ds_bpermute_b32 v46, v0, v1 offset:64
	v_cndmask_b32_e64 v23, v25, v44, s7
	ds_bpermute_b32 v44, v0, v2 offset:64
	s_wait_dscnt 0xb
	v_cndmask_b32_e32 v29, 0, v29, vcc_lo
	s_wait_dscnt 0x8
	v_cndmask_b32_e64 v25, v27, v47, s7
	v_cndmask_b32_e64 v27, v31, v48, s5
	ds_bpermute_b32 v31, v0, v2 offset:32
	ds_bpermute_b32 v48, v0, v2 offset:96
	;; [unrolled: 1-line block ×3, first 2 shown]
	s_wait_dscnt 0x9
	v_cndmask_b32_e64 v30, v30, v28, s6
	ds_bpermute_b32 v28, v0, v5 offset:64
	ds_bpermute_b32 v0, v0, v3 offset:96
	s_wait_dscnt 0xa
	v_cndmask_b32_e64 v29, v29, v40, s5
	s_wait_dscnt 0x5
	s_delay_alu instid0(VALU_DEP_1)
	v_cndmask_b32_e64 v29, v29, v44, s6
	s_wait_dscnt 0x4
	v_cndmask_b32_e64 v27, v27, v31, s6
	v_cndmask_b32_e32 v31, 0, v39, vcc_lo
	v_cndmask_b32_e32 v39, 0, v41, vcc_lo
	v_and_or_b32 v41, 0xf80, v34, v36
	s_wait_dscnt 0x1
	v_cndmask_b32_e32 v28, 0, v28, vcc_lo
	v_cndmask_b32_e64 v31, v31, v43, s5
	s_delay_alu instid0(VALU_DEP_3) | instskip(NEXT) | instid1(VALU_DEP_3)
	v_lshlrev_b32_e32 v64, 3, v41
	v_cndmask_b32_e64 v40, v28, v42, s5
	v_cndmask_b32_e64 v28, v27, v38, s7
	v_cndmask_b32_e64 v38, v39, v45, s5
	v_cndmask_b32_e64 v31, v31, v48, s6
	s_wait_kmcnt 0x0
	s_lshr_b32 s5, s15, 16
	v_cndmask_b32_e64 v39, v40, v46, s6
	v_cndmask_b32_e64 v27, v30, v32, s7
	;; [unrolled: 1-line block ×6, first 2 shown]
	v_and_b32_e32 v40, 15, v36
	s_wait_dscnt 0x0
	v_cndmask_b32_e64 v31, v38, v0, s7
	s_wait_alu 0xfffe
	v_mad_u32_u24 v0, v63, s5, v62
	s_and_b32 s5, s15, 0xffff
	v_cmp_lt_u32_e64 s6, 1, v40
	v_cmp_lt_u32_e64 s7, 3, v40
	s_wait_alu 0xfffe
	v_mad_co_u64_u32 v[38:39], null, v0, s5, v[37:38]
	v_sub_co_u32 v0, s15, v36, 1
	v_and_b32_e32 v39, 16, v36
	v_cmp_eq_u32_e64 s5, 0, v40
	v_cmp_lt_u32_e64 s8, 7, v40
	s_delay_alu instid0(VALU_DEP_4)
	v_cmp_gt_i32_e32 vcc_lo, 0, v0
	v_lshrrev_b32_e32 v38, 3, v38
	v_cmp_eq_u32_e64 s9, 0, v39
	s_or_b32 s15, s10, s15
	s_wait_alu 0xfffd
	v_dual_cndmask_b32 v0, v0, v36 :: v_dual_and_b32 v65, 0x1ffffffc, v38
	v_mov_b32_e32 v38, 0
	s_delay_alu instid0(VALU_DEP_2)
	v_dual_mov_b32 v39, 0 :: v_dual_lshlrev_b32 v0, 2, v0
	s_branch .LBB143_23
.LBB143_22:                             ;   in Loop: Header=BB143_23 Depth=1
	s_wait_alu 0xfffe
	s_and_not1_b32 vcc_lo, exec_lo, s10
	s_wait_alu 0xfffe
	s_cbranch_vccz .LBB143_36
.LBB143_23:                             ; =>This Inner Loop Header: Depth=1
	v_dual_mov_b32 v41, v18 :: v_dual_mov_b32 v40, v17
	s_min_u32 s10, s11, s17
	ds_store_2addr_b32 v61, v66, v66 offset0:1 offset1:2
	ds_store_2addr_b32 v61, v66, v66 offset0:3 offset1:4
	;; [unrolled: 1-line block ×4, first 2 shown]
	s_wait_alu 0xfffe
	s_lshl_b32 s10, -1, s10
	s_wait_loadcnt_dscnt 0x0
	v_lshrrev_b64 v[17:18], v38, v[40:41]
	s_wait_alu 0xfffe
	s_not_b32 s22, s10
	; wave barrier
	global_inv scope:SCOPE_SE
	; wave barrier
	s_wait_alu 0xfffe
	v_dual_mov_b32 v51, v24 :: v_dual_and_b32 v18, s22, v17
	v_dual_mov_b32 v50, v23 :: v_dual_mov_b32 v53, v22
	v_dual_mov_b32 v55, v20 :: v_dual_mov_b32 v52, v21
	s_delay_alu instid0(VALU_DEP_3)
	v_lshlrev_b32_e32 v43, 29, v18
	v_and_b32_e32 v17, 1, v18
	v_lshlrev_b32_e32 v42, 30, v18
	v_lshlrev_b32_e32 v44, 28, v18
	;; [unrolled: 1-line block ×3, first 2 shown]
	v_dual_mov_b32 v54, v19 :: v_dual_lshlrev_b32 v47, 26, v18
	v_add_co_u32 v17, s10, v17, -1
	s_wait_alu 0xf1ff
	v_cndmask_b32_e64 v45, 0, 1, s10
	v_not_b32_e32 v49, v42
	v_cmp_gt_i32_e64 s10, 0, v42
	v_not_b32_e32 v42, v43
	v_lshlrev_b32_e32 v48, 25, v18
	v_cmp_ne_u32_e32 vcc_lo, 0, v45
	v_ashrrev_i32_e32 v49, 31, v49
	v_lshlrev_b32_e32 v45, 24, v18
	v_ashrrev_i32_e32 v42, 31, v42
	s_wait_alu 0xfffd
	v_xor_b32_e32 v17, vcc_lo, v17
	v_cmp_gt_i32_e32 vcc_lo, 0, v43
	v_not_b32_e32 v43, v44
	s_wait_alu 0xf1ff
	v_xor_b32_e32 v49, s10, v49
	v_cmp_gt_i32_e64 s10, 0, v44
	v_and_b32_e32 v17, exec_lo, v17
	v_not_b32_e32 v44, v46
	v_ashrrev_i32_e32 v43, 31, v43
	s_wait_alu 0xfffd
	v_xor_b32_e32 v42, vcc_lo, v42
	v_cmp_gt_i32_e32 vcc_lo, 0, v46
	v_and_b32_e32 v17, v17, v49
	v_not_b32_e32 v46, v47
	v_ashrrev_i32_e32 v44, 31, v44
	s_wait_alu 0xf1ff
	v_xor_b32_e32 v43, s10, v43
	v_cmp_gt_i32_e64 s10, 0, v47
	v_and_b32_e32 v17, v17, v42
	v_ashrrev_i32_e32 v46, 31, v46
	s_wait_alu 0xfffd
	v_xor_b32_e32 v44, vcc_lo, v44
	s_delay_alu instid0(VALU_DEP_3) | instskip(SKIP_2) | instid1(VALU_DEP_2)
	v_and_b32_e32 v17, v17, v43
	s_wait_alu 0xf1ff
	v_xor_b32_e32 v46, s10, v46
	v_and_b32_e32 v17, v17, v44
	s_delay_alu instid0(VALU_DEP_1)
	v_and_b32_e32 v17, v17, v46
	v_mov_b32_e32 v47, v28
	v_not_b32_e32 v42, v48
	v_cmp_gt_i32_e32 vcc_lo, 0, v48
	v_dual_mov_b32 v49, v26 :: v_dual_mov_b32 v48, v25
	v_not_b32_e32 v43, v45
	s_delay_alu instid0(VALU_DEP_4)
	v_ashrrev_i32_e32 v42, 31, v42
	v_cmp_gt_i32_e64 s10, 0, v45
	v_dual_mov_b32 v46, v27 :: v_dual_mov_b32 v45, v30
	v_mov_b32_e32 v44, v29
	v_ashrrev_i32_e32 v43, 31, v43
	s_wait_alu 0xfffd
	v_xor_b32_e32 v42, vcc_lo, v42
	v_lshl_add_u32 v26, v18, 2, v65
	s_wait_alu 0xf1ff
	v_xor_b32_e32 v43, s10, v43
	s_delay_alu instid0(VALU_DEP_3) | instskip(NEXT) | instid1(VALU_DEP_1)
	v_and_b32_e32 v17, v17, v42
	v_and_b32_e32 v17, v17, v43
	v_dual_mov_b32 v43, v32 :: v_dual_mov_b32 v42, v31
	s_delay_alu instid0(VALU_DEP_2) | instskip(SKIP_1) | instid1(VALU_DEP_2)
	v_mbcnt_lo_u32_b32 v25, v17, 0
	v_cmp_ne_u32_e64 s10, 0, v17
	v_cmp_eq_u32_e32 vcc_lo, 0, v25
	s_and_b32 s23, s10, vcc_lo
	s_wait_alu 0xfffe
	s_and_saveexec_b32 s10, s23
; %bb.24:                               ;   in Loop: Header=BB143_23 Depth=1
	v_bcnt_u32_b32 v17, v17, 0
	ds_store_b32 v26, v17 offset:4
; %bb.25:                               ;   in Loop: Header=BB143_23 Depth=1
	s_wait_alu 0xfffe
	s_or_b32 exec_lo, exec_lo, s10
	v_lshrrev_b64 v[17:18], v38, v[54:55]
	; wave barrier
	s_delay_alu instid0(VALU_DEP_1) | instskip(NEXT) | instid1(VALU_DEP_1)
	v_and_b32_e32 v17, s22, v17
	v_and_b32_e32 v18, 1, v17
	v_lshlrev_b32_e32 v19, 30, v17
	v_lshlrev_b32_e32 v20, 29, v17
	v_lshlrev_b32_e32 v21, 28, v17
	v_lshlrev_b32_e32 v23, 27, v17
	v_add_co_u32 v18, s10, v18, -1
	s_wait_alu 0xf1ff
	v_cndmask_b32_e64 v22, 0, 1, s10
	v_not_b32_e32 v28, v19
	v_cmp_gt_i32_e64 s10, 0, v19
	v_not_b32_e32 v19, v20
	v_lshlrev_b32_e32 v24, 26, v17
	v_cmp_ne_u32_e32 vcc_lo, 0, v22
	v_ashrrev_i32_e32 v28, 31, v28
	v_lshlrev_b32_e32 v27, 25, v17
	v_ashrrev_i32_e32 v19, 31, v19
	v_lshlrev_b32_e32 v22, 24, v17
	s_wait_alu 0xfffd
	v_xor_b32_e32 v18, vcc_lo, v18
	v_cmp_gt_i32_e32 vcc_lo, 0, v20
	v_not_b32_e32 v20, v21
	s_wait_alu 0xf1ff
	v_xor_b32_e32 v28, s10, v28
	v_cmp_gt_i32_e64 s10, 0, v21
	v_and_b32_e32 v18, exec_lo, v18
	v_not_b32_e32 v21, v23
	v_ashrrev_i32_e32 v20, 31, v20
	s_wait_alu 0xfffd
	v_xor_b32_e32 v19, vcc_lo, v19
	v_cmp_gt_i32_e32 vcc_lo, 0, v23
	v_and_b32_e32 v18, v18, v28
	v_not_b32_e32 v23, v24
	v_ashrrev_i32_e32 v21, 31, v21
	s_wait_alu 0xf1ff
	v_xor_b32_e32 v20, s10, v20
	v_cmp_gt_i32_e64 s10, 0, v24
	v_and_b32_e32 v18, v18, v19
	v_not_b32_e32 v19, v27
	v_ashrrev_i32_e32 v23, 31, v23
	s_wait_alu 0xfffd
	v_xor_b32_e32 v21, vcc_lo, v21
	v_cmp_gt_i32_e32 vcc_lo, 0, v27
	v_and_b32_e32 v18, v18, v20
	v_not_b32_e32 v20, v22
	v_ashrrev_i32_e32 v19, 31, v19
	s_wait_alu 0xf1ff
	v_xor_b32_e32 v23, s10, v23
	v_cmp_gt_i32_e64 s10, 0, v22
	v_and_b32_e32 v18, v18, v21
	v_ashrrev_i32_e32 v20, 31, v20
	s_wait_alu 0xfffd
	v_xor_b32_e32 v19, vcc_lo, v19
	v_lshl_add_u32 v28, v17, 2, v65
	v_and_b32_e32 v18, v18, v23
	s_wait_alu 0xf1ff
	v_xor_b32_e32 v17, s10, v20
	ds_load_b32 v27, v28 offset:4
	v_and_b32_e32 v18, v18, v19
	; wave barrier
	s_delay_alu instid0(VALU_DEP_1) | instskip(NEXT) | instid1(VALU_DEP_1)
	v_and_b32_e32 v17, v18, v17
	v_mbcnt_lo_u32_b32 v29, v17, 0
	v_cmp_ne_u32_e64 s10, 0, v17
	s_delay_alu instid0(VALU_DEP_2)
	v_cmp_eq_u32_e32 vcc_lo, 0, v29
	s_and_b32 s23, s10, vcc_lo
	s_wait_alu 0xfffe
	s_and_saveexec_b32 s10, s23
	s_cbranch_execz .LBB143_27
; %bb.26:                               ;   in Loop: Header=BB143_23 Depth=1
	s_wait_dscnt 0x0
	v_bcnt_u32_b32 v17, v17, v27
	ds_store_b32 v28, v17 offset:4
.LBB143_27:                             ;   in Loop: Header=BB143_23 Depth=1
	s_wait_alu 0xfffe
	s_or_b32 exec_lo, exec_lo, s10
	v_lshrrev_b64 v[17:18], v38, v[52:53]
	; wave barrier
	s_delay_alu instid0(VALU_DEP_1) | instskip(NEXT) | instid1(VALU_DEP_1)
	v_and_b32_e32 v17, s22, v17
	v_and_b32_e32 v18, 1, v17
	v_lshlrev_b32_e32 v19, 30, v17
	v_lshlrev_b32_e32 v20, 29, v17
	;; [unrolled: 1-line block ×4, first 2 shown]
	v_add_co_u32 v18, s10, v18, -1
	s_wait_alu 0xf1ff
	v_cndmask_b32_e64 v22, 0, 1, s10
	v_not_b32_e32 v31, v19
	v_cmp_gt_i32_e64 s10, 0, v19
	v_not_b32_e32 v19, v20
	v_lshlrev_b32_e32 v24, 26, v17
	v_cmp_ne_u32_e32 vcc_lo, 0, v22
	v_ashrrev_i32_e32 v31, 31, v31
	v_lshlrev_b32_e32 v30, 25, v17
	v_ashrrev_i32_e32 v19, 31, v19
	v_lshlrev_b32_e32 v22, 24, v17
	s_wait_alu 0xfffd
	v_xor_b32_e32 v18, vcc_lo, v18
	v_cmp_gt_i32_e32 vcc_lo, 0, v20
	v_not_b32_e32 v20, v21
	s_wait_alu 0xf1ff
	v_xor_b32_e32 v31, s10, v31
	v_cmp_gt_i32_e64 s10, 0, v21
	v_and_b32_e32 v18, exec_lo, v18
	v_not_b32_e32 v21, v23
	v_ashrrev_i32_e32 v20, 31, v20
	s_wait_alu 0xfffd
	v_xor_b32_e32 v19, vcc_lo, v19
	v_cmp_gt_i32_e32 vcc_lo, 0, v23
	v_and_b32_e32 v18, v18, v31
	v_not_b32_e32 v23, v24
	v_ashrrev_i32_e32 v21, 31, v21
	s_wait_alu 0xf1ff
	v_xor_b32_e32 v20, s10, v20
	v_cmp_gt_i32_e64 s10, 0, v24
	v_and_b32_e32 v18, v18, v19
	v_not_b32_e32 v19, v30
	v_ashrrev_i32_e32 v23, 31, v23
	s_wait_alu 0xfffd
	v_xor_b32_e32 v21, vcc_lo, v21
	v_cmp_gt_i32_e32 vcc_lo, 0, v30
	v_and_b32_e32 v18, v18, v20
	v_not_b32_e32 v20, v22
	v_ashrrev_i32_e32 v19, 31, v19
	s_wait_alu 0xf1ff
	v_xor_b32_e32 v23, s10, v23
	v_cmp_gt_i32_e64 s10, 0, v22
	v_and_b32_e32 v18, v18, v21
	v_ashrrev_i32_e32 v20, 31, v20
	s_wait_alu 0xfffd
	v_xor_b32_e32 v19, vcc_lo, v19
	v_lshl_add_u32 v31, v17, 2, v65
	v_and_b32_e32 v18, v18, v23
	s_wait_alu 0xf1ff
	v_xor_b32_e32 v17, s10, v20
	ds_load_b32 v30, v31 offset:4
	v_and_b32_e32 v18, v18, v19
	; wave barrier
	s_delay_alu instid0(VALU_DEP_1) | instskip(NEXT) | instid1(VALU_DEP_1)
	v_and_b32_e32 v17, v18, v17
	v_mbcnt_lo_u32_b32 v32, v17, 0
	v_cmp_ne_u32_e64 s10, 0, v17
	s_delay_alu instid0(VALU_DEP_2)
	v_cmp_eq_u32_e32 vcc_lo, 0, v32
	s_and_b32 s23, s10, vcc_lo
	s_wait_alu 0xfffe
	s_and_saveexec_b32 s10, s23
	s_cbranch_execz .LBB143_29
; %bb.28:                               ;   in Loop: Header=BB143_23 Depth=1
	s_wait_dscnt 0x0
	v_bcnt_u32_b32 v17, v17, v30
	ds_store_b32 v31, v17 offset:4
.LBB143_29:                             ;   in Loop: Header=BB143_23 Depth=1
	s_wait_alu 0xfffe
	s_or_b32 exec_lo, exec_lo, s10
	v_lshrrev_b64 v[17:18], v38, v[50:51]
	; wave barrier
	s_delay_alu instid0(VALU_DEP_1) | instskip(NEXT) | instid1(VALU_DEP_1)
	v_and_b32_e32 v17, s22, v17
	v_and_b32_e32 v18, 1, v17
	v_lshlrev_b32_e32 v19, 30, v17
	v_lshlrev_b32_e32 v20, 29, v17
	;; [unrolled: 1-line block ×4, first 2 shown]
	v_add_co_u32 v18, s10, v18, -1
	s_wait_alu 0xf1ff
	v_cndmask_b32_e64 v22, 0, 1, s10
	v_not_b32_e32 v68, v19
	v_cmp_gt_i32_e64 s10, 0, v19
	v_not_b32_e32 v19, v20
	v_lshlrev_b32_e32 v24, 26, v17
	v_cmp_ne_u32_e32 vcc_lo, 0, v22
	v_ashrrev_i32_e32 v68, 31, v68
	v_lshlrev_b32_e32 v67, 25, v17
	v_ashrrev_i32_e32 v19, 31, v19
	v_lshlrev_b32_e32 v22, 24, v17
	s_wait_alu 0xfffd
	v_xor_b32_e32 v18, vcc_lo, v18
	v_cmp_gt_i32_e32 vcc_lo, 0, v20
	v_not_b32_e32 v20, v21
	s_wait_alu 0xf1ff
	v_xor_b32_e32 v68, s10, v68
	v_cmp_gt_i32_e64 s10, 0, v21
	v_and_b32_e32 v18, exec_lo, v18
	v_not_b32_e32 v21, v23
	v_ashrrev_i32_e32 v20, 31, v20
	s_wait_alu 0xfffd
	v_xor_b32_e32 v19, vcc_lo, v19
	v_cmp_gt_i32_e32 vcc_lo, 0, v23
	v_and_b32_e32 v18, v18, v68
	v_not_b32_e32 v23, v24
	v_ashrrev_i32_e32 v21, 31, v21
	s_wait_alu 0xf1ff
	v_xor_b32_e32 v20, s10, v20
	v_cmp_gt_i32_e64 s10, 0, v24
	v_and_b32_e32 v18, v18, v19
	v_not_b32_e32 v19, v67
	v_ashrrev_i32_e32 v23, 31, v23
	s_wait_alu 0xfffd
	v_xor_b32_e32 v21, vcc_lo, v21
	v_cmp_gt_i32_e32 vcc_lo, 0, v67
	v_and_b32_e32 v18, v18, v20
	v_not_b32_e32 v20, v22
	v_ashrrev_i32_e32 v19, 31, v19
	s_wait_alu 0xf1ff
	v_xor_b32_e32 v23, s10, v23
	v_cmp_gt_i32_e64 s10, 0, v22
	v_and_b32_e32 v18, v18, v21
	v_ashrrev_i32_e32 v20, 31, v20
	s_wait_alu 0xfffd
	v_xor_b32_e32 v19, vcc_lo, v19
	v_lshl_add_u32 v68, v17, 2, v65
	v_and_b32_e32 v18, v18, v23
	s_wait_alu 0xf1ff
	v_xor_b32_e32 v17, s10, v20
	ds_load_b32 v67, v68 offset:4
	v_and_b32_e32 v18, v18, v19
	; wave barrier
	s_delay_alu instid0(VALU_DEP_1) | instskip(NEXT) | instid1(VALU_DEP_1)
	v_and_b32_e32 v17, v18, v17
	v_mbcnt_lo_u32_b32 v71, v17, 0
	v_cmp_ne_u32_e64 s10, 0, v17
	s_delay_alu instid0(VALU_DEP_2)
	v_cmp_eq_u32_e32 vcc_lo, 0, v71
	s_and_b32 s22, s10, vcc_lo
	s_wait_alu 0xfffe
	s_and_saveexec_b32 s10, s22
	s_cbranch_execz .LBB143_31
; %bb.30:                               ;   in Loop: Header=BB143_23 Depth=1
	s_wait_dscnt 0x0
	v_bcnt_u32_b32 v17, v17, v67
	ds_store_b32 v68, v17 offset:4
.LBB143_31:                             ;   in Loop: Header=BB143_23 Depth=1
	s_wait_alu 0xfffe
	s_or_b32 exec_lo, exec_lo, s10
	; wave barrier
	; wave barrier
	s_wait_loadcnt_dscnt 0x0
	global_inv scope:SCOPE_SE
	ds_load_2addr_b32 v[23:24], v61 offset0:1 offset1:2
	ds_load_2addr_b32 v[21:22], v61 offset0:3 offset1:4
	;; [unrolled: 1-line block ×4, first 2 shown]
	s_wait_dscnt 0x3
	v_add_nc_u32_e32 v69, v24, v23
	s_wait_dscnt 0x2
	s_delay_alu instid0(VALU_DEP_1) | instskip(SKIP_1) | instid1(VALU_DEP_1)
	v_add3_u32 v69, v69, v21, v22
	s_wait_dscnt 0x1
	v_add3_u32 v69, v69, v19, v20
	s_wait_dscnt 0x0
	s_delay_alu instid0(VALU_DEP_1) | instskip(NEXT) | instid1(VALU_DEP_1)
	v_add3_u32 v18, v69, v17, v18
	v_mov_b32_dpp v69, v18 row_shr:1 row_mask:0xf bank_mask:0xf
	s_delay_alu instid0(VALU_DEP_1) | instskip(NEXT) | instid1(VALU_DEP_1)
	v_cndmask_b32_e64 v69, v69, 0, s5
	v_add_nc_u32_e32 v18, v69, v18
	s_delay_alu instid0(VALU_DEP_1) | instskip(NEXT) | instid1(VALU_DEP_1)
	v_mov_b32_dpp v69, v18 row_shr:2 row_mask:0xf bank_mask:0xf
	v_cndmask_b32_e64 v69, 0, v69, s6
	s_delay_alu instid0(VALU_DEP_1) | instskip(NEXT) | instid1(VALU_DEP_1)
	v_add_nc_u32_e32 v18, v18, v69
	v_mov_b32_dpp v69, v18 row_shr:4 row_mask:0xf bank_mask:0xf
	s_delay_alu instid0(VALU_DEP_1) | instskip(NEXT) | instid1(VALU_DEP_1)
	v_cndmask_b32_e64 v69, 0, v69, s7
	v_add_nc_u32_e32 v18, v18, v69
	s_delay_alu instid0(VALU_DEP_1) | instskip(NEXT) | instid1(VALU_DEP_1)
	v_mov_b32_dpp v69, v18 row_shr:8 row_mask:0xf bank_mask:0xf
	v_cndmask_b32_e64 v69, 0, v69, s8
	s_delay_alu instid0(VALU_DEP_1) | instskip(SKIP_3) | instid1(VALU_DEP_1)
	v_add_nc_u32_e32 v18, v18, v69
	ds_swizzle_b32 v69, v18 offset:swizzle(BROADCAST,32,15)
	s_wait_dscnt 0x0
	v_cndmask_b32_e64 v69, v69, 0, s9
	v_add_nc_u32_e32 v18, v18, v69
	s_and_saveexec_b32 s10, s4
; %bb.32:                               ;   in Loop: Header=BB143_23 Depth=1
	ds_store_b32 v66, v18
; %bb.33:                               ;   in Loop: Header=BB143_23 Depth=1
	s_wait_alu 0xfffe
	s_or_b32 exec_lo, exec_lo, s10
	ds_bpermute_b32 v18, v0, v18
	; wave barrier
	s_wait_loadcnt_dscnt 0x0
	global_inv scope:SCOPE_SE
	v_cmp_lt_u32_e32 vcc_lo, 55, v38
	s_mov_b32 s10, -1
	s_and_b32 vcc_lo, exec_lo, vcc_lo
	v_cndmask_b32_e64 v18, v18, 0, s15
	s_delay_alu instid0(VALU_DEP_1) | instskip(NEXT) | instid1(VALU_DEP_1)
	v_add_nc_u32_e32 v23, v18, v23
	v_add_nc_u32_e32 v24, v23, v24
	s_delay_alu instid0(VALU_DEP_1) | instskip(NEXT) | instid1(VALU_DEP_1)
	v_add_nc_u32_e32 v21, v24, v21
	v_add_nc_u32_e32 v22, v21, v22
	;; [unrolled: 3-line block ×3, first 2 shown]
	s_delay_alu instid0(VALU_DEP_1)
	v_add_nc_u32_e32 v17, v20, v17
	ds_store_2addr_b32 v61, v18, v23 offset0:1 offset1:2
	ds_store_2addr_b32 v61, v24, v21 offset0:3 offset1:4
	;; [unrolled: 1-line block ×4, first 2 shown]
	; wave barrier
	s_wait_loadcnt_dscnt 0x0
	global_inv scope:SCOPE_SE
	ds_load_b32 v17, v26 offset:4
	ds_load_b32 v18, v28 offset:4
	ds_load_b32 v19, v31 offset:4
	ds_load_b32 v20, v68 offset:4
                                        ; implicit-def: $vgpr23_vgpr24
	s_wait_dscnt 0x3
	v_add_nc_u32_e32 v70, v17, v25
	s_wait_dscnt 0x2
	v_add3_u32 v69, v29, v27, v18
	s_wait_dscnt 0x1
	v_add3_u32 v68, v32, v30, v19
	;; [unrolled: 2-line block ×3, first 2 shown]
                                        ; implicit-def: $vgpr19_vgpr20
                                        ; implicit-def: $vgpr25_vgpr26
                                        ; implicit-def: $vgpr29_vgpr30
	s_wait_alu 0xfffe
	s_cbranch_vccnz .LBB143_22
; %bb.34:                               ;   in Loop: Header=BB143_23 Depth=1
	v_lshlrev_b32_e32 v25, 3, v70
	v_lshlrev_b32_e32 v26, 3, v69
	;; [unrolled: 1-line block ×4, first 2 shown]
	s_wait_loadcnt 0x0
	; wave barrier
	global_inv scope:SCOPE_SE
	ds_store_b64 v25, v[40:41]
	ds_store_b64 v26, v[54:55]
	;; [unrolled: 1-line block ×4, first 2 shown]
	; wave barrier
	s_wait_loadcnt_dscnt 0x0
	global_inv scope:SCOPE_SE
	ds_load_2addr_b64 v[17:20], v64 offset1:32
	ds_load_2addr_b64 v[21:24], v64 offset0:64 offset1:96
	; wave barrier
	s_wait_loadcnt_dscnt 0x0
	global_inv scope:SCOPE_SE
	ds_store_b64 v25, v[48:49]
	ds_store_b64 v26, v[46:47]
	;; [unrolled: 1-line block ×4, first 2 shown]
	; wave barrier
	s_wait_loadcnt_dscnt 0x0
	global_inv scope:SCOPE_SE
	ds_load_2addr_b64 v[25:28], v64 offset1:32
	ds_load_2addr_b64 v[29:32], v64 offset0:64 offset1:96
	v_add_co_u32 v38, vcc_lo, v38, 8
	s_wait_alu 0xfffd
	v_add_co_ci_u32_e64 v39, null, 0, v39, vcc_lo
	s_add_co_i32 s17, s17, -8
	s_mov_b32 s10, 0
	; wave barrier
	s_wait_loadcnt_dscnt 0x0
	global_inv scope:SCOPE_SE
	s_branch .LBB143_22
.LBB143_35:
                                        ; implicit-def: $vgpr23_vgpr24
                                        ; implicit-def: $vgpr19_vgpr20
                                        ; implicit-def: $vgpr38
	s_cbranch_execnz .LBB143_37
	s_branch .LBB143_52
.LBB143_36:
	v_lshlrev_b32_e32 v0, 3, v70
	v_lshlrev_b32_e32 v26, 3, v68
	;; [unrolled: 1-line block ×5, first 2 shown]
	s_wait_loadcnt 0x0
	; wave barrier
	global_inv scope:SCOPE_SE
	ds_store_b64 v0, v[40:41]
	ds_store_b64 v25, v[54:55]
	;; [unrolled: 1-line block ×4, first 2 shown]
	; wave barrier
	s_wait_loadcnt_dscnt 0x0
	global_inv scope:SCOPE_SE
	ds_load_b128 v[17:20], v38
	ds_load_b128 v[21:24], v38 offset:16
	; wave barrier
	s_wait_loadcnt_dscnt 0x0
	global_inv scope:SCOPE_SE
	ds_store_b64 v0, v[48:49]
	ds_store_b64 v25, v[46:47]
	ds_store_b64 v26, v[44:45]
	ds_store_b64 v27, v[42:43]
	; wave barrier
	s_wait_loadcnt_dscnt 0x0
	global_inv scope:SCOPE_SE
	v_xor_b32_e32 v18, 0x80000000, v18
	v_xor_b32_e32 v20, 0x80000000, v20
	;; [unrolled: 1-line block ×4, first 2 shown]
	s_branch .LBB143_52
.LBB143_37:
	v_xor_b32_e32 v21, 0x7fffffff, v10
	v_and_b32_e32 v10, 3, v36
	v_xor_b32_e32 v0, -1, v13
	v_xor_b32_e32 v13, 0x7fffffff, v14
	v_xor_b32_e32 v14, 0x7fffffff, v16
	v_xor_b32_e32 v18, -1, v9
	v_cmp_eq_u32_e32 vcc_lo, 0, v10
	v_and_b32_e32 v19, 28, v36
	v_xor_b32_e32 v22, 0x7fffffff, v12
	v_xor_b32_e32 v15, -1, v15
	v_xor_b32_e32 v23, -1, v11
	s_wait_loadcnt 0x0
	ds_bpermute_b32 v17, v19, v13
	ds_bpermute_b32 v9, v19, v14
	;; [unrolled: 1-line block ×4, first 2 shown]
	ds_bpermute_b32 v31, v19, v13 offset:64
	; wave barrier
	s_wait_dscnt 0x0
	global_inv scope:SCOPE_SE
	s_load_b32 s7, s[20:21], 0xc
	v_cmp_eq_u32_e64 s9, 31, v37
	s_mov_b32 s17, 64
	v_cndmask_b32_e32 v17, 0, v17, vcc_lo
	v_cmp_eq_u32_e64 s4, 1, v10
	v_cmp_eq_u32_e64 s5, 2, v10
	;; [unrolled: 1-line block ×3, first 2 shown]
	s_wait_alu 0xf1ff
	s_delay_alu instid0(VALU_DEP_3) | instskip(NEXT) | instid1(VALU_DEP_1)
	v_cndmask_b32_e64 v9, v17, v9, s4
	v_cndmask_b32_e64 v9, v9, v12, s5
	s_delay_alu instid0(VALU_DEP_1)
	v_cndmask_b32_e64 v10, v9, v26, s6
	v_cndmask_b32_e32 v26, 0, v31, vcc_lo
	ds_bpermute_b32 v16, v19, v0
	ds_bpermute_b32 v20, v19, v15
	ds_bpermute_b32 v27, v19, v13 offset:32
	ds_bpermute_b32 v11, v19, v18
	ds_bpermute_b32 v24, v19, v0 offset:32
	ds_bpermute_b32 v29, v19, v14 offset:32
	;; [unrolled: 1-line block ×7, first 2 shown]
	ds_bpermute_b32 v25, v19, v23
	ds_bpermute_b32 v39, v19, v23 offset:32
	ds_bpermute_b32 v41, v19, v22 offset:64
	;; [unrolled: 1-line block ×8, first 2 shown]
	s_wait_dscnt 0x13
	v_cndmask_b32_e32 v16, 0, v16, vcc_lo
	ds_bpermute_b32 v22, v19, v22 offset:96
	s_wait_dscnt 0x12
	v_cndmask_b32_e32 v27, 0, v27, vcc_lo
	ds_bpermute_b32 v31, v19, v7 offset:32
	v_cndmask_b32_e64 v16, v16, v20, s4
	ds_bpermute_b32 v20, v19, v21 offset:32
	s_wait_dscnt 0x11
	v_cndmask_b32_e64 v9, v27, v29, s4
	ds_bpermute_b32 v27, v19, v14 offset:96
	s_wait_dscnt 0x10
	v_cndmask_b32_e32 v17, 0, v17, vcc_lo
	v_cndmask_b32_e64 v11, v16, v11, s5
	v_cndmask_b32_e32 v16, 0, v24, vcc_lo
	ds_bpermute_b32 v24, v19, v21 offset:64
	s_wait_dscnt 0x10
	v_cndmask_b32_e64 v26, v26, v32, s4
	s_wait_dscnt 0x9
	v_dual_cndmask_b32 v0, 0, v0 :: v_dual_cndmask_b32 v13, 0, v13
	v_cndmask_b32_e64 v16, v16, v28, s4
	ds_bpermute_b32 v21, v19, v21 offset:96
	ds_bpermute_b32 v28, v19, v2
	ds_bpermute_b32 v32, v19, v4
	;; [unrolled: 1-line block ×3, first 2 shown]
	v_cndmask_b32_e64 v14, v16, v30, s5
	v_cndmask_b32_e64 v16, v17, v12, s4
	ds_bpermute_b32 v30, v19, v6 offset:32
	s_wait_dscnt 0xc
	v_cndmask_b32_e64 v0, v0, v15, s4
	s_wait_dscnt 0x7
	v_cndmask_b32_e64 v20, v9, v20, s5
	v_cndmask_b32_e64 v9, v11, v25, s6
	;; [unrolled: 1-line block ×3, first 2 shown]
	ds_bpermute_b32 v25, v19, v8
	s_wait_dscnt 0x7
	v_cndmask_b32_e64 v13, v13, v27, s4
	ds_bpermute_b32 v27, v19, v5 offset:32
	s_wait_dscnt 0x7
	v_cndmask_b32_e64 v17, v26, v24, s5
	v_cndmask_b32_e64 v12, v20, v38, s6
	ds_bpermute_b32 v20, v19, v23 offset:64
	ds_bpermute_b32 v24, v19, v5
	ds_bpermute_b32 v26, v19, v7
	v_cndmask_b32_e64 v14, v17, v41, s6
	ds_bpermute_b32 v17, v19, v6
	ds_bpermute_b32 v23, v19, v23 offset:96
	ds_bpermute_b32 v39, v19, v8 offset:32
	v_cndmask_b32_e64 v16, v16, v40, s5
	s_wait_dscnt 0xc
	v_cndmask_b32_e64 v21, v13, v21, s5
	v_cndmask_b32_e64 v0, v0, v18, s5
	ds_bpermute_b32 v38, v19, v3
	ds_bpermute_b32 v40, v19, v1 offset:32
	s_wait_dscnt 0x8
	v_dual_mov_b32 v41, 0 :: v_dual_cndmask_b32 v18, 0, v27
	ds_bpermute_b32 v27, v19, v7 offset:64
	ds_bpermute_b32 v7, v19, v7 offset:96
	s_wait_dscnt 0x9
	v_cndmask_b32_e64 v13, v16, v20, s6
	ds_bpermute_b32 v20, v19, v6 offset:64
	ds_bpermute_b32 v6, v19, v6 offset:96
	v_cndmask_b32_e64 v16, v21, v22, s6
	s_wait_dscnt 0x8
	v_cndmask_b32_e32 v15, 0, v17, vcc_lo
	v_dual_cndmask_b32 v17, 0, v24 :: v_dual_cndmask_b32 v22, 0, v30
	ds_bpermute_b32 v24, v19, v5 offset:64
	ds_bpermute_b32 v5, v19, v5 offset:96
	v_cndmask_b32_e64 v15, v15, v25, s4
	v_cndmask_b32_e64 v17, v17, v26, s4
	ds_bpermute_b32 v26, v19, v8 offset:64
	ds_bpermute_b32 v8, v19, v8 offset:96
	;; [unrolled: 1-line block ×3, first 2 shown]
	v_cndmask_b32_e64 v21, v15, v28, s5
	s_wait_dscnt 0xc
	v_cndmask_b32_e64 v15, v0, v23, s6
	v_cndmask_b32_e64 v0, v18, v31, s4
	ds_bpermute_b32 v28, v19, v2 offset:64
	v_cndmask_b32_e64 v17, v17, v29, s5
	v_cndmask_b32_e64 v18, v21, v32, s6
	s_wait_dscnt 0xc
	v_cndmask_b32_e64 v21, v22, v39, s4
	ds_bpermute_b32 v22, v19, v2 offset:32
	ds_bpermute_b32 v2, v19, v2 offset:96
	;; [unrolled: 1-line block ×6, first 2 shown]
	s_wait_dscnt 0x11
	v_cndmask_b32_e64 v17, v17, v38, s6
	ds_bpermute_b32 v23, v19, v3 offset:32
	s_wait_dscnt 0xe
	v_cndmask_b32_e32 v20, 0, v20, vcc_lo
	ds_bpermute_b32 v30, v19, v3 offset:64
	ds_bpermute_b32 v38, v19, v3 offset:96
	s_wait_dscnt 0xf
	v_cndmask_b32_e32 v3, 0, v6, vcc_lo
	s_wait_dscnt 0xe
	v_cndmask_b32_e32 v1, 0, v24, vcc_lo
	;; [unrolled: 2-line block ×3, first 2 shown]
	s_wait_dscnt 0xc
	v_cndmask_b32_e64 v19, v20, v26, s4
	v_cndmask_b32_e64 v0, v0, v40, s5
	s_wait_dscnt 0xb
	v_cndmask_b32_e64 v3, v3, v8, s4
	v_cndmask_b32_e64 v1, v1, v27, s4
	;; [unrolled: 1-line block ×3, first 2 shown]
	s_wait_dscnt 0x8
	v_cndmask_b32_e64 v6, v21, v22, s5
	s_wait_dscnt 0x7
	v_cndmask_b32_e64 v2, v3, v2, s5
	;; [unrolled: 2-line block ×4, first 2 shown]
	v_cndmask_b32_e64 v20, v6, v25, s6
	v_cndmask_b32_e64 v6, v19, v28, s5
	s_getpc_b64 s[4:5]
	s_wait_alu 0xfffe
	s_sext_i32_i16 s5, s5
	s_add_co_u32 s4, s4, _ZN7rocprim17ROCPRIM_400000_NS16block_radix_sortIlLj32ELj4ElLj1ELj1ELj0ELNS0_26block_radix_rank_algorithmE1ELNS0_18block_padding_hintE2ELNS0_4arch9wavefront6targetE0EE19radix_bits_per_passE@rel32@lo+12
	s_wait_alu 0xfffe
	s_add_co_ci_u32 s5, s5, _ZN7rocprim17ROCPRIM_400000_NS16block_radix_sortIlLj32ELj4ElLj1ELj1ELj0ELNS0_26block_radix_rank_algorithmE1ELNS0_18block_padding_hintE2ELNS0_4arch9wavefront6targetE0EE19radix_bits_per_passE@rel32@hi+24
	s_wait_kmcnt 0x0
	s_lshr_b32 s8, s7, 16
	s_wait_dscnt 0x3
	v_cndmask_b32_e64 v3, v2, v4, s6
	s_wait_alu 0xfffe
	v_mad_u32_u24 v4, v63, s8, v62
	s_load_b32 s11, s[4:5], 0x0
	s_and_b32 s4, s7, 0xffff
	s_wait_dscnt 0x0
	v_cndmask_b32_e64 v2, v5, v38, s6
	v_cndmask_b32_e64 v1, v6, v31, s6
	s_wait_alu 0xfffe
	v_mad_co_u64_u32 v[4:5], null, v4, s4, v[37:38]
	v_sub_co_u32 v5, s10, v36, 1
	v_and_b32_e32 v6, 15, v36
	v_cndmask_b32_e64 v19, v0, v23, s6
	v_cndmask_b32_e64 v0, v7, v30, s6
	s_delay_alu instid0(VALU_DEP_4)
	v_cmp_gt_i32_e32 vcc_lo, 0, v5
	v_lshrrev_b32_e32 v4, 3, v4
	v_cmp_eq_u32_e64 s4, 0, v6
	v_cmp_lt_u32_e64 s5, 1, v6
	v_and_b32_e32 v7, 16, v36
	s_wait_alu 0xfffd
	v_cndmask_b32_e32 v5, v5, v36, vcc_lo
	v_cmp_lt_u32_e64 s6, 3, v6
	v_cmp_lt_u32_e64 s7, 7, v6
	v_and_or_b32 v6, 0xf80, v34, v36
	v_cmp_eq_u32_e32 vcc_lo, 0, v37
	v_lshlrev_b32_e32 v38, 2, v5
	v_and_b32_e32 v40, 0x1ffffffc, v4
	v_mov_b32_e32 v4, 0
	v_cmp_eq_u32_e64 s8, 0, v7
	v_lshlrev_b32_e32 v39, 3, v6
	v_mov_b32_e32 v5, 0
	s_or_b32 s15, vcc_lo, s10
	s_branch .LBB143_39
.LBB143_38:                             ;   in Loop: Header=BB143_39 Depth=1
	s_wait_alu 0xfffe
	s_and_not1_b32 vcc_lo, exec_lo, s10
	s_wait_alu 0xfffe
	s_cbranch_vccz .LBB143_51
.LBB143_39:                             ; =>This Inner Loop Header: Depth=1
	v_dual_mov_b32 v6, v9 :: v_dual_mov_b32 v7, v10
	s_wait_kmcnt 0x0
	s_min_u32 s10, s11, s17
	ds_store_2addr_b32 v61, v41, v41 offset0:1 offset1:2
	ds_store_2addr_b32 v61, v41, v41 offset0:3 offset1:4
	;; [unrolled: 1-line block ×4, first 2 shown]
	s_wait_alu 0xfffe
	s_lshl_b32 s10, -1, s10
	s_wait_loadcnt_dscnt 0x0
	v_lshrrev_b64 v[8:9], v4, v[6:7]
	s_wait_alu 0xfffe
	s_not_b32 s20, s10
	; wave barrier
	global_inv scope:SCOPE_SE
	; wave barrier
	s_wait_alu 0xfffe
	v_dual_mov_b32 v30, v16 :: v_dual_and_b32 v9, s20, v8
	v_dual_mov_b32 v29, v15 :: v_dual_mov_b32 v32, v14
	v_mov_b32_e32 v37, v12
	s_delay_alu instid0(VALU_DEP_3)
	v_dual_mov_b32 v31, v13 :: v_dual_lshlrev_b32 v10, 30, v9
	v_and_b32_e32 v8, 1, v9
	v_lshlrev_b32_e32 v21, 29, v9
	v_lshlrev_b32_e32 v22, 28, v9
	;; [unrolled: 1-line block ×3, first 2 shown]
	v_not_b32_e32 v27, v10
	v_add_co_u32 v8, s10, v8, -1
	s_wait_alu 0xf1ff
	v_cndmask_b32_e64 v23, 0, 1, s10
	v_cmp_gt_i32_e64 s10, 0, v10
	v_not_b32_e32 v10, v21
	v_ashrrev_i32_e32 v27, 31, v27
	v_dual_mov_b32 v36, v11 :: v_dual_lshlrev_b32 v25, 26, v9
	v_cmp_ne_u32_e32 vcc_lo, 0, v23
	s_delay_alu instid0(VALU_DEP_4)
	v_ashrrev_i32_e32 v10, 31, v10
	s_wait_alu 0xf1ff
	v_xor_b32_e32 v27, s10, v27
	v_cmp_gt_i32_e64 s10, 0, v22
	v_lshlrev_b32_e32 v26, 25, v9
	s_wait_alu 0xfffd
	v_xor_b32_e32 v8, vcc_lo, v8
	v_cmp_gt_i32_e32 vcc_lo, 0, v21
	v_not_b32_e32 v21, v22
	v_not_b32_e32 v22, v24
	v_lshlrev_b32_e32 v23, 24, v9
	v_and_b32_e32 v8, exec_lo, v8
	s_wait_alu 0xfffd
	v_xor_b32_e32 v10, vcc_lo, v10
	v_ashrrev_i32_e32 v21, 31, v21
	v_cmp_gt_i32_e32 vcc_lo, 0, v24
	v_not_b32_e32 v24, v25
	v_and_b32_e32 v8, v8, v27
	v_ashrrev_i32_e32 v22, 31, v22
	s_wait_alu 0xf1ff
	v_xor_b32_e32 v21, s10, v21
	v_cmp_gt_i32_e64 s10, 0, v25
	v_ashrrev_i32_e32 v24, 31, v24
	v_and_b32_e32 v8, v8, v10
	v_not_b32_e32 v10, v26
	s_wait_alu 0xfffd
	v_xor_b32_e32 v22, vcc_lo, v22
	v_cmp_gt_i32_e32 vcc_lo, 0, v26
	s_wait_alu 0xf1ff
	v_xor_b32_e32 v24, s10, v24
	v_and_b32_e32 v8, v8, v21
	v_not_b32_e32 v21, v23
	v_ashrrev_i32_e32 v10, 31, v10
	v_cmp_gt_i32_e64 s10, 0, v23
	v_mov_b32_e32 v28, v1
	v_and_b32_e32 v8, v8, v22
	v_ashrrev_i32_e32 v21, 31, v21
	s_wait_alu 0xfffd
	v_xor_b32_e32 v10, vcc_lo, v10
	v_dual_mov_b32 v26, v3 :: v_dual_mov_b32 v27, v0
	v_and_b32_e32 v8, v8, v24
	s_wait_alu 0xf1ff
	v_xor_b32_e32 v21, s10, v21
	v_dual_mov_b32 v24, v18 :: v_dual_mov_b32 v23, v17
	s_delay_alu instid0(VALU_DEP_3) | instskip(SKIP_1) | instid1(VALU_DEP_2)
	v_dual_mov_b32 v25, v2 :: v_dual_and_b32 v8, v8, v10
	v_lshl_add_u32 v13, v9, 2, v40
	v_and_b32_e32 v8, v8, v21
	v_dual_mov_b32 v22, v20 :: v_dual_mov_b32 v21, v19
	s_delay_alu instid0(VALU_DEP_2) | instskip(SKIP_1) | instid1(VALU_DEP_2)
	v_mbcnt_lo_u32_b32 v12, v8, 0
	v_cmp_ne_u32_e64 s10, 0, v8
	v_cmp_eq_u32_e32 vcc_lo, 0, v12
	s_and_b32 s21, s10, vcc_lo
	s_wait_alu 0xfffe
	s_and_saveexec_b32 s10, s21
; %bb.40:                               ;   in Loop: Header=BB143_39 Depth=1
	v_bcnt_u32_b32 v0, v8, 0
	ds_store_b32 v13, v0 offset:4
; %bb.41:                               ;   in Loop: Header=BB143_39 Depth=1
	s_wait_alu 0xfffe
	s_or_b32 exec_lo, exec_lo, s10
	v_lshrrev_b64 v[0:1], v4, v[36:37]
	; wave barrier
	s_delay_alu instid0(VALU_DEP_1) | instskip(NEXT) | instid1(VALU_DEP_1)
	v_and_b32_e32 v0, s20, v0
	v_and_b32_e32 v1, 1, v0
	v_lshlrev_b32_e32 v2, 30, v0
	v_lshlrev_b32_e32 v3, 29, v0
	;; [unrolled: 1-line block ×4, first 2 shown]
	v_add_co_u32 v1, s10, v1, -1
	s_wait_alu 0xf1ff
	v_cndmask_b32_e64 v9, 0, 1, s10
	v_not_b32_e32 v15, v2
	v_cmp_gt_i32_e64 s10, 0, v2
	v_not_b32_e32 v2, v3
	v_lshlrev_b32_e32 v11, 26, v0
	v_cmp_ne_u32_e32 vcc_lo, 0, v9
	v_ashrrev_i32_e32 v15, 31, v15
	v_lshlrev_b32_e32 v14, 25, v0
	v_ashrrev_i32_e32 v2, 31, v2
	v_lshlrev_b32_e32 v9, 24, v0
	s_wait_alu 0xfffd
	v_xor_b32_e32 v1, vcc_lo, v1
	v_cmp_gt_i32_e32 vcc_lo, 0, v3
	v_not_b32_e32 v3, v8
	s_wait_alu 0xf1ff
	v_xor_b32_e32 v15, s10, v15
	v_cmp_gt_i32_e64 s10, 0, v8
	v_and_b32_e32 v1, exec_lo, v1
	v_not_b32_e32 v8, v10
	v_ashrrev_i32_e32 v3, 31, v3
	s_wait_alu 0xfffd
	v_xor_b32_e32 v2, vcc_lo, v2
	v_cmp_gt_i32_e32 vcc_lo, 0, v10
	v_and_b32_e32 v1, v1, v15
	v_not_b32_e32 v10, v11
	v_ashrrev_i32_e32 v8, 31, v8
	s_wait_alu 0xf1ff
	v_xor_b32_e32 v3, s10, v3
	v_cmp_gt_i32_e64 s10, 0, v11
	v_and_b32_e32 v1, v1, v2
	v_not_b32_e32 v2, v14
	v_ashrrev_i32_e32 v10, 31, v10
	s_wait_alu 0xfffd
	v_xor_b32_e32 v8, vcc_lo, v8
	v_cmp_gt_i32_e32 vcc_lo, 0, v14
	v_and_b32_e32 v1, v1, v3
	v_not_b32_e32 v3, v9
	v_ashrrev_i32_e32 v2, 31, v2
	s_wait_alu 0xf1ff
	v_xor_b32_e32 v10, s10, v10
	v_cmp_gt_i32_e64 s10, 0, v9
	v_and_b32_e32 v1, v1, v8
	v_ashrrev_i32_e32 v3, 31, v3
	s_wait_alu 0xfffd
	v_xor_b32_e32 v2, vcc_lo, v2
	v_lshl_add_u32 v15, v0, 2, v40
	v_and_b32_e32 v1, v1, v10
	s_wait_alu 0xf1ff
	v_xor_b32_e32 v0, s10, v3
	ds_load_b32 v14, v15 offset:4
	v_and_b32_e32 v1, v1, v2
	; wave barrier
	s_delay_alu instid0(VALU_DEP_1) | instskip(NEXT) | instid1(VALU_DEP_1)
	v_and_b32_e32 v0, v1, v0
	v_mbcnt_lo_u32_b32 v16, v0, 0
	v_cmp_ne_u32_e64 s10, 0, v0
	s_delay_alu instid0(VALU_DEP_2)
	v_cmp_eq_u32_e32 vcc_lo, 0, v16
	s_and_b32 s21, s10, vcc_lo
	s_wait_alu 0xfffe
	s_and_saveexec_b32 s10, s21
	s_cbranch_execz .LBB143_43
; %bb.42:                               ;   in Loop: Header=BB143_39 Depth=1
	s_wait_dscnt 0x0
	v_bcnt_u32_b32 v0, v0, v14
	ds_store_b32 v15, v0 offset:4
.LBB143_43:                             ;   in Loop: Header=BB143_39 Depth=1
	s_wait_alu 0xfffe
	s_or_b32 exec_lo, exec_lo, s10
	v_lshrrev_b64 v[0:1], v4, v[31:32]
	; wave barrier
	s_delay_alu instid0(VALU_DEP_1) | instskip(NEXT) | instid1(VALU_DEP_1)
	v_and_b32_e32 v0, s20, v0
	v_and_b32_e32 v1, 1, v0
	v_lshlrev_b32_e32 v2, 30, v0
	v_lshlrev_b32_e32 v3, 29, v0
	;; [unrolled: 1-line block ×4, first 2 shown]
	v_add_co_u32 v1, s10, v1, -1
	s_wait_alu 0xf1ff
	v_cndmask_b32_e64 v9, 0, 1, s10
	v_not_b32_e32 v18, v2
	v_cmp_gt_i32_e64 s10, 0, v2
	v_not_b32_e32 v2, v3
	v_lshlrev_b32_e32 v11, 26, v0
	v_cmp_ne_u32_e32 vcc_lo, 0, v9
	v_ashrrev_i32_e32 v18, 31, v18
	v_lshlrev_b32_e32 v17, 25, v0
	v_ashrrev_i32_e32 v2, 31, v2
	v_lshlrev_b32_e32 v9, 24, v0
	s_wait_alu 0xfffd
	v_xor_b32_e32 v1, vcc_lo, v1
	v_cmp_gt_i32_e32 vcc_lo, 0, v3
	v_not_b32_e32 v3, v8
	s_wait_alu 0xf1ff
	v_xor_b32_e32 v18, s10, v18
	v_cmp_gt_i32_e64 s10, 0, v8
	v_and_b32_e32 v1, exec_lo, v1
	v_not_b32_e32 v8, v10
	v_ashrrev_i32_e32 v3, 31, v3
	s_wait_alu 0xfffd
	v_xor_b32_e32 v2, vcc_lo, v2
	v_cmp_gt_i32_e32 vcc_lo, 0, v10
	v_and_b32_e32 v1, v1, v18
	v_not_b32_e32 v10, v11
	v_ashrrev_i32_e32 v8, 31, v8
	s_wait_alu 0xf1ff
	v_xor_b32_e32 v3, s10, v3
	v_cmp_gt_i32_e64 s10, 0, v11
	v_and_b32_e32 v1, v1, v2
	v_not_b32_e32 v2, v17
	v_ashrrev_i32_e32 v10, 31, v10
	s_wait_alu 0xfffd
	v_xor_b32_e32 v8, vcc_lo, v8
	v_cmp_gt_i32_e32 vcc_lo, 0, v17
	v_and_b32_e32 v1, v1, v3
	v_not_b32_e32 v3, v9
	v_ashrrev_i32_e32 v2, 31, v2
	s_wait_alu 0xf1ff
	v_xor_b32_e32 v10, s10, v10
	v_cmp_gt_i32_e64 s10, 0, v9
	v_and_b32_e32 v1, v1, v8
	v_ashrrev_i32_e32 v3, 31, v3
	s_wait_alu 0xfffd
	v_xor_b32_e32 v2, vcc_lo, v2
	v_lshl_add_u32 v18, v0, 2, v40
	v_and_b32_e32 v1, v1, v10
	s_wait_alu 0xf1ff
	v_xor_b32_e32 v0, s10, v3
	ds_load_b32 v17, v18 offset:4
	v_and_b32_e32 v1, v1, v2
	; wave barrier
	s_delay_alu instid0(VALU_DEP_1) | instskip(NEXT) | instid1(VALU_DEP_1)
	v_and_b32_e32 v0, v1, v0
	v_mbcnt_lo_u32_b32 v19, v0, 0
	v_cmp_ne_u32_e64 s10, 0, v0
	s_delay_alu instid0(VALU_DEP_2)
	v_cmp_eq_u32_e32 vcc_lo, 0, v19
	s_and_b32 s21, s10, vcc_lo
	s_wait_alu 0xfffe
	s_and_saveexec_b32 s10, s21
	s_cbranch_execz .LBB143_45
; %bb.44:                               ;   in Loop: Header=BB143_39 Depth=1
	s_wait_dscnt 0x0
	v_bcnt_u32_b32 v0, v0, v17
	ds_store_b32 v18, v0 offset:4
.LBB143_45:                             ;   in Loop: Header=BB143_39 Depth=1
	s_wait_alu 0xfffe
	s_or_b32 exec_lo, exec_lo, s10
	v_lshrrev_b64 v[0:1], v4, v[29:30]
	; wave barrier
	s_delay_alu instid0(VALU_DEP_1) | instskip(NEXT) | instid1(VALU_DEP_1)
	v_and_b32_e32 v0, s20, v0
	v_and_b32_e32 v1, 1, v0
	v_lshlrev_b32_e32 v2, 30, v0
	v_lshlrev_b32_e32 v3, 29, v0
	;; [unrolled: 1-line block ×4, first 2 shown]
	v_add_co_u32 v1, s10, v1, -1
	s_wait_alu 0xf1ff
	v_cndmask_b32_e64 v9, 0, 1, s10
	v_not_b32_e32 v42, v2
	v_cmp_gt_i32_e64 s10, 0, v2
	v_not_b32_e32 v2, v3
	v_lshlrev_b32_e32 v11, 26, v0
	v_cmp_ne_u32_e32 vcc_lo, 0, v9
	v_ashrrev_i32_e32 v42, 31, v42
	v_lshlrev_b32_e32 v20, 25, v0
	v_ashrrev_i32_e32 v2, 31, v2
	v_lshlrev_b32_e32 v9, 24, v0
	s_wait_alu 0xfffd
	v_xor_b32_e32 v1, vcc_lo, v1
	v_cmp_gt_i32_e32 vcc_lo, 0, v3
	v_not_b32_e32 v3, v8
	s_wait_alu 0xf1ff
	v_xor_b32_e32 v42, s10, v42
	v_cmp_gt_i32_e64 s10, 0, v8
	v_and_b32_e32 v1, exec_lo, v1
	v_not_b32_e32 v8, v10
	v_ashrrev_i32_e32 v3, 31, v3
	s_wait_alu 0xfffd
	v_xor_b32_e32 v2, vcc_lo, v2
	v_cmp_gt_i32_e32 vcc_lo, 0, v10
	v_and_b32_e32 v1, v1, v42
	v_not_b32_e32 v10, v11
	v_ashrrev_i32_e32 v8, 31, v8
	s_wait_alu 0xf1ff
	v_xor_b32_e32 v3, s10, v3
	v_cmp_gt_i32_e64 s10, 0, v11
	v_and_b32_e32 v1, v1, v2
	v_not_b32_e32 v2, v20
	v_ashrrev_i32_e32 v10, 31, v10
	s_wait_alu 0xfffd
	v_xor_b32_e32 v8, vcc_lo, v8
	v_cmp_gt_i32_e32 vcc_lo, 0, v20
	v_and_b32_e32 v1, v1, v3
	v_not_b32_e32 v3, v9
	v_ashrrev_i32_e32 v2, 31, v2
	s_wait_alu 0xf1ff
	v_xor_b32_e32 v10, s10, v10
	v_cmp_gt_i32_e64 s10, 0, v9
	v_and_b32_e32 v1, v1, v8
	v_ashrrev_i32_e32 v3, 31, v3
	s_wait_alu 0xfffd
	v_xor_b32_e32 v2, vcc_lo, v2
	v_lshl_add_u32 v42, v0, 2, v40
	v_and_b32_e32 v1, v1, v10
	s_wait_alu 0xf1ff
	v_xor_b32_e32 v0, s10, v3
	ds_load_b32 v20, v42 offset:4
	v_and_b32_e32 v1, v1, v2
	; wave barrier
	s_delay_alu instid0(VALU_DEP_1) | instskip(NEXT) | instid1(VALU_DEP_1)
	v_and_b32_e32 v0, v1, v0
	v_mbcnt_lo_u32_b32 v45, v0, 0
	v_cmp_ne_u32_e64 s10, 0, v0
	s_delay_alu instid0(VALU_DEP_2)
	v_cmp_eq_u32_e32 vcc_lo, 0, v45
	s_and_b32 s20, s10, vcc_lo
	s_wait_alu 0xfffe
	s_and_saveexec_b32 s10, s20
	s_cbranch_execz .LBB143_47
; %bb.46:                               ;   in Loop: Header=BB143_39 Depth=1
	s_wait_dscnt 0x0
	v_bcnt_u32_b32 v0, v0, v20
	ds_store_b32 v42, v0 offset:4
.LBB143_47:                             ;   in Loop: Header=BB143_39 Depth=1
	s_wait_alu 0xfffe
	s_or_b32 exec_lo, exec_lo, s10
	; wave barrier
	; wave barrier
	s_wait_loadcnt_dscnt 0x0
	global_inv scope:SCOPE_SE
	ds_load_2addr_b32 v[10:11], v61 offset0:1 offset1:2
	ds_load_2addr_b32 v[8:9], v61 offset0:3 offset1:4
	;; [unrolled: 1-line block ×4, first 2 shown]
	s_wait_dscnt 0x3
	v_add_nc_u32_e32 v43, v11, v10
	s_wait_dscnt 0x2
	s_delay_alu instid0(VALU_DEP_1) | instskip(SKIP_1) | instid1(VALU_DEP_1)
	v_add3_u32 v43, v43, v8, v9
	s_wait_dscnt 0x1
	v_add3_u32 v43, v43, v2, v3
	s_wait_dscnt 0x0
	s_delay_alu instid0(VALU_DEP_1) | instskip(NEXT) | instid1(VALU_DEP_1)
	v_add3_u32 v1, v43, v0, v1
	v_mov_b32_dpp v43, v1 row_shr:1 row_mask:0xf bank_mask:0xf
	s_delay_alu instid0(VALU_DEP_1) | instskip(NEXT) | instid1(VALU_DEP_1)
	v_cndmask_b32_e64 v43, v43, 0, s4
	v_add_nc_u32_e32 v1, v43, v1
	s_delay_alu instid0(VALU_DEP_1) | instskip(NEXT) | instid1(VALU_DEP_1)
	v_mov_b32_dpp v43, v1 row_shr:2 row_mask:0xf bank_mask:0xf
	v_cndmask_b32_e64 v43, 0, v43, s5
	s_delay_alu instid0(VALU_DEP_1) | instskip(NEXT) | instid1(VALU_DEP_1)
	v_add_nc_u32_e32 v1, v1, v43
	v_mov_b32_dpp v43, v1 row_shr:4 row_mask:0xf bank_mask:0xf
	s_delay_alu instid0(VALU_DEP_1) | instskip(NEXT) | instid1(VALU_DEP_1)
	v_cndmask_b32_e64 v43, 0, v43, s6
	v_add_nc_u32_e32 v1, v1, v43
	s_delay_alu instid0(VALU_DEP_1) | instskip(NEXT) | instid1(VALU_DEP_1)
	v_mov_b32_dpp v43, v1 row_shr:8 row_mask:0xf bank_mask:0xf
	v_cndmask_b32_e64 v43, 0, v43, s7
	s_delay_alu instid0(VALU_DEP_1) | instskip(SKIP_3) | instid1(VALU_DEP_1)
	v_add_nc_u32_e32 v1, v1, v43
	ds_swizzle_b32 v43, v1 offset:swizzle(BROADCAST,32,15)
	s_wait_dscnt 0x0
	v_cndmask_b32_e64 v43, v43, 0, s8
	v_add_nc_u32_e32 v1, v1, v43
	s_and_saveexec_b32 s10, s9
; %bb.48:                               ;   in Loop: Header=BB143_39 Depth=1
	ds_store_b32 v41, v1
; %bb.49:                               ;   in Loop: Header=BB143_39 Depth=1
	s_wait_alu 0xfffe
	s_or_b32 exec_lo, exec_lo, s10
	ds_bpermute_b32 v1, v38, v1
	; wave barrier
	s_wait_loadcnt_dscnt 0x0
	global_inv scope:SCOPE_SE
	v_cmp_lt_u32_e32 vcc_lo, 55, v4
	s_mov_b32 s10, -1
	s_and_b32 vcc_lo, exec_lo, vcc_lo
	v_cndmask_b32_e64 v1, v1, 0, s15
	s_delay_alu instid0(VALU_DEP_1) | instskip(NEXT) | instid1(VALU_DEP_1)
	v_add_nc_u32_e32 v10, v1, v10
	v_add_nc_u32_e32 v11, v10, v11
	s_delay_alu instid0(VALU_DEP_1) | instskip(NEXT) | instid1(VALU_DEP_1)
	v_add_nc_u32_e32 v8, v11, v8
	v_add_nc_u32_e32 v9, v8, v9
	;; [unrolled: 3-line block ×3, first 2 shown]
	s_delay_alu instid0(VALU_DEP_1)
	v_add_nc_u32_e32 v0, v3, v0
	ds_store_2addr_b32 v61, v1, v10 offset0:1 offset1:2
	ds_store_2addr_b32 v61, v11, v8 offset0:3 offset1:4
	;; [unrolled: 1-line block ×4, first 2 shown]
	; wave barrier
	s_wait_loadcnt_dscnt 0x0
	global_inv scope:SCOPE_SE
	ds_load_b32 v0, v13 offset:4
	ds_load_b32 v1, v15 offset:4
	;; [unrolled: 1-line block ×4, first 2 shown]
	s_wait_dscnt 0x3
	v_add_nc_u32_e32 v44, v0, v12
	s_wait_dscnt 0x2
	v_add3_u32 v43, v16, v14, v1
	s_wait_dscnt 0x1
	v_add3_u32 v42, v19, v17, v2
	;; [unrolled: 2-line block ×3, first 2 shown]
                                        ; implicit-def: $vgpr15_vgpr16
                                        ; implicit-def: $vgpr11_vgpr12
                                        ; implicit-def: $vgpr17_vgpr18
                                        ; implicit-def: $vgpr0_vgpr1
	s_wait_alu 0xfffe
	s_cbranch_vccnz .LBB143_38
; %bb.50:                               ;   in Loop: Header=BB143_39 Depth=1
	v_lshlrev_b32_e32 v0, 3, v44
	v_lshlrev_b32_e32 v1, 3, v43
	;; [unrolled: 1-line block ×4, first 2 shown]
	s_wait_loadcnt 0x0
	; wave barrier
	global_inv scope:SCOPE_SE
	ds_store_b64 v0, v[6:7]
	ds_store_b64 v1, v[36:37]
	;; [unrolled: 1-line block ×4, first 2 shown]
	; wave barrier
	s_wait_loadcnt_dscnt 0x0
	global_inv scope:SCOPE_SE
	ds_load_2addr_b64 v[9:12], v39 offset1:32
	ds_load_2addr_b64 v[13:16], v39 offset0:64 offset1:96
	; wave barrier
	s_wait_loadcnt_dscnt 0x0
	global_inv scope:SCOPE_SE
	ds_store_b64 v0, v[23:24]
	ds_store_b64 v1, v[21:22]
	ds_store_b64 v2, v[27:28]
	ds_store_b64 v3, v[25:26]
	; wave barrier
	s_wait_loadcnt_dscnt 0x0
	global_inv scope:SCOPE_SE
	ds_load_2addr_b64 v[17:20], v39 offset1:32
	ds_load_2addr_b64 v[0:3], v39 offset0:64 offset1:96
	v_add_co_u32 v4, vcc_lo, v4, 8
	s_wait_alu 0xfffd
	v_add_co_ci_u32_e64 v5, null, 0, v5, vcc_lo
	s_add_co_i32 s17, s17, -8
	s_mov_b32 s10, 0
	; wave barrier
	s_wait_loadcnt_dscnt 0x0
	global_inv scope:SCOPE_SE
	s_branch .LBB143_38
.LBB143_51:
	v_lshlrev_b32_e32 v9, 3, v44
	v_lshlrev_b32_e32 v11, 3, v42
	;; [unrolled: 1-line block ×5, first 2 shown]
	s_wait_loadcnt 0x0
	; wave barrier
	global_inv scope:SCOPE_SE
	ds_store_b64 v9, v[6:7]
	ds_store_b64 v10, v[36:37]
	;; [unrolled: 1-line block ×4, first 2 shown]
	; wave barrier
	s_wait_loadcnt_dscnt 0x0
	global_inv scope:SCOPE_SE
	ds_load_b128 v[0:3], v38
	ds_load_b128 v[4:7], v38 offset:16
	; wave barrier
	s_wait_loadcnt_dscnt 0x0
	global_inv scope:SCOPE_SE
	ds_store_b64 v9, v[23:24]
	ds_store_b64 v10, v[21:22]
	;; [unrolled: 1-line block ×4, first 2 shown]
	; wave barrier
	s_wait_loadcnt_dscnt 0x0
	global_inv scope:SCOPE_SE
	v_xor_b32_e32 v18, 0x7fffffff, v1
	v_xor_b32_e32 v17, -1, v0
	v_xor_b32_e32 v20, 0x7fffffff, v3
	v_xor_b32_e32 v19, -1, v2
	;; [unrolled: 2-line block ×4, first 2 shown]
.LBB143_52:
	ds_load_2addr_b64 v[0:3], v38 offset1:1
	ds_load_2addr_b64 v[4:7], v38 offset0:2 offset1:3
	; wave barrier
	s_wait_loadcnt_dscnt 0x0
	global_inv scope:SCOPE_SE
	ds_store_2addr_b64 v60, v[17:18], v[19:20] offset1:1
	ds_store_2addr_b64 v60, v[21:22], v[23:24] offset0:2 offset1:3
	; wave barrier
	s_wait_loadcnt_dscnt 0x0
	global_inv scope:SCOPE_SE
	ds_load_b64 v[14:15], v57 offset:256
	ds_load_b64 v[12:13], v58 offset:512
	;; [unrolled: 1-line block ×3, first 2 shown]
	v_mov_b32_e32 v34, 0
	s_delay_alu instid0(VALU_DEP_1) | instskip(NEXT) | instid1(VALU_DEP_1)
	v_lshlrev_b64_e32 v[10:11], 3, v[33:34]
	v_add_co_u32 v10, vcc_lo, s18, v10
	s_wait_alu 0xfffd
	s_delay_alu instid0(VALU_DEP_2)
	v_add_co_ci_u32_e64 v11, null, s19, v11, vcc_lo
	s_and_saveexec_b32 s4, s0
	s_cbranch_execnz .LBB143_63
; %bb.53:
	s_wait_alu 0xfffe
	s_or_b32 exec_lo, exec_lo, s4
	s_and_saveexec_b32 s4, s1
	s_cbranch_execnz .LBB143_64
.LBB143_54:
	s_wait_alu 0xfffe
	s_or_b32 exec_lo, exec_lo, s4
	s_and_saveexec_b32 s4, s2
	s_cbranch_execnz .LBB143_65
.LBB143_55:
	s_wait_alu 0xfffe
	s_or_b32 exec_lo, exec_lo, s4
	s_and_saveexec_b32 s4, s3
	s_cbranch_execz .LBB143_57
.LBB143_56:
	s_mul_i32 s6, s14, 0x60
	s_mov_b32 s7, 0
	s_wait_alu 0xfffe
	s_lshl_b64 s[6:7], s[6:7], 3
	s_wait_alu 0xfffe
	v_add_co_u32 v10, vcc_lo, v10, s6
	s_wait_alu 0xfffd
	v_add_co_ci_u32_e64 v11, null, s7, v11, vcc_lo
	s_wait_dscnt 0x0
	global_store_b64 v[10:11], v[8:9], off
.LBB143_57:
	s_wait_alu 0xfffe
	s_or_b32 exec_lo, exec_lo, s4
	s_wait_storecnt 0x0
	; wave barrier
	s_wait_loadcnt_dscnt 0x0
	global_inv scope:SCOPE_SE
	ds_store_2addr_b64 v60, v[0:1], v[2:3] offset1:1
	ds_store_2addr_b64 v60, v[4:5], v[6:7] offset0:2 offset1:3
	; wave barrier
	s_wait_loadcnt_dscnt 0x0
	global_inv scope:SCOPE_SE
	ds_load_b64 v[6:7], v57 offset:256
	ds_load_b64 v[4:5], v58 offset:512
	;; [unrolled: 1-line block ×3, first 2 shown]
	v_mov_b32_e32 v36, 0
	s_delay_alu instid0(VALU_DEP_1) | instskip(NEXT) | instid1(VALU_DEP_1)
	v_lshlrev_b64_e32 v[2:3], 3, v[35:36]
	v_add_co_u32 v2, vcc_lo, s12, v2
	s_wait_alu 0xfffd
	s_delay_alu instid0(VALU_DEP_2)
	v_add_co_ci_u32_e64 v3, null, s13, v3, vcc_lo
	s_and_saveexec_b32 s4, s0
	s_cbranch_execnz .LBB143_66
; %bb.58:
	s_wait_alu 0xfffe
	s_or_b32 exec_lo, exec_lo, s4
	s_and_saveexec_b32 s0, s1
	s_cbranch_execnz .LBB143_67
.LBB143_59:
	s_or_b32 exec_lo, exec_lo, s0
	s_and_saveexec_b32 s0, s2
	s_cbranch_execnz .LBB143_68
.LBB143_60:
	s_or_b32 exec_lo, exec_lo, s0
	s_and_saveexec_b32 s0, s3
	s_cbranch_execz .LBB143_62
.LBB143_61:
	s_mul_i32 s0, s16, 0x60
	s_mov_b32 s1, 0
	s_delay_alu instid0(SALU_CYCLE_1) | instskip(NEXT) | instid1(SALU_CYCLE_1)
	s_lshl_b64 s[0:1], s[0:1], 3
	v_add_co_u32 v2, vcc_lo, v2, s0
	s_wait_alu 0xfffd
	v_add_co_ci_u32_e64 v3, null, s1, v3, vcc_lo
	s_wait_dscnt 0x0
	global_store_b64 v[2:3], v[0:1], off
.LBB143_62:
	s_endpgm
.LBB143_63:
	ds_load_b64 v[16:17], v56
	s_wait_dscnt 0x0
	global_store_b64 v[10:11], v[16:17], off
	s_wait_alu 0xfffe
	s_or_b32 exec_lo, exec_lo, s4
	s_and_saveexec_b32 s4, s1
	s_cbranch_execz .LBB143_54
.LBB143_64:
	s_lshl_b32 s6, s14, 5
	s_mov_b32 s7, 0
	s_wait_alu 0xfffe
	s_lshl_b64 s[6:7], s[6:7], 3
	s_wait_alu 0xfffe
	v_add_co_u32 v16, vcc_lo, v10, s6
	s_wait_alu 0xfffd
	v_add_co_ci_u32_e64 v17, null, s7, v11, vcc_lo
	s_wait_dscnt 0x2
	global_store_b64 v[16:17], v[14:15], off
	s_or_b32 exec_lo, exec_lo, s4
	s_and_saveexec_b32 s4, s2
	s_cbranch_execz .LBB143_55
.LBB143_65:
	s_lshl_b32 s6, s14, 6
	s_mov_b32 s7, 0
	s_wait_alu 0xfffe
	s_lshl_b64 s[6:7], s[6:7], 3
	s_wait_dscnt 0x2
	s_wait_alu 0xfffe
	v_add_co_u32 v14, vcc_lo, v10, s6
	s_wait_alu 0xfffd
	v_add_co_ci_u32_e64 v15, null, s7, v11, vcc_lo
	s_wait_dscnt 0x1
	global_store_b64 v[14:15], v[12:13], off
	s_or_b32 exec_lo, exec_lo, s4
	s_and_saveexec_b32 s4, s3
	s_cbranch_execnz .LBB143_56
	s_branch .LBB143_57
.LBB143_66:
	ds_load_b64 v[8:9], v56
	s_wait_dscnt 0x0
	global_store_b64 v[2:3], v[8:9], off
	s_wait_alu 0xfffe
	s_or_b32 exec_lo, exec_lo, s4
	s_and_saveexec_b32 s0, s1
	s_cbranch_execz .LBB143_59
.LBB143_67:
	s_lshl_b32 s4, s16, 5
	s_mov_b32 s5, 0
	s_wait_alu 0xfffe
	s_lshl_b64 s[4:5], s[4:5], 3
	s_wait_alu 0xfffe
	v_add_co_u32 v8, vcc_lo, v2, s4
	s_wait_alu 0xfffd
	v_add_co_ci_u32_e64 v9, null, s5, v3, vcc_lo
	s_wait_dscnt 0x2
	global_store_b64 v[8:9], v[6:7], off
	s_or_b32 exec_lo, exec_lo, s0
	s_and_saveexec_b32 s0, s2
	s_cbranch_execz .LBB143_60
.LBB143_68:
	s_lshl_b32 s4, s16, 6
	s_mov_b32 s5, 0
	s_wait_alu 0xfffe
	s_lshl_b64 s[4:5], s[4:5], 3
	s_wait_dscnt 0x2
	s_wait_alu 0xfffe
	v_add_co_u32 v6, vcc_lo, v2, s4
	s_wait_alu 0xfffd
	v_add_co_ci_u32_e64 v7, null, s5, v3, vcc_lo
	s_wait_dscnt 0x1
	global_store_b64 v[6:7], v[4:5], off
	s_or_b32 exec_lo, exec_lo, s0
	s_and_saveexec_b32 s0, s3
	s_cbranch_execnz .LBB143_61
	s_branch .LBB143_62
	.section	.rodata,"a",@progbits
	.p2align	6, 0x0
	.amdhsa_kernel _ZN2at6native18radixSortKVInPlaceILin2ELin1ELi32ELi4ElljEEvNS_4cuda6detail10TensorInfoIT3_T5_EES6_S6_S6_NS4_IT4_S6_EES6_b
		.amdhsa_group_segment_fixed_size 1056
		.amdhsa_private_segment_fixed_size 0
		.amdhsa_kernarg_size 712
		.amdhsa_user_sgpr_count 2
		.amdhsa_user_sgpr_dispatch_ptr 0
		.amdhsa_user_sgpr_queue_ptr 0
		.amdhsa_user_sgpr_kernarg_segment_ptr 1
		.amdhsa_user_sgpr_dispatch_id 0
		.amdhsa_user_sgpr_private_segment_size 0
		.amdhsa_wavefront_size32 1
		.amdhsa_uses_dynamic_stack 0
		.amdhsa_enable_private_segment 0
		.amdhsa_system_sgpr_workgroup_id_x 1
		.amdhsa_system_sgpr_workgroup_id_y 1
		.amdhsa_system_sgpr_workgroup_id_z 1
		.amdhsa_system_sgpr_workgroup_info 0
		.amdhsa_system_vgpr_workitem_id 2
		.amdhsa_next_free_vgpr 72
		.amdhsa_next_free_sgpr 26
		.amdhsa_reserve_vcc 1
		.amdhsa_float_round_mode_32 0
		.amdhsa_float_round_mode_16_64 0
		.amdhsa_float_denorm_mode_32 3
		.amdhsa_float_denorm_mode_16_64 3
		.amdhsa_fp16_overflow 0
		.amdhsa_workgroup_processor_mode 1
		.amdhsa_memory_ordered 1
		.amdhsa_forward_progress 1
		.amdhsa_inst_pref_size 80
		.amdhsa_round_robin_scheduling 0
		.amdhsa_exception_fp_ieee_invalid_op 0
		.amdhsa_exception_fp_denorm_src 0
		.amdhsa_exception_fp_ieee_div_zero 0
		.amdhsa_exception_fp_ieee_overflow 0
		.amdhsa_exception_fp_ieee_underflow 0
		.amdhsa_exception_fp_ieee_inexact 0
		.amdhsa_exception_int_div_zero 0
	.end_amdhsa_kernel
	.section	.text._ZN2at6native18radixSortKVInPlaceILin2ELin1ELi32ELi4ElljEEvNS_4cuda6detail10TensorInfoIT3_T5_EES6_S6_S6_NS4_IT4_S6_EES6_b,"axG",@progbits,_ZN2at6native18radixSortKVInPlaceILin2ELin1ELi32ELi4ElljEEvNS_4cuda6detail10TensorInfoIT3_T5_EES6_S6_S6_NS4_IT4_S6_EES6_b,comdat
.Lfunc_end143:
	.size	_ZN2at6native18radixSortKVInPlaceILin2ELin1ELi32ELi4ElljEEvNS_4cuda6detail10TensorInfoIT3_T5_EES6_S6_S6_NS4_IT4_S6_EES6_b, .Lfunc_end143-_ZN2at6native18radixSortKVInPlaceILin2ELin1ELi32ELi4ElljEEvNS_4cuda6detail10TensorInfoIT3_T5_EES6_S6_S6_NS4_IT4_S6_EES6_b
                                        ; -- End function
	.set _ZN2at6native18radixSortKVInPlaceILin2ELin1ELi32ELi4ElljEEvNS_4cuda6detail10TensorInfoIT3_T5_EES6_S6_S6_NS4_IT4_S6_EES6_b.num_vgpr, 72
	.set _ZN2at6native18radixSortKVInPlaceILin2ELin1ELi32ELi4ElljEEvNS_4cuda6detail10TensorInfoIT3_T5_EES6_S6_S6_NS4_IT4_S6_EES6_b.num_agpr, 0
	.set _ZN2at6native18radixSortKVInPlaceILin2ELin1ELi32ELi4ElljEEvNS_4cuda6detail10TensorInfoIT3_T5_EES6_S6_S6_NS4_IT4_S6_EES6_b.numbered_sgpr, 26
	.set _ZN2at6native18radixSortKVInPlaceILin2ELin1ELi32ELi4ElljEEvNS_4cuda6detail10TensorInfoIT3_T5_EES6_S6_S6_NS4_IT4_S6_EES6_b.num_named_barrier, 0
	.set _ZN2at6native18radixSortKVInPlaceILin2ELin1ELi32ELi4ElljEEvNS_4cuda6detail10TensorInfoIT3_T5_EES6_S6_S6_NS4_IT4_S6_EES6_b.private_seg_size, 0
	.set _ZN2at6native18radixSortKVInPlaceILin2ELin1ELi32ELi4ElljEEvNS_4cuda6detail10TensorInfoIT3_T5_EES6_S6_S6_NS4_IT4_S6_EES6_b.uses_vcc, 1
	.set _ZN2at6native18radixSortKVInPlaceILin2ELin1ELi32ELi4ElljEEvNS_4cuda6detail10TensorInfoIT3_T5_EES6_S6_S6_NS4_IT4_S6_EES6_b.uses_flat_scratch, 0
	.set _ZN2at6native18radixSortKVInPlaceILin2ELin1ELi32ELi4ElljEEvNS_4cuda6detail10TensorInfoIT3_T5_EES6_S6_S6_NS4_IT4_S6_EES6_b.has_dyn_sized_stack, 0
	.set _ZN2at6native18radixSortKVInPlaceILin2ELin1ELi32ELi4ElljEEvNS_4cuda6detail10TensorInfoIT3_T5_EES6_S6_S6_NS4_IT4_S6_EES6_b.has_recursion, 0
	.set _ZN2at6native18radixSortKVInPlaceILin2ELin1ELi32ELi4ElljEEvNS_4cuda6detail10TensorInfoIT3_T5_EES6_S6_S6_NS4_IT4_S6_EES6_b.has_indirect_call, 0
	.section	.AMDGPU.csdata,"",@progbits
; Kernel info:
; codeLenInByte = 10136
; TotalNumSgprs: 28
; NumVgprs: 72
; ScratchSize: 0
; MemoryBound: 0
; FloatMode: 240
; IeeeMode: 1
; LDSByteSize: 1056 bytes/workgroup (compile time only)
; SGPRBlocks: 0
; VGPRBlocks: 8
; NumSGPRsForWavesPerEU: 28
; NumVGPRsForWavesPerEU: 72
; Occupancy: 16
; WaveLimiterHint : 1
; COMPUTE_PGM_RSRC2:SCRATCH_EN: 0
; COMPUTE_PGM_RSRC2:USER_SGPR: 2
; COMPUTE_PGM_RSRC2:TRAP_HANDLER: 0
; COMPUTE_PGM_RSRC2:TGID_X_EN: 1
; COMPUTE_PGM_RSRC2:TGID_Y_EN: 1
; COMPUTE_PGM_RSRC2:TGID_Z_EN: 1
; COMPUTE_PGM_RSRC2:TIDIG_COMP_CNT: 2
	.section	.text._ZN2at6native18radixSortKVInPlaceILin2ELin1ELi16ELi2ElljEEvNS_4cuda6detail10TensorInfoIT3_T5_EES6_S6_S6_NS4_IT4_S6_EES6_b,"axG",@progbits,_ZN2at6native18radixSortKVInPlaceILin2ELin1ELi16ELi2ElljEEvNS_4cuda6detail10TensorInfoIT3_T5_EES6_S6_S6_NS4_IT4_S6_EES6_b,comdat
	.protected	_ZN2at6native18radixSortKVInPlaceILin2ELin1ELi16ELi2ElljEEvNS_4cuda6detail10TensorInfoIT3_T5_EES6_S6_S6_NS4_IT4_S6_EES6_b ; -- Begin function _ZN2at6native18radixSortKVInPlaceILin2ELin1ELi16ELi2ElljEEvNS_4cuda6detail10TensorInfoIT3_T5_EES6_S6_S6_NS4_IT4_S6_EES6_b
	.globl	_ZN2at6native18radixSortKVInPlaceILin2ELin1ELi16ELi2ElljEEvNS_4cuda6detail10TensorInfoIT3_T5_EES6_S6_S6_NS4_IT4_S6_EES6_b
	.p2align	8
	.type	_ZN2at6native18radixSortKVInPlaceILin2ELin1ELi16ELi2ElljEEvNS_4cuda6detail10TensorInfoIT3_T5_EES6_S6_S6_NS4_IT4_S6_EES6_b,@function
_ZN2at6native18radixSortKVInPlaceILin2ELin1ELi16ELi2ElljEEvNS_4cuda6detail10TensorInfoIT3_T5_EES6_S6_S6_NS4_IT4_S6_EES6_b: ; @_ZN2at6native18radixSortKVInPlaceILin2ELin1ELi16ELi2ElljEEvNS_4cuda6detail10TensorInfoIT3_T5_EES6_S6_S6_NS4_IT4_S6_EES6_b
; %bb.0:
	s_clause 0x1
	s_load_b64 s[2:3], s[0:1], 0x1c8
	s_load_b96 s[16:18], s[0:1], 0xd8
	s_lshr_b32 s4, ttmp7, 16
	s_wait_kmcnt 0x0
	s_mul_i32 s3, s3, s4
	s_and_b32 s4, ttmp7, 0xffff
	s_delay_alu instid0(SALU_CYCLE_1) | instskip(NEXT) | instid1(SALU_CYCLE_1)
	s_add_co_i32 s3, s3, s4
	s_mul_i32 s6, s3, s2
	s_delay_alu instid0(SALU_CYCLE_1) | instskip(NEXT) | instid1(SALU_CYCLE_1)
	s_add_co_i32 s6, s6, ttmp9
	s_cmp_ge_u32 s6, s16
	s_cbranch_scc1 .LBB144_54
; %bb.1:
	s_load_b32 s4, s[0:1], 0x1b8
	s_add_nc_u64 s[8:9], s[0:1], 0xe8
	s_mov_b32 s3, 0
	s_mov_b32 s2, s6
	s_wait_kmcnt 0x0
	s_cmp_lt_i32 s4, 2
	s_cbranch_scc1 .LBB144_4
; %bb.2:
	s_add_co_i32 s2, s4, -1
	s_add_co_i32 s7, s4, 1
	s_lshl_b64 s[10:11], s[2:3], 2
	s_mov_b32 s2, s6
	s_add_nc_u64 s[10:11], s[8:9], s[10:11]
	s_delay_alu instid0(SALU_CYCLE_1)
	s_add_nc_u64 s[4:5], s[10:11], 8
.LBB144_3:                              ; =>This Inner Loop Header: Depth=1
	s_clause 0x1
	s_load_b32 s10, s[4:5], 0x0
	s_load_b32 s11, s[4:5], 0x64
	s_mov_b32 s14, s2
	s_add_nc_u64 s[4:5], s[4:5], -4
	s_wait_kmcnt 0x0
	s_cvt_f32_u32 s12, s10
	s_sub_co_i32 s13, 0, s10
	s_wait_alu 0xfffe
	s_delay_alu instid0(SALU_CYCLE_1) | instskip(NEXT) | instid1(TRANS32_DEP_1)
	v_rcp_iflag_f32_e32 v1, s12
	v_readfirstlane_b32 s12, v1
	s_mul_f32 s12, s12, 0x4f7ffffe
	s_wait_alu 0xfffe
	s_delay_alu instid0(SALU_CYCLE_2) | instskip(SKIP_1) | instid1(SALU_CYCLE_2)
	s_cvt_u32_f32 s12, s12
	s_wait_alu 0xfffe
	s_mul_i32 s13, s13, s12
	s_wait_alu 0xfffe
	s_mul_hi_u32 s13, s12, s13
	s_wait_alu 0xfffe
	s_add_co_i32 s12, s12, s13
	s_wait_alu 0xfffe
	s_mul_hi_u32 s2, s2, s12
	s_delay_alu instid0(SALU_CYCLE_1)
	s_mul_i32 s12, s2, s10
	s_add_co_i32 s13, s2, 1
	s_wait_alu 0xfffe
	s_sub_co_i32 s12, s14, s12
	s_wait_alu 0xfffe
	s_sub_co_i32 s15, s12, s10
	s_cmp_ge_u32 s12, s10
	s_cselect_b32 s2, s13, s2
	s_cselect_b32 s12, s15, s12
	s_add_co_i32 s13, s2, 1
	s_wait_alu 0xfffe
	s_cmp_ge_u32 s12, s10
	s_cselect_b32 s2, s13, s2
	s_add_co_i32 s7, s7, -1
	s_mul_i32 s10, s2, s10
	s_delay_alu instid0(SALU_CYCLE_1) | instskip(NEXT) | instid1(SALU_CYCLE_1)
	s_sub_co_i32 s10, s14, s10
	s_mul_i32 s10, s11, s10
	s_delay_alu instid0(SALU_CYCLE_1)
	s_add_co_i32 s3, s10, s3
	s_cmp_gt_u32 s7, 2
	s_cbranch_scc1 .LBB144_3
.LBB144_4:
	s_clause 0x2
	s_load_b64 s[10:11], s[0:1], 0x0
	s_load_b32 s4, s[0:1], 0x6c
	s_load_b64 s[20:21], s[0:1], 0x1c0
	s_mov_b32 s1, 0
	s_brev_b32 s5, 1
	v_mul_lo_u32 v20, s18, v0
	s_wait_kmcnt 0x0
	s_mul_i32 s0, s4, s6
	s_bitcmp1_b32 s21, 0
	s_cselect_b32 s12, -1, 0
	s_lshl_b64 s[14:15], s[0:1], 3
	s_wait_alu 0xfffe
	s_and_b32 s0, s12, exec_lo
	s_cselect_b32 s4, 0, -1
	s_cselect_b32 s5, s5, 0x7fffffff
	s_mov_b32 s6, s4
	s_mov_b32 s7, s5
	v_dual_mov_b32 v1, s4 :: v_dual_mov_b32 v2, s5
	v_cmp_gt_u32_e64 s0, s17, v0
	v_dual_mov_b32 v3, s6 :: v_dual_mov_b32 v4, s7
	v_dual_mov_b32 v6, s5 :: v_dual_mov_b32 v5, s4
	s_add_nc_u64 s[22:23], s[10:11], s[14:15]
	s_and_saveexec_b32 s1, s0
	s_cbranch_execz .LBB144_6
; %bb.5:
	v_mov_b32_e32 v21, 0
	s_delay_alu instid0(VALU_DEP_1) | instskip(NEXT) | instid1(VALU_DEP_1)
	v_lshlrev_b64_e32 v[1:2], 3, v[20:21]
	v_add_co_u32 v1, vcc_lo, s22, v1
	s_delay_alu instid0(VALU_DEP_1)
	v_add_co_ci_u32_e64 v2, null, s23, v2, vcc_lo
	global_load_b64 v[5:6], v[1:2], off
	v_dual_mov_b32 v1, s4 :: v_dual_mov_b32 v4, s7
	v_dual_mov_b32 v3, s6 :: v_dual_mov_b32 v2, s5
.LBB144_6:
	s_or_b32 exec_lo, exec_lo, s1
	s_clause 0x1
	s_load_b32 s6, s[8:9], 0x6c
	s_load_b64 s[4:5], s[8:9], 0x0
	v_or_b32_e32 v7, 16, v0
	s_delay_alu instid0(VALU_DEP_1)
	v_cmp_gt_u32_e64 s1, s17, v7
	s_and_saveexec_b32 s7, s1
	s_cbranch_execz .LBB144_8
; %bb.7:
	v_mul_lo_u32 v1, s18, v7
	v_mov_b32_e32 v2, 0
	s_delay_alu instid0(VALU_DEP_1) | instskip(NEXT) | instid1(VALU_DEP_1)
	v_lshlrev_b64_e32 v[1:2], 3, v[1:2]
	v_add_co_u32 v1, vcc_lo, s22, v1
	s_wait_alu 0xfffd
	s_delay_alu instid0(VALU_DEP_2)
	v_add_co_ci_u32_e64 v2, null, s23, v2, vcc_lo
	global_load_b64 v[3:4], v[1:2], off
.LBB144_8:
	s_wait_alu 0xfffe
	s_or_b32 exec_lo, exec_lo, s7
	v_dual_mov_b32 v18, 0 :: v_dual_lshlrev_b32 v29, 3, v0
	v_lshlrev_b32_e32 v30, 4, v0
	s_wait_kmcnt 0x0
	s_mul_i32 s2, s6, s2
	v_mul_lo_u32 v17, s20, v0
	s_wait_loadcnt 0x0
	ds_store_2addr_b64 v29, v[5:6], v[3:4] offset1:16
	s_wait_dscnt 0x0
	; wave barrier
	global_inv scope:SCOPE_SE
	v_mov_b32_e32 v5, 0
	ds_load_2addr_b64 v[1:4], v30 offset1:1
	s_add_co_i32 s2, s2, s3
	s_mov_b32 s3, 0
	v_dual_mov_b32 v6, 0 :: v_dual_mov_b32 v19, v18
	s_lshl_b64 s[2:3], s[2:3], 3
	s_wait_loadcnt_dscnt 0x0
	s_add_nc_u64 s[16:17], s[4:5], s[2:3]
	; wave barrier
	global_inv scope:SCOPE_SE
	s_and_saveexec_b32 s2, s0
	s_cbranch_execz .LBB144_10
; %bb.9:
	v_lshlrev_b64_e32 v[5:6], 3, v[17:18]
	v_mov_b32_e32 v19, v18
	s_wait_alu 0xfffe
	s_delay_alu instid0(VALU_DEP_2) | instskip(SKIP_1) | instid1(VALU_DEP_3)
	v_add_co_u32 v5, vcc_lo, s16, v5
	s_wait_alu 0xfffd
	v_add_co_ci_u32_e64 v6, null, s17, v6, vcc_lo
	global_load_b64 v[5:6], v[5:6], off
.LBB144_10:
	s_or_b32 exec_lo, exec_lo, s2
	s_xor_b32 s8, s12, -1
	s_and_saveexec_b32 s2, s1
	s_cbranch_execz .LBB144_12
; %bb.11:
	v_mul_lo_u32 v7, s20, v7
	v_mov_b32_e32 v8, 0
	s_delay_alu instid0(VALU_DEP_1) | instskip(SKIP_1) | instid1(VALU_DEP_1)
	v_lshlrev_b64_e32 v[7:8], 3, v[7:8]
	s_wait_alu 0xfffe
	v_add_co_u32 v7, vcc_lo, s16, v7
	s_wait_alu 0xfffd
	s_delay_alu instid0(VALU_DEP_2)
	v_add_co_ci_u32_e64 v8, null, s17, v8, vcc_lo
	global_load_b64 v[18:19], v[7:8], off
.LBB144_12:
	s_or_b32 exec_lo, exec_lo, s2
	v_mbcnt_lo_u32_b32 v9, -1, 0
	s_getpc_b64 s[2:3]
	s_sext_i32_i16 s3, s3
	s_add_co_u32 s2, s2, _ZN7rocprim17ROCPRIM_400000_NS16block_radix_sortIlLj16ELj2ElLj1ELj1ELj0ELNS0_26block_radix_rank_algorithmE1ELNS0_18block_padding_hintE2ELNS0_4arch9wavefront6targetE0EE19radix_bits_per_passE@rel32@lo+8
	s_add_co_ci_u32 s3, s3, _ZN7rocprim17ROCPRIM_400000_NS16block_radix_sortIlLj16ELj2ElLj1ELj1ELj0ELNS0_26block_radix_rank_algorithmE1ELNS0_18block_padding_hintE2ELNS0_4arch9wavefront6targetE0EE19radix_bits_per_passE@rel32@hi+16
	s_wait_loadcnt 0x0
	ds_store_2addr_b64 v29, v[5:6], v[18:19] offset1:16
	s_wait_dscnt 0x0
	; wave barrier
	global_inv scope:SCOPE_SE
	ds_load_2addr_b64 v[5:8], v30 offset1:1
	v_sub_co_u32 v11, s15, v9, 1
	v_and_b32_e32 v12, 16, v9
	s_load_b32 s19, s[2:3], 0x0
	v_and_b32_e32 v10, 15, v9
	v_cmp_gt_u32_e64 s2, 0x80, v0
	v_cmp_eq_u32_e64 s7, 15, v0
	v_cmp_lt_i32_e32 vcc_lo, v11, v12
	v_lshlrev_b32_e32 v32, 5, v0
	v_cmp_eq_u32_e64 s3, 0, v10
	v_cmp_lt_u32_e64 s4, 1, v10
	v_cmp_lt_u32_e64 s5, 3, v10
	s_wait_alu 0xfffd
	v_cndmask_b32_e32 v9, v11, v9, vcc_lo
	v_cmp_lt_u32_e64 s6, 7, v10
	v_sub_nc_u32_e32 v31, v32, v30
	s_and_b32 vcc_lo, exec_lo, s8
	v_cmp_gt_u32_e64 s8, 0x70, v0
	v_lshlrev_b32_e32 v33, 2, v9
	v_cmp_gt_u32_e64 s9, 0x60, v0
	v_cmp_gt_u32_e64 s10, 0x50, v0
	;; [unrolled: 1-line block ×6, first 2 shown]
	s_mov_b32 s21, -1
	; wave barrier
	s_wait_loadcnt_dscnt 0x0
	global_inv scope:SCOPE_SE
                                        ; implicit-def: $vgpr15_vgpr16
                                        ; implicit-def: $vgpr11_vgpr12
	s_wait_alu 0xfffe
	s_cbranch_vccz .LBB144_29
; %bb.13:
	v_dual_mov_b32 v25, 0 :: v_dual_mov_b32 v14, v6
	v_dual_mov_b32 v35, 0 :: v_dual_mov_b32 v16, v8
	v_xor_b32_e32 v10, 0x80000000, v2
	v_dual_mov_b32 v9, v1 :: v_dual_lshlrev_b32 v34, 2, v0
	v_xor_b32_e32 v12, 0x80000000, v4
	v_dual_mov_b32 v11, v3 :: v_dual_mov_b32 v26, 0
	v_mov_b32_e32 v13, v5
	v_mov_b32_e32 v15, v7
	s_mov_b32 s21, 64
	s_branch .LBB144_15
.LBB144_14:                             ;   in Loop: Header=BB144_15 Depth=1
	s_wait_alu 0xfffe
	s_and_not1_b32 vcc_lo, exec_lo, s24
	s_wait_alu 0xfffe
	s_cbranch_vccz .LBB144_28
.LBB144_15:                             ; =>This Inner Loop Header: Depth=1
	v_dual_mov_b32 v24, v12 :: v_dual_mov_b32 v23, v11
	v_dual_mov_b32 v28, v10 :: v_dual_mov_b32 v27, v9
	;; [unrolled: 1-line block ×4, first 2 shown]
	s_and_saveexec_b32 s24, s2
	s_cbranch_execz .LBB144_24
; %bb.16:                               ;   in Loop: Header=BB144_15 Depth=1
	ds_store_b32 v34, v35
	s_and_b32 exec_lo, exec_lo, s8
	s_cbranch_execz .LBB144_24
; %bb.17:                               ;   in Loop: Header=BB144_15 Depth=1
	ds_store_b32 v34, v35 offset:64
	s_and_b32 exec_lo, exec_lo, s9
	s_cbranch_execz .LBB144_24
; %bb.18:                               ;   in Loop: Header=BB144_15 Depth=1
	ds_store_b32 v34, v35 offset:128
	;; [unrolled: 4-line block ×6, first 2 shown]
	s_and_b32 exec_lo, exec_lo, s14
; %bb.23:                               ;   in Loop: Header=BB144_15 Depth=1
	ds_store_b32 v34, v35 offset:448
.LBB144_24:                             ;   in Loop: Header=BB144_15 Depth=1
	s_wait_alu 0xfffe
	s_or_b32 exec_lo, exec_lo, s24
	s_wait_kmcnt 0x0
	s_min_u32 s24, s19, s21
	v_lshrrev_b64 v[9:10], v25, v[27:28]
	s_wait_alu 0xfffe
	s_lshl_b32 s24, -1, s24
	s_wait_alu 0xfffe
	s_not_b32 s24, s24
	s_wait_alu 0xfffe
	v_and_b32_e32 v9, s24, v9
	s_delay_alu instid0(VALU_DEP_1) | instskip(SKIP_1) | instid1(VALU_DEP_2)
	v_lshlrev_b32_e32 v10, 4, v9
	v_lshrrev_b32_e32 v9, 2, v9
	v_and_or_b32 v10, 0x70, v10, v0
	s_delay_alu instid0(VALU_DEP_2) | instskip(NEXT) | instid1(VALU_DEP_1)
	v_and_b32_e32 v9, 0x1ffffffe, v9
	v_lshl_add_u32 v36, v10, 2, v9
	v_lshrrev_b64 v[9:10], v25, v[23:24]
	ds_load_u16 v37, v36
	v_and_b32_e32 v9, s24, v9
	s_delay_alu instid0(VALU_DEP_1) | instskip(SKIP_1) | instid1(VALU_DEP_2)
	v_lshlrev_b32_e32 v10, 4, v9
	v_lshrrev_b32_e32 v9, 2, v9
	v_and_or_b32 v10, 0x70, v10, v0
	s_delay_alu instid0(VALU_DEP_2) | instskip(NEXT) | instid1(VALU_DEP_1)
	v_and_b32_e32 v9, 0x1ffffffe, v9
	v_lshl_add_u32 v38, v10, 2, v9
	s_wait_dscnt 0x0
	v_add_nc_u16 v11, v37, 1
	ds_store_b16 v36, v11
	ds_load_u16 v39, v38
	s_wait_dscnt 0x0
	v_add_nc_u16 v9, v39, 1
	ds_store_b16 v38, v9
	; wave barrier
	s_wait_loadcnt_dscnt 0x0
	global_inv scope:SCOPE_SE
	ds_load_b128 v[13:16], v32
	ds_load_b128 v[9:12], v32 offset:16
	s_wait_dscnt 0x1
	v_add_nc_u32_e32 v40, v14, v13
	s_delay_alu instid0(VALU_DEP_1) | instskip(SKIP_1) | instid1(VALU_DEP_1)
	v_add3_u32 v40, v40, v15, v16
	s_wait_dscnt 0x0
	v_add3_u32 v40, v40, v9, v10
	s_delay_alu instid0(VALU_DEP_1) | instskip(NEXT) | instid1(VALU_DEP_1)
	v_add3_u32 v12, v40, v11, v12
	v_mov_b32_dpp v40, v12 row_shr:1 row_mask:0xf bank_mask:0xf
	s_delay_alu instid0(VALU_DEP_1) | instskip(NEXT) | instid1(VALU_DEP_1)
	v_cndmask_b32_e64 v40, v40, 0, s3
	v_add_nc_u32_e32 v12, v40, v12
	s_delay_alu instid0(VALU_DEP_1) | instskip(NEXT) | instid1(VALU_DEP_1)
	v_mov_b32_dpp v40, v12 row_shr:2 row_mask:0xf bank_mask:0xf
	v_cndmask_b32_e64 v40, 0, v40, s4
	s_delay_alu instid0(VALU_DEP_1) | instskip(NEXT) | instid1(VALU_DEP_1)
	v_add_nc_u32_e32 v12, v12, v40
	v_mov_b32_dpp v40, v12 row_shr:4 row_mask:0xf bank_mask:0xf
	s_delay_alu instid0(VALU_DEP_1) | instskip(NEXT) | instid1(VALU_DEP_1)
	v_cndmask_b32_e64 v40, 0, v40, s5
	v_add_nc_u32_e32 v12, v12, v40
	s_delay_alu instid0(VALU_DEP_1) | instskip(NEXT) | instid1(VALU_DEP_1)
	v_mov_b32_dpp v40, v12 row_shr:8 row_mask:0xf bank_mask:0xf
	v_cndmask_b32_e64 v40, 0, v40, s6
	s_delay_alu instid0(VALU_DEP_1)
	v_add_nc_u32_e32 v12, v12, v40
	s_and_saveexec_b32 s24, s7
; %bb.25:                               ;   in Loop: Header=BB144_15 Depth=1
	ds_store_b32 v35, v12 offset:512
; %bb.26:                               ;   in Loop: Header=BB144_15 Depth=1
	s_wait_alu 0xfffe
	s_or_b32 exec_lo, exec_lo, s24
	ds_bpermute_b32 v12, v33, v12
	; wave barrier
	s_wait_loadcnt_dscnt 0x0
	global_inv scope:SCOPE_SE
	ds_load_b32 v40, v35 offset:512
	v_cmp_lt_u32_e32 vcc_lo, 59, v25
	s_mov_b32 s24, -1
	s_and_b32 vcc_lo, exec_lo, vcc_lo
	v_cndmask_b32_e64 v12, v12, 0, s15
	s_wait_dscnt 0x0
	s_delay_alu instid0(VALU_DEP_1) | instskip(NEXT) | instid1(VALU_DEP_1)
	v_lshl_add_u32 v12, v40, 16, v12
	v_add_nc_u32_e32 v13, v12, v13
	s_delay_alu instid0(VALU_DEP_1) | instskip(NEXT) | instid1(VALU_DEP_1)
	v_add_nc_u32_e32 v14, v13, v14
	v_add_nc_u32_e32 v15, v14, v15
	s_delay_alu instid0(VALU_DEP_1) | instskip(NEXT) | instid1(VALU_DEP_1)
	v_add_nc_u32_e32 v40, v15, v16
	v_add_nc_u32_e32 v41, v40, v9
	s_delay_alu instid0(VALU_DEP_1) | instskip(NEXT) | instid1(VALU_DEP_1)
	v_add_nc_u32_e32 v42, v41, v10
	v_add_nc_u32_e32 v43, v42, v11
	v_and_b32_e32 v11, 0xffff, v37
	ds_store_b128 v32, v[12:15]
	ds_store_b128 v32, v[40:43] offset:16
	; wave barrier
	s_wait_loadcnt_dscnt 0x0
	global_inv scope:SCOPE_SE
	ds_load_u16 v9, v36
	ds_load_u16 v10, v38
	v_and_b32_e32 v12, 0xffff, v39
                                        ; implicit-def: $vgpr15_vgpr16
	s_wait_dscnt 0x1
	v_add_nc_u32_e32 v37, v9, v11
	s_wait_dscnt 0x0
	s_delay_alu instid0(VALU_DEP_2)
	v_add_nc_u32_e32 v36, v10, v12
                                        ; implicit-def: $vgpr11_vgpr12
	s_wait_alu 0xfffe
	s_cbranch_vccnz .LBB144_14
; %bb.27:                               ;   in Loop: Header=BB144_15 Depth=1
	v_lshlrev_b32_e32 v13, 3, v37
	s_delay_alu instid0(VALU_DEP_2)
	v_lshlrev_b32_e32 v14, 3, v36
	s_wait_loadcnt 0x0
	; wave barrier
	global_inv scope:SCOPE_SE
	v_add_co_u32 v25, vcc_lo, v25, 4
	ds_store_b64 v13, v[27:28]
	ds_store_b64 v14, v[23:24]
	; wave barrier
	s_wait_loadcnt_dscnt 0x0
	global_inv scope:SCOPE_SE
	ds_load_b128 v[9:12], v31
	; wave barrier
	s_wait_loadcnt_dscnt 0x0
	global_inv scope:SCOPE_SE
	ds_store_b64 v13, v[21:22]
	ds_store_b64 v14, v[18:19]
	; wave barrier
	s_wait_loadcnt_dscnt 0x0
	global_inv scope:SCOPE_SE
	ds_load_b128 v[13:16], v31
	s_wait_alu 0xfffd
	v_add_co_ci_u32_e64 v26, null, 0, v26, vcc_lo
	s_add_co_i32 s21, s21, -4
	s_mov_b32 s24, 0
	; wave barrier
	s_wait_loadcnt_dscnt 0x0
	global_inv scope:SCOPE_SE
	s_branch .LBB144_14
.LBB144_28:
	v_lshlrev_b32_e32 v9, 3, v37
	v_lshlrev_b32_e32 v10, 3, v36
	s_wait_loadcnt 0x0
	; wave barrier
	global_inv scope:SCOPE_SE
	s_mov_b32 s21, 0
	ds_store_b64 v9, v[27:28]
	ds_store_b64 v10, v[23:24]
	; wave barrier
	s_wait_loadcnt_dscnt 0x0
	global_inv scope:SCOPE_SE
	ds_load_b128 v[13:16], v31
	; wave barrier
	s_wait_loadcnt_dscnt 0x0
	global_inv scope:SCOPE_SE
	ds_store_b64 v9, v[21:22]
	ds_store_b64 v10, v[18:19]
	; wave barrier
	s_wait_loadcnt_dscnt 0x0
	global_inv scope:SCOPE_SE
	ds_load_b128 v[9:12], v31
	v_xor_b32_e32 v14, 0x80000000, v14
	v_xor_b32_e32 v16, 0x80000000, v16
.LBB144_29:
	s_wait_alu 0xfffe
	s_and_b32 vcc_lo, exec_lo, s21
	s_wait_alu 0xfffe
	s_cbranch_vccz .LBB144_46
; %bb.30:
	s_wait_dscnt 0x0
	v_mul_i32_i24_e32 v9, -12, v0
	v_dual_mov_b32 v13, 0 :: v_dual_mov_b32 v22, 0
	v_xor_b32_e32 v2, 0x7fffffff, v2
	v_xor_b32_e32 v1, -1, v1
	v_xor_b32_e32 v4, 0x7fffffff, v4
	v_xor_b32_e32 v3, -1, v3
	v_cmp_gt_u32_e64 s8, 0x70, v0
	v_cmp_gt_u32_e64 s9, 0x60, v0
	;; [unrolled: 1-line block ×7, first 2 shown]
	v_dual_mov_b32 v14, 0 :: v_dual_add_nc_u32 v21, v31, v9
	s_mov_b32 s21, 64
	s_branch .LBB144_32
.LBB144_31:                             ;   in Loop: Header=BB144_32 Depth=1
	s_wait_alu 0xfffe
	s_and_not1_b32 vcc_lo, exec_lo, s24
	s_wait_alu 0xfffe
	s_cbranch_vccz .LBB144_45
.LBB144_32:                             ; =>This Inner Loop Header: Depth=1
	v_dual_mov_b32 v16, v4 :: v_dual_mov_b32 v15, v3
	v_dual_mov_b32 v19, v2 :: v_dual_mov_b32 v18, v1
	;; [unrolled: 1-line block ×4, first 2 shown]
	s_and_saveexec_b32 s24, s2
	s_cbranch_execz .LBB144_41
; %bb.33:                               ;   in Loop: Header=BB144_32 Depth=1
	ds_store_b32 v21, v22
	s_and_b32 exec_lo, exec_lo, s8
	s_cbranch_execz .LBB144_41
; %bb.34:                               ;   in Loop: Header=BB144_32 Depth=1
	ds_store_b32 v21, v22 offset:64
	s_and_b32 exec_lo, exec_lo, s9
	s_cbranch_execz .LBB144_41
; %bb.35:                               ;   in Loop: Header=BB144_32 Depth=1
	ds_store_b32 v21, v22 offset:128
	s_and_b32 exec_lo, exec_lo, s10
	s_cbranch_execz .LBB144_41
; %bb.36:                               ;   in Loop: Header=BB144_32 Depth=1
	ds_store_b32 v21, v22 offset:192
	s_and_b32 exec_lo, exec_lo, s11
	s_cbranch_execz .LBB144_41
; %bb.37:                               ;   in Loop: Header=BB144_32 Depth=1
	ds_store_b32 v21, v22 offset:256
	s_and_b32 exec_lo, exec_lo, s12
	s_cbranch_execz .LBB144_41
; %bb.38:                               ;   in Loop: Header=BB144_32 Depth=1
	ds_store_b32 v21, v22 offset:320
	s_and_b32 exec_lo, exec_lo, s13
	s_cbranch_execz .LBB144_41
; %bb.39:                               ;   in Loop: Header=BB144_32 Depth=1
	ds_store_b32 v21, v22 offset:384
	s_and_b32 exec_lo, exec_lo, s14
; %bb.40:                               ;   in Loop: Header=BB144_32 Depth=1
	ds_store_b32 v21, v22 offset:448
.LBB144_41:                             ;   in Loop: Header=BB144_32 Depth=1
	s_wait_alu 0xfffe
	s_or_b32 exec_lo, exec_lo, s24
	s_wait_kmcnt 0x0
	s_min_u32 s24, s19, s21
	v_lshrrev_b64 v[1:2], v13, v[18:19]
	s_wait_alu 0xfffe
	s_lshl_b32 s24, -1, s24
	s_wait_alu 0xfffe
	s_not_b32 s24, s24
	s_wait_alu 0xfffe
	v_and_b32_e32 v1, s24, v1
	s_delay_alu instid0(VALU_DEP_1) | instskip(SKIP_1) | instid1(VALU_DEP_2)
	v_lshlrev_b32_e32 v2, 4, v1
	v_lshrrev_b32_e32 v1, 2, v1
	v_and_or_b32 v2, 0x70, v2, v0
	s_delay_alu instid0(VALU_DEP_2) | instskip(NEXT) | instid1(VALU_DEP_1)
	v_and_b32_e32 v1, 0x1ffffffe, v1
	v_lshl_add_u32 v23, v2, 2, v1
	v_lshrrev_b64 v[1:2], v13, v[15:16]
	ds_load_u16 v24, v23
	v_and_b32_e32 v1, s24, v1
	s_delay_alu instid0(VALU_DEP_1) | instskip(SKIP_1) | instid1(VALU_DEP_2)
	v_lshlrev_b32_e32 v2, 4, v1
	v_lshrrev_b32_e32 v1, 2, v1
	v_and_or_b32 v2, 0x70, v2, v0
	s_delay_alu instid0(VALU_DEP_2) | instskip(NEXT) | instid1(VALU_DEP_1)
	v_and_b32_e32 v1, 0x1ffffffe, v1
	v_lshl_add_u32 v25, v2, 2, v1
	s_wait_dscnt 0x0
	v_add_nc_u16 v3, v24, 1
	ds_store_b16 v23, v3
	ds_load_u16 v26, v25
	s_wait_dscnt 0x0
	v_add_nc_u16 v1, v26, 1
	ds_store_b16 v25, v1
	; wave barrier
	s_wait_loadcnt_dscnt 0x0
	global_inv scope:SCOPE_SE
	ds_load_b128 v[5:8], v32
	ds_load_b128 v[1:4], v32 offset:16
	s_wait_dscnt 0x1
	v_add_nc_u32_e32 v27, v6, v5
	s_delay_alu instid0(VALU_DEP_1) | instskip(SKIP_1) | instid1(VALU_DEP_1)
	v_add3_u32 v27, v27, v7, v8
	s_wait_dscnt 0x0
	v_add3_u32 v27, v27, v1, v2
	s_delay_alu instid0(VALU_DEP_1) | instskip(NEXT) | instid1(VALU_DEP_1)
	v_add3_u32 v4, v27, v3, v4
	v_mov_b32_dpp v27, v4 row_shr:1 row_mask:0xf bank_mask:0xf
	s_delay_alu instid0(VALU_DEP_1) | instskip(NEXT) | instid1(VALU_DEP_1)
	v_cndmask_b32_e64 v27, v27, 0, s3
	v_add_nc_u32_e32 v4, v27, v4
	s_delay_alu instid0(VALU_DEP_1) | instskip(NEXT) | instid1(VALU_DEP_1)
	v_mov_b32_dpp v27, v4 row_shr:2 row_mask:0xf bank_mask:0xf
	v_cndmask_b32_e64 v27, 0, v27, s4
	s_delay_alu instid0(VALU_DEP_1) | instskip(NEXT) | instid1(VALU_DEP_1)
	v_add_nc_u32_e32 v4, v4, v27
	v_mov_b32_dpp v27, v4 row_shr:4 row_mask:0xf bank_mask:0xf
	s_delay_alu instid0(VALU_DEP_1) | instskip(NEXT) | instid1(VALU_DEP_1)
	v_cndmask_b32_e64 v27, 0, v27, s5
	v_add_nc_u32_e32 v4, v4, v27
	s_delay_alu instid0(VALU_DEP_1) | instskip(NEXT) | instid1(VALU_DEP_1)
	v_mov_b32_dpp v27, v4 row_shr:8 row_mask:0xf bank_mask:0xf
	v_cndmask_b32_e64 v27, 0, v27, s6
	s_delay_alu instid0(VALU_DEP_1)
	v_add_nc_u32_e32 v4, v4, v27
	s_and_saveexec_b32 s24, s7
; %bb.42:                               ;   in Loop: Header=BB144_32 Depth=1
	ds_store_b32 v22, v4 offset:512
; %bb.43:                               ;   in Loop: Header=BB144_32 Depth=1
	s_wait_alu 0xfffe
	s_or_b32 exec_lo, exec_lo, s24
	ds_bpermute_b32 v4, v33, v4
	; wave barrier
	s_wait_loadcnt_dscnt 0x0
	global_inv scope:SCOPE_SE
	ds_load_b32 v27, v22 offset:512
	v_cmp_lt_u32_e32 vcc_lo, 59, v13
	s_mov_b32 s24, -1
	s_and_b32 vcc_lo, exec_lo, vcc_lo
	v_cndmask_b32_e64 v4, v4, 0, s15
	s_wait_dscnt 0x0
	s_delay_alu instid0(VALU_DEP_1) | instskip(NEXT) | instid1(VALU_DEP_1)
	v_lshl_add_u32 v4, v27, 16, v4
	v_add_nc_u32_e32 v5, v4, v5
	s_delay_alu instid0(VALU_DEP_1) | instskip(NEXT) | instid1(VALU_DEP_1)
	v_add_nc_u32_e32 v6, v5, v6
	v_add_nc_u32_e32 v7, v6, v7
	s_delay_alu instid0(VALU_DEP_1) | instskip(NEXT) | instid1(VALU_DEP_1)
	v_add_nc_u32_e32 v34, v7, v8
	;; [unrolled: 3-line block ×3, first 2 shown]
	v_add_nc_u32_e32 v37, v36, v3
	v_and_b32_e32 v3, 0xffff, v24
	ds_store_b128 v32, v[4:7]
	ds_store_b128 v32, v[34:37] offset:16
	; wave barrier
	s_wait_loadcnt_dscnt 0x0
	global_inv scope:SCOPE_SE
	ds_load_u16 v1, v23
	ds_load_u16 v2, v25
	v_and_b32_e32 v4, 0xffff, v26
                                        ; implicit-def: $vgpr7_vgpr8
	s_wait_dscnt 0x1
	v_add_nc_u32_e32 v24, v1, v3
	s_wait_dscnt 0x0
	s_delay_alu instid0(VALU_DEP_2)
	v_add_nc_u32_e32 v23, v2, v4
                                        ; implicit-def: $vgpr3_vgpr4
	s_wait_alu 0xfffe
	s_cbranch_vccnz .LBB144_31
; %bb.44:                               ;   in Loop: Header=BB144_32 Depth=1
	v_lshlrev_b32_e32 v5, 3, v24
	s_delay_alu instid0(VALU_DEP_2)
	v_lshlrev_b32_e32 v6, 3, v23
	s_wait_loadcnt 0x0
	; wave barrier
	global_inv scope:SCOPE_SE
	v_add_co_u32 v13, vcc_lo, v13, 4
	ds_store_b64 v5, v[18:19]
	ds_store_b64 v6, v[15:16]
	; wave barrier
	s_wait_loadcnt_dscnt 0x0
	global_inv scope:SCOPE_SE
	ds_load_b128 v[1:4], v31
	; wave barrier
	s_wait_loadcnt_dscnt 0x0
	global_inv scope:SCOPE_SE
	ds_store_b64 v5, v[11:12]
	ds_store_b64 v6, v[9:10]
	; wave barrier
	s_wait_loadcnt_dscnt 0x0
	global_inv scope:SCOPE_SE
	ds_load_b128 v[5:8], v31
	s_wait_alu 0xfffd
	v_add_co_ci_u32_e64 v14, null, 0, v14, vcc_lo
	s_add_co_i32 s21, s21, -4
	s_mov_b32 s24, 0
	; wave barrier
	s_wait_loadcnt_dscnt 0x0
	global_inv scope:SCOPE_SE
	s_branch .LBB144_31
.LBB144_45:
	v_lshlrev_b32_e32 v4, 3, v24
	v_lshlrev_b32_e32 v5, 3, v23
	s_wait_loadcnt 0x0
	; wave barrier
	global_inv scope:SCOPE_SE
	ds_store_b64 v4, v[18:19]
	ds_store_b64 v5, v[15:16]
	; wave barrier
	s_wait_loadcnt_dscnt 0x0
	global_inv scope:SCOPE_SE
	ds_load_b128 v[0:3], v31
	; wave barrier
	s_wait_loadcnt_dscnt 0x0
	global_inv scope:SCOPE_SE
	ds_store_b64 v4, v[11:12]
	ds_store_b64 v5, v[9:10]
	; wave barrier
	s_wait_loadcnt_dscnt 0x0
	global_inv scope:SCOPE_SE
	ds_load_b128 v[9:12], v31
	v_xor_b32_e32 v14, 0x7fffffff, v1
	v_xor_b32_e32 v13, -1, v0
	v_xor_b32_e32 v16, 0x7fffffff, v3
	v_xor_b32_e32 v15, -1, v2
.LBB144_46:
	; wave barrier
	s_wait_loadcnt_dscnt 0x0
	global_inv scope:SCOPE_SE
	ds_store_2addr_b64 v30, v[13:14], v[15:16] offset1:1
	; wave barrier
	s_wait_loadcnt_dscnt 0x0
	global_inv scope:SCOPE_SE
	ds_load_b64 v[0:1], v29 offset:128
	v_mov_b32_e32 v21, 0
	s_delay_alu instid0(VALU_DEP_1) | instskip(NEXT) | instid1(VALU_DEP_1)
	v_lshlrev_b64_e32 v[2:3], 3, v[20:21]
	v_add_co_u32 v2, vcc_lo, s22, v2
	s_wait_alu 0xfffd
	s_delay_alu instid0(VALU_DEP_2)
	v_add_co_ci_u32_e64 v3, null, s23, v3, vcc_lo
	s_and_saveexec_b32 s2, s0
	s_cbranch_execz .LBB144_48
; %bb.47:
	ds_load_b64 v[4:5], v29
	s_wait_dscnt 0x0
	global_store_b64 v[2:3], v[4:5], off
.LBB144_48:
	s_wait_alu 0xfffe
	s_or_b32 exec_lo, exec_lo, s2
	s_and_saveexec_b32 s2, s1
	s_cbranch_execz .LBB144_50
; %bb.49:
	s_lshl_b32 s4, s18, 4
	s_mov_b32 s5, 0
	s_wait_alu 0xfffe
	s_lshl_b64 s[4:5], s[4:5], 3
	s_wait_alu 0xfffe
	v_add_co_u32 v2, vcc_lo, v2, s4
	s_wait_alu 0xfffd
	v_add_co_ci_u32_e64 v3, null, s5, v3, vcc_lo
	s_wait_dscnt 0x0
	global_store_b64 v[2:3], v[0:1], off
.LBB144_50:
	s_wait_alu 0xfffe
	s_or_b32 exec_lo, exec_lo, s2
	s_wait_storecnt 0x0
	; wave barrier
	s_wait_loadcnt_dscnt 0x0
	global_inv scope:SCOPE_SE
	ds_store_2addr_b64 v30, v[9:10], v[11:12] offset1:1
	; wave barrier
	s_wait_loadcnt_dscnt 0x0
	global_inv scope:SCOPE_SE
	ds_load_b64 v[0:1], v29 offset:128
	v_mov_b32_e32 v18, 0
	s_delay_alu instid0(VALU_DEP_1) | instskip(NEXT) | instid1(VALU_DEP_1)
	v_lshlrev_b64_e32 v[2:3], 3, v[17:18]
	v_add_co_u32 v2, vcc_lo, s16, v2
	s_wait_alu 0xfffd
	s_delay_alu instid0(VALU_DEP_2)
	v_add_co_ci_u32_e64 v3, null, s17, v3, vcc_lo
	s_and_saveexec_b32 s2, s0
	s_cbranch_execz .LBB144_52
; %bb.51:
	ds_load_b64 v[4:5], v29
	s_wait_dscnt 0x0
	global_store_b64 v[2:3], v[4:5], off
.LBB144_52:
	s_wait_alu 0xfffe
	s_or_b32 exec_lo, exec_lo, s2
	s_and_saveexec_b32 s0, s1
	s_cbranch_execz .LBB144_54
; %bb.53:
	s_lshl_b32 s0, s20, 4
	s_mov_b32 s1, 0
	s_delay_alu instid0(SALU_CYCLE_1) | instskip(NEXT) | instid1(SALU_CYCLE_1)
	s_lshl_b64 s[0:1], s[0:1], 3
	v_add_co_u32 v2, vcc_lo, v2, s0
	s_wait_alu 0xfffd
	v_add_co_ci_u32_e64 v3, null, s1, v3, vcc_lo
	s_wait_dscnt 0x0
	global_store_b64 v[2:3], v[0:1], off
.LBB144_54:
	s_endpgm
	.section	.rodata,"a",@progbits
	.p2align	6, 0x0
	.amdhsa_kernel _ZN2at6native18radixSortKVInPlaceILin2ELin1ELi16ELi2ElljEEvNS_4cuda6detail10TensorInfoIT3_T5_EES6_S6_S6_NS4_IT4_S6_EES6_b
		.amdhsa_group_segment_fixed_size 528
		.amdhsa_private_segment_fixed_size 0
		.amdhsa_kernarg_size 712
		.amdhsa_user_sgpr_count 2
		.amdhsa_user_sgpr_dispatch_ptr 0
		.amdhsa_user_sgpr_queue_ptr 0
		.amdhsa_user_sgpr_kernarg_segment_ptr 1
		.amdhsa_user_sgpr_dispatch_id 0
		.amdhsa_user_sgpr_private_segment_size 0
		.amdhsa_wavefront_size32 1
		.amdhsa_uses_dynamic_stack 0
		.amdhsa_enable_private_segment 0
		.amdhsa_system_sgpr_workgroup_id_x 1
		.amdhsa_system_sgpr_workgroup_id_y 1
		.amdhsa_system_sgpr_workgroup_id_z 1
		.amdhsa_system_sgpr_workgroup_info 0
		.amdhsa_system_vgpr_workitem_id 0
		.amdhsa_next_free_vgpr 44
		.amdhsa_next_free_sgpr 25
		.amdhsa_reserve_vcc 1
		.amdhsa_float_round_mode_32 0
		.amdhsa_float_round_mode_16_64 0
		.amdhsa_float_denorm_mode_32 3
		.amdhsa_float_denorm_mode_16_64 3
		.amdhsa_fp16_overflow 0
		.amdhsa_workgroup_processor_mode 1
		.amdhsa_memory_ordered 1
		.amdhsa_forward_progress 1
		.amdhsa_inst_pref_size 31
		.amdhsa_round_robin_scheduling 0
		.amdhsa_exception_fp_ieee_invalid_op 0
		.amdhsa_exception_fp_denorm_src 0
		.amdhsa_exception_fp_ieee_div_zero 0
		.amdhsa_exception_fp_ieee_overflow 0
		.amdhsa_exception_fp_ieee_underflow 0
		.amdhsa_exception_fp_ieee_inexact 0
		.amdhsa_exception_int_div_zero 0
	.end_amdhsa_kernel
	.section	.text._ZN2at6native18radixSortKVInPlaceILin2ELin1ELi16ELi2ElljEEvNS_4cuda6detail10TensorInfoIT3_T5_EES6_S6_S6_NS4_IT4_S6_EES6_b,"axG",@progbits,_ZN2at6native18radixSortKVInPlaceILin2ELin1ELi16ELi2ElljEEvNS_4cuda6detail10TensorInfoIT3_T5_EES6_S6_S6_NS4_IT4_S6_EES6_b,comdat
.Lfunc_end144:
	.size	_ZN2at6native18radixSortKVInPlaceILin2ELin1ELi16ELi2ElljEEvNS_4cuda6detail10TensorInfoIT3_T5_EES6_S6_S6_NS4_IT4_S6_EES6_b, .Lfunc_end144-_ZN2at6native18radixSortKVInPlaceILin2ELin1ELi16ELi2ElljEEvNS_4cuda6detail10TensorInfoIT3_T5_EES6_S6_S6_NS4_IT4_S6_EES6_b
                                        ; -- End function
	.set _ZN2at6native18radixSortKVInPlaceILin2ELin1ELi16ELi2ElljEEvNS_4cuda6detail10TensorInfoIT3_T5_EES6_S6_S6_NS4_IT4_S6_EES6_b.num_vgpr, 44
	.set _ZN2at6native18radixSortKVInPlaceILin2ELin1ELi16ELi2ElljEEvNS_4cuda6detail10TensorInfoIT3_T5_EES6_S6_S6_NS4_IT4_S6_EES6_b.num_agpr, 0
	.set _ZN2at6native18radixSortKVInPlaceILin2ELin1ELi16ELi2ElljEEvNS_4cuda6detail10TensorInfoIT3_T5_EES6_S6_S6_NS4_IT4_S6_EES6_b.numbered_sgpr, 25
	.set _ZN2at6native18radixSortKVInPlaceILin2ELin1ELi16ELi2ElljEEvNS_4cuda6detail10TensorInfoIT3_T5_EES6_S6_S6_NS4_IT4_S6_EES6_b.num_named_barrier, 0
	.set _ZN2at6native18radixSortKVInPlaceILin2ELin1ELi16ELi2ElljEEvNS_4cuda6detail10TensorInfoIT3_T5_EES6_S6_S6_NS4_IT4_S6_EES6_b.private_seg_size, 0
	.set _ZN2at6native18radixSortKVInPlaceILin2ELin1ELi16ELi2ElljEEvNS_4cuda6detail10TensorInfoIT3_T5_EES6_S6_S6_NS4_IT4_S6_EES6_b.uses_vcc, 1
	.set _ZN2at6native18radixSortKVInPlaceILin2ELin1ELi16ELi2ElljEEvNS_4cuda6detail10TensorInfoIT3_T5_EES6_S6_S6_NS4_IT4_S6_EES6_b.uses_flat_scratch, 0
	.set _ZN2at6native18radixSortKVInPlaceILin2ELin1ELi16ELi2ElljEEvNS_4cuda6detail10TensorInfoIT3_T5_EES6_S6_S6_NS4_IT4_S6_EES6_b.has_dyn_sized_stack, 0
	.set _ZN2at6native18radixSortKVInPlaceILin2ELin1ELi16ELi2ElljEEvNS_4cuda6detail10TensorInfoIT3_T5_EES6_S6_S6_NS4_IT4_S6_EES6_b.has_recursion, 0
	.set _ZN2at6native18radixSortKVInPlaceILin2ELin1ELi16ELi2ElljEEvNS_4cuda6detail10TensorInfoIT3_T5_EES6_S6_S6_NS4_IT4_S6_EES6_b.has_indirect_call, 0
	.section	.AMDGPU.csdata,"",@progbits
; Kernel info:
; codeLenInByte = 3924
; TotalNumSgprs: 27
; NumVgprs: 44
; ScratchSize: 0
; MemoryBound: 0
; FloatMode: 240
; IeeeMode: 1
; LDSByteSize: 528 bytes/workgroup (compile time only)
; SGPRBlocks: 0
; VGPRBlocks: 5
; NumSGPRsForWavesPerEU: 27
; NumVGPRsForWavesPerEU: 44
; Occupancy: 16
; WaveLimiterHint : 1
; COMPUTE_PGM_RSRC2:SCRATCH_EN: 0
; COMPUTE_PGM_RSRC2:USER_SGPR: 2
; COMPUTE_PGM_RSRC2:TRAP_HANDLER: 0
; COMPUTE_PGM_RSRC2:TGID_X_EN: 1
; COMPUTE_PGM_RSRC2:TGID_Y_EN: 1
; COMPUTE_PGM_RSRC2:TGID_Z_EN: 1
; COMPUTE_PGM_RSRC2:TIDIG_COMP_CNT: 0
	.section	.text._ZN2at6native18radixSortKVInPlaceILi2ELin1ELi512ELi8ElljEEvNS_4cuda6detail10TensorInfoIT3_T5_EES6_S6_S6_NS4_IT4_S6_EES6_b,"axG",@progbits,_ZN2at6native18radixSortKVInPlaceILi2ELin1ELi512ELi8ElljEEvNS_4cuda6detail10TensorInfoIT3_T5_EES6_S6_S6_NS4_IT4_S6_EES6_b,comdat
	.protected	_ZN2at6native18radixSortKVInPlaceILi2ELin1ELi512ELi8ElljEEvNS_4cuda6detail10TensorInfoIT3_T5_EES6_S6_S6_NS4_IT4_S6_EES6_b ; -- Begin function _ZN2at6native18radixSortKVInPlaceILi2ELin1ELi512ELi8ElljEEvNS_4cuda6detail10TensorInfoIT3_T5_EES6_S6_S6_NS4_IT4_S6_EES6_b
	.globl	_ZN2at6native18radixSortKVInPlaceILi2ELin1ELi512ELi8ElljEEvNS_4cuda6detail10TensorInfoIT3_T5_EES6_S6_S6_NS4_IT4_S6_EES6_b
	.p2align	8
	.type	_ZN2at6native18radixSortKVInPlaceILi2ELin1ELi512ELi8ElljEEvNS_4cuda6detail10TensorInfoIT3_T5_EES6_S6_S6_NS4_IT4_S6_EES6_b,@function
_ZN2at6native18radixSortKVInPlaceILi2ELin1ELi512ELi8ElljEEvNS_4cuda6detail10TensorInfoIT3_T5_EES6_S6_S6_NS4_IT4_S6_EES6_b: ; @_ZN2at6native18radixSortKVInPlaceILi2ELin1ELi512ELi8ElljEEvNS_4cuda6detail10TensorInfoIT3_T5_EES6_S6_S6_NS4_IT4_S6_EES6_b
; %bb.0:
	s_clause 0x1
	s_load_b64 s[2:3], s[0:1], 0x1c8
	s_load_b96 s[24:26], s[0:1], 0xd8
	s_lshr_b32 s4, ttmp7, 16
	s_wait_kmcnt 0x0
	s_mul_i32 s3, s3, s4
	s_and_b32 s4, ttmp7, 0xffff
	s_delay_alu instid0(SALU_CYCLE_1) | instskip(NEXT) | instid1(SALU_CYCLE_1)
	s_add_co_i32 s3, s3, s4
	s_mul_i32 s2, s3, s2
	s_delay_alu instid0(SALU_CYCLE_1) | instskip(NEXT) | instid1(SALU_CYCLE_1)
	s_add_co_i32 s2, s2, ttmp9
	s_cmp_ge_u32 s2, s24
	s_cbranch_scc1 .LBB145_110
; %bb.1:
	s_clause 0x2
	s_load_b32 s10, s[0:1], 0xc
	s_load_b64 s[4:5], s[0:1], 0x6c
	s_load_b32 s8, s[0:1], 0x1b8
	s_add_nc_u64 s[22:23], s[0:1], 0xe8
	s_mov_b32 s24, s2
	s_wait_kmcnt 0x0
	s_cvt_f32_u32 s3, s10
	s_delay_alu instid0(SALU_CYCLE_3) | instskip(NEXT) | instid1(TRANS32_DEP_1)
	v_rcp_iflag_f32_e32 v1, s3
	v_readfirstlane_b32 s3, v1
	s_mul_f32 s3, s3, 0x4f7ffffe
	s_wait_alu 0xfffe
	s_delay_alu instid0(SALU_CYCLE_2) | instskip(SKIP_2) | instid1(SALU_CYCLE_1)
	s_cvt_u32_f32 s6, s3
	s_sub_co_i32 s3, 0, s10
	s_wait_alu 0xfffe
	s_mul_i32 s7, s3, s6
	s_mov_b32 s3, 0
	s_mul_hi_u32 s9, s6, s7
	s_wait_alu 0xfffe
	s_mov_b32 s7, s3
	s_add_co_i32 s6, s6, s9
	s_cmp_lt_i32 s8, 2
	s_mov_b32 s21, s3
	s_cbranch_scc1 .LBB145_4
; %bb.2:
	s_add_co_i32 s20, s8, -1
	s_mov_b32 s21, 0
	s_add_co_i32 s11, s8, 1
	s_lshl_b64 s[12:13], s[20:21], 2
	s_mov_b32 s24, s2
	s_add_nc_u64 s[12:13], s[22:23], s[12:13]
	s_delay_alu instid0(SALU_CYCLE_1)
	s_add_nc_u64 s[8:9], s[12:13], 8
.LBB145_3:                              ; =>This Inner Loop Header: Depth=1
	s_clause 0x1
	s_load_b32 s12, s[8:9], 0x0
	s_load_b32 s13, s[8:9], 0x64
	s_mov_b32 s16, s24
	s_add_nc_u64 s[8:9], s[8:9], -4
	s_wait_kmcnt 0x0
	s_cvt_f32_u32 s14, s12
	s_sub_co_i32 s15, 0, s12
	s_wait_alu 0xfffe
	s_delay_alu instid0(SALU_CYCLE_1) | instskip(NEXT) | instid1(TRANS32_DEP_1)
	v_rcp_iflag_f32_e32 v1, s14
	v_readfirstlane_b32 s14, v1
	s_mul_f32 s14, s14, 0x4f7ffffe
	s_wait_alu 0xfffe
	s_delay_alu instid0(SALU_CYCLE_2) | instskip(SKIP_1) | instid1(SALU_CYCLE_2)
	s_cvt_u32_f32 s14, s14
	s_wait_alu 0xfffe
	s_mul_i32 s15, s15, s14
	s_wait_alu 0xfffe
	s_mul_hi_u32 s15, s14, s15
	s_wait_alu 0xfffe
	s_add_co_i32 s14, s14, s15
	s_wait_alu 0xfffe
	s_mul_hi_u32 s14, s24, s14
	s_wait_alu 0xfffe
	s_mul_i32 s15, s14, s12
	s_add_co_i32 s17, s14, 1
	s_wait_alu 0xfffe
	s_sub_co_i32 s15, s24, s15
	s_wait_alu 0xfffe
	s_sub_co_i32 s18, s15, s12
	s_cmp_ge_u32 s15, s12
	s_cselect_b32 s14, s17, s14
	s_cselect_b32 s15, s18, s15
	s_wait_alu 0xfffe
	s_add_co_i32 s17, s14, 1
	s_cmp_ge_u32 s15, s12
	s_cselect_b32 s24, s17, s14
	s_add_co_i32 s11, s11, -1
	s_mul_i32 s12, s24, s12
	s_delay_alu instid0(SALU_CYCLE_1) | instskip(NEXT) | instid1(SALU_CYCLE_1)
	s_sub_co_i32 s12, s16, s12
	s_mul_i32 s12, s13, s12
	s_delay_alu instid0(SALU_CYCLE_1)
	s_add_co_i32 s21, s12, s21
	s_cmp_gt_u32 s11, 2
	s_cbranch_scc1 .LBB145_3
.LBB145_4:
	s_mul_u64 s[6:7], s[2:3], s[6:7]
	s_clause 0x1
	s_load_b64 s[30:31], s[0:1], 0x0
	s_load_b64 s[28:29], s[0:1], 0x1c0
	s_mul_i32 s3, s7, s10
	s_add_nc_u64 s[34:35], s[0:1], 0x1c8
	s_wait_alu 0xfffe
	s_sub_co_i32 s0, s2, s3
	s_add_co_i32 s1, s7, 1
	s_sub_co_i32 s3, s0, s10
	s_cmp_ge_u32 s0, s10
	s_cselect_b32 s1, s1, s7
	s_wait_alu 0xfffe
	s_cselect_b32 s0, s3, s0
	s_add_co_i32 s3, s1, 1
	s_cmp_ge_u32 s0, s10
	s_wait_alu 0xfffe
	s_cselect_b32 s0, s3, s1
	s_mov_b32 s1, 0
	s_mul_i32 s3, s0, s10
	s_mul_i32 s0, s0, s4
	s_wait_alu 0xfffe
	s_sub_co_i32 s2, s2, s3
	s_wait_alu 0xfffe
	s_mul_i32 s2, s2, s5
	s_brev_b32 s5, 1
	s_wait_alu 0xfffe
	s_add_co_i32 s0, s0, s2
	s_wait_kmcnt 0x0
	s_bitcmp1_b32 s29, 0
	s_cselect_b32 s20, -1, 0
	s_lshl_b64 s[2:3], s[0:1], 3
	s_and_b32 s0, s20, exec_lo
	s_cselect_b32 s4, 0, -1
	s_cselect_b32 s5, s5, 0x7fffffff
	s_mov_b32 s6, s4
	s_mov_b32 s7, s5
	;; [unrolled: 1-line block ×14, first 2 shown]
	v_dual_mov_b32 v1, s4 :: v_dual_and_b32 v74, 0x3ff, v0
	v_mov_b32_e32 v18, s5
	v_dual_mov_b32 v2, s5 :: v_dual_mov_b32 v3, s6
	s_delay_alu instid0(VALU_DEP_3)
	v_mul_lo_u32 v72, s26, v74
	v_cmp_gt_u32_e64 s0, s25, v74
	v_dual_mov_b32 v4, s7 :: v_dual_mov_b32 v5, s8
	v_dual_mov_b32 v6, s9 :: v_dual_mov_b32 v7, s10
	;; [unrolled: 1-line block ×3, first 2 shown]
	s_wait_alu 0xfffe
	v_dual_mov_b32 v10, s13 :: v_dual_mov_b32 v11, s14
	v_dual_mov_b32 v12, s15 :: v_dual_mov_b32 v13, s16
	;; [unrolled: 1-line block ×4, first 2 shown]
	s_add_nc_u64 s[30:31], s[30:31], s[2:3]
	s_and_saveexec_b32 s1, s0
	s_cbranch_execz .LBB145_6
; %bb.5:
	v_mov_b32_e32 v73, 0
	s_delay_alu instid0(VALU_DEP_1) | instskip(NEXT) | instid1(VALU_DEP_1)
	v_lshlrev_b64_e32 v[1:2], 3, v[72:73]
	v_add_co_u32 v1, vcc_lo, s30, v1
	s_delay_alu instid0(VALU_DEP_1)
	v_add_co_ci_u32_e64 v2, null, s31, v2, vcc_lo
	global_load_b64 v[17:18], v[1:2], off
	v_dual_mov_b32 v1, s4 :: v_dual_mov_b32 v4, s7
	v_dual_mov_b32 v3, s6 :: v_dual_mov_b32 v6, s9
	;; [unrolled: 1-line block ×8, first 2 shown]
.LBB145_6:
	s_or_b32 exec_lo, exec_lo, s1
	v_add_nc_u32_e32 v31, 0x200, v74
	s_delay_alu instid0(VALU_DEP_1)
	v_cmp_gt_u32_e64 s1, s25, v31
	s_and_saveexec_b32 s2, s1
	s_cbranch_execz .LBB145_8
; %bb.7:
	v_mul_lo_u32 v1, s26, v31
	v_mov_b32_e32 v2, 0
	s_delay_alu instid0(VALU_DEP_1) | instskip(NEXT) | instid1(VALU_DEP_1)
	v_lshlrev_b64_e32 v[1:2], 3, v[1:2]
	v_add_co_u32 v1, vcc_lo, s30, v1
	s_wait_alu 0xfffd
	s_delay_alu instid0(VALU_DEP_2)
	v_add_co_ci_u32_e64 v2, null, s31, v2, vcc_lo
	global_load_b64 v[3:4], v[1:2], off
.LBB145_8:
	s_wait_alu 0xfffe
	s_or_b32 exec_lo, exec_lo, s2
	v_or_b32_e32 v32, 0x400, v74
	s_delay_alu instid0(VALU_DEP_1)
	v_cmp_gt_u32_e64 s2, s25, v32
	s_and_saveexec_b32 s3, s2
	s_cbranch_execz .LBB145_10
; %bb.9:
	v_mul_lo_u32 v1, s26, v32
	v_mov_b32_e32 v2, 0
	s_delay_alu instid0(VALU_DEP_1) | instskip(NEXT) | instid1(VALU_DEP_1)
	v_lshlrev_b64_e32 v[1:2], 3, v[1:2]
	v_add_co_u32 v1, vcc_lo, s30, v1
	s_wait_alu 0xfffd
	s_delay_alu instid0(VALU_DEP_2)
	v_add_co_ci_u32_e64 v2, null, s31, v2, vcc_lo
	global_load_b64 v[5:6], v[1:2], off
.LBB145_10:
	s_wait_alu 0xfffe
	s_or_b32 exec_lo, exec_lo, s3
	v_add_nc_u32_e32 v34, 0x600, v74
	s_delay_alu instid0(VALU_DEP_1)
	v_cmp_gt_u32_e64 s3, s25, v34
	s_and_saveexec_b32 s4, s3
	s_cbranch_execz .LBB145_12
; %bb.11:
	v_mul_lo_u32 v1, s26, v34
	v_mov_b32_e32 v2, 0
	s_delay_alu instid0(VALU_DEP_1) | instskip(NEXT) | instid1(VALU_DEP_1)
	v_lshlrev_b64_e32 v[1:2], 3, v[1:2]
	v_add_co_u32 v1, vcc_lo, s30, v1
	s_wait_alu 0xfffd
	s_delay_alu instid0(VALU_DEP_2)
	v_add_co_ci_u32_e64 v2, null, s31, v2, vcc_lo
	global_load_b64 v[7:8], v[1:2], off
.LBB145_12:
	s_wait_alu 0xfffe
	s_or_b32 exec_lo, exec_lo, s4
	v_or_b32_e32 v35, 0x800, v74
	s_delay_alu instid0(VALU_DEP_1)
	v_cmp_gt_u32_e64 s4, s25, v35
	s_and_saveexec_b32 s5, s4
	s_cbranch_execz .LBB145_14
; %bb.13:
	v_mul_lo_u32 v1, s26, v35
	v_mov_b32_e32 v2, 0
	s_delay_alu instid0(VALU_DEP_1) | instskip(NEXT) | instid1(VALU_DEP_1)
	v_lshlrev_b64_e32 v[1:2], 3, v[1:2]
	v_add_co_u32 v1, vcc_lo, s30, v1
	s_wait_alu 0xfffd
	s_delay_alu instid0(VALU_DEP_2)
	v_add_co_ci_u32_e64 v2, null, s31, v2, vcc_lo
	global_load_b64 v[9:10], v[1:2], off
.LBB145_14:
	s_wait_alu 0xfffe
	;; [unrolled: 36-line block ×3, first 2 shown]
	s_or_b32 exec_lo, exec_lo, s7
	s_clause 0x1
	s_load_b32 s10, s[22:23], 0x6c
	s_load_b64 s[8:9], s[22:23], 0x0
	v_add_nc_u32_e32 v38, 0xe00, v74
	s_delay_alu instid0(VALU_DEP_1)
	v_cmp_gt_u32_e64 s7, s25, v38
	s_and_saveexec_b32 s11, s7
	s_cbranch_execz .LBB145_20
; %bb.19:
	v_mul_lo_u32 v1, s26, v38
	v_mov_b32_e32 v2, 0
	s_delay_alu instid0(VALU_DEP_1) | instskip(NEXT) | instid1(VALU_DEP_1)
	v_lshlrev_b64_e32 v[1:2], 3, v[1:2]
	v_add_co_u32 v1, vcc_lo, s30, v1
	s_wait_alu 0xfffd
	s_delay_alu instid0(VALU_DEP_2)
	v_add_co_ci_u32_e64 v2, null, s31, v2, vcc_lo
	global_load_b64 v[15:16], v[1:2], off
.LBB145_20:
	s_wait_alu 0xfffe
	s_or_b32 exec_lo, exec_lo, s11
	v_lshrrev_b32_e32 v2, 2, v32
	v_dual_mov_b32 v70, 0 :: v_dual_lshlrev_b32 v73, 3, v74
	v_lshrrev_b32_e32 v1, 2, v31
	v_lshrrev_b32_e32 v19, 2, v34
	s_delay_alu instid0(VALU_DEP_4)
	v_and_b32_e32 v2, 0x1f8, v2
	v_lshrrev_b32_e32 v33, 5, v74
	v_mov_b32_e32 v71, v70
	v_and_b32_e32 v1, 0x1f8, v1
	v_and_b32_e32 v19, 0x3f8, v19
	v_add_nc_u32_e32 v109, v2, v73
	v_lshrrev_b32_e32 v2, 2, v36
	v_lshl_add_u32 v107, v33, 3, v73
	v_add_nc_u32_e32 v108, v1, v73
	v_lshrrev_b32_e32 v1, 2, v35
	v_add_nc_u32_e32 v110, v19, v73
	v_dual_mov_b32 v21, v70 :: v_dual_and_b32 v2, 0x3f8, v2
	v_lshrrev_b32_e32 v19, 2, v37
	s_delay_alu instid0(VALU_DEP_4) | instskip(NEXT) | instid1(VALU_DEP_3)
	v_dual_mov_b32 v22, v70 :: v_dual_and_b32 v1, 0x3f8, v1
	v_dual_mov_b32 v27, 0 :: v_dual_add_nc_u32 v112, v2, v73
	v_mov_b32_e32 v28, 0
	s_wait_loadcnt 0x0
	ds_store_b64 v107, v[17:18]
	ds_store_b64 v108, v[3:4] offset:4096
	ds_store_b64 v109, v[5:6] offset:8192
	;; [unrolled: 1-line block ×3, first 2 shown]
	v_dual_mov_b32 v26, v70 :: v_dual_lshlrev_b32 v5, 1, v74
	v_lshrrev_b32_e32 v20, 2, v38
	v_dual_mov_b32 v30, v70 :: v_dual_add_nc_u32 v111, v1, v73
	s_delay_alu instid0(VALU_DEP_3) | instskip(SKIP_1) | instid1(VALU_DEP_4)
	v_and_b32_e32 v1, 0x7f8, v5
	v_dual_mov_b32 v24, v70 :: v_dual_and_b32 v3, 0x3f8, v19
	v_dual_mov_b32 v23, v70 :: v_dual_and_b32 v4, 0x7f8, v20
	s_delay_alu instid0(VALU_DEP_3) | instskip(NEXT) | instid1(VALU_DEP_3)
	v_lshl_add_u32 v115, v74, 6, v1
	v_add_nc_u32_e32 v113, v3, v73
	s_delay_alu instid0(VALU_DEP_3)
	v_dual_mov_b32 v25, v70 :: v_dual_add_nc_u32 v114, v4, v73
	ds_store_b64 v111, v[9:10] offset:16384
	ds_store_b64 v112, v[11:12] offset:20480
	;; [unrolled: 1-line block ×4, first 2 shown]
	s_wait_dscnt 0x0
	s_barrier_signal -1
	s_barrier_wait -1
	global_inv scope:SCOPE_SE
	ds_load_2addr_b64 v[13:16], v115 offset1:1
	ds_load_2addr_b64 v[9:12], v115 offset0:2 offset1:3
	ds_load_2addr_b64 v[5:8], v115 offset0:4 offset1:5
	ds_load_2addr_b64 v[1:4], v115 offset0:6 offset1:7
	s_wait_kmcnt 0x0
	s_mul_i32 s10, s10, s24
	v_mul_lo_u32 v69, s28, v74
	s_mov_b32 s11, 0
	s_wait_alu 0xfffe
	s_add_co_i32 s10, s10, s21
	v_dual_mov_b32 v17, v70 :: v_dual_mov_b32 v18, v70
	v_dual_mov_b32 v19, v70 :: v_dual_mov_b32 v20, v70
	v_mov_b32_e32 v29, v70
	s_wait_alu 0xfffe
	s_lshl_b64 s[10:11], s[10:11], 3
	s_wait_loadcnt_dscnt 0x0
	s_wait_alu 0xfffe
	s_add_nc_u64 s[24:25], s[8:9], s[10:11]
	s_barrier_signal -1
	s_barrier_wait -1
	global_inv scope:SCOPE_SE
	s_and_saveexec_b32 s8, s0
	s_cbranch_execnz .LBB145_56
; %bb.21:
	s_wait_alu 0xfffe
	s_or_b32 exec_lo, exec_lo, s8
	s_and_saveexec_b32 s8, s1
	s_cbranch_execnz .LBB145_57
.LBB145_22:
	s_wait_alu 0xfffe
	s_or_b32 exec_lo, exec_lo, s8
	s_and_saveexec_b32 s8, s2
	s_cbranch_execnz .LBB145_58
.LBB145_23:
	s_wait_alu 0xfffe
	s_or_b32 exec_lo, exec_lo, s8
	s_and_saveexec_b32 s8, s3
	s_cbranch_execnz .LBB145_59
.LBB145_24:
	s_wait_alu 0xfffe
	s_or_b32 exec_lo, exec_lo, s8
	s_and_saveexec_b32 s8, s4
	s_cbranch_execnz .LBB145_60
.LBB145_25:
	s_wait_alu 0xfffe
	s_or_b32 exec_lo, exec_lo, s8
	s_and_saveexec_b32 s8, s5
	s_cbranch_execnz .LBB145_61
.LBB145_26:
	s_wait_alu 0xfffe
	s_or_b32 exec_lo, exec_lo, s8
	s_and_saveexec_b32 s8, s6
	s_cbranch_execnz .LBB145_62
.LBB145_27:
	s_wait_alu 0xfffe
	s_or_b32 exec_lo, exec_lo, s8
	s_xor_b32 s8, s20, -1
	s_and_saveexec_b32 s9, s7
	s_cbranch_execz .LBB145_29
.LBB145_28:
	v_mul_lo_u32 v29, s28, v38
	v_mov_b32_e32 v30, 0
	s_delay_alu instid0(VALU_DEP_1) | instskip(NEXT) | instid1(VALU_DEP_1)
	v_lshlrev_b64_e32 v[29:30], 3, v[29:30]
	v_add_co_u32 v29, vcc_lo, s24, v29
	s_wait_alu 0xfffd
	s_delay_alu instid0(VALU_DEP_2)
	v_add_co_ci_u32_e64 v30, null, s25, v30, vcc_lo
	global_load_b64 v[29:30], v[29:30], off
.LBB145_29:
	s_wait_alu 0xfffe
	s_or_b32 exec_lo, exec_lo, s9
	s_wait_loadcnt 0x0
	ds_store_b64 v107, v[27:28]
	ds_store_b64 v108, v[70:71] offset:4096
	ds_store_b64 v109, v[17:18] offset:8192
	;; [unrolled: 1-line block ×7, first 2 shown]
	s_wait_dscnt 0x0
	s_barrier_signal -1
	s_barrier_wait -1
	global_inv scope:SCOPE_SE
	ds_load_2addr_b64 v[21:24], v115 offset1:1
	ds_load_2addr_b64 v[17:20], v115 offset0:2 offset1:3
	ds_load_2addr_b64 v[29:32], v115 offset0:4 offset1:5
	;; [unrolled: 1-line block ×3, first 2 shown]
	v_mbcnt_lo_u32_b32 v118, -1, 0
	v_and_b32_e32 v34, 0x3e0, v74
	v_and_b32_e32 v35, 0x1f00, v73
	s_and_b32 vcc_lo, exec_lo, s8
	v_bfe_u32 v123, v0, 10, 10
	v_bfe_u32 v124, v0, 20, 10
	v_or_b32_e32 v36, v118, v34
	v_or_b32_e32 v37, v118, v35
	v_lshlrev_b32_e32 v116, 2, v73
	v_and_b32_e32 v120, 15, v118
	v_and_b32_e32 v121, 16, v118
	v_lshlrev_b32_e32 v126, 6, v36
	v_lshlrev_b32_e32 v125, 3, v37
	v_min_u32_e32 v122, 0x1e0, v34
	v_cmp_gt_u32_e64 s8, 16, v74
	v_cmp_lt_u32_e64 s9, 31, v74
	v_cmp_eq_u32_e64 s10, 0, v74
	v_lshlrev_b32_e32 v117, 2, v33
	v_mul_i32_i24_e32 v119, 0xffffffe4, v74
	v_lshlrev_b32_e32 v0, 3, v35
	s_mov_b32 s20, 0
	s_mov_b32 s11, -1
	s_wait_loadcnt_dscnt 0x0
	s_barrier_signal -1
	s_barrier_wait -1
	global_inv scope:SCOPE_SE
                                        ; implicit-def: $vgpr63_vgpr64
                                        ; implicit-def: $vgpr59_vgpr60
                                        ; implicit-def: $vgpr55_vgpr56
                                        ; implicit-def: $vgpr51_vgpr52
                                        ; implicit-def: $vgpr35_vgpr36
                                        ; implicit-def: $vgpr39_vgpr40
                                        ; implicit-def: $vgpr43_vgpr44
                                        ; implicit-def: $vgpr47_vgpr48
	s_wait_alu 0xfffe
	s_cbranch_vccz .LBB145_64
; %bb.30:
	v_xor_b32_e32 v34, 0x80000000, v14
	v_xor_b32_e32 v36, 0x80000000, v16
	v_mov_b32_e32 v33, v13
	v_dual_mov_b32 v35, v15 :: v_dual_add_nc_u32 v128, -4, v117
	v_xor_b32_e32 v38, 0x80000000, v10
	v_xor_b32_e32 v40, 0x80000000, v12
	v_mov_b32_e32 v37, v9
	v_dual_mov_b32 v39, v11 :: v_dual_mov_b32 v70, 0
	v_xor_b32_e32 v42, 0x80000000, v6
	v_xor_b32_e32 v44, 0x80000000, v8
	s_mov_b32 s21, s20
	s_mov_b32 s22, s20
	;; [unrolled: 1-line block ×3, first 2 shown]
	v_mov_b32_e32 v41, v5
	v_mov_b32_e32 v43, v7
	v_xor_b32_e32 v46, 0x80000000, v2
	v_xor_b32_e32 v48, 0x80000000, v4
	v_mov_b32_e32 v45, v1
	v_mov_b32_e32 v47, v3
	ds_store_b128 v126, v[33:36]
	ds_store_b128 v126, v[37:40] offset:16
	ds_store_b128 v126, v[41:44] offset:32
	;; [unrolled: 1-line block ×3, first 2 shown]
	; wave barrier
	ds_load_2addr_b64 v[37:40], v125 offset1:32
	ds_load_2addr_b64 v[41:44], v125 offset0:64 offset1:96
	ds_load_2addr_b64 v[45:48], v125 offset0:128 offset1:160
	;; [unrolled: 1-line block ×3, first 2 shown]
	; wave barrier
	ds_store_b128 v126, v[21:24]
	ds_store_b128 v126, v[17:20] offset:16
	ds_store_b128 v126, v[29:32] offset:32
	;; [unrolled: 1-line block ×3, first 2 shown]
	; wave barrier
	ds_load_2addr_b64 v[49:52], v125 offset1:32
	ds_load_2addr_b64 v[53:56], v125 offset0:64 offset1:96
	ds_load_2addr_b64 v[57:60], v125 offset0:128 offset1:160
	;; [unrolled: 1-line block ×3, first 2 shown]
	s_wait_loadcnt_dscnt 0x0
	s_barrier_signal -1
	s_barrier_wait -1
	global_inv scope:SCOPE_SE
	s_load_b32 s11, s[34:35], 0xc
	s_getpc_b64 s[12:13]
	s_wait_alu 0xfffe
	s_sext_i32_i16 s13, s13
	s_add_co_u32 s12, s12, _ZN7rocprim17ROCPRIM_400000_NS16block_radix_sortIlLj512ELj8ElLj1ELj1ELj0ELNS0_26block_radix_rank_algorithmE1ELNS0_18block_padding_hintE2ELNS0_4arch9wavefront6targetE0EE19radix_bits_per_passE@rel32@lo+12
	s_wait_alu 0xfffe
	s_add_co_ci_u32 s13, s13, _ZN7rocprim17ROCPRIM_400000_NS16block_radix_sortIlLj512ELj8ElLj1ELj1ELj0ELNS0_26block_radix_rank_algorithmE1ELNS0_18block_padding_hintE2ELNS0_4arch9wavefront6targetE0EE19radix_bits_per_passE@rel32@hi+24
	v_or_b32_e32 v35, 31, v122
	s_load_b32 s19, s[12:13], 0x0
	v_cmp_eq_u32_e64 s12, 0, v120
	v_cmp_lt_u32_e64 s13, 1, v120
	v_cmp_lt_u32_e64 s15, 7, v120
	v_cmp_eq_u32_e64 s17, v74, v35
	v_cmp_eq_u32_e64 s16, 0, v121
	v_lshl_add_u32 v129, v118, 3, v0
	v_mov_b32_e32 v71, 0
	v_add_nc_u32_e32 v131, v116, v119
	s_wait_kmcnt 0x0
	s_lshr_b32 s14, s11, 16
	s_and_b32 s11, s11, 0xffff
	s_wait_alu 0xfffe
	v_mad_u32_u24 v33, v124, s14, v123
	v_cmp_lt_u32_e64 s14, 3, v120
	s_delay_alu instid0(VALU_DEP_2) | instskip(SKIP_1) | instid1(VALU_DEP_1)
	v_mad_co_u64_u32 v[33:34], null, v33, s11, v[74:75]
	v_sub_co_u32 v34, s11, v118, 1
	v_cmp_gt_i32_e32 vcc_lo, 0, v34
	s_delay_alu instid0(VALU_DEP_3) | instskip(SKIP_2) | instid1(VALU_DEP_2)
	v_lshrrev_b32_e32 v33, 3, v33
	s_wait_alu 0xfffd
	v_cndmask_b32_e32 v34, v34, v118, vcc_lo
	v_and_b32_e32 v130, 0x1ffffffc, v33
	s_delay_alu instid0(VALU_DEP_2)
	v_dual_mov_b32 v36, s23 :: v_dual_lshlrev_b32 v127, 2, v34
	v_dual_mov_b32 v35, s22 :: v_dual_mov_b32 v34, s21
	v_mov_b32_e32 v33, s20
	s_mov_b32 s20, 64
	s_branch .LBB145_32
.LBB145_31:                             ;   in Loop: Header=BB145_32 Depth=1
	s_wait_alu 0xfffe
	s_and_not1_b32 vcc_lo, exec_lo, s18
	s_wait_alu 0xfffe
	s_cbranch_vccz .LBB145_63
.LBB145_32:                             ; =>This Inner Loop Header: Depth=1
	v_dual_mov_b32 v76, v38 :: v_dual_mov_b32 v75, v37
	s_wait_alu 0xfffe
	s_min_u32 s18, s19, s20
	v_mov_b32_e32 v78, v68
	s_wait_alu 0xfffe
	s_lshl_b32 s18, -1, s18
	v_mov_b32_e32 v80, v66
	v_lshrrev_b64 v[37:38], v70, v[75:76]
	s_wait_alu 0xfffe
	s_not_b32 s21, s18
	v_mov_b32_e32 v79, v65
	ds_store_b128 v116, v[33:36] offset:64
	ds_store_b128 v116, v[33:36] offset:80
	s_wait_loadcnt_dscnt 0x0
	s_wait_alu 0xfffe
	v_dual_mov_b32 v77, v67 :: v_dual_and_b32 v38, s21, v37
	v_dual_mov_b32 v82, v48 :: v_dual_mov_b32 v81, v47
	s_barrier_signal -1
	s_delay_alu instid0(VALU_DEP_2) | instskip(SKIP_3) | instid1(VALU_DEP_3)
	v_dual_mov_b32 v100, v46 :: v_dual_lshlrev_b32 v47, 30, v38
	v_and_b32_e32 v37, 1, v38
	v_dual_mov_b32 v99, v45 :: v_dual_lshlrev_b32 v48, 29, v38
	v_dual_mov_b32 v102, v44 :: v_dual_lshlrev_b32 v65, 28, v38
	v_add_co_u32 v37, s18, v37, -1
	s_wait_alu 0xf1ff
	v_cndmask_b32_e64 v66, 0, 1, s18
	v_not_b32_e32 v84, v47
	v_cmp_gt_i32_e64 s18, 0, v47
	v_not_b32_e32 v47, v48
	v_dual_mov_b32 v104, v42 :: v_dual_lshlrev_b32 v67, 27, v38
	v_cmp_ne_u32_e32 vcc_lo, 0, v66
	v_ashrrev_i32_e32 v84, 31, v84
	s_delay_alu instid0(VALU_DEP_4)
	v_ashrrev_i32_e32 v47, 31, v47
	v_dual_mov_b32 v101, v43 :: v_dual_lshlrev_b32 v68, 26, v38
	s_wait_alu 0xfffd
	v_xor_b32_e32 v37, vcc_lo, v37
	v_cmp_gt_i32_e32 vcc_lo, 0, v48
	v_not_b32_e32 v48, v65
	s_wait_alu 0xf1ff
	v_xor_b32_e32 v84, s18, v84
	v_cmp_gt_i32_e64 s18, 0, v65
	v_and_b32_e32 v37, exec_lo, v37
	v_not_b32_e32 v65, v67
	v_ashrrev_i32_e32 v48, 31, v48
	s_wait_alu 0xfffd
	v_xor_b32_e32 v47, vcc_lo, v47
	v_dual_mov_b32 v106, v40 :: v_dual_lshlrev_b32 v83, 25, v38
	v_dual_mov_b32 v86, v62 :: v_dual_and_b32 v37, v37, v84
	v_cmp_gt_i32_e32 vcc_lo, 0, v67
	v_not_b32_e32 v67, v68
	v_ashrrev_i32_e32 v65, 31, v65
	s_wait_alu 0xf1ff
	v_xor_b32_e32 v48, s18, v48
	v_dual_mov_b32 v88, v60 :: v_dual_and_b32 v37, v37, v47
	v_dual_mov_b32 v103, v41 :: v_dual_lshlrev_b32 v66, 24, v38
	v_cmp_gt_i32_e64 s18, 0, v68
	v_not_b32_e32 v47, v83
	v_ashrrev_i32_e32 v67, 31, v67
	s_wait_alu 0xfffd
	v_xor_b32_e32 v65, vcc_lo, v65
	v_dual_mov_b32 v90, v58 :: v_dual_and_b32 v37, v37, v48
	v_cmp_gt_i32_e32 vcc_lo, 0, v83
	v_not_b32_e32 v48, v66
	v_ashrrev_i32_e32 v47, 31, v47
	s_wait_alu 0xf1ff
	v_xor_b32_e32 v67, s18, v67
	v_dual_mov_b32 v92, v56 :: v_dual_and_b32 v37, v37, v65
	v_cmp_gt_i32_e64 s18, 0, v66
	v_ashrrev_i32_e32 v45, 31, v48
	s_wait_alu 0xfffd
	v_xor_b32_e32 v46, vcc_lo, v47
	v_dual_mov_b32 v94, v54 :: v_dual_and_b32 v37, v37, v67
	v_dual_mov_b32 v105, v39 :: v_dual_mov_b32 v96, v52
	s_wait_alu 0xf1ff
	v_xor_b32_e32 v39, s18, v45
	s_delay_alu instid0(VALU_DEP_3) | instskip(SKIP_2) | instid1(VALU_DEP_3)
	v_dual_mov_b32 v98, v50 :: v_dual_and_b32 v37, v37, v46
	v_dual_mov_b32 v84, v64 :: v_dual_mov_b32 v83, v63
	v_lshlrev_b32_e32 v38, 6, v38
	v_and_b32_e32 v37, v37, v39
	v_mov_b32_e32 v85, v61
	v_mov_b32_e32 v87, v59
	;; [unrolled: 1-line block ×4, first 2 shown]
	v_mbcnt_lo_u32_b32 v45, v37, 0
	v_cmp_ne_u32_e64 s18, 0, v37
	v_mov_b32_e32 v93, v53
	v_mov_b32_e32 v95, v51
	;; [unrolled: 1-line block ×3, first 2 shown]
	v_cmp_eq_u32_e32 vcc_lo, 0, v45
	v_add_nc_u32_e32 v46, v130, v38
	s_barrier_wait -1
	global_inv scope:SCOPE_SE
	s_and_b32 s22, s18, vcc_lo
	; wave barrier
	s_wait_alu 0xfffe
	s_and_saveexec_b32 s18, s22
; %bb.33:                               ;   in Loop: Header=BB145_32 Depth=1
	v_bcnt_u32_b32 v37, v37, 0
	ds_store_b32 v46, v37 offset:64
; %bb.34:                               ;   in Loop: Header=BB145_32 Depth=1
	s_wait_alu 0xfffe
	s_or_b32 exec_lo, exec_lo, s18
	v_lshrrev_b64 v[37:38], v70, v[105:106]
	; wave barrier
	s_delay_alu instid0(VALU_DEP_1) | instskip(NEXT) | instid1(VALU_DEP_1)
	v_and_b32_e32 v37, s21, v37
	v_and_b32_e32 v38, 1, v37
	v_lshlrev_b32_e32 v39, 30, v37
	v_lshlrev_b32_e32 v40, 29, v37
	;; [unrolled: 1-line block ×4, first 2 shown]
	v_add_co_u32 v38, s18, v38, -1
	s_wait_alu 0xf1ff
	v_cndmask_b32_e64 v42, 0, 1, s18
	v_not_b32_e32 v48, v39
	v_cmp_gt_i32_e64 s18, 0, v39
	v_not_b32_e32 v39, v40
	v_lshlrev_b32_e32 v44, 26, v37
	v_cmp_ne_u32_e32 vcc_lo, 0, v42
	v_ashrrev_i32_e32 v48, 31, v48
	v_lshlrev_b32_e32 v47, 25, v37
	v_ashrrev_i32_e32 v39, 31, v39
	v_lshlrev_b32_e32 v42, 24, v37
	s_wait_alu 0xfffd
	v_xor_b32_e32 v38, vcc_lo, v38
	v_cmp_gt_i32_e32 vcc_lo, 0, v40
	v_not_b32_e32 v40, v41
	s_wait_alu 0xf1ff
	v_xor_b32_e32 v48, s18, v48
	v_cmp_gt_i32_e64 s18, 0, v41
	v_and_b32_e32 v38, exec_lo, v38
	v_not_b32_e32 v41, v43
	v_ashrrev_i32_e32 v40, 31, v40
	s_wait_alu 0xfffd
	v_xor_b32_e32 v39, vcc_lo, v39
	v_cmp_gt_i32_e32 vcc_lo, 0, v43
	v_and_b32_e32 v38, v38, v48
	v_not_b32_e32 v43, v44
	v_ashrrev_i32_e32 v41, 31, v41
	s_wait_alu 0xf1ff
	v_xor_b32_e32 v40, s18, v40
	v_cmp_gt_i32_e64 s18, 0, v44
	v_and_b32_e32 v38, v38, v39
	v_not_b32_e32 v39, v47
	v_ashrrev_i32_e32 v43, 31, v43
	s_wait_alu 0xfffd
	v_xor_b32_e32 v41, vcc_lo, v41
	v_cmp_gt_i32_e32 vcc_lo, 0, v47
	v_and_b32_e32 v38, v38, v40
	v_not_b32_e32 v40, v42
	v_ashrrev_i32_e32 v39, 31, v39
	s_wait_alu 0xf1ff
	v_xor_b32_e32 v43, s18, v43
	v_lshlrev_b32_e32 v37, 6, v37
	v_and_b32_e32 v38, v38, v41
	v_cmp_gt_i32_e64 s18, 0, v42
	v_ashrrev_i32_e32 v40, 31, v40
	s_wait_alu 0xfffd
	v_xor_b32_e32 v39, vcc_lo, v39
	v_add_nc_u32_e32 v49, v130, v37
	v_and_b32_e32 v38, v38, v43
	s_wait_alu 0xf1ff
	v_xor_b32_e32 v37, s18, v40
	ds_load_b32 v47, v49 offset:64
	v_and_b32_e32 v38, v38, v39
	; wave barrier
	s_delay_alu instid0(VALU_DEP_1) | instskip(NEXT) | instid1(VALU_DEP_1)
	v_and_b32_e32 v37, v38, v37
	v_mbcnt_lo_u32_b32 v48, v37, 0
	v_cmp_ne_u32_e64 s18, 0, v37
	s_delay_alu instid0(VALU_DEP_2)
	v_cmp_eq_u32_e32 vcc_lo, 0, v48
	s_and_b32 s22, s18, vcc_lo
	s_wait_alu 0xfffe
	s_and_saveexec_b32 s18, s22
	s_cbranch_execz .LBB145_36
; %bb.35:                               ;   in Loop: Header=BB145_32 Depth=1
	s_wait_dscnt 0x0
	v_bcnt_u32_b32 v37, v37, v47
	ds_store_b32 v49, v37 offset:64
.LBB145_36:                             ;   in Loop: Header=BB145_32 Depth=1
	s_wait_alu 0xfffe
	s_or_b32 exec_lo, exec_lo, s18
	v_lshrrev_b64 v[37:38], v70, v[103:104]
	; wave barrier
	s_delay_alu instid0(VALU_DEP_1) | instskip(NEXT) | instid1(VALU_DEP_1)
	v_and_b32_e32 v37, s21, v37
	v_and_b32_e32 v38, 1, v37
	v_lshlrev_b32_e32 v39, 30, v37
	v_lshlrev_b32_e32 v40, 29, v37
	;; [unrolled: 1-line block ×4, first 2 shown]
	v_add_co_u32 v38, s18, v38, -1
	s_wait_alu 0xf1ff
	v_cndmask_b32_e64 v42, 0, 1, s18
	v_not_b32_e32 v51, v39
	v_cmp_gt_i32_e64 s18, 0, v39
	v_not_b32_e32 v39, v40
	v_lshlrev_b32_e32 v44, 26, v37
	v_cmp_ne_u32_e32 vcc_lo, 0, v42
	v_ashrrev_i32_e32 v51, 31, v51
	v_lshlrev_b32_e32 v50, 25, v37
	v_ashrrev_i32_e32 v39, 31, v39
	v_lshlrev_b32_e32 v42, 24, v37
	s_wait_alu 0xfffd
	v_xor_b32_e32 v38, vcc_lo, v38
	v_cmp_gt_i32_e32 vcc_lo, 0, v40
	v_not_b32_e32 v40, v41
	s_wait_alu 0xf1ff
	v_xor_b32_e32 v51, s18, v51
	v_cmp_gt_i32_e64 s18, 0, v41
	v_and_b32_e32 v38, exec_lo, v38
	v_not_b32_e32 v41, v43
	v_ashrrev_i32_e32 v40, 31, v40
	s_wait_alu 0xfffd
	v_xor_b32_e32 v39, vcc_lo, v39
	v_cmp_gt_i32_e32 vcc_lo, 0, v43
	v_and_b32_e32 v38, v38, v51
	v_not_b32_e32 v43, v44
	v_ashrrev_i32_e32 v41, 31, v41
	s_wait_alu 0xf1ff
	v_xor_b32_e32 v40, s18, v40
	v_cmp_gt_i32_e64 s18, 0, v44
	v_and_b32_e32 v38, v38, v39
	v_not_b32_e32 v39, v50
	v_ashrrev_i32_e32 v43, 31, v43
	s_wait_alu 0xfffd
	v_xor_b32_e32 v41, vcc_lo, v41
	v_cmp_gt_i32_e32 vcc_lo, 0, v50
	v_and_b32_e32 v38, v38, v40
	v_not_b32_e32 v40, v42
	v_ashrrev_i32_e32 v39, 31, v39
	s_wait_alu 0xf1ff
	v_xor_b32_e32 v43, s18, v43
	v_lshlrev_b32_e32 v37, 6, v37
	v_and_b32_e32 v38, v38, v41
	v_cmp_gt_i32_e64 s18, 0, v42
	v_ashrrev_i32_e32 v40, 31, v40
	s_wait_alu 0xfffd
	v_xor_b32_e32 v39, vcc_lo, v39
	v_add_nc_u32_e32 v52, v130, v37
	v_and_b32_e32 v38, v38, v43
	s_wait_alu 0xf1ff
	v_xor_b32_e32 v37, s18, v40
	ds_load_b32 v50, v52 offset:64
	v_and_b32_e32 v38, v38, v39
	; wave barrier
	s_delay_alu instid0(VALU_DEP_1) | instskip(NEXT) | instid1(VALU_DEP_1)
	v_and_b32_e32 v37, v38, v37
	v_mbcnt_lo_u32_b32 v51, v37, 0
	v_cmp_ne_u32_e64 s18, 0, v37
	s_delay_alu instid0(VALU_DEP_2)
	v_cmp_eq_u32_e32 vcc_lo, 0, v51
	s_and_b32 s22, s18, vcc_lo
	s_wait_alu 0xfffe
	s_and_saveexec_b32 s18, s22
	s_cbranch_execz .LBB145_38
; %bb.37:                               ;   in Loop: Header=BB145_32 Depth=1
	s_wait_dscnt 0x0
	v_bcnt_u32_b32 v37, v37, v50
	ds_store_b32 v52, v37 offset:64
.LBB145_38:                             ;   in Loop: Header=BB145_32 Depth=1
	s_wait_alu 0xfffe
	s_or_b32 exec_lo, exec_lo, s18
	v_lshrrev_b64 v[37:38], v70, v[101:102]
	; wave barrier
	s_delay_alu instid0(VALU_DEP_1) | instskip(NEXT) | instid1(VALU_DEP_1)
	v_and_b32_e32 v37, s21, v37
	v_and_b32_e32 v38, 1, v37
	v_lshlrev_b32_e32 v39, 30, v37
	v_lshlrev_b32_e32 v40, 29, v37
	v_lshlrev_b32_e32 v41, 28, v37
	v_lshlrev_b32_e32 v43, 27, v37
	v_add_co_u32 v38, s18, v38, -1
	s_wait_alu 0xf1ff
	v_cndmask_b32_e64 v42, 0, 1, s18
	v_not_b32_e32 v54, v39
	v_cmp_gt_i32_e64 s18, 0, v39
	v_not_b32_e32 v39, v40
	v_lshlrev_b32_e32 v44, 26, v37
	v_cmp_ne_u32_e32 vcc_lo, 0, v42
	v_ashrrev_i32_e32 v54, 31, v54
	v_lshlrev_b32_e32 v53, 25, v37
	v_ashrrev_i32_e32 v39, 31, v39
	v_lshlrev_b32_e32 v42, 24, v37
	s_wait_alu 0xfffd
	v_xor_b32_e32 v38, vcc_lo, v38
	v_cmp_gt_i32_e32 vcc_lo, 0, v40
	v_not_b32_e32 v40, v41
	s_wait_alu 0xf1ff
	v_xor_b32_e32 v54, s18, v54
	v_cmp_gt_i32_e64 s18, 0, v41
	v_and_b32_e32 v38, exec_lo, v38
	v_not_b32_e32 v41, v43
	v_ashrrev_i32_e32 v40, 31, v40
	s_wait_alu 0xfffd
	v_xor_b32_e32 v39, vcc_lo, v39
	v_cmp_gt_i32_e32 vcc_lo, 0, v43
	v_and_b32_e32 v38, v38, v54
	v_not_b32_e32 v43, v44
	v_ashrrev_i32_e32 v41, 31, v41
	s_wait_alu 0xf1ff
	v_xor_b32_e32 v40, s18, v40
	v_cmp_gt_i32_e64 s18, 0, v44
	v_and_b32_e32 v38, v38, v39
	v_not_b32_e32 v39, v53
	v_ashrrev_i32_e32 v43, 31, v43
	s_wait_alu 0xfffd
	v_xor_b32_e32 v41, vcc_lo, v41
	v_cmp_gt_i32_e32 vcc_lo, 0, v53
	v_and_b32_e32 v38, v38, v40
	v_not_b32_e32 v40, v42
	v_ashrrev_i32_e32 v39, 31, v39
	s_wait_alu 0xf1ff
	v_xor_b32_e32 v43, s18, v43
	v_lshlrev_b32_e32 v37, 6, v37
	v_and_b32_e32 v38, v38, v41
	v_cmp_gt_i32_e64 s18, 0, v42
	v_ashrrev_i32_e32 v40, 31, v40
	s_wait_alu 0xfffd
	v_xor_b32_e32 v39, vcc_lo, v39
	v_add_nc_u32_e32 v55, v130, v37
	v_and_b32_e32 v38, v38, v43
	s_wait_alu 0xf1ff
	v_xor_b32_e32 v37, s18, v40
	ds_load_b32 v53, v55 offset:64
	v_and_b32_e32 v38, v38, v39
	; wave barrier
	s_delay_alu instid0(VALU_DEP_1) | instskip(NEXT) | instid1(VALU_DEP_1)
	v_and_b32_e32 v37, v38, v37
	v_mbcnt_lo_u32_b32 v54, v37, 0
	v_cmp_ne_u32_e64 s18, 0, v37
	s_delay_alu instid0(VALU_DEP_2)
	v_cmp_eq_u32_e32 vcc_lo, 0, v54
	s_and_b32 s22, s18, vcc_lo
	s_wait_alu 0xfffe
	s_and_saveexec_b32 s18, s22
	s_cbranch_execz .LBB145_40
; %bb.39:                               ;   in Loop: Header=BB145_32 Depth=1
	s_wait_dscnt 0x0
	v_bcnt_u32_b32 v37, v37, v53
	ds_store_b32 v55, v37 offset:64
.LBB145_40:                             ;   in Loop: Header=BB145_32 Depth=1
	s_wait_alu 0xfffe
	s_or_b32 exec_lo, exec_lo, s18
	v_lshrrev_b64 v[37:38], v70, v[99:100]
	; wave barrier
	s_delay_alu instid0(VALU_DEP_1) | instskip(NEXT) | instid1(VALU_DEP_1)
	v_and_b32_e32 v37, s21, v37
	v_and_b32_e32 v38, 1, v37
	v_lshlrev_b32_e32 v39, 30, v37
	v_lshlrev_b32_e32 v40, 29, v37
	;; [unrolled: 1-line block ×4, first 2 shown]
	v_add_co_u32 v38, s18, v38, -1
	s_wait_alu 0xf1ff
	v_cndmask_b32_e64 v42, 0, 1, s18
	v_not_b32_e32 v57, v39
	v_cmp_gt_i32_e64 s18, 0, v39
	v_not_b32_e32 v39, v40
	v_lshlrev_b32_e32 v44, 26, v37
	v_cmp_ne_u32_e32 vcc_lo, 0, v42
	v_ashrrev_i32_e32 v57, 31, v57
	v_lshlrev_b32_e32 v56, 25, v37
	v_ashrrev_i32_e32 v39, 31, v39
	v_lshlrev_b32_e32 v42, 24, v37
	s_wait_alu 0xfffd
	v_xor_b32_e32 v38, vcc_lo, v38
	v_cmp_gt_i32_e32 vcc_lo, 0, v40
	v_not_b32_e32 v40, v41
	s_wait_alu 0xf1ff
	v_xor_b32_e32 v57, s18, v57
	v_cmp_gt_i32_e64 s18, 0, v41
	v_and_b32_e32 v38, exec_lo, v38
	v_not_b32_e32 v41, v43
	v_ashrrev_i32_e32 v40, 31, v40
	s_wait_alu 0xfffd
	v_xor_b32_e32 v39, vcc_lo, v39
	v_cmp_gt_i32_e32 vcc_lo, 0, v43
	v_and_b32_e32 v38, v38, v57
	v_not_b32_e32 v43, v44
	v_ashrrev_i32_e32 v41, 31, v41
	s_wait_alu 0xf1ff
	v_xor_b32_e32 v40, s18, v40
	v_cmp_gt_i32_e64 s18, 0, v44
	v_and_b32_e32 v38, v38, v39
	v_not_b32_e32 v39, v56
	v_ashrrev_i32_e32 v43, 31, v43
	s_wait_alu 0xfffd
	v_xor_b32_e32 v41, vcc_lo, v41
	v_cmp_gt_i32_e32 vcc_lo, 0, v56
	v_and_b32_e32 v38, v38, v40
	v_not_b32_e32 v40, v42
	v_ashrrev_i32_e32 v39, 31, v39
	s_wait_alu 0xf1ff
	v_xor_b32_e32 v43, s18, v43
	v_lshlrev_b32_e32 v37, 6, v37
	v_and_b32_e32 v38, v38, v41
	v_cmp_gt_i32_e64 s18, 0, v42
	v_ashrrev_i32_e32 v40, 31, v40
	s_wait_alu 0xfffd
	v_xor_b32_e32 v39, vcc_lo, v39
	v_add_nc_u32_e32 v58, v130, v37
	v_and_b32_e32 v38, v38, v43
	s_wait_alu 0xf1ff
	v_xor_b32_e32 v37, s18, v40
	ds_load_b32 v56, v58 offset:64
	v_and_b32_e32 v38, v38, v39
	; wave barrier
	s_delay_alu instid0(VALU_DEP_1) | instskip(NEXT) | instid1(VALU_DEP_1)
	v_and_b32_e32 v37, v38, v37
	v_mbcnt_lo_u32_b32 v57, v37, 0
	v_cmp_ne_u32_e64 s18, 0, v37
	s_delay_alu instid0(VALU_DEP_2)
	v_cmp_eq_u32_e32 vcc_lo, 0, v57
	s_and_b32 s22, s18, vcc_lo
	s_wait_alu 0xfffe
	s_and_saveexec_b32 s18, s22
	s_cbranch_execz .LBB145_42
; %bb.41:                               ;   in Loop: Header=BB145_32 Depth=1
	s_wait_dscnt 0x0
	v_bcnt_u32_b32 v37, v37, v56
	ds_store_b32 v58, v37 offset:64
.LBB145_42:                             ;   in Loop: Header=BB145_32 Depth=1
	s_wait_alu 0xfffe
	s_or_b32 exec_lo, exec_lo, s18
	v_lshrrev_b64 v[37:38], v70, v[81:82]
	; wave barrier
	s_delay_alu instid0(VALU_DEP_1) | instskip(NEXT) | instid1(VALU_DEP_1)
	v_and_b32_e32 v37, s21, v37
	v_and_b32_e32 v38, 1, v37
	v_lshlrev_b32_e32 v39, 30, v37
	v_lshlrev_b32_e32 v40, 29, v37
	;; [unrolled: 1-line block ×4, first 2 shown]
	v_add_co_u32 v38, s18, v38, -1
	s_wait_alu 0xf1ff
	v_cndmask_b32_e64 v42, 0, 1, s18
	v_not_b32_e32 v60, v39
	v_cmp_gt_i32_e64 s18, 0, v39
	v_not_b32_e32 v39, v40
	v_lshlrev_b32_e32 v44, 26, v37
	v_cmp_ne_u32_e32 vcc_lo, 0, v42
	v_ashrrev_i32_e32 v60, 31, v60
	v_lshlrev_b32_e32 v59, 25, v37
	v_ashrrev_i32_e32 v39, 31, v39
	v_lshlrev_b32_e32 v42, 24, v37
	s_wait_alu 0xfffd
	v_xor_b32_e32 v38, vcc_lo, v38
	v_cmp_gt_i32_e32 vcc_lo, 0, v40
	v_not_b32_e32 v40, v41
	s_wait_alu 0xf1ff
	v_xor_b32_e32 v60, s18, v60
	v_cmp_gt_i32_e64 s18, 0, v41
	v_and_b32_e32 v38, exec_lo, v38
	v_not_b32_e32 v41, v43
	v_ashrrev_i32_e32 v40, 31, v40
	s_wait_alu 0xfffd
	v_xor_b32_e32 v39, vcc_lo, v39
	v_cmp_gt_i32_e32 vcc_lo, 0, v43
	v_and_b32_e32 v38, v38, v60
	v_not_b32_e32 v43, v44
	v_ashrrev_i32_e32 v41, 31, v41
	s_wait_alu 0xf1ff
	v_xor_b32_e32 v40, s18, v40
	v_cmp_gt_i32_e64 s18, 0, v44
	v_and_b32_e32 v38, v38, v39
	v_not_b32_e32 v39, v59
	v_ashrrev_i32_e32 v43, 31, v43
	s_wait_alu 0xfffd
	v_xor_b32_e32 v41, vcc_lo, v41
	v_cmp_gt_i32_e32 vcc_lo, 0, v59
	v_and_b32_e32 v38, v38, v40
	v_not_b32_e32 v40, v42
	v_ashrrev_i32_e32 v39, 31, v39
	s_wait_alu 0xf1ff
	v_xor_b32_e32 v43, s18, v43
	v_lshlrev_b32_e32 v37, 6, v37
	v_and_b32_e32 v38, v38, v41
	v_cmp_gt_i32_e64 s18, 0, v42
	v_ashrrev_i32_e32 v40, 31, v40
	s_wait_alu 0xfffd
	v_xor_b32_e32 v39, vcc_lo, v39
	v_add_nc_u32_e32 v61, v130, v37
	v_and_b32_e32 v38, v38, v43
	s_wait_alu 0xf1ff
	v_xor_b32_e32 v37, s18, v40
	ds_load_b32 v59, v61 offset:64
	v_and_b32_e32 v38, v38, v39
	; wave barrier
	s_delay_alu instid0(VALU_DEP_1) | instskip(NEXT) | instid1(VALU_DEP_1)
	v_and_b32_e32 v37, v38, v37
	v_mbcnt_lo_u32_b32 v60, v37, 0
	v_cmp_ne_u32_e64 s18, 0, v37
	s_delay_alu instid0(VALU_DEP_2)
	v_cmp_eq_u32_e32 vcc_lo, 0, v60
	s_and_b32 s22, s18, vcc_lo
	s_wait_alu 0xfffe
	s_and_saveexec_b32 s18, s22
	s_cbranch_execz .LBB145_44
; %bb.43:                               ;   in Loop: Header=BB145_32 Depth=1
	s_wait_dscnt 0x0
	v_bcnt_u32_b32 v37, v37, v59
	ds_store_b32 v61, v37 offset:64
.LBB145_44:                             ;   in Loop: Header=BB145_32 Depth=1
	s_wait_alu 0xfffe
	s_or_b32 exec_lo, exec_lo, s18
	v_lshrrev_b64 v[37:38], v70, v[79:80]
	; wave barrier
	s_delay_alu instid0(VALU_DEP_1) | instskip(NEXT) | instid1(VALU_DEP_1)
	v_and_b32_e32 v37, s21, v37
	v_and_b32_e32 v38, 1, v37
	v_lshlrev_b32_e32 v39, 30, v37
	v_lshlrev_b32_e32 v40, 29, v37
	;; [unrolled: 1-line block ×4, first 2 shown]
	v_add_co_u32 v38, s18, v38, -1
	s_wait_alu 0xf1ff
	v_cndmask_b32_e64 v42, 0, 1, s18
	v_not_b32_e32 v63, v39
	v_cmp_gt_i32_e64 s18, 0, v39
	v_not_b32_e32 v39, v40
	v_lshlrev_b32_e32 v44, 26, v37
	v_cmp_ne_u32_e32 vcc_lo, 0, v42
	v_ashrrev_i32_e32 v63, 31, v63
	v_lshlrev_b32_e32 v62, 25, v37
	v_ashrrev_i32_e32 v39, 31, v39
	v_lshlrev_b32_e32 v42, 24, v37
	s_wait_alu 0xfffd
	v_xor_b32_e32 v38, vcc_lo, v38
	v_cmp_gt_i32_e32 vcc_lo, 0, v40
	v_not_b32_e32 v40, v41
	s_wait_alu 0xf1ff
	v_xor_b32_e32 v63, s18, v63
	v_cmp_gt_i32_e64 s18, 0, v41
	v_and_b32_e32 v38, exec_lo, v38
	v_not_b32_e32 v41, v43
	v_ashrrev_i32_e32 v40, 31, v40
	s_wait_alu 0xfffd
	v_xor_b32_e32 v39, vcc_lo, v39
	v_cmp_gt_i32_e32 vcc_lo, 0, v43
	v_and_b32_e32 v38, v38, v63
	v_not_b32_e32 v43, v44
	v_ashrrev_i32_e32 v41, 31, v41
	s_wait_alu 0xf1ff
	v_xor_b32_e32 v40, s18, v40
	v_cmp_gt_i32_e64 s18, 0, v44
	v_and_b32_e32 v38, v38, v39
	v_not_b32_e32 v39, v62
	v_ashrrev_i32_e32 v43, 31, v43
	s_wait_alu 0xfffd
	v_xor_b32_e32 v41, vcc_lo, v41
	v_cmp_gt_i32_e32 vcc_lo, 0, v62
	v_and_b32_e32 v38, v38, v40
	v_not_b32_e32 v40, v42
	v_ashrrev_i32_e32 v39, 31, v39
	s_wait_alu 0xf1ff
	v_xor_b32_e32 v43, s18, v43
	v_lshlrev_b32_e32 v37, 6, v37
	v_and_b32_e32 v38, v38, v41
	v_cmp_gt_i32_e64 s18, 0, v42
	v_ashrrev_i32_e32 v40, 31, v40
	s_wait_alu 0xfffd
	v_xor_b32_e32 v39, vcc_lo, v39
	v_add_nc_u32_e32 v64, v130, v37
	v_and_b32_e32 v38, v38, v43
	s_wait_alu 0xf1ff
	v_xor_b32_e32 v37, s18, v40
	ds_load_b32 v62, v64 offset:64
	v_and_b32_e32 v38, v38, v39
	; wave barrier
	s_delay_alu instid0(VALU_DEP_1) | instskip(NEXT) | instid1(VALU_DEP_1)
	v_and_b32_e32 v37, v38, v37
	v_mbcnt_lo_u32_b32 v63, v37, 0
	v_cmp_ne_u32_e64 s18, 0, v37
	s_delay_alu instid0(VALU_DEP_2)
	v_cmp_eq_u32_e32 vcc_lo, 0, v63
	s_and_b32 s22, s18, vcc_lo
	s_wait_alu 0xfffe
	s_and_saveexec_b32 s18, s22
	s_cbranch_execz .LBB145_46
; %bb.45:                               ;   in Loop: Header=BB145_32 Depth=1
	s_wait_dscnt 0x0
	v_bcnt_u32_b32 v37, v37, v62
	ds_store_b32 v64, v37 offset:64
.LBB145_46:                             ;   in Loop: Header=BB145_32 Depth=1
	s_wait_alu 0xfffe
	s_or_b32 exec_lo, exec_lo, s18
	v_lshrrev_b64 v[37:38], v70, v[77:78]
	; wave barrier
	s_delay_alu instid0(VALU_DEP_1) | instskip(NEXT) | instid1(VALU_DEP_1)
	v_and_b32_e32 v37, s21, v37
	v_and_b32_e32 v38, 1, v37
	v_lshlrev_b32_e32 v39, 30, v37
	v_lshlrev_b32_e32 v40, 29, v37
	;; [unrolled: 1-line block ×4, first 2 shown]
	v_add_co_u32 v38, s18, v38, -1
	s_wait_alu 0xf1ff
	v_cndmask_b32_e64 v42, 0, 1, s18
	v_not_b32_e32 v66, v39
	v_cmp_gt_i32_e64 s18, 0, v39
	v_not_b32_e32 v39, v40
	v_lshlrev_b32_e32 v44, 26, v37
	v_cmp_ne_u32_e32 vcc_lo, 0, v42
	v_ashrrev_i32_e32 v66, 31, v66
	v_lshlrev_b32_e32 v65, 25, v37
	v_ashrrev_i32_e32 v39, 31, v39
	v_lshlrev_b32_e32 v42, 24, v37
	s_wait_alu 0xfffd
	v_xor_b32_e32 v38, vcc_lo, v38
	v_cmp_gt_i32_e32 vcc_lo, 0, v40
	v_not_b32_e32 v40, v41
	s_wait_alu 0xf1ff
	v_xor_b32_e32 v66, s18, v66
	v_cmp_gt_i32_e64 s18, 0, v41
	v_and_b32_e32 v38, exec_lo, v38
	v_not_b32_e32 v41, v43
	v_ashrrev_i32_e32 v40, 31, v40
	s_wait_alu 0xfffd
	v_xor_b32_e32 v39, vcc_lo, v39
	v_cmp_gt_i32_e32 vcc_lo, 0, v43
	v_and_b32_e32 v38, v38, v66
	v_not_b32_e32 v43, v44
	v_ashrrev_i32_e32 v41, 31, v41
	s_wait_alu 0xf1ff
	v_xor_b32_e32 v40, s18, v40
	v_cmp_gt_i32_e64 s18, 0, v44
	v_and_b32_e32 v38, v38, v39
	v_not_b32_e32 v39, v65
	v_ashrrev_i32_e32 v43, 31, v43
	s_wait_alu 0xfffd
	v_xor_b32_e32 v41, vcc_lo, v41
	v_cmp_gt_i32_e32 vcc_lo, 0, v65
	v_and_b32_e32 v38, v38, v40
	v_not_b32_e32 v40, v42
	v_ashrrev_i32_e32 v39, 31, v39
	s_wait_alu 0xf1ff
	v_xor_b32_e32 v43, s18, v43
	v_lshlrev_b32_e32 v37, 6, v37
	v_and_b32_e32 v38, v38, v41
	v_cmp_gt_i32_e64 s18, 0, v42
	v_ashrrev_i32_e32 v40, 31, v40
	s_wait_alu 0xfffd
	v_xor_b32_e32 v39, vcc_lo, v39
	v_add_nc_u32_e32 v67, v130, v37
	v_and_b32_e32 v38, v38, v43
	s_wait_alu 0xf1ff
	v_xor_b32_e32 v37, s18, v40
	ds_load_b32 v65, v67 offset:64
	v_and_b32_e32 v38, v38, v39
	; wave barrier
	s_delay_alu instid0(VALU_DEP_1) | instskip(NEXT) | instid1(VALU_DEP_1)
	v_and_b32_e32 v37, v38, v37
	v_mbcnt_lo_u32_b32 v66, v37, 0
	v_cmp_ne_u32_e64 s18, 0, v37
	s_delay_alu instid0(VALU_DEP_2)
	v_cmp_eq_u32_e32 vcc_lo, 0, v66
	s_and_b32 s21, s18, vcc_lo
	s_wait_alu 0xfffe
	s_and_saveexec_b32 s18, s21
	s_cbranch_execz .LBB145_48
; %bb.47:                               ;   in Loop: Header=BB145_32 Depth=1
	s_wait_dscnt 0x0
	v_bcnt_u32_b32 v37, v37, v65
	ds_store_b32 v67, v37 offset:64
.LBB145_48:                             ;   in Loop: Header=BB145_32 Depth=1
	s_wait_alu 0xfffe
	s_or_b32 exec_lo, exec_lo, s18
	; wave barrier
	s_wait_loadcnt_dscnt 0x0
	s_barrier_signal -1
	s_barrier_wait -1
	global_inv scope:SCOPE_SE
	ds_load_b128 v[41:44], v116 offset:64
	ds_load_b128 v[37:40], v116 offset:80
	s_wait_dscnt 0x1
	v_add_nc_u32_e32 v68, v42, v41
	s_delay_alu instid0(VALU_DEP_1) | instskip(SKIP_1) | instid1(VALU_DEP_1)
	v_add3_u32 v68, v68, v43, v44
	s_wait_dscnt 0x0
	v_add3_u32 v68, v68, v37, v38
	s_delay_alu instid0(VALU_DEP_1) | instskip(NEXT) | instid1(VALU_DEP_1)
	v_add3_u32 v40, v68, v39, v40
	v_mov_b32_dpp v68, v40 row_shr:1 row_mask:0xf bank_mask:0xf
	s_delay_alu instid0(VALU_DEP_1) | instskip(NEXT) | instid1(VALU_DEP_1)
	v_cndmask_b32_e64 v68, v68, 0, s12
	v_add_nc_u32_e32 v40, v68, v40
	s_delay_alu instid0(VALU_DEP_1) | instskip(NEXT) | instid1(VALU_DEP_1)
	v_mov_b32_dpp v68, v40 row_shr:2 row_mask:0xf bank_mask:0xf
	v_cndmask_b32_e64 v68, 0, v68, s13
	s_delay_alu instid0(VALU_DEP_1) | instskip(NEXT) | instid1(VALU_DEP_1)
	v_add_nc_u32_e32 v40, v40, v68
	v_mov_b32_dpp v68, v40 row_shr:4 row_mask:0xf bank_mask:0xf
	s_delay_alu instid0(VALU_DEP_1) | instskip(NEXT) | instid1(VALU_DEP_1)
	v_cndmask_b32_e64 v68, 0, v68, s14
	v_add_nc_u32_e32 v40, v40, v68
	s_delay_alu instid0(VALU_DEP_1) | instskip(NEXT) | instid1(VALU_DEP_1)
	v_mov_b32_dpp v68, v40 row_shr:8 row_mask:0xf bank_mask:0xf
	v_cndmask_b32_e64 v68, 0, v68, s15
	s_delay_alu instid0(VALU_DEP_1) | instskip(SKIP_3) | instid1(VALU_DEP_1)
	v_add_nc_u32_e32 v40, v40, v68
	ds_swizzle_b32 v68, v40 offset:swizzle(BROADCAST,32,15)
	s_wait_dscnt 0x0
	v_cndmask_b32_e64 v68, v68, 0, s16
	v_add_nc_u32_e32 v40, v40, v68
	s_and_saveexec_b32 s18, s17
; %bb.49:                               ;   in Loop: Header=BB145_32 Depth=1
	ds_store_b32 v117, v40
; %bb.50:                               ;   in Loop: Header=BB145_32 Depth=1
	s_wait_alu 0xfffe
	s_or_b32 exec_lo, exec_lo, s18
	s_wait_loadcnt_dscnt 0x0
	s_barrier_signal -1
	s_barrier_wait -1
	global_inv scope:SCOPE_SE
	s_and_saveexec_b32 s18, s8
	s_cbranch_execz .LBB145_52
; %bb.51:                               ;   in Loop: Header=BB145_32 Depth=1
	ds_load_b32 v68, v131
	s_wait_dscnt 0x0
	v_mov_b32_dpp v132, v68 row_shr:1 row_mask:0xf bank_mask:0xf
	s_delay_alu instid0(VALU_DEP_1) | instskip(NEXT) | instid1(VALU_DEP_1)
	v_cndmask_b32_e64 v132, v132, 0, s12
	v_add_nc_u32_e32 v68, v132, v68
	s_delay_alu instid0(VALU_DEP_1) | instskip(NEXT) | instid1(VALU_DEP_1)
	v_mov_b32_dpp v132, v68 row_shr:2 row_mask:0xf bank_mask:0xf
	v_cndmask_b32_e64 v132, 0, v132, s13
	s_delay_alu instid0(VALU_DEP_1) | instskip(NEXT) | instid1(VALU_DEP_1)
	v_add_nc_u32_e32 v68, v68, v132
	v_mov_b32_dpp v132, v68 row_shr:4 row_mask:0xf bank_mask:0xf
	s_delay_alu instid0(VALU_DEP_1) | instskip(NEXT) | instid1(VALU_DEP_1)
	v_cndmask_b32_e64 v132, 0, v132, s14
	v_add_nc_u32_e32 v68, v68, v132
	s_delay_alu instid0(VALU_DEP_1) | instskip(NEXT) | instid1(VALU_DEP_1)
	v_mov_b32_dpp v132, v68 row_shr:8 row_mask:0xf bank_mask:0xf
	v_cndmask_b32_e64 v132, 0, v132, s15
	s_delay_alu instid0(VALU_DEP_1)
	v_add_nc_u32_e32 v68, v68, v132
	ds_store_b32 v131, v68
.LBB145_52:                             ;   in Loop: Header=BB145_32 Depth=1
	s_wait_alu 0xfffe
	s_or_b32 exec_lo, exec_lo, s18
	v_mov_b32_e32 v68, 0
	s_wait_loadcnt_dscnt 0x0
	s_barrier_signal -1
	s_barrier_wait -1
	global_inv scope:SCOPE_SE
	s_and_saveexec_b32 s18, s9
; %bb.53:                               ;   in Loop: Header=BB145_32 Depth=1
	ds_load_b32 v68, v128
; %bb.54:                               ;   in Loop: Header=BB145_32 Depth=1
	s_wait_alu 0xfffe
	s_or_b32 exec_lo, exec_lo, s18
	s_wait_dscnt 0x0
	v_add_nc_u32_e32 v40, v68, v40
	v_cmp_lt_u32_e32 vcc_lo, 55, v70
	s_mov_b32 s18, -1
	ds_bpermute_b32 v40, v127, v40
	s_and_b32 vcc_lo, exec_lo, vcc_lo
	s_wait_dscnt 0x0
	v_cndmask_b32_e64 v40, v40, v68, s11
	s_delay_alu instid0(VALU_DEP_1) | instskip(NEXT) | instid1(VALU_DEP_1)
	v_cndmask_b32_e64 v40, v40, 0, s10
	v_add_nc_u32_e32 v41, v40, v41
	s_delay_alu instid0(VALU_DEP_1) | instskip(NEXT) | instid1(VALU_DEP_1)
	v_add_nc_u32_e32 v42, v41, v42
	v_add_nc_u32_e32 v43, v42, v43
	s_delay_alu instid0(VALU_DEP_1) | instskip(NEXT) | instid1(VALU_DEP_1)
	v_add_nc_u32_e32 v132, v43, v44
	;; [unrolled: 3-line block ×3, first 2 shown]
	v_add_nc_u32_e32 v135, v134, v39
	ds_store_b128 v116, v[40:43] offset:64
	ds_store_b128 v116, v[132:135] offset:80
	s_wait_loadcnt_dscnt 0x0
	s_barrier_signal -1
	s_barrier_wait -1
	global_inv scope:SCOPE_SE
	ds_load_b32 v37, v46 offset:64
	ds_load_b32 v38, v49 offset:64
	;; [unrolled: 1-line block ×8, first 2 shown]
	s_wait_dscnt 0x7
	v_add_nc_u32_e32 v139, v37, v45
	s_wait_dscnt 0x6
	v_add3_u32 v138, v48, v47, v38
	s_wait_dscnt 0x5
	v_add3_u32 v137, v51, v50, v39
	;; [unrolled: 2-line block ×7, first 2 shown]
                                        ; implicit-def: $vgpr67_vgpr68
                                        ; implicit-def: $vgpr47_vgpr48
                                        ; implicit-def: $vgpr43_vgpr44
                                        ; implicit-def: $vgpr39_vgpr40
                                        ; implicit-def: $vgpr63_vgpr64
                                        ; implicit-def: $vgpr59_vgpr60
                                        ; implicit-def: $vgpr55_vgpr56
                                        ; implicit-def: $vgpr51_vgpr52
	s_wait_alu 0xfffe
	s_cbranch_vccnz .LBB145_31
; %bb.55:                               ;   in Loop: Header=BB145_32 Depth=1
	v_lshlrev_b32_e32 v49, 3, v139
	v_lshlrev_b32_e32 v52, 3, v136
	;; [unrolled: 1-line block ×8, first 2 shown]
	s_wait_loadcnt 0x0
	s_barrier_signal -1
	s_barrier_wait -1
	global_inv scope:SCOPE_SE
	ds_store_b64 v49, v[75:76]
	ds_store_b64 v50, v[105:106]
	;; [unrolled: 1-line block ×8, first 2 shown]
	s_wait_loadcnt_dscnt 0x0
	s_barrier_signal -1
	s_barrier_wait -1
	global_inv scope:SCOPE_SE
	ds_load_2addr_b64 v[37:40], v129 offset1:32
	ds_load_2addr_b64 v[41:44], v129 offset0:64 offset1:96
	ds_load_2addr_b64 v[45:48], v129 offset0:128 offset1:160
	;; [unrolled: 1-line block ×3, first 2 shown]
	s_wait_loadcnt_dscnt 0x0
	s_barrier_signal -1
	s_barrier_wait -1
	global_inv scope:SCOPE_SE
	ds_store_b64 v49, v[97:98]
	ds_store_b64 v50, v[95:96]
	;; [unrolled: 1-line block ×8, first 2 shown]
	s_wait_loadcnt_dscnt 0x0
	s_barrier_signal -1
	s_barrier_wait -1
	global_inv scope:SCOPE_SE
	ds_load_2addr_b64 v[49:52], v129 offset1:32
	ds_load_2addr_b64 v[53:56], v129 offset0:64 offset1:96
	ds_load_2addr_b64 v[57:60], v129 offset0:128 offset1:160
	;; [unrolled: 1-line block ×3, first 2 shown]
	v_add_co_u32 v70, vcc_lo, v70, 8
	s_wait_alu 0xfffd
	v_add_co_ci_u32_e64 v71, null, 0, v71, vcc_lo
	s_add_co_i32 s20, s20, -8
	s_mov_b32 s18, 0
	s_wait_loadcnt_dscnt 0x0
	s_barrier_signal -1
	s_barrier_wait -1
	global_inv scope:SCOPE_SE
	s_branch .LBB145_31
.LBB145_56:
	v_lshlrev_b64_e32 v[17:18], 3, v[69:70]
	v_mov_b32_e32 v71, v70
	v_dual_mov_b32 v19, v70 :: v_dual_mov_b32 v22, v70
	v_dual_mov_b32 v21, v70 :: v_dual_mov_b32 v24, v70
	s_wait_alu 0xfffe
	s_delay_alu instid0(VALU_DEP_4)
	v_add_co_u32 v17, vcc_lo, s24, v17
	s_wait_alu 0xfffd
	v_add_co_ci_u32_e64 v18, null, s25, v18, vcc_lo
	v_dual_mov_b32 v23, v70 :: v_dual_mov_b32 v26, v70
	v_dual_mov_b32 v25, v70 :: v_dual_mov_b32 v30, v70
	global_load_b64 v[27:28], v[17:18], off
	v_dual_mov_b32 v17, v70 :: v_dual_mov_b32 v20, v70
	v_dual_mov_b32 v18, v70 :: v_dual_mov_b32 v29, v70
	s_or_b32 exec_lo, exec_lo, s8
	s_and_saveexec_b32 s8, s1
	s_cbranch_execz .LBB145_22
.LBB145_57:
	v_mul_lo_u32 v39, s28, v31
	v_mov_b32_e32 v40, 0
	s_delay_alu instid0(VALU_DEP_1) | instskip(NEXT) | instid1(VALU_DEP_1)
	v_lshlrev_b64_e32 v[39:40], 3, v[39:40]
	v_add_co_u32 v39, vcc_lo, s24, v39
	s_wait_alu 0xfffd
	s_delay_alu instid0(VALU_DEP_2)
	v_add_co_ci_u32_e64 v40, null, s25, v40, vcc_lo
	global_load_b64 v[70:71], v[39:40], off
	s_wait_alu 0xfffe
	s_or_b32 exec_lo, exec_lo, s8
	s_and_saveexec_b32 s8, s2
	s_cbranch_execz .LBB145_23
.LBB145_58:
	v_mul_lo_u32 v17, s28, v32
	v_mov_b32_e32 v18, 0
	s_delay_alu instid0(VALU_DEP_1) | instskip(NEXT) | instid1(VALU_DEP_1)
	v_lshlrev_b64_e32 v[17:18], 3, v[17:18]
	v_add_co_u32 v17, vcc_lo, s24, v17
	s_wait_alu 0xfffd
	s_delay_alu instid0(VALU_DEP_2)
	v_add_co_ci_u32_e64 v18, null, s25, v18, vcc_lo
	global_load_b64 v[17:18], v[17:18], off
	s_wait_alu 0xfffe
	s_or_b32 exec_lo, exec_lo, s8
	s_and_saveexec_b32 s8, s3
	s_cbranch_execz .LBB145_24
.LBB145_59:
	v_mul_lo_u32 v19, s28, v34
	v_mov_b32_e32 v20, 0
	s_delay_alu instid0(VALU_DEP_1) | instskip(NEXT) | instid1(VALU_DEP_1)
	v_lshlrev_b64_e32 v[19:20], 3, v[19:20]
	v_add_co_u32 v19, vcc_lo, s24, v19
	s_wait_alu 0xfffd
	s_delay_alu instid0(VALU_DEP_2)
	v_add_co_ci_u32_e64 v20, null, s25, v20, vcc_lo
	global_load_b64 v[19:20], v[19:20], off
	s_wait_alu 0xfffe
	s_or_b32 exec_lo, exec_lo, s8
	s_and_saveexec_b32 s8, s4
	s_cbranch_execz .LBB145_25
.LBB145_60:
	v_mul_lo_u32 v21, s28, v35
	v_mov_b32_e32 v22, 0
	s_delay_alu instid0(VALU_DEP_1) | instskip(NEXT) | instid1(VALU_DEP_1)
	v_lshlrev_b64_e32 v[21:22], 3, v[21:22]
	v_add_co_u32 v21, vcc_lo, s24, v21
	s_wait_alu 0xfffd
	s_delay_alu instid0(VALU_DEP_2)
	v_add_co_ci_u32_e64 v22, null, s25, v22, vcc_lo
	global_load_b64 v[21:22], v[21:22], off
	s_wait_alu 0xfffe
	s_or_b32 exec_lo, exec_lo, s8
	s_and_saveexec_b32 s8, s5
	s_cbranch_execz .LBB145_26
.LBB145_61:
	v_mul_lo_u32 v23, s28, v36
	v_mov_b32_e32 v24, 0
	s_delay_alu instid0(VALU_DEP_1) | instskip(NEXT) | instid1(VALU_DEP_1)
	v_lshlrev_b64_e32 v[23:24], 3, v[23:24]
	v_add_co_u32 v23, vcc_lo, s24, v23
	s_wait_alu 0xfffd
	s_delay_alu instid0(VALU_DEP_2)
	v_add_co_ci_u32_e64 v24, null, s25, v24, vcc_lo
	global_load_b64 v[23:24], v[23:24], off
	s_wait_alu 0xfffe
	s_or_b32 exec_lo, exec_lo, s8
	s_and_saveexec_b32 s8, s6
	s_cbranch_execz .LBB145_27
.LBB145_62:
	v_mul_lo_u32 v25, s28, v37
	v_mov_b32_e32 v26, 0
	s_delay_alu instid0(VALU_DEP_1) | instskip(NEXT) | instid1(VALU_DEP_1)
	v_lshlrev_b64_e32 v[25:26], 3, v[25:26]
	v_add_co_u32 v25, vcc_lo, s24, v25
	s_wait_alu 0xfffd
	s_delay_alu instid0(VALU_DEP_2)
	v_add_co_ci_u32_e64 v26, null, s25, v26, vcc_lo
	global_load_b64 v[25:26], v[25:26], off
	s_wait_alu 0xfffe
	s_or_b32 exec_lo, exec_lo, s8
	s_xor_b32 s8, s20, -1
	s_and_saveexec_b32 s9, s7
	s_cbranch_execnz .LBB145_28
	s_branch .LBB145_29
.LBB145_63:
	v_lshlrev_b32_e32 v33, 3, v139
	v_lshlrev_b32_e32 v36, 3, v136
	;; [unrolled: 1-line block ×9, first 2 shown]
	s_wait_loadcnt 0x0
	s_barrier_signal -1
	s_barrier_wait -1
	global_inv scope:SCOPE_SE
	ds_store_b64 v33, v[75:76]
	ds_store_b64 v34, v[105:106]
	ds_store_b64 v35, v[103:104]
	ds_store_b64 v36, v[101:102]
	ds_store_b64 v37, v[99:100]
	ds_store_b64 v38, v[81:82]
	ds_store_b64 v39, v[79:80]
	ds_store_b64 v40, v[77:78]
	s_wait_loadcnt_dscnt 0x0
	s_barrier_signal -1
	s_barrier_wait -1
	global_inv scope:SCOPE_SE
	ds_load_b128 v[49:52], v65
	ds_load_b128 v[53:56], v65 offset:16
	ds_load_b128 v[57:60], v65 offset:32
	ds_load_b128 v[61:64], v65 offset:48
	s_wait_loadcnt_dscnt 0x0
	s_barrier_signal -1
	s_barrier_wait -1
	global_inv scope:SCOPE_SE
	ds_store_b64 v33, v[97:98]
	ds_store_b64 v34, v[95:96]
	;; [unrolled: 1-line block ×8, first 2 shown]
	s_wait_loadcnt_dscnt 0x0
	s_barrier_signal -1
	s_barrier_wait -1
	global_inv scope:SCOPE_SE
	ds_load_b128 v[45:48], v65
	ds_load_b128 v[41:44], v65 offset:16
	ds_load_b128 v[37:40], v65 offset:32
	;; [unrolled: 1-line block ×3, first 2 shown]
	s_mov_b32 s11, 0
	v_xor_b32_e32 v50, 0x80000000, v50
	v_xor_b32_e32 v52, 0x80000000, v52
	v_xor_b32_e32 v54, 0x80000000, v54
	v_xor_b32_e32 v56, 0x80000000, v56
	v_xor_b32_e32 v58, 0x80000000, v58
	v_xor_b32_e32 v60, 0x80000000, v60
	v_xor_b32_e32 v62, 0x80000000, v62
	v_xor_b32_e32 v64, 0x80000000, v64
.LBB145_64:
	s_wait_alu 0xfffe
	s_and_b32 vcc_lo, exec_lo, s11
	s_wait_alu 0xfffe
	s_cbranch_vccz .LBB145_92
; %bb.65:
	v_xor_b32_e32 v14, 0x7fffffff, v14
	v_xor_b32_e32 v13, -1, v13
	v_xor_b32_e32 v16, 0x7fffffff, v16
	v_xor_b32_e32 v15, -1, v15
	;; [unrolled: 2-line block ×8, first 2 shown]
	ds_store_b128 v126, v[13:16]
	ds_store_b128 v126, v[9:12] offset:16
	ds_store_b128 v126, v[5:8] offset:32
	;; [unrolled: 1-line block ×3, first 2 shown]
	; wave barrier
	ds_load_2addr_b64 v[4:7], v125 offset1:32
	ds_load_2addr_b64 v[8:11], v125 offset0:64 offset1:96
	ds_load_2addr_b64 v[12:15], v125 offset0:128 offset1:160
	s_wait_dscnt 0x7
	ds_load_2addr_b64 v[33:36], v125 offset0:192 offset1:224
	; wave barrier
	ds_store_b128 v126, v[21:24]
	ds_store_b128 v126, v[17:20] offset:16
	ds_store_b128 v126, v[29:32] offset:32
	;; [unrolled: 1-line block ×3, first 2 shown]
	; wave barrier
	ds_load_2addr_b64 v[16:19], v125 offset1:32
	ds_load_2addr_b64 v[20:23], v125 offset0:64 offset1:96
	ds_load_2addr_b64 v[24:27], v125 offset0:128 offset1:160
	;; [unrolled: 1-line block ×3, first 2 shown]
	s_wait_loadcnt_dscnt 0x0
	s_barrier_signal -1
	s_barrier_wait -1
	global_inv scope:SCOPE_SE
	s_load_b32 s10, s[34:35], 0xc
	s_getpc_b64 s[8:9]
	s_wait_alu 0xfffe
	s_sext_i32_i16 s9, s9
	s_add_co_u32 s8, s8, _ZN7rocprim17ROCPRIM_400000_NS16block_radix_sortIlLj512ELj8ElLj1ELj1ELj0ELNS0_26block_radix_rank_algorithmE1ELNS0_18block_padding_hintE2ELNS0_4arch9wavefront6targetE0EE19radix_bits_per_passE@rel32@lo+12
	s_wait_alu 0xfffe
	s_add_co_ci_u32 s9, s9, _ZN7rocprim17ROCPRIM_400000_NS16block_radix_sortIlLj512ELj8ElLj1ELj1ELj0ELNS0_26block_radix_rank_algorithmE1ELNS0_18block_padding_hintE2ELNS0_4arch9wavefront6targetE0EE19radix_bits_per_passE@rel32@hi+24
	v_or_b32_e32 v3, 31, v122
	s_load_b32 s19, s[8:9], 0x0
	s_mov_b32 s20, 0
	v_cmp_lt_u32_e64 s9, 1, v120
	s_wait_alu 0xfffe
	s_mov_b32 s21, s20
	s_mov_b32 s22, s20
	;; [unrolled: 1-line block ×3, first 2 shown]
	v_cmp_eq_u32_e64 s14, v74, v3
	v_cmp_lt_u32_e64 s12, 7, v120
	v_cmp_eq_u32_e64 s13, 0, v121
	v_mov_b32_e32 v37, 0
	v_cmp_gt_u32_e64 s15, 16, v74
	v_cmp_lt_u32_e64 s16, 31, v74
	v_cmp_eq_u32_e64 s17, 0, v74
	v_dual_mov_b32 v38, 0 :: v_dual_add_nc_u32 v77, v116, v119
	s_wait_kmcnt 0x0
	s_lshr_b32 s11, s10, 16
	s_and_b32 s8, s10, 0xffff
	s_wait_alu 0xfffe
	v_mad_u32_u24 v1, v124, s11, v123
	v_cmp_lt_u32_e64 s11, 3, v120
	s_delay_alu instid0(VALU_DEP_2) | instskip(SKIP_4) | instid1(VALU_DEP_4)
	v_mad_co_u64_u32 v[1:2], null, v1, s8, v[74:75]
	v_sub_co_u32 v2, s10, v118, 1
	v_lshl_add_u32 v75, v118, 3, v0
	v_cmp_eq_u32_e64 s8, 0, v120
	v_add_nc_u32_e32 v74, -4, v117
	v_cmp_gt_i32_e32 vcc_lo, 0, v2
	v_lshrrev_b32_e32 v1, 3, v1
	s_wait_alu 0xfffd
	v_cndmask_b32_e32 v2, v2, v118, vcc_lo
	s_delay_alu instid0(VALU_DEP_2) | instskip(NEXT) | instid1(VALU_DEP_2)
	v_and_b32_e32 v76, 0x1ffffffc, v1
	v_lshlrev_b32_e32 v32, 2, v2
	v_dual_mov_b32 v0, s20 :: v_dual_mov_b32 v1, s21
	v_dual_mov_b32 v2, s22 :: v_dual_mov_b32 v3, s23
	s_mov_b32 s20, 64
	s_branch .LBB145_67
.LBB145_66:                             ;   in Loop: Header=BB145_67 Depth=1
	s_wait_alu 0xfffe
	s_and_not1_b32 vcc_lo, exec_lo, s18
	s_wait_alu 0xfffe
	s_cbranch_vccz .LBB145_91
.LBB145_67:                             ; =>This Inner Loop Header: Depth=1
	v_dual_mov_b32 v40, v5 :: v_dual_mov_b32 v39, v4
	s_wait_alu 0xfffe
	s_min_u32 s18, s19, s20
	v_mov_b32_e32 v52, v27
	s_wait_alu 0xfffe
	s_lshl_b32 s18, -1, s18
	v_mov_b32_e32 v60, v19
	v_lshrrev_b64 v[4:5], v37, v[39:40]
	s_wait_alu 0xfffe
	s_not_b32 s21, s18
	v_mov_b32_e32 v50, v29
	v_mov_b32_e32 v54, v25
	;; [unrolled: 1-line block ×3, first 2 shown]
	s_wait_alu 0xfffe
	v_dual_mov_b32 v42, v36 :: v_dual_and_b32 v5, s21, v4
	v_dual_mov_b32 v41, v35 :: v_dual_mov_b32 v44, v34
	v_dual_mov_b32 v43, v33 :: v_dual_mov_b32 v46, v15
	s_delay_alu instid0(VALU_DEP_3) | instskip(SKIP_3) | instid1(VALU_DEP_4)
	v_dual_mov_b32 v45, v14 :: v_dual_and_b32 v4, 1, v5
	v_lshlrev_b32_e32 v14, 30, v5
	v_dual_mov_b32 v64, v13 :: v_dual_lshlrev_b32 v15, 29, v5
	v_mov_b32_e32 v63, v12
	v_add_co_u32 v4, s18, v4, -1
	s_wait_alu 0xf1ff
	v_cndmask_b32_e64 v34, 0, 1, s18
	v_not_b32_e32 v48, v14
	v_dual_mov_b32 v66, v11 :: v_dual_lshlrev_b32 v33, 28, v5
	v_cmp_gt_i32_e64 s18, 0, v14
	s_delay_alu instid0(VALU_DEP_4)
	v_cmp_ne_u32_e32 vcc_lo, 0, v34
	v_not_b32_e32 v14, v15
	v_ashrrev_i32_e32 v48, 31, v48
	v_dual_mov_b32 v68, v9 :: v_dual_lshlrev_b32 v35, 27, v5
	s_wait_alu 0xfffd
	v_xor_b32_e32 v4, vcc_lo, v4
	v_cmp_gt_i32_e32 vcc_lo, 0, v15
	v_not_b32_e32 v15, v33
	v_ashrrev_i32_e32 v14, 31, v14
	s_wait_alu 0xf1ff
	v_xor_b32_e32 v48, s18, v48
	v_dual_mov_b32 v71, v7 :: v_dual_and_b32 v4, exec_lo, v4
	v_dual_mov_b32 v65, v10 :: v_dual_lshlrev_b32 v36, 26, v5
	v_cmp_gt_i32_e64 s18, 0, v33
	v_not_b32_e32 v33, v35
	v_ashrrev_i32_e32 v15, 31, v15
	s_wait_alu 0xfffd
	v_xor_b32_e32 v14, vcc_lo, v14
	v_and_b32_e32 v4, v4, v48
	v_dual_mov_b32 v70, v6 :: v_dual_lshlrev_b32 v47, 25, v5
	v_cmp_gt_i32_e32 vcc_lo, 0, v35
	v_not_b32_e32 v35, v36
	v_ashrrev_i32_e32 v33, 31, v33
	s_wait_alu 0xf1ff
	v_xor_b32_e32 v15, s18, v15
	v_dual_mov_b32 v51, v26 :: v_dual_and_b32 v4, v4, v14
	v_dual_mov_b32 v67, v8 :: v_dual_lshlrev_b32 v34, 24, v5
	v_cmp_gt_i32_e64 s18, 0, v36
	v_not_b32_e32 v14, v47
	v_ashrrev_i32_e32 v35, 31, v35
	s_wait_alu 0xfffd
	v_xor_b32_e32 v33, vcc_lo, v33
	v_and_b32_e32 v4, v4, v15
	v_dual_mov_b32 v56, v23 :: v_dual_lshlrev_b32 v5, 6, v5
	v_cmp_gt_i32_e32 vcc_lo, 0, v47
	v_not_b32_e32 v15, v34
	v_ashrrev_i32_e32 v14, 31, v14
	s_wait_alu 0xf1ff
	v_xor_b32_e32 v35, s18, v35
	v_dual_mov_b32 v55, v22 :: v_dual_and_b32 v4, v4, v33
	v_mov_b32_e32 v59, v18
	v_cmp_gt_i32_e64 s18, 0, v34
	v_ashrrev_i32_e32 v12, 31, v15
	s_wait_alu 0xfffd
	v_xor_b32_e32 v13, vcc_lo, v14
	v_and_b32_e32 v4, v4, v35
	v_dual_mov_b32 v48, v31 :: v_dual_mov_b32 v49, v28
	s_wait_alu 0xf1ff
	v_xor_b32_e32 v6, s18, v12
	v_mov_b32_e32 v58, v21
	v_dual_mov_b32 v47, v30 :: v_dual_and_b32 v4, v4, v13
	v_mov_b32_e32 v53, v24
	v_mov_b32_e32 v57, v20
	;; [unrolled: 1-line block ×3, first 2 shown]
	s_delay_alu instid0(VALU_DEP_4)
	v_and_b32_e32 v4, v4, v6
	v_add_nc_u32_e32 v13, v76, v5
	ds_store_b128 v116, v[0:3] offset:64
	ds_store_b128 v116, v[0:3] offset:80
	s_wait_loadcnt_dscnt 0x0
	s_barrier_signal -1
	v_mbcnt_lo_u32_b32 v12, v4, 0
	v_cmp_ne_u32_e64 s18, 0, v4
	s_barrier_wait -1
	global_inv scope:SCOPE_SE
	v_cmp_eq_u32_e32 vcc_lo, 0, v12
	; wave barrier
	s_and_b32 s22, s18, vcc_lo
	s_wait_alu 0xfffe
	s_and_saveexec_b32 s18, s22
; %bb.68:                               ;   in Loop: Header=BB145_67 Depth=1
	v_bcnt_u32_b32 v4, v4, 0
	ds_store_b32 v13, v4 offset:64
; %bb.69:                               ;   in Loop: Header=BB145_67 Depth=1
	s_wait_alu 0xfffe
	s_or_b32 exec_lo, exec_lo, s18
	v_lshrrev_b64 v[4:5], v37, v[70:71]
	; wave barrier
	s_delay_alu instid0(VALU_DEP_1) | instskip(NEXT) | instid1(VALU_DEP_1)
	v_and_b32_e32 v4, s21, v4
	v_and_b32_e32 v5, 1, v4
	v_lshlrev_b32_e32 v6, 30, v4
	v_lshlrev_b32_e32 v7, 29, v4
	;; [unrolled: 1-line block ×4, first 2 shown]
	v_add_co_u32 v5, s18, v5, -1
	s_wait_alu 0xf1ff
	v_cndmask_b32_e64 v9, 0, 1, s18
	v_not_b32_e32 v15, v6
	v_cmp_gt_i32_e64 s18, 0, v6
	v_not_b32_e32 v6, v7
	v_lshlrev_b32_e32 v11, 26, v4
	v_cmp_ne_u32_e32 vcc_lo, 0, v9
	v_ashrrev_i32_e32 v15, 31, v15
	v_lshlrev_b32_e32 v14, 25, v4
	v_ashrrev_i32_e32 v6, 31, v6
	v_lshlrev_b32_e32 v9, 24, v4
	s_wait_alu 0xfffd
	v_xor_b32_e32 v5, vcc_lo, v5
	v_cmp_gt_i32_e32 vcc_lo, 0, v7
	v_not_b32_e32 v7, v8
	s_wait_alu 0xf1ff
	v_xor_b32_e32 v15, s18, v15
	v_cmp_gt_i32_e64 s18, 0, v8
	v_and_b32_e32 v5, exec_lo, v5
	v_not_b32_e32 v8, v10
	v_ashrrev_i32_e32 v7, 31, v7
	s_wait_alu 0xfffd
	v_xor_b32_e32 v6, vcc_lo, v6
	v_cmp_gt_i32_e32 vcc_lo, 0, v10
	v_and_b32_e32 v5, v5, v15
	v_not_b32_e32 v10, v11
	v_ashrrev_i32_e32 v8, 31, v8
	s_wait_alu 0xf1ff
	v_xor_b32_e32 v7, s18, v7
	v_cmp_gt_i32_e64 s18, 0, v11
	v_and_b32_e32 v5, v5, v6
	v_not_b32_e32 v6, v14
	v_ashrrev_i32_e32 v10, 31, v10
	s_wait_alu 0xfffd
	v_xor_b32_e32 v8, vcc_lo, v8
	v_cmp_gt_i32_e32 vcc_lo, 0, v14
	v_and_b32_e32 v5, v5, v7
	v_not_b32_e32 v7, v9
	v_ashrrev_i32_e32 v6, 31, v6
	s_wait_alu 0xf1ff
	v_xor_b32_e32 v10, s18, v10
	v_lshlrev_b32_e32 v4, 6, v4
	v_and_b32_e32 v5, v5, v8
	v_cmp_gt_i32_e64 s18, 0, v9
	v_ashrrev_i32_e32 v7, 31, v7
	s_wait_alu 0xfffd
	v_xor_b32_e32 v6, vcc_lo, v6
	v_add_nc_u32_e32 v16, v76, v4
	v_and_b32_e32 v5, v5, v10
	s_wait_alu 0xf1ff
	v_xor_b32_e32 v4, s18, v7
	ds_load_b32 v14, v16 offset:64
	v_and_b32_e32 v5, v5, v6
	; wave barrier
	s_delay_alu instid0(VALU_DEP_1) | instskip(NEXT) | instid1(VALU_DEP_1)
	v_and_b32_e32 v4, v5, v4
	v_mbcnt_lo_u32_b32 v15, v4, 0
	v_cmp_ne_u32_e64 s18, 0, v4
	s_delay_alu instid0(VALU_DEP_2)
	v_cmp_eq_u32_e32 vcc_lo, 0, v15
	s_and_b32 s22, s18, vcc_lo
	s_wait_alu 0xfffe
	s_and_saveexec_b32 s18, s22
	s_cbranch_execz .LBB145_71
; %bb.70:                               ;   in Loop: Header=BB145_67 Depth=1
	s_wait_dscnt 0x0
	v_bcnt_u32_b32 v4, v4, v14
	ds_store_b32 v16, v4 offset:64
.LBB145_71:                             ;   in Loop: Header=BB145_67 Depth=1
	s_wait_alu 0xfffe
	s_or_b32 exec_lo, exec_lo, s18
	v_lshrrev_b64 v[4:5], v37, v[67:68]
	; wave barrier
	s_delay_alu instid0(VALU_DEP_1) | instskip(NEXT) | instid1(VALU_DEP_1)
	v_and_b32_e32 v4, s21, v4
	v_and_b32_e32 v5, 1, v4
	v_lshlrev_b32_e32 v6, 30, v4
	v_lshlrev_b32_e32 v7, 29, v4
	;; [unrolled: 1-line block ×4, first 2 shown]
	v_add_co_u32 v5, s18, v5, -1
	s_wait_alu 0xf1ff
	v_cndmask_b32_e64 v9, 0, 1, s18
	v_not_b32_e32 v18, v6
	v_cmp_gt_i32_e64 s18, 0, v6
	v_not_b32_e32 v6, v7
	v_lshlrev_b32_e32 v11, 26, v4
	v_cmp_ne_u32_e32 vcc_lo, 0, v9
	v_ashrrev_i32_e32 v18, 31, v18
	v_lshlrev_b32_e32 v17, 25, v4
	v_ashrrev_i32_e32 v6, 31, v6
	v_lshlrev_b32_e32 v9, 24, v4
	s_wait_alu 0xfffd
	v_xor_b32_e32 v5, vcc_lo, v5
	v_cmp_gt_i32_e32 vcc_lo, 0, v7
	v_not_b32_e32 v7, v8
	s_wait_alu 0xf1ff
	v_xor_b32_e32 v18, s18, v18
	v_cmp_gt_i32_e64 s18, 0, v8
	v_and_b32_e32 v5, exec_lo, v5
	v_not_b32_e32 v8, v10
	v_ashrrev_i32_e32 v7, 31, v7
	s_wait_alu 0xfffd
	v_xor_b32_e32 v6, vcc_lo, v6
	v_cmp_gt_i32_e32 vcc_lo, 0, v10
	v_and_b32_e32 v5, v5, v18
	v_not_b32_e32 v10, v11
	v_ashrrev_i32_e32 v8, 31, v8
	s_wait_alu 0xf1ff
	v_xor_b32_e32 v7, s18, v7
	v_cmp_gt_i32_e64 s18, 0, v11
	v_and_b32_e32 v5, v5, v6
	v_not_b32_e32 v6, v17
	v_ashrrev_i32_e32 v10, 31, v10
	s_wait_alu 0xfffd
	v_xor_b32_e32 v8, vcc_lo, v8
	v_cmp_gt_i32_e32 vcc_lo, 0, v17
	v_and_b32_e32 v5, v5, v7
	v_not_b32_e32 v7, v9
	v_ashrrev_i32_e32 v6, 31, v6
	s_wait_alu 0xf1ff
	v_xor_b32_e32 v10, s18, v10
	v_lshlrev_b32_e32 v4, 6, v4
	v_and_b32_e32 v5, v5, v8
	v_cmp_gt_i32_e64 s18, 0, v9
	v_ashrrev_i32_e32 v7, 31, v7
	s_wait_alu 0xfffd
	v_xor_b32_e32 v6, vcc_lo, v6
	v_add_nc_u32_e32 v19, v76, v4
	v_and_b32_e32 v5, v5, v10
	s_wait_alu 0xf1ff
	v_xor_b32_e32 v4, s18, v7
	ds_load_b32 v17, v19 offset:64
	v_and_b32_e32 v5, v5, v6
	; wave barrier
	s_delay_alu instid0(VALU_DEP_1) | instskip(NEXT) | instid1(VALU_DEP_1)
	v_and_b32_e32 v4, v5, v4
	v_mbcnt_lo_u32_b32 v18, v4, 0
	v_cmp_ne_u32_e64 s18, 0, v4
	s_delay_alu instid0(VALU_DEP_2)
	v_cmp_eq_u32_e32 vcc_lo, 0, v18
	s_and_b32 s22, s18, vcc_lo
	s_wait_alu 0xfffe
	s_and_saveexec_b32 s18, s22
	s_cbranch_execz .LBB145_73
; %bb.72:                               ;   in Loop: Header=BB145_67 Depth=1
	s_wait_dscnt 0x0
	v_bcnt_u32_b32 v4, v4, v17
	ds_store_b32 v19, v4 offset:64
.LBB145_73:                             ;   in Loop: Header=BB145_67 Depth=1
	s_wait_alu 0xfffe
	s_or_b32 exec_lo, exec_lo, s18
	v_lshrrev_b64 v[4:5], v37, v[65:66]
	; wave barrier
	s_delay_alu instid0(VALU_DEP_1) | instskip(NEXT) | instid1(VALU_DEP_1)
	v_and_b32_e32 v4, s21, v4
	v_and_b32_e32 v5, 1, v4
	v_lshlrev_b32_e32 v6, 30, v4
	v_lshlrev_b32_e32 v7, 29, v4
	;; [unrolled: 1-line block ×4, first 2 shown]
	v_add_co_u32 v5, s18, v5, -1
	s_wait_alu 0xf1ff
	v_cndmask_b32_e64 v9, 0, 1, s18
	v_not_b32_e32 v21, v6
	v_cmp_gt_i32_e64 s18, 0, v6
	v_not_b32_e32 v6, v7
	v_lshlrev_b32_e32 v11, 26, v4
	v_cmp_ne_u32_e32 vcc_lo, 0, v9
	v_ashrrev_i32_e32 v21, 31, v21
	v_lshlrev_b32_e32 v20, 25, v4
	v_ashrrev_i32_e32 v6, 31, v6
	v_lshlrev_b32_e32 v9, 24, v4
	s_wait_alu 0xfffd
	v_xor_b32_e32 v5, vcc_lo, v5
	v_cmp_gt_i32_e32 vcc_lo, 0, v7
	v_not_b32_e32 v7, v8
	s_wait_alu 0xf1ff
	v_xor_b32_e32 v21, s18, v21
	v_cmp_gt_i32_e64 s18, 0, v8
	v_and_b32_e32 v5, exec_lo, v5
	v_not_b32_e32 v8, v10
	v_ashrrev_i32_e32 v7, 31, v7
	s_wait_alu 0xfffd
	v_xor_b32_e32 v6, vcc_lo, v6
	v_cmp_gt_i32_e32 vcc_lo, 0, v10
	v_and_b32_e32 v5, v5, v21
	v_not_b32_e32 v10, v11
	v_ashrrev_i32_e32 v8, 31, v8
	s_wait_alu 0xf1ff
	v_xor_b32_e32 v7, s18, v7
	v_cmp_gt_i32_e64 s18, 0, v11
	v_and_b32_e32 v5, v5, v6
	v_not_b32_e32 v6, v20
	v_ashrrev_i32_e32 v10, 31, v10
	s_wait_alu 0xfffd
	v_xor_b32_e32 v8, vcc_lo, v8
	v_cmp_gt_i32_e32 vcc_lo, 0, v20
	v_and_b32_e32 v5, v5, v7
	v_not_b32_e32 v7, v9
	v_ashrrev_i32_e32 v6, 31, v6
	s_wait_alu 0xf1ff
	v_xor_b32_e32 v10, s18, v10
	v_lshlrev_b32_e32 v4, 6, v4
	v_and_b32_e32 v5, v5, v8
	v_cmp_gt_i32_e64 s18, 0, v9
	v_ashrrev_i32_e32 v7, 31, v7
	s_wait_alu 0xfffd
	v_xor_b32_e32 v6, vcc_lo, v6
	v_add_nc_u32_e32 v22, v76, v4
	v_and_b32_e32 v5, v5, v10
	s_wait_alu 0xf1ff
	v_xor_b32_e32 v4, s18, v7
	ds_load_b32 v20, v22 offset:64
	v_and_b32_e32 v5, v5, v6
	; wave barrier
	s_delay_alu instid0(VALU_DEP_1) | instskip(NEXT) | instid1(VALU_DEP_1)
	v_and_b32_e32 v4, v5, v4
	v_mbcnt_lo_u32_b32 v21, v4, 0
	v_cmp_ne_u32_e64 s18, 0, v4
	s_delay_alu instid0(VALU_DEP_2)
	v_cmp_eq_u32_e32 vcc_lo, 0, v21
	s_and_b32 s22, s18, vcc_lo
	s_wait_alu 0xfffe
	s_and_saveexec_b32 s18, s22
	s_cbranch_execz .LBB145_75
; %bb.74:                               ;   in Loop: Header=BB145_67 Depth=1
	s_wait_dscnt 0x0
	v_bcnt_u32_b32 v4, v4, v20
	ds_store_b32 v22, v4 offset:64
.LBB145_75:                             ;   in Loop: Header=BB145_67 Depth=1
	s_wait_alu 0xfffe
	s_or_b32 exec_lo, exec_lo, s18
	v_lshrrev_b64 v[4:5], v37, v[63:64]
	; wave barrier
	s_delay_alu instid0(VALU_DEP_1) | instskip(NEXT) | instid1(VALU_DEP_1)
	v_and_b32_e32 v4, s21, v4
	v_and_b32_e32 v5, 1, v4
	v_lshlrev_b32_e32 v6, 30, v4
	v_lshlrev_b32_e32 v7, 29, v4
	v_lshlrev_b32_e32 v8, 28, v4
	v_lshlrev_b32_e32 v10, 27, v4
	v_add_co_u32 v5, s18, v5, -1
	s_wait_alu 0xf1ff
	v_cndmask_b32_e64 v9, 0, 1, s18
	v_not_b32_e32 v24, v6
	v_cmp_gt_i32_e64 s18, 0, v6
	v_not_b32_e32 v6, v7
	v_lshlrev_b32_e32 v11, 26, v4
	v_cmp_ne_u32_e32 vcc_lo, 0, v9
	v_ashrrev_i32_e32 v24, 31, v24
	v_lshlrev_b32_e32 v23, 25, v4
	v_ashrrev_i32_e32 v6, 31, v6
	v_lshlrev_b32_e32 v9, 24, v4
	s_wait_alu 0xfffd
	v_xor_b32_e32 v5, vcc_lo, v5
	v_cmp_gt_i32_e32 vcc_lo, 0, v7
	v_not_b32_e32 v7, v8
	s_wait_alu 0xf1ff
	v_xor_b32_e32 v24, s18, v24
	v_cmp_gt_i32_e64 s18, 0, v8
	v_and_b32_e32 v5, exec_lo, v5
	v_not_b32_e32 v8, v10
	v_ashrrev_i32_e32 v7, 31, v7
	s_wait_alu 0xfffd
	v_xor_b32_e32 v6, vcc_lo, v6
	v_cmp_gt_i32_e32 vcc_lo, 0, v10
	v_and_b32_e32 v5, v5, v24
	v_not_b32_e32 v10, v11
	v_ashrrev_i32_e32 v8, 31, v8
	s_wait_alu 0xf1ff
	v_xor_b32_e32 v7, s18, v7
	v_cmp_gt_i32_e64 s18, 0, v11
	v_and_b32_e32 v5, v5, v6
	v_not_b32_e32 v6, v23
	v_ashrrev_i32_e32 v10, 31, v10
	s_wait_alu 0xfffd
	v_xor_b32_e32 v8, vcc_lo, v8
	v_cmp_gt_i32_e32 vcc_lo, 0, v23
	v_and_b32_e32 v5, v5, v7
	v_not_b32_e32 v7, v9
	v_ashrrev_i32_e32 v6, 31, v6
	s_wait_alu 0xf1ff
	v_xor_b32_e32 v10, s18, v10
	v_lshlrev_b32_e32 v4, 6, v4
	v_and_b32_e32 v5, v5, v8
	v_cmp_gt_i32_e64 s18, 0, v9
	v_ashrrev_i32_e32 v7, 31, v7
	s_wait_alu 0xfffd
	v_xor_b32_e32 v6, vcc_lo, v6
	v_add_nc_u32_e32 v25, v76, v4
	v_and_b32_e32 v5, v5, v10
	s_wait_alu 0xf1ff
	v_xor_b32_e32 v4, s18, v7
	ds_load_b32 v23, v25 offset:64
	v_and_b32_e32 v5, v5, v6
	; wave barrier
	s_delay_alu instid0(VALU_DEP_1) | instskip(NEXT) | instid1(VALU_DEP_1)
	v_and_b32_e32 v4, v5, v4
	v_mbcnt_lo_u32_b32 v24, v4, 0
	v_cmp_ne_u32_e64 s18, 0, v4
	s_delay_alu instid0(VALU_DEP_2)
	v_cmp_eq_u32_e32 vcc_lo, 0, v24
	s_and_b32 s22, s18, vcc_lo
	s_wait_alu 0xfffe
	s_and_saveexec_b32 s18, s22
	s_cbranch_execz .LBB145_77
; %bb.76:                               ;   in Loop: Header=BB145_67 Depth=1
	s_wait_dscnt 0x0
	v_bcnt_u32_b32 v4, v4, v23
	ds_store_b32 v25, v4 offset:64
.LBB145_77:                             ;   in Loop: Header=BB145_67 Depth=1
	s_wait_alu 0xfffe
	s_or_b32 exec_lo, exec_lo, s18
	v_lshrrev_b64 v[4:5], v37, v[45:46]
	; wave barrier
	s_delay_alu instid0(VALU_DEP_1) | instskip(NEXT) | instid1(VALU_DEP_1)
	v_and_b32_e32 v4, s21, v4
	v_and_b32_e32 v5, 1, v4
	v_lshlrev_b32_e32 v6, 30, v4
	v_lshlrev_b32_e32 v7, 29, v4
	;; [unrolled: 1-line block ×4, first 2 shown]
	v_add_co_u32 v5, s18, v5, -1
	s_wait_alu 0xf1ff
	v_cndmask_b32_e64 v9, 0, 1, s18
	v_not_b32_e32 v27, v6
	v_cmp_gt_i32_e64 s18, 0, v6
	v_not_b32_e32 v6, v7
	v_lshlrev_b32_e32 v11, 26, v4
	v_cmp_ne_u32_e32 vcc_lo, 0, v9
	v_ashrrev_i32_e32 v27, 31, v27
	v_lshlrev_b32_e32 v26, 25, v4
	v_ashrrev_i32_e32 v6, 31, v6
	v_lshlrev_b32_e32 v9, 24, v4
	s_wait_alu 0xfffd
	v_xor_b32_e32 v5, vcc_lo, v5
	v_cmp_gt_i32_e32 vcc_lo, 0, v7
	v_not_b32_e32 v7, v8
	s_wait_alu 0xf1ff
	v_xor_b32_e32 v27, s18, v27
	v_cmp_gt_i32_e64 s18, 0, v8
	v_and_b32_e32 v5, exec_lo, v5
	v_not_b32_e32 v8, v10
	v_ashrrev_i32_e32 v7, 31, v7
	s_wait_alu 0xfffd
	v_xor_b32_e32 v6, vcc_lo, v6
	v_cmp_gt_i32_e32 vcc_lo, 0, v10
	v_and_b32_e32 v5, v5, v27
	v_not_b32_e32 v10, v11
	v_ashrrev_i32_e32 v8, 31, v8
	s_wait_alu 0xf1ff
	v_xor_b32_e32 v7, s18, v7
	v_cmp_gt_i32_e64 s18, 0, v11
	v_and_b32_e32 v5, v5, v6
	v_not_b32_e32 v6, v26
	v_ashrrev_i32_e32 v10, 31, v10
	s_wait_alu 0xfffd
	v_xor_b32_e32 v8, vcc_lo, v8
	v_cmp_gt_i32_e32 vcc_lo, 0, v26
	v_and_b32_e32 v5, v5, v7
	v_not_b32_e32 v7, v9
	v_ashrrev_i32_e32 v6, 31, v6
	s_wait_alu 0xf1ff
	v_xor_b32_e32 v10, s18, v10
	v_lshlrev_b32_e32 v4, 6, v4
	v_and_b32_e32 v5, v5, v8
	v_cmp_gt_i32_e64 s18, 0, v9
	v_ashrrev_i32_e32 v7, 31, v7
	s_wait_alu 0xfffd
	v_xor_b32_e32 v6, vcc_lo, v6
	v_add_nc_u32_e32 v28, v76, v4
	v_and_b32_e32 v5, v5, v10
	s_wait_alu 0xf1ff
	v_xor_b32_e32 v4, s18, v7
	ds_load_b32 v26, v28 offset:64
	v_and_b32_e32 v5, v5, v6
	; wave barrier
	s_delay_alu instid0(VALU_DEP_1) | instskip(NEXT) | instid1(VALU_DEP_1)
	v_and_b32_e32 v4, v5, v4
	v_mbcnt_lo_u32_b32 v27, v4, 0
	v_cmp_ne_u32_e64 s18, 0, v4
	s_delay_alu instid0(VALU_DEP_2)
	v_cmp_eq_u32_e32 vcc_lo, 0, v27
	s_and_b32 s22, s18, vcc_lo
	s_wait_alu 0xfffe
	s_and_saveexec_b32 s18, s22
	s_cbranch_execz .LBB145_79
; %bb.78:                               ;   in Loop: Header=BB145_67 Depth=1
	s_wait_dscnt 0x0
	v_bcnt_u32_b32 v4, v4, v26
	ds_store_b32 v28, v4 offset:64
.LBB145_79:                             ;   in Loop: Header=BB145_67 Depth=1
	s_wait_alu 0xfffe
	s_or_b32 exec_lo, exec_lo, s18
	v_lshrrev_b64 v[4:5], v37, v[43:44]
	; wave barrier
	s_delay_alu instid0(VALU_DEP_1) | instskip(NEXT) | instid1(VALU_DEP_1)
	v_and_b32_e32 v4, s21, v4
	v_and_b32_e32 v5, 1, v4
	v_lshlrev_b32_e32 v6, 30, v4
	v_lshlrev_b32_e32 v7, 29, v4
	;; [unrolled: 1-line block ×4, first 2 shown]
	v_add_co_u32 v5, s18, v5, -1
	s_wait_alu 0xf1ff
	v_cndmask_b32_e64 v9, 0, 1, s18
	v_not_b32_e32 v30, v6
	v_cmp_gt_i32_e64 s18, 0, v6
	v_not_b32_e32 v6, v7
	v_lshlrev_b32_e32 v11, 26, v4
	v_cmp_ne_u32_e32 vcc_lo, 0, v9
	v_ashrrev_i32_e32 v30, 31, v30
	v_lshlrev_b32_e32 v29, 25, v4
	v_ashrrev_i32_e32 v6, 31, v6
	v_lshlrev_b32_e32 v9, 24, v4
	s_wait_alu 0xfffd
	v_xor_b32_e32 v5, vcc_lo, v5
	v_cmp_gt_i32_e32 vcc_lo, 0, v7
	v_not_b32_e32 v7, v8
	s_wait_alu 0xf1ff
	v_xor_b32_e32 v30, s18, v30
	v_cmp_gt_i32_e64 s18, 0, v8
	v_and_b32_e32 v5, exec_lo, v5
	v_not_b32_e32 v8, v10
	v_ashrrev_i32_e32 v7, 31, v7
	s_wait_alu 0xfffd
	v_xor_b32_e32 v6, vcc_lo, v6
	v_cmp_gt_i32_e32 vcc_lo, 0, v10
	v_and_b32_e32 v5, v5, v30
	v_not_b32_e32 v10, v11
	v_ashrrev_i32_e32 v8, 31, v8
	s_wait_alu 0xf1ff
	v_xor_b32_e32 v7, s18, v7
	v_cmp_gt_i32_e64 s18, 0, v11
	v_and_b32_e32 v5, v5, v6
	v_not_b32_e32 v6, v29
	v_ashrrev_i32_e32 v10, 31, v10
	s_wait_alu 0xfffd
	v_xor_b32_e32 v8, vcc_lo, v8
	v_cmp_gt_i32_e32 vcc_lo, 0, v29
	v_and_b32_e32 v5, v5, v7
	v_not_b32_e32 v7, v9
	v_ashrrev_i32_e32 v6, 31, v6
	s_wait_alu 0xf1ff
	v_xor_b32_e32 v10, s18, v10
	v_lshlrev_b32_e32 v4, 6, v4
	v_and_b32_e32 v5, v5, v8
	v_cmp_gt_i32_e64 s18, 0, v9
	v_ashrrev_i32_e32 v7, 31, v7
	s_wait_alu 0xfffd
	v_xor_b32_e32 v6, vcc_lo, v6
	v_add_nc_u32_e32 v31, v76, v4
	v_and_b32_e32 v5, v5, v10
	s_wait_alu 0xf1ff
	v_xor_b32_e32 v4, s18, v7
	ds_load_b32 v29, v31 offset:64
	v_and_b32_e32 v5, v5, v6
	; wave barrier
	s_delay_alu instid0(VALU_DEP_1) | instskip(NEXT) | instid1(VALU_DEP_1)
	v_and_b32_e32 v4, v5, v4
	v_mbcnt_lo_u32_b32 v30, v4, 0
	v_cmp_ne_u32_e64 s18, 0, v4
	s_delay_alu instid0(VALU_DEP_2)
	v_cmp_eq_u32_e32 vcc_lo, 0, v30
	s_and_b32 s22, s18, vcc_lo
	s_wait_alu 0xfffe
	s_and_saveexec_b32 s18, s22
	s_cbranch_execz .LBB145_81
; %bb.80:                               ;   in Loop: Header=BB145_67 Depth=1
	s_wait_dscnt 0x0
	v_bcnt_u32_b32 v4, v4, v29
	ds_store_b32 v31, v4 offset:64
.LBB145_81:                             ;   in Loop: Header=BB145_67 Depth=1
	s_wait_alu 0xfffe
	s_or_b32 exec_lo, exec_lo, s18
	v_lshrrev_b64 v[4:5], v37, v[41:42]
	; wave barrier
	s_delay_alu instid0(VALU_DEP_1) | instskip(NEXT) | instid1(VALU_DEP_1)
	v_and_b32_e32 v4, s21, v4
	v_and_b32_e32 v5, 1, v4
	v_lshlrev_b32_e32 v6, 30, v4
	v_lshlrev_b32_e32 v7, 29, v4
	;; [unrolled: 1-line block ×4, first 2 shown]
	v_add_co_u32 v5, s18, v5, -1
	s_wait_alu 0xf1ff
	v_cndmask_b32_e64 v9, 0, 1, s18
	v_not_b32_e32 v34, v6
	v_cmp_gt_i32_e64 s18, 0, v6
	v_not_b32_e32 v6, v7
	v_lshlrev_b32_e32 v11, 26, v4
	v_cmp_ne_u32_e32 vcc_lo, 0, v9
	v_ashrrev_i32_e32 v34, 31, v34
	v_lshlrev_b32_e32 v33, 25, v4
	v_ashrrev_i32_e32 v6, 31, v6
	v_lshlrev_b32_e32 v9, 24, v4
	s_wait_alu 0xfffd
	v_xor_b32_e32 v5, vcc_lo, v5
	v_cmp_gt_i32_e32 vcc_lo, 0, v7
	v_not_b32_e32 v7, v8
	s_wait_alu 0xf1ff
	v_xor_b32_e32 v34, s18, v34
	v_cmp_gt_i32_e64 s18, 0, v8
	v_and_b32_e32 v5, exec_lo, v5
	v_not_b32_e32 v8, v10
	v_ashrrev_i32_e32 v7, 31, v7
	s_wait_alu 0xfffd
	v_xor_b32_e32 v6, vcc_lo, v6
	v_cmp_gt_i32_e32 vcc_lo, 0, v10
	v_and_b32_e32 v5, v5, v34
	v_not_b32_e32 v10, v11
	v_ashrrev_i32_e32 v8, 31, v8
	s_wait_alu 0xf1ff
	v_xor_b32_e32 v7, s18, v7
	v_cmp_gt_i32_e64 s18, 0, v11
	v_and_b32_e32 v5, v5, v6
	v_not_b32_e32 v6, v33
	v_ashrrev_i32_e32 v10, 31, v10
	s_wait_alu 0xfffd
	v_xor_b32_e32 v8, vcc_lo, v8
	v_cmp_gt_i32_e32 vcc_lo, 0, v33
	v_and_b32_e32 v5, v5, v7
	v_not_b32_e32 v7, v9
	v_ashrrev_i32_e32 v6, 31, v6
	s_wait_alu 0xf1ff
	v_xor_b32_e32 v10, s18, v10
	v_lshlrev_b32_e32 v4, 6, v4
	v_and_b32_e32 v5, v5, v8
	v_cmp_gt_i32_e64 s18, 0, v9
	v_ashrrev_i32_e32 v7, 31, v7
	s_wait_alu 0xfffd
	v_xor_b32_e32 v6, vcc_lo, v6
	v_add_nc_u32_e32 v35, v76, v4
	v_and_b32_e32 v5, v5, v10
	s_wait_alu 0xf1ff
	v_xor_b32_e32 v4, s18, v7
	ds_load_b32 v33, v35 offset:64
	v_and_b32_e32 v5, v5, v6
	; wave barrier
	s_delay_alu instid0(VALU_DEP_1) | instskip(NEXT) | instid1(VALU_DEP_1)
	v_and_b32_e32 v4, v5, v4
	v_mbcnt_lo_u32_b32 v34, v4, 0
	v_cmp_ne_u32_e64 s18, 0, v4
	s_delay_alu instid0(VALU_DEP_2)
	v_cmp_eq_u32_e32 vcc_lo, 0, v34
	s_and_b32 s21, s18, vcc_lo
	s_wait_alu 0xfffe
	s_and_saveexec_b32 s18, s21
	s_cbranch_execz .LBB145_83
; %bb.82:                               ;   in Loop: Header=BB145_67 Depth=1
	s_wait_dscnt 0x0
	v_bcnt_u32_b32 v4, v4, v33
	ds_store_b32 v35, v4 offset:64
.LBB145_83:                             ;   in Loop: Header=BB145_67 Depth=1
	s_wait_alu 0xfffe
	s_or_b32 exec_lo, exec_lo, s18
	; wave barrier
	s_wait_loadcnt_dscnt 0x0
	s_barrier_signal -1
	s_barrier_wait -1
	global_inv scope:SCOPE_SE
	ds_load_b128 v[8:11], v116 offset:64
	ds_load_b128 v[4:7], v116 offset:80
	s_wait_dscnt 0x1
	v_add_nc_u32_e32 v36, v9, v8
	s_delay_alu instid0(VALU_DEP_1) | instskip(SKIP_1) | instid1(VALU_DEP_1)
	v_add3_u32 v36, v36, v10, v11
	s_wait_dscnt 0x0
	v_add3_u32 v36, v36, v4, v5
	s_delay_alu instid0(VALU_DEP_1) | instskip(NEXT) | instid1(VALU_DEP_1)
	v_add3_u32 v7, v36, v6, v7
	v_mov_b32_dpp v36, v7 row_shr:1 row_mask:0xf bank_mask:0xf
	s_delay_alu instid0(VALU_DEP_1) | instskip(NEXT) | instid1(VALU_DEP_1)
	v_cndmask_b32_e64 v36, v36, 0, s8
	v_add_nc_u32_e32 v7, v36, v7
	s_delay_alu instid0(VALU_DEP_1) | instskip(NEXT) | instid1(VALU_DEP_1)
	v_mov_b32_dpp v36, v7 row_shr:2 row_mask:0xf bank_mask:0xf
	v_cndmask_b32_e64 v36, 0, v36, s9
	s_delay_alu instid0(VALU_DEP_1) | instskip(NEXT) | instid1(VALU_DEP_1)
	v_add_nc_u32_e32 v7, v7, v36
	v_mov_b32_dpp v36, v7 row_shr:4 row_mask:0xf bank_mask:0xf
	s_delay_alu instid0(VALU_DEP_1) | instskip(NEXT) | instid1(VALU_DEP_1)
	v_cndmask_b32_e64 v36, 0, v36, s11
	v_add_nc_u32_e32 v7, v7, v36
	s_delay_alu instid0(VALU_DEP_1) | instskip(NEXT) | instid1(VALU_DEP_1)
	v_mov_b32_dpp v36, v7 row_shr:8 row_mask:0xf bank_mask:0xf
	v_cndmask_b32_e64 v36, 0, v36, s12
	s_delay_alu instid0(VALU_DEP_1) | instskip(SKIP_3) | instid1(VALU_DEP_1)
	v_add_nc_u32_e32 v7, v7, v36
	ds_swizzle_b32 v36, v7 offset:swizzle(BROADCAST,32,15)
	s_wait_dscnt 0x0
	v_cndmask_b32_e64 v36, v36, 0, s13
	v_add_nc_u32_e32 v7, v7, v36
	s_and_saveexec_b32 s18, s14
; %bb.84:                               ;   in Loop: Header=BB145_67 Depth=1
	ds_store_b32 v117, v7
; %bb.85:                               ;   in Loop: Header=BB145_67 Depth=1
	s_wait_alu 0xfffe
	s_or_b32 exec_lo, exec_lo, s18
	s_wait_loadcnt_dscnt 0x0
	s_barrier_signal -1
	s_barrier_wait -1
	global_inv scope:SCOPE_SE
	s_and_saveexec_b32 s18, s15
	s_cbranch_execz .LBB145_87
; %bb.86:                               ;   in Loop: Header=BB145_67 Depth=1
	ds_load_b32 v36, v77
	s_wait_dscnt 0x0
	v_mov_b32_dpp v78, v36 row_shr:1 row_mask:0xf bank_mask:0xf
	s_delay_alu instid0(VALU_DEP_1) | instskip(NEXT) | instid1(VALU_DEP_1)
	v_cndmask_b32_e64 v78, v78, 0, s8
	v_add_nc_u32_e32 v36, v78, v36
	s_delay_alu instid0(VALU_DEP_1) | instskip(NEXT) | instid1(VALU_DEP_1)
	v_mov_b32_dpp v78, v36 row_shr:2 row_mask:0xf bank_mask:0xf
	v_cndmask_b32_e64 v78, 0, v78, s9
	s_delay_alu instid0(VALU_DEP_1) | instskip(NEXT) | instid1(VALU_DEP_1)
	v_add_nc_u32_e32 v36, v36, v78
	v_mov_b32_dpp v78, v36 row_shr:4 row_mask:0xf bank_mask:0xf
	s_delay_alu instid0(VALU_DEP_1) | instskip(NEXT) | instid1(VALU_DEP_1)
	v_cndmask_b32_e64 v78, 0, v78, s11
	v_add_nc_u32_e32 v36, v36, v78
	s_delay_alu instid0(VALU_DEP_1) | instskip(NEXT) | instid1(VALU_DEP_1)
	v_mov_b32_dpp v78, v36 row_shr:8 row_mask:0xf bank_mask:0xf
	v_cndmask_b32_e64 v78, 0, v78, s12
	s_delay_alu instid0(VALU_DEP_1)
	v_add_nc_u32_e32 v36, v36, v78
	ds_store_b32 v77, v36
.LBB145_87:                             ;   in Loop: Header=BB145_67 Depth=1
	s_wait_alu 0xfffe
	s_or_b32 exec_lo, exec_lo, s18
	v_mov_b32_e32 v36, 0
	s_wait_loadcnt_dscnt 0x0
	s_barrier_signal -1
	s_barrier_wait -1
	global_inv scope:SCOPE_SE
	s_and_saveexec_b32 s18, s16
; %bb.88:                               ;   in Loop: Header=BB145_67 Depth=1
	ds_load_b32 v36, v74
; %bb.89:                               ;   in Loop: Header=BB145_67 Depth=1
	s_wait_alu 0xfffe
	s_or_b32 exec_lo, exec_lo, s18
	s_wait_dscnt 0x0
	v_add_nc_u32_e32 v7, v36, v7
	v_cmp_lt_u32_e32 vcc_lo, 55, v37
	s_mov_b32 s18, -1
	ds_bpermute_b32 v7, v32, v7
	s_and_b32 vcc_lo, exec_lo, vcc_lo
	s_wait_dscnt 0x0
	v_cndmask_b32_e64 v7, v7, v36, s10
	s_delay_alu instid0(VALU_DEP_1) | instskip(NEXT) | instid1(VALU_DEP_1)
	v_cndmask_b32_e64 v7, v7, 0, s17
	v_add_nc_u32_e32 v8, v7, v8
	s_delay_alu instid0(VALU_DEP_1) | instskip(NEXT) | instid1(VALU_DEP_1)
	v_add_nc_u32_e32 v9, v8, v9
	v_add_nc_u32_e32 v10, v9, v10
	s_delay_alu instid0(VALU_DEP_1) | instskip(NEXT) | instid1(VALU_DEP_1)
	v_add_nc_u32_e32 v78, v10, v11
	;; [unrolled: 3-line block ×3, first 2 shown]
	v_add_nc_u32_e32 v81, v80, v6
	ds_store_b128 v116, v[7:10] offset:64
	ds_store_b128 v116, v[78:81] offset:80
	s_wait_loadcnt_dscnt 0x0
	s_barrier_signal -1
	s_barrier_wait -1
	global_inv scope:SCOPE_SE
	ds_load_b32 v4, v13 offset:64
	ds_load_b32 v5, v16 offset:64
	;; [unrolled: 1-line block ×8, first 2 shown]
	s_wait_dscnt 0x7
	v_add_nc_u32_e32 v85, v4, v12
	s_wait_dscnt 0x6
	v_add3_u32 v84, v15, v14, v5
	s_wait_dscnt 0x5
	v_add3_u32 v83, v18, v17, v6
	;; [unrolled: 2-line block ×7, first 2 shown]
                                        ; implicit-def: $vgpr35_vgpr36
                                        ; implicit-def: $vgpr14_vgpr15
                                        ; implicit-def: $vgpr10_vgpr11
                                        ; implicit-def: $vgpr6_vgpr7
                                        ; implicit-def: $vgpr30_vgpr31
                                        ; implicit-def: $vgpr26_vgpr27
                                        ; implicit-def: $vgpr22_vgpr23
                                        ; implicit-def: $vgpr18_vgpr19
	s_wait_alu 0xfffe
	s_cbranch_vccnz .LBB145_66
; %bb.90:                               ;   in Loop: Header=BB145_67 Depth=1
	v_lshlrev_b32_e32 v16, 3, v85
	v_lshlrev_b32_e32 v19, 3, v82
	;; [unrolled: 1-line block ×8, first 2 shown]
	s_wait_loadcnt 0x0
	s_barrier_signal -1
	s_barrier_wait -1
	global_inv scope:SCOPE_SE
	ds_store_b64 v16, v[39:40]
	ds_store_b64 v17, v[70:71]
	;; [unrolled: 1-line block ×8, first 2 shown]
	s_wait_loadcnt_dscnt 0x0
	s_barrier_signal -1
	s_barrier_wait -1
	global_inv scope:SCOPE_SE
	ds_load_2addr_b64 v[4:7], v75 offset1:32
	ds_load_2addr_b64 v[8:11], v75 offset0:64 offset1:96
	ds_load_2addr_b64 v[12:15], v75 offset0:128 offset1:160
	;; [unrolled: 1-line block ×3, first 2 shown]
	s_wait_loadcnt_dscnt 0x0
	s_barrier_signal -1
	s_barrier_wait -1
	global_inv scope:SCOPE_SE
	ds_store_b64 v16, v[61:62]
	ds_store_b64 v17, v[59:60]
	;; [unrolled: 1-line block ×8, first 2 shown]
	s_wait_loadcnt_dscnt 0x0
	s_barrier_signal -1
	s_barrier_wait -1
	global_inv scope:SCOPE_SE
	ds_load_2addr_b64 v[16:19], v75 offset1:32
	ds_load_2addr_b64 v[20:23], v75 offset0:64 offset1:96
	ds_load_2addr_b64 v[24:27], v75 offset0:128 offset1:160
	;; [unrolled: 1-line block ×3, first 2 shown]
	v_add_co_u32 v37, vcc_lo, v37, 8
	s_wait_alu 0xfffd
	v_add_co_ci_u32_e64 v38, null, 0, v38, vcc_lo
	s_add_co_i32 s20, s20, -8
	s_mov_b32 s18, 0
	s_wait_loadcnt_dscnt 0x0
	s_barrier_signal -1
	s_barrier_wait -1
	global_inv scope:SCOPE_SE
	s_branch .LBB145_66
.LBB145_91:
	v_lshlrev_b32_e32 v16, 3, v85
	v_lshlrev_b32_e32 v19, 3, v82
	;; [unrolled: 1-line block ×9, first 2 shown]
	s_wait_loadcnt 0x0
	s_barrier_signal -1
	s_barrier_wait -1
	global_inv scope:SCOPE_SE
	ds_store_b64 v16, v[39:40]
	ds_store_b64 v17, v[70:71]
	;; [unrolled: 1-line block ×8, first 2 shown]
	s_wait_loadcnt_dscnt 0x0
	s_barrier_signal -1
	s_barrier_wait -1
	global_inv scope:SCOPE_SE
	ds_load_b128 v[0:3], v24
	ds_load_b128 v[4:7], v24 offset:16
	ds_load_b128 v[8:11], v24 offset:32
	;; [unrolled: 1-line block ×3, first 2 shown]
	s_wait_loadcnt_dscnt 0x0
	s_barrier_signal -1
	s_barrier_wait -1
	global_inv scope:SCOPE_SE
	ds_store_b64 v16, v[61:62]
	ds_store_b64 v17, v[59:60]
	;; [unrolled: 1-line block ×8, first 2 shown]
	s_wait_loadcnt_dscnt 0x0
	s_barrier_signal -1
	s_barrier_wait -1
	global_inv scope:SCOPE_SE
	ds_load_b128 v[45:48], v24
	ds_load_b128 v[41:44], v24 offset:16
	ds_load_b128 v[37:40], v24 offset:32
	ds_load_b128 v[33:36], v24 offset:48
	v_xor_b32_e32 v50, 0x7fffffff, v1
	v_xor_b32_e32 v49, -1, v0
	v_xor_b32_e32 v52, 0x7fffffff, v3
	v_xor_b32_e32 v51, -1, v2
	;; [unrolled: 2-line block ×8, first 2 shown]
.LBB145_92:
	s_wait_loadcnt_dscnt 0x0
	s_barrier_signal -1
	s_barrier_wait -1
	global_inv scope:SCOPE_SE
	ds_store_2addr_b64 v115, v[49:50], v[51:52] offset1:1
	ds_store_2addr_b64 v115, v[53:54], v[55:56] offset0:2 offset1:3
	ds_store_2addr_b64 v115, v[57:58], v[59:60] offset0:4 offset1:5
	;; [unrolled: 1-line block ×3, first 2 shown]
	s_wait_loadcnt_dscnt 0x0
	s_barrier_signal -1
	s_barrier_wait -1
	global_inv scope:SCOPE_SE
	ds_load_b64 v[14:15], v108 offset:4096
	ds_load_b64 v[12:13], v109 offset:8192
	;; [unrolled: 1-line block ×7, first 2 shown]
	v_mov_b32_e32 v73, 0
	s_delay_alu instid0(VALU_DEP_1) | instskip(NEXT) | instid1(VALU_DEP_1)
	v_lshlrev_b64_e32 v[2:3], 3, v[72:73]
	v_add_co_u32 v2, vcc_lo, s30, v2
	s_wait_alu 0xfffd
	s_delay_alu instid0(VALU_DEP_2)
	v_add_co_ci_u32_e64 v3, null, s31, v3, vcc_lo
	s_and_saveexec_b32 s8, s0
	s_cbranch_execnz .LBB145_111
; %bb.93:
	s_wait_alu 0xfffe
	s_or_b32 exec_lo, exec_lo, s8
	s_and_saveexec_b32 s8, s1
	s_cbranch_execnz .LBB145_112
.LBB145_94:
	s_wait_alu 0xfffe
	s_or_b32 exec_lo, exec_lo, s8
	s_and_saveexec_b32 s8, s2
	s_cbranch_execnz .LBB145_113
.LBB145_95:
	s_wait_alu 0xfffe
	s_or_b32 exec_lo, exec_lo, s8
	s_and_saveexec_b32 s8, s3
	s_cbranch_execnz .LBB145_114
.LBB145_96:
	s_wait_alu 0xfffe
	s_or_b32 exec_lo, exec_lo, s8
	s_and_saveexec_b32 s8, s4
	s_cbranch_execnz .LBB145_115
.LBB145_97:
	s_wait_alu 0xfffe
	s_or_b32 exec_lo, exec_lo, s8
	s_and_saveexec_b32 s8, s5
	s_cbranch_execnz .LBB145_116
.LBB145_98:
	s_wait_alu 0xfffe
	s_or_b32 exec_lo, exec_lo, s8
	s_and_saveexec_b32 s8, s6
	s_cbranch_execnz .LBB145_117
.LBB145_99:
	s_wait_alu 0xfffe
	s_or_b32 exec_lo, exec_lo, s8
	s_and_saveexec_b32 s8, s7
	s_cbranch_execz .LBB145_101
.LBB145_100:
	s_mul_i32 s10, s26, 0xe00
	s_mov_b32 s11, 0
	s_wait_alu 0xfffe
	s_lshl_b64 s[10:11], s[10:11], 3
	s_wait_alu 0xfffe
	v_add_co_u32 v2, vcc_lo, v2, s10
	s_wait_alu 0xfffd
	v_add_co_ci_u32_e64 v3, null, s11, v3, vcc_lo
	s_wait_dscnt 0x0
	global_store_b64 v[2:3], v[0:1], off
.LBB145_101:
	s_wait_alu 0xfffe
	s_or_b32 exec_lo, exec_lo, s8
	s_wait_storecnt 0x0
	s_wait_loadcnt_dscnt 0x0
	s_barrier_signal -1
	s_barrier_wait -1
	global_inv scope:SCOPE_SE
	ds_store_2addr_b64 v115, v[45:46], v[47:48] offset1:1
	ds_store_2addr_b64 v115, v[41:42], v[43:44] offset0:2 offset1:3
	ds_store_2addr_b64 v115, v[37:38], v[39:40] offset0:4 offset1:5
	;; [unrolled: 1-line block ×3, first 2 shown]
	s_wait_loadcnt_dscnt 0x0
	s_barrier_signal -1
	s_barrier_wait -1
	global_inv scope:SCOPE_SE
	ds_load_b64 v[14:15], v108 offset:4096
	ds_load_b64 v[12:13], v109 offset:8192
	;; [unrolled: 1-line block ×7, first 2 shown]
	v_mov_b32_e32 v70, 0
	s_delay_alu instid0(VALU_DEP_1) | instskip(NEXT) | instid1(VALU_DEP_1)
	v_lshlrev_b64_e32 v[2:3], 3, v[69:70]
	v_add_co_u32 v2, vcc_lo, s24, v2
	s_wait_alu 0xfffd
	s_delay_alu instid0(VALU_DEP_2)
	v_add_co_ci_u32_e64 v3, null, s25, v3, vcc_lo
	s_and_saveexec_b32 s8, s0
	s_cbranch_execnz .LBB145_118
; %bb.102:
	s_wait_alu 0xfffe
	s_or_b32 exec_lo, exec_lo, s8
	s_and_saveexec_b32 s0, s1
	s_cbranch_execnz .LBB145_119
.LBB145_103:
	s_or_b32 exec_lo, exec_lo, s0
	s_and_saveexec_b32 s0, s2
	s_cbranch_execnz .LBB145_120
.LBB145_104:
	s_or_b32 exec_lo, exec_lo, s0
	s_and_saveexec_b32 s0, s3
	s_cbranch_execnz .LBB145_121
.LBB145_105:
	s_or_b32 exec_lo, exec_lo, s0
	s_and_saveexec_b32 s0, s4
	s_cbranch_execnz .LBB145_122
.LBB145_106:
	s_or_b32 exec_lo, exec_lo, s0
	s_and_saveexec_b32 s0, s5
	s_cbranch_execnz .LBB145_123
.LBB145_107:
	s_or_b32 exec_lo, exec_lo, s0
	s_and_saveexec_b32 s0, s6
	s_cbranch_execnz .LBB145_124
.LBB145_108:
	s_or_b32 exec_lo, exec_lo, s0
	s_and_saveexec_b32 s0, s7
	s_cbranch_execz .LBB145_110
.LBB145_109:
	s_mul_i32 s0, s28, 0xe00
	s_mov_b32 s1, 0
	s_delay_alu instid0(SALU_CYCLE_1) | instskip(NEXT) | instid1(SALU_CYCLE_1)
	s_lshl_b64 s[0:1], s[0:1], 3
	v_add_co_u32 v2, vcc_lo, v2, s0
	s_wait_alu 0xfffd
	v_add_co_ci_u32_e64 v3, null, s1, v3, vcc_lo
	s_wait_dscnt 0x0
	global_store_b64 v[2:3], v[0:1], off
.LBB145_110:
	s_nop 0
	s_sendmsg sendmsg(MSG_DEALLOC_VGPRS)
	s_endpgm
.LBB145_111:
	ds_load_b64 v[16:17], v107
	s_wait_dscnt 0x0
	global_store_b64 v[2:3], v[16:17], off
	s_wait_alu 0xfffe
	s_or_b32 exec_lo, exec_lo, s8
	s_and_saveexec_b32 s8, s1
	s_cbranch_execz .LBB145_94
.LBB145_112:
	s_lshl_b32 s10, s26, 9
	s_mov_b32 s11, 0
	s_wait_alu 0xfffe
	s_lshl_b64 s[10:11], s[10:11], 3
	s_wait_alu 0xfffe
	v_add_co_u32 v16, vcc_lo, v2, s10
	s_wait_alu 0xfffd
	v_add_co_ci_u32_e64 v17, null, s11, v3, vcc_lo
	s_wait_dscnt 0x6
	global_store_b64 v[16:17], v[14:15], off
	s_or_b32 exec_lo, exec_lo, s8
	s_and_saveexec_b32 s8, s2
	s_cbranch_execz .LBB145_95
.LBB145_113:
	s_lshl_b32 s10, s26, 10
	s_mov_b32 s11, 0
	s_wait_alu 0xfffe
	s_lshl_b64 s[10:11], s[10:11], 3
	s_wait_dscnt 0x6
	s_wait_alu 0xfffe
	v_add_co_u32 v14, vcc_lo, v2, s10
	s_wait_alu 0xfffd
	v_add_co_ci_u32_e64 v15, null, s11, v3, vcc_lo
	s_wait_dscnt 0x5
	global_store_b64 v[14:15], v[12:13], off
	s_or_b32 exec_lo, exec_lo, s8
	s_and_saveexec_b32 s8, s3
	s_cbranch_execz .LBB145_96
.LBB145_114:
	s_mul_i32 s10, s26, 0x600
	s_mov_b32 s11, 0
	s_wait_alu 0xfffe
	s_lshl_b64 s[10:11], s[10:11], 3
	s_wait_dscnt 0x5
	s_wait_alu 0xfffe
	v_add_co_u32 v12, vcc_lo, v2, s10
	s_wait_alu 0xfffd
	v_add_co_ci_u32_e64 v13, null, s11, v3, vcc_lo
	s_wait_dscnt 0x4
	global_store_b64 v[12:13], v[10:11], off
	s_or_b32 exec_lo, exec_lo, s8
	s_and_saveexec_b32 s8, s4
	s_cbranch_execz .LBB145_97
.LBB145_115:
	s_lshl_b32 s10, s26, 11
	s_mov_b32 s11, 0
	s_wait_alu 0xfffe
	s_lshl_b64 s[10:11], s[10:11], 3
	s_wait_dscnt 0x4
	s_wait_alu 0xfffe
	v_add_co_u32 v10, vcc_lo, v2, s10
	s_wait_alu 0xfffd
	v_add_co_ci_u32_e64 v11, null, s11, v3, vcc_lo
	s_wait_dscnt 0x3
	global_store_b64 v[10:11], v[8:9], off
	s_or_b32 exec_lo, exec_lo, s8
	s_and_saveexec_b32 s8, s5
	s_cbranch_execz .LBB145_98
.LBB145_116:
	s_mul_i32 s10, s26, 0xa00
	s_mov_b32 s11, 0
	s_wait_alu 0xfffe
	s_lshl_b64 s[10:11], s[10:11], 3
	s_wait_dscnt 0x3
	s_wait_alu 0xfffe
	v_add_co_u32 v8, vcc_lo, v2, s10
	s_wait_alu 0xfffd
	v_add_co_ci_u32_e64 v9, null, s11, v3, vcc_lo
	s_wait_dscnt 0x2
	global_store_b64 v[8:9], v[6:7], off
	s_or_b32 exec_lo, exec_lo, s8
	s_and_saveexec_b32 s8, s6
	s_cbranch_execz .LBB145_99
.LBB145_117:
	s_mul_i32 s10, s26, 0xc00
	s_mov_b32 s11, 0
	s_wait_alu 0xfffe
	s_lshl_b64 s[10:11], s[10:11], 3
	s_wait_dscnt 0x2
	s_wait_alu 0xfffe
	v_add_co_u32 v6, vcc_lo, v2, s10
	s_wait_alu 0xfffd
	v_add_co_ci_u32_e64 v7, null, s11, v3, vcc_lo
	s_wait_dscnt 0x1
	global_store_b64 v[6:7], v[4:5], off
	s_or_b32 exec_lo, exec_lo, s8
	s_and_saveexec_b32 s8, s7
	s_cbranch_execnz .LBB145_100
	s_branch .LBB145_101
.LBB145_118:
	ds_load_b64 v[16:17], v107
	s_wait_dscnt 0x0
	global_store_b64 v[2:3], v[16:17], off
	s_wait_alu 0xfffe
	s_or_b32 exec_lo, exec_lo, s8
	s_and_saveexec_b32 s0, s1
	s_cbranch_execz .LBB145_103
.LBB145_119:
	s_lshl_b32 s8, s28, 9
	s_mov_b32 s9, 0
	s_wait_alu 0xfffe
	s_lshl_b64 s[8:9], s[8:9], 3
	s_wait_alu 0xfffe
	v_add_co_u32 v16, vcc_lo, v2, s8
	s_wait_alu 0xfffd
	v_add_co_ci_u32_e64 v17, null, s9, v3, vcc_lo
	s_wait_dscnt 0x6
	global_store_b64 v[16:17], v[14:15], off
	s_or_b32 exec_lo, exec_lo, s0
	s_and_saveexec_b32 s0, s2
	s_cbranch_execz .LBB145_104
.LBB145_120:
	s_lshl_b32 s8, s28, 10
	s_mov_b32 s9, 0
	s_wait_alu 0xfffe
	s_lshl_b64 s[8:9], s[8:9], 3
	s_wait_dscnt 0x6
	s_wait_alu 0xfffe
	v_add_co_u32 v14, vcc_lo, v2, s8
	s_wait_alu 0xfffd
	v_add_co_ci_u32_e64 v15, null, s9, v3, vcc_lo
	s_wait_dscnt 0x5
	global_store_b64 v[14:15], v[12:13], off
	s_or_b32 exec_lo, exec_lo, s0
	s_and_saveexec_b32 s0, s3
	s_cbranch_execz .LBB145_105
.LBB145_121:
	s_mul_i32 s2, s28, 0x600
	s_mov_b32 s3, 0
	s_wait_alu 0xfffe
	s_lshl_b64 s[2:3], s[2:3], 3
	s_wait_dscnt 0x5
	s_wait_alu 0xfffe
	v_add_co_u32 v12, vcc_lo, v2, s2
	s_wait_alu 0xfffd
	v_add_co_ci_u32_e64 v13, null, s3, v3, vcc_lo
	s_wait_dscnt 0x4
	global_store_b64 v[12:13], v[10:11], off
	s_or_b32 exec_lo, exec_lo, s0
	s_and_saveexec_b32 s0, s4
	s_cbranch_execz .LBB145_106
.LBB145_122:
	s_lshl_b32 s2, s28, 11
	s_mov_b32 s3, 0
	s_wait_alu 0xfffe
	s_lshl_b64 s[2:3], s[2:3], 3
	s_wait_dscnt 0x4
	s_wait_alu 0xfffe
	v_add_co_u32 v10, vcc_lo, v2, s2
	s_wait_alu 0xfffd
	v_add_co_ci_u32_e64 v11, null, s3, v3, vcc_lo
	s_wait_dscnt 0x3
	global_store_b64 v[10:11], v[8:9], off
	s_or_b32 exec_lo, exec_lo, s0
	s_and_saveexec_b32 s0, s5
	s_cbranch_execz .LBB145_107
.LBB145_123:
	s_mul_i32 s2, s28, 0xa00
	s_mov_b32 s3, 0
	s_wait_alu 0xfffe
	s_lshl_b64 s[2:3], s[2:3], 3
	s_wait_dscnt 0x3
	s_wait_alu 0xfffe
	v_add_co_u32 v8, vcc_lo, v2, s2
	s_wait_alu 0xfffd
	v_add_co_ci_u32_e64 v9, null, s3, v3, vcc_lo
	s_wait_dscnt 0x2
	global_store_b64 v[8:9], v[6:7], off
	s_or_b32 exec_lo, exec_lo, s0
	s_and_saveexec_b32 s0, s6
	s_cbranch_execz .LBB145_108
.LBB145_124:
	s_mul_i32 s2, s28, 0xc00
	s_mov_b32 s3, 0
	s_wait_alu 0xfffe
	s_lshl_b64 s[2:3], s[2:3], 3
	s_wait_dscnt 0x2
	s_wait_alu 0xfffe
	v_add_co_u32 v6, vcc_lo, v2, s2
	s_wait_alu 0xfffd
	v_add_co_ci_u32_e64 v7, null, s3, v3, vcc_lo
	s_wait_dscnt 0x1
	global_store_b64 v[6:7], v[4:5], off
	s_or_b32 exec_lo, exec_lo, s0
	s_and_saveexec_b32 s0, s7
	s_cbranch_execnz .LBB145_109
	s_branch .LBB145_110
	.section	.rodata,"a",@progbits
	.p2align	6, 0x0
	.amdhsa_kernel _ZN2at6native18radixSortKVInPlaceILi2ELin1ELi512ELi8ElljEEvNS_4cuda6detail10TensorInfoIT3_T5_EES6_S6_S6_NS4_IT4_S6_EES6_b
		.amdhsa_group_segment_fixed_size 33792
		.amdhsa_private_segment_fixed_size 0
		.amdhsa_kernarg_size 712
		.amdhsa_user_sgpr_count 2
		.amdhsa_user_sgpr_dispatch_ptr 0
		.amdhsa_user_sgpr_queue_ptr 0
		.amdhsa_user_sgpr_kernarg_segment_ptr 1
		.amdhsa_user_sgpr_dispatch_id 0
		.amdhsa_user_sgpr_private_segment_size 0
		.amdhsa_wavefront_size32 1
		.amdhsa_uses_dynamic_stack 0
		.amdhsa_enable_private_segment 0
		.amdhsa_system_sgpr_workgroup_id_x 1
		.amdhsa_system_sgpr_workgroup_id_y 1
		.amdhsa_system_sgpr_workgroup_id_z 1
		.amdhsa_system_sgpr_workgroup_info 0
		.amdhsa_system_vgpr_workitem_id 2
		.amdhsa_next_free_vgpr 140
		.amdhsa_next_free_sgpr 36
		.amdhsa_reserve_vcc 1
		.amdhsa_float_round_mode_32 0
		.amdhsa_float_round_mode_16_64 0
		.amdhsa_float_denorm_mode_32 3
		.amdhsa_float_denorm_mode_16_64 3
		.amdhsa_fp16_overflow 0
		.amdhsa_workgroup_processor_mode 1
		.amdhsa_memory_ordered 1
		.amdhsa_forward_progress 1
		.amdhsa_inst_pref_size 116
		.amdhsa_round_robin_scheduling 0
		.amdhsa_exception_fp_ieee_invalid_op 0
		.amdhsa_exception_fp_denorm_src 0
		.amdhsa_exception_fp_ieee_div_zero 0
		.amdhsa_exception_fp_ieee_overflow 0
		.amdhsa_exception_fp_ieee_underflow 0
		.amdhsa_exception_fp_ieee_inexact 0
		.amdhsa_exception_int_div_zero 0
	.end_amdhsa_kernel
	.section	.text._ZN2at6native18radixSortKVInPlaceILi2ELin1ELi512ELi8ElljEEvNS_4cuda6detail10TensorInfoIT3_T5_EES6_S6_S6_NS4_IT4_S6_EES6_b,"axG",@progbits,_ZN2at6native18radixSortKVInPlaceILi2ELin1ELi512ELi8ElljEEvNS_4cuda6detail10TensorInfoIT3_T5_EES6_S6_S6_NS4_IT4_S6_EES6_b,comdat
.Lfunc_end145:
	.size	_ZN2at6native18radixSortKVInPlaceILi2ELin1ELi512ELi8ElljEEvNS_4cuda6detail10TensorInfoIT3_T5_EES6_S6_S6_NS4_IT4_S6_EES6_b, .Lfunc_end145-_ZN2at6native18radixSortKVInPlaceILi2ELin1ELi512ELi8ElljEEvNS_4cuda6detail10TensorInfoIT3_T5_EES6_S6_S6_NS4_IT4_S6_EES6_b
                                        ; -- End function
	.set _ZN2at6native18radixSortKVInPlaceILi2ELin1ELi512ELi8ElljEEvNS_4cuda6detail10TensorInfoIT3_T5_EES6_S6_S6_NS4_IT4_S6_EES6_b.num_vgpr, 140
	.set _ZN2at6native18radixSortKVInPlaceILi2ELin1ELi512ELi8ElljEEvNS_4cuda6detail10TensorInfoIT3_T5_EES6_S6_S6_NS4_IT4_S6_EES6_b.num_agpr, 0
	.set _ZN2at6native18radixSortKVInPlaceILi2ELin1ELi512ELi8ElljEEvNS_4cuda6detail10TensorInfoIT3_T5_EES6_S6_S6_NS4_IT4_S6_EES6_b.numbered_sgpr, 36
	.set _ZN2at6native18radixSortKVInPlaceILi2ELin1ELi512ELi8ElljEEvNS_4cuda6detail10TensorInfoIT3_T5_EES6_S6_S6_NS4_IT4_S6_EES6_b.num_named_barrier, 0
	.set _ZN2at6native18radixSortKVInPlaceILi2ELin1ELi512ELi8ElljEEvNS_4cuda6detail10TensorInfoIT3_T5_EES6_S6_S6_NS4_IT4_S6_EES6_b.private_seg_size, 0
	.set _ZN2at6native18radixSortKVInPlaceILi2ELin1ELi512ELi8ElljEEvNS_4cuda6detail10TensorInfoIT3_T5_EES6_S6_S6_NS4_IT4_S6_EES6_b.uses_vcc, 1
	.set _ZN2at6native18radixSortKVInPlaceILi2ELin1ELi512ELi8ElljEEvNS_4cuda6detail10TensorInfoIT3_T5_EES6_S6_S6_NS4_IT4_S6_EES6_b.uses_flat_scratch, 0
	.set _ZN2at6native18radixSortKVInPlaceILi2ELin1ELi512ELi8ElljEEvNS_4cuda6detail10TensorInfoIT3_T5_EES6_S6_S6_NS4_IT4_S6_EES6_b.has_dyn_sized_stack, 0
	.set _ZN2at6native18radixSortKVInPlaceILi2ELin1ELi512ELi8ElljEEvNS_4cuda6detail10TensorInfoIT3_T5_EES6_S6_S6_NS4_IT4_S6_EES6_b.has_recursion, 0
	.set _ZN2at6native18radixSortKVInPlaceILi2ELin1ELi512ELi8ElljEEvNS_4cuda6detail10TensorInfoIT3_T5_EES6_S6_S6_NS4_IT4_S6_EES6_b.has_indirect_call, 0
	.section	.AMDGPU.csdata,"",@progbits
; Kernel info:
; codeLenInByte = 14804
; TotalNumSgprs: 38
; NumVgprs: 140
; ScratchSize: 0
; MemoryBound: 0
; FloatMode: 240
; IeeeMode: 1
; LDSByteSize: 33792 bytes/workgroup (compile time only)
; SGPRBlocks: 0
; VGPRBlocks: 17
; NumSGPRsForWavesPerEU: 38
; NumVGPRsForWavesPerEU: 140
; Occupancy: 10
; WaveLimiterHint : 1
; COMPUTE_PGM_RSRC2:SCRATCH_EN: 0
; COMPUTE_PGM_RSRC2:USER_SGPR: 2
; COMPUTE_PGM_RSRC2:TRAP_HANDLER: 0
; COMPUTE_PGM_RSRC2:TGID_X_EN: 1
; COMPUTE_PGM_RSRC2:TGID_Y_EN: 1
; COMPUTE_PGM_RSRC2:TGID_Z_EN: 1
; COMPUTE_PGM_RSRC2:TIDIG_COMP_CNT: 2
	.section	.text._ZN2at6native18radixSortKVInPlaceILi2ELin1ELi256ELi8ElljEEvNS_4cuda6detail10TensorInfoIT3_T5_EES6_S6_S6_NS4_IT4_S6_EES6_b,"axG",@progbits,_ZN2at6native18radixSortKVInPlaceILi2ELin1ELi256ELi8ElljEEvNS_4cuda6detail10TensorInfoIT3_T5_EES6_S6_S6_NS4_IT4_S6_EES6_b,comdat
	.protected	_ZN2at6native18radixSortKVInPlaceILi2ELin1ELi256ELi8ElljEEvNS_4cuda6detail10TensorInfoIT3_T5_EES6_S6_S6_NS4_IT4_S6_EES6_b ; -- Begin function _ZN2at6native18radixSortKVInPlaceILi2ELin1ELi256ELi8ElljEEvNS_4cuda6detail10TensorInfoIT3_T5_EES6_S6_S6_NS4_IT4_S6_EES6_b
	.globl	_ZN2at6native18radixSortKVInPlaceILi2ELin1ELi256ELi8ElljEEvNS_4cuda6detail10TensorInfoIT3_T5_EES6_S6_S6_NS4_IT4_S6_EES6_b
	.p2align	8
	.type	_ZN2at6native18radixSortKVInPlaceILi2ELin1ELi256ELi8ElljEEvNS_4cuda6detail10TensorInfoIT3_T5_EES6_S6_S6_NS4_IT4_S6_EES6_b,@function
_ZN2at6native18radixSortKVInPlaceILi2ELin1ELi256ELi8ElljEEvNS_4cuda6detail10TensorInfoIT3_T5_EES6_S6_S6_NS4_IT4_S6_EES6_b: ; @_ZN2at6native18radixSortKVInPlaceILi2ELin1ELi256ELi8ElljEEvNS_4cuda6detail10TensorInfoIT3_T5_EES6_S6_S6_NS4_IT4_S6_EES6_b
; %bb.0:
	s_clause 0x1
	s_load_b64 s[2:3], s[0:1], 0x1c8
	s_load_b96 s[20:22], s[0:1], 0xd8
	s_lshr_b32 s4, ttmp7, 16
	s_wait_kmcnt 0x0
	s_mul_i32 s3, s3, s4
	s_and_b32 s4, ttmp7, 0xffff
	s_delay_alu instid0(SALU_CYCLE_1) | instskip(NEXT) | instid1(SALU_CYCLE_1)
	s_add_co_i32 s3, s3, s4
	s_mul_i32 s2, s3, s2
	s_delay_alu instid0(SALU_CYCLE_1) | instskip(NEXT) | instid1(SALU_CYCLE_1)
	s_add_co_i32 s2, s2, ttmp9
	s_cmp_ge_u32 s2, s20
	s_cbranch_scc1 .LBB146_110
; %bb.1:
	s_clause 0x2
	s_load_b32 s10, s[0:1], 0xc
	s_load_b64 s[4:5], s[0:1], 0x6c
	s_load_b32 s8, s[0:1], 0x1b8
	s_add_nc_u64 s[26:27], s[0:1], 0xe8
	s_mov_b32 s23, s2
	s_wait_kmcnt 0x0
	s_cvt_f32_u32 s3, s10
	s_delay_alu instid0(SALU_CYCLE_3) | instskip(NEXT) | instid1(TRANS32_DEP_1)
	v_rcp_iflag_f32_e32 v1, s3
	v_readfirstlane_b32 s3, v1
	s_mul_f32 s3, s3, 0x4f7ffffe
	s_wait_alu 0xfffe
	s_delay_alu instid0(SALU_CYCLE_2) | instskip(SKIP_2) | instid1(SALU_CYCLE_1)
	s_cvt_u32_f32 s6, s3
	s_sub_co_i32 s3, 0, s10
	s_wait_alu 0xfffe
	s_mul_i32 s7, s3, s6
	s_mov_b32 s3, 0
	s_mul_hi_u32 s9, s6, s7
	s_wait_alu 0xfffe
	s_mov_b32 s7, s3
	s_add_co_i32 s6, s6, s9
	s_cmp_lt_i32 s8, 2
	s_mov_b32 s25, s3
	s_cbranch_scc1 .LBB146_4
; %bb.2:
	s_add_co_i32 s24, s8, -1
	s_mov_b32 s25, 0
	s_add_co_i32 s11, s8, 1
	s_lshl_b64 s[12:13], s[24:25], 2
	s_mov_b32 s23, s2
	s_add_nc_u64 s[12:13], s[26:27], s[12:13]
	s_delay_alu instid0(SALU_CYCLE_1)
	s_add_nc_u64 s[8:9], s[12:13], 8
.LBB146_3:                              ; =>This Inner Loop Header: Depth=1
	s_clause 0x1
	s_load_b32 s12, s[8:9], 0x0
	s_load_b32 s13, s[8:9], 0x64
	s_mov_b32 s16, s23
	s_add_nc_u64 s[8:9], s[8:9], -4
	s_wait_kmcnt 0x0
	s_cvt_f32_u32 s14, s12
	s_sub_co_i32 s15, 0, s12
	s_wait_alu 0xfffe
	s_delay_alu instid0(SALU_CYCLE_1) | instskip(NEXT) | instid1(TRANS32_DEP_1)
	v_rcp_iflag_f32_e32 v1, s14
	v_readfirstlane_b32 s14, v1
	s_mul_f32 s14, s14, 0x4f7ffffe
	s_wait_alu 0xfffe
	s_delay_alu instid0(SALU_CYCLE_2) | instskip(SKIP_1) | instid1(SALU_CYCLE_2)
	s_cvt_u32_f32 s14, s14
	s_wait_alu 0xfffe
	s_mul_i32 s15, s15, s14
	s_wait_alu 0xfffe
	s_mul_hi_u32 s15, s14, s15
	s_wait_alu 0xfffe
	s_add_co_i32 s14, s14, s15
	s_wait_alu 0xfffe
	s_mul_hi_u32 s14, s23, s14
	s_wait_alu 0xfffe
	s_mul_i32 s15, s14, s12
	s_add_co_i32 s17, s14, 1
	s_wait_alu 0xfffe
	s_sub_co_i32 s15, s23, s15
	s_wait_alu 0xfffe
	s_sub_co_i32 s18, s15, s12
	s_cmp_ge_u32 s15, s12
	s_cselect_b32 s14, s17, s14
	s_cselect_b32 s15, s18, s15
	s_wait_alu 0xfffe
	s_add_co_i32 s17, s14, 1
	s_cmp_ge_u32 s15, s12
	s_cselect_b32 s23, s17, s14
	s_add_co_i32 s11, s11, -1
	s_mul_i32 s12, s23, s12
	s_delay_alu instid0(SALU_CYCLE_1) | instskip(NEXT) | instid1(SALU_CYCLE_1)
	s_sub_co_i32 s12, s16, s12
	s_mul_i32 s12, s13, s12
	s_delay_alu instid0(SALU_CYCLE_1)
	s_add_co_i32 s25, s12, s25
	s_cmp_gt_u32 s11, 2
	s_cbranch_scc1 .LBB146_3
.LBB146_4:
	s_mul_u64 s[6:7], s[2:3], s[6:7]
	s_clause 0x1
	s_load_b64 s[30:31], s[0:1], 0x0
	s_load_b64 s[28:29], s[0:1], 0x1c0
	s_mul_i32 s3, s7, s10
	s_add_nc_u64 s[36:37], s[0:1], 0x1c8
	s_wait_alu 0xfffe
	s_sub_co_i32 s0, s2, s3
	s_add_co_i32 s1, s7, 1
	s_sub_co_i32 s3, s0, s10
	s_cmp_ge_u32 s0, s10
	s_cselect_b32 s1, s1, s7
	s_wait_alu 0xfffe
	s_cselect_b32 s0, s3, s0
	s_add_co_i32 s3, s1, 1
	s_cmp_ge_u32 s0, s10
	s_wait_alu 0xfffe
	s_cselect_b32 s0, s3, s1
	s_mov_b32 s1, 0
	s_mul_i32 s3, s0, s10
	s_mul_i32 s0, s0, s4
	s_wait_alu 0xfffe
	s_sub_co_i32 s2, s2, s3
	s_wait_alu 0xfffe
	s_mul_i32 s2, s2, s5
	s_brev_b32 s5, 1
	s_wait_alu 0xfffe
	s_add_co_i32 s0, s0, s2
	s_wait_kmcnt 0x0
	s_bitcmp1_b32 s29, 0
	s_cselect_b32 s20, -1, 0
	s_lshl_b64 s[2:3], s[0:1], 3
	s_and_b32 s0, s20, exec_lo
	s_cselect_b32 s4, 0, -1
	s_cselect_b32 s5, s5, 0x7fffffff
	s_mov_b32 s6, s4
	s_mov_b32 s7, s5
	;; [unrolled: 1-line block ×14, first 2 shown]
	v_dual_mov_b32 v1, s4 :: v_dual_and_b32 v74, 0x3ff, v0
	v_mov_b32_e32 v18, s5
	v_dual_mov_b32 v2, s5 :: v_dual_mov_b32 v3, s6
	s_delay_alu instid0(VALU_DEP_3)
	v_mul_lo_u32 v72, s22, v74
	v_cmp_gt_u32_e64 s0, s21, v74
	v_dual_mov_b32 v4, s7 :: v_dual_mov_b32 v5, s8
	v_dual_mov_b32 v6, s9 :: v_dual_mov_b32 v7, s10
	;; [unrolled: 1-line block ×3, first 2 shown]
	s_wait_alu 0xfffe
	v_dual_mov_b32 v10, s13 :: v_dual_mov_b32 v11, s14
	v_dual_mov_b32 v12, s15 :: v_dual_mov_b32 v13, s16
	;; [unrolled: 1-line block ×4, first 2 shown]
	s_add_nc_u64 s[30:31], s[30:31], s[2:3]
	s_and_saveexec_b32 s1, s0
	s_cbranch_execz .LBB146_6
; %bb.5:
	v_mov_b32_e32 v73, 0
	s_delay_alu instid0(VALU_DEP_1) | instskip(NEXT) | instid1(VALU_DEP_1)
	v_lshlrev_b64_e32 v[1:2], 3, v[72:73]
	v_add_co_u32 v1, vcc_lo, s30, v1
	s_delay_alu instid0(VALU_DEP_1)
	v_add_co_ci_u32_e64 v2, null, s31, v2, vcc_lo
	global_load_b64 v[17:18], v[1:2], off
	v_dual_mov_b32 v1, s4 :: v_dual_mov_b32 v4, s7
	v_dual_mov_b32 v3, s6 :: v_dual_mov_b32 v6, s9
	;; [unrolled: 1-line block ×8, first 2 shown]
.LBB146_6:
	s_or_b32 exec_lo, exec_lo, s1
	v_add_nc_u32_e32 v31, 0x100, v74
	s_delay_alu instid0(VALU_DEP_1)
	v_cmp_gt_u32_e64 s1, s21, v31
	s_and_saveexec_b32 s2, s1
	s_cbranch_execz .LBB146_8
; %bb.7:
	v_mul_lo_u32 v1, s22, v31
	v_mov_b32_e32 v2, 0
	s_delay_alu instid0(VALU_DEP_1) | instskip(NEXT) | instid1(VALU_DEP_1)
	v_lshlrev_b64_e32 v[1:2], 3, v[1:2]
	v_add_co_u32 v1, vcc_lo, s30, v1
	s_wait_alu 0xfffd
	s_delay_alu instid0(VALU_DEP_2)
	v_add_co_ci_u32_e64 v2, null, s31, v2, vcc_lo
	global_load_b64 v[3:4], v[1:2], off
.LBB146_8:
	s_wait_alu 0xfffe
	s_or_b32 exec_lo, exec_lo, s2
	v_add_nc_u32_e32 v32, 0x200, v74
	s_delay_alu instid0(VALU_DEP_1)
	v_cmp_gt_u32_e64 s2, s21, v32
	s_and_saveexec_b32 s3, s2
	s_cbranch_execz .LBB146_10
; %bb.9:
	v_mul_lo_u32 v1, s22, v32
	v_mov_b32_e32 v2, 0
	s_delay_alu instid0(VALU_DEP_1) | instskip(NEXT) | instid1(VALU_DEP_1)
	v_lshlrev_b64_e32 v[1:2], 3, v[1:2]
	v_add_co_u32 v1, vcc_lo, s30, v1
	s_wait_alu 0xfffd
	s_delay_alu instid0(VALU_DEP_2)
	v_add_co_ci_u32_e64 v2, null, s31, v2, vcc_lo
	global_load_b64 v[5:6], v[1:2], off
.LBB146_10:
	s_wait_alu 0xfffe
	;; [unrolled: 18-line block ×3, first 2 shown]
	s_or_b32 exec_lo, exec_lo, s4
	v_or_b32_e32 v35, 0x400, v74
	s_delay_alu instid0(VALU_DEP_1)
	v_cmp_gt_u32_e64 s4, s21, v35
	s_and_saveexec_b32 s5, s4
	s_cbranch_execz .LBB146_14
; %bb.13:
	v_mul_lo_u32 v1, s22, v35
	v_mov_b32_e32 v2, 0
	s_delay_alu instid0(VALU_DEP_1) | instskip(NEXT) | instid1(VALU_DEP_1)
	v_lshlrev_b64_e32 v[1:2], 3, v[1:2]
	v_add_co_u32 v1, vcc_lo, s30, v1
	s_wait_alu 0xfffd
	s_delay_alu instid0(VALU_DEP_2)
	v_add_co_ci_u32_e64 v2, null, s31, v2, vcc_lo
	global_load_b64 v[9:10], v[1:2], off
.LBB146_14:
	s_wait_alu 0xfffe
	s_or_b32 exec_lo, exec_lo, s5
	v_add_nc_u32_e32 v36, 0x500, v74
	s_delay_alu instid0(VALU_DEP_1)
	v_cmp_gt_u32_e64 s5, s21, v36
	s_and_saveexec_b32 s6, s5
	s_cbranch_execz .LBB146_16
; %bb.15:
	v_mul_lo_u32 v1, s22, v36
	v_mov_b32_e32 v2, 0
	s_delay_alu instid0(VALU_DEP_1) | instskip(NEXT) | instid1(VALU_DEP_1)
	v_lshlrev_b64_e32 v[1:2], 3, v[1:2]
	v_add_co_u32 v1, vcc_lo, s30, v1
	s_wait_alu 0xfffd
	s_delay_alu instid0(VALU_DEP_2)
	v_add_co_ci_u32_e64 v2, null, s31, v2, vcc_lo
	global_load_b64 v[11:12], v[1:2], off
.LBB146_16:
	s_wait_alu 0xfffe
	s_or_b32 exec_lo, exec_lo, s6
	v_add_nc_u32_e32 v37, 0x600, v74
	s_delay_alu instid0(VALU_DEP_1)
	v_cmp_gt_u32_e64 s6, s21, v37
	s_and_saveexec_b32 s7, s6
	s_cbranch_execz .LBB146_18
; %bb.17:
	v_mul_lo_u32 v1, s22, v37
	v_mov_b32_e32 v2, 0
	s_delay_alu instid0(VALU_DEP_1) | instskip(NEXT) | instid1(VALU_DEP_1)
	v_lshlrev_b64_e32 v[1:2], 3, v[1:2]
	v_add_co_u32 v1, vcc_lo, s30, v1
	s_wait_alu 0xfffd
	s_delay_alu instid0(VALU_DEP_2)
	v_add_co_ci_u32_e64 v2, null, s31, v2, vcc_lo
	global_load_b64 v[13:14], v[1:2], off
.LBB146_18:
	s_wait_alu 0xfffe
	s_or_b32 exec_lo, exec_lo, s7
	s_clause 0x1
	s_load_b32 s10, s[26:27], 0x6c
	s_load_b64 s[8:9], s[26:27], 0x0
	v_add_nc_u32_e32 v38, 0x700, v74
	s_delay_alu instid0(VALU_DEP_1)
	v_cmp_gt_u32_e64 s7, s21, v38
	s_and_saveexec_b32 s11, s7
	s_cbranch_execz .LBB146_20
; %bb.19:
	v_mul_lo_u32 v1, s22, v38
	v_mov_b32_e32 v2, 0
	s_delay_alu instid0(VALU_DEP_1) | instskip(NEXT) | instid1(VALU_DEP_1)
	v_lshlrev_b64_e32 v[1:2], 3, v[1:2]
	v_add_co_u32 v1, vcc_lo, s30, v1
	s_wait_alu 0xfffd
	s_delay_alu instid0(VALU_DEP_2)
	v_add_co_ci_u32_e64 v2, null, s31, v2, vcc_lo
	global_load_b64 v[15:16], v[1:2], off
.LBB146_20:
	s_wait_alu 0xfffe
	s_or_b32 exec_lo, exec_lo, s11
	v_lshrrev_b32_e32 v2, 2, v32
	v_dual_mov_b32 v70, 0 :: v_dual_lshlrev_b32 v73, 3, v74
	v_lshrrev_b32_e32 v1, 2, v31
	v_lshrrev_b32_e32 v19, 2, v34
	s_delay_alu instid0(VALU_DEP_4)
	v_and_b32_e32 v2, 0x1f8, v2
	v_lshrrev_b32_e32 v33, 5, v74
	v_mov_b32_e32 v71, v70
	v_and_b32_e32 v1, 0x1f8, v1
	v_and_b32_e32 v19, 0x1f8, v19
	v_add_nc_u32_e32 v109, v2, v73
	v_lshrrev_b32_e32 v2, 2, v36
	v_lshl_add_u32 v107, v33, 3, v73
	v_add_nc_u32_e32 v108, v1, v73
	v_lshrrev_b32_e32 v1, 2, v35
	v_add_nc_u32_e32 v110, v19, v73
	v_dual_mov_b32 v21, v70 :: v_dual_and_b32 v2, 0x3f8, v2
	v_lshrrev_b32_e32 v19, 2, v37
	s_delay_alu instid0(VALU_DEP_4) | instskip(NEXT) | instid1(VALU_DEP_3)
	v_dual_mov_b32 v22, v70 :: v_dual_and_b32 v1, 0x1f8, v1
	v_dual_mov_b32 v27, 0 :: v_dual_add_nc_u32 v112, v2, v73
	v_mov_b32_e32 v28, 0
	s_wait_loadcnt 0x0
	ds_store_b64 v107, v[17:18]
	ds_store_b64 v108, v[3:4] offset:2048
	ds_store_b64 v109, v[5:6] offset:4096
	;; [unrolled: 1-line block ×3, first 2 shown]
	v_dual_mov_b32 v26, v70 :: v_dual_lshlrev_b32 v5, 1, v74
	v_lshrrev_b32_e32 v20, 2, v38
	v_dual_mov_b32 v30, v70 :: v_dual_add_nc_u32 v111, v1, v73
	s_delay_alu instid0(VALU_DEP_3) | instskip(SKIP_1) | instid1(VALU_DEP_4)
	v_and_b32_e32 v1, 0x7f8, v5
	v_dual_mov_b32 v24, v70 :: v_dual_and_b32 v3, 0x3f8, v19
	v_dual_mov_b32 v23, v70 :: v_dual_and_b32 v4, 0x3f8, v20
	s_delay_alu instid0(VALU_DEP_3) | instskip(NEXT) | instid1(VALU_DEP_3)
	v_lshl_add_u32 v115, v74, 6, v1
	v_add_nc_u32_e32 v113, v3, v73
	s_delay_alu instid0(VALU_DEP_3)
	v_dual_mov_b32 v25, v70 :: v_dual_add_nc_u32 v114, v4, v73
	ds_store_b64 v111, v[9:10] offset:8192
	ds_store_b64 v112, v[11:12] offset:10240
	;; [unrolled: 1-line block ×4, first 2 shown]
	s_wait_dscnt 0x0
	s_barrier_signal -1
	s_barrier_wait -1
	global_inv scope:SCOPE_SE
	ds_load_2addr_b64 v[13:16], v115 offset1:1
	ds_load_2addr_b64 v[9:12], v115 offset0:2 offset1:3
	ds_load_2addr_b64 v[5:8], v115 offset0:4 offset1:5
	;; [unrolled: 1-line block ×3, first 2 shown]
	s_wait_kmcnt 0x0
	s_mul_i32 s10, s10, s23
	v_mul_lo_u32 v69, s28, v74
	s_mov_b32 s11, 0
	s_wait_alu 0xfffe
	s_add_co_i32 s10, s10, s25
	v_dual_mov_b32 v17, v70 :: v_dual_mov_b32 v18, v70
	v_dual_mov_b32 v19, v70 :: v_dual_mov_b32 v20, v70
	v_mov_b32_e32 v29, v70
	s_wait_alu 0xfffe
	s_lshl_b64 s[10:11], s[10:11], 3
	s_wait_loadcnt_dscnt 0x0
	s_wait_alu 0xfffe
	s_add_nc_u64 s[34:35], s[8:9], s[10:11]
	s_barrier_signal -1
	s_barrier_wait -1
	global_inv scope:SCOPE_SE
	s_and_saveexec_b32 s8, s0
	s_cbranch_execnz .LBB146_56
; %bb.21:
	s_wait_alu 0xfffe
	s_or_b32 exec_lo, exec_lo, s8
	s_and_saveexec_b32 s8, s1
	s_cbranch_execnz .LBB146_57
.LBB146_22:
	s_wait_alu 0xfffe
	s_or_b32 exec_lo, exec_lo, s8
	s_and_saveexec_b32 s8, s2
	s_cbranch_execnz .LBB146_58
.LBB146_23:
	s_wait_alu 0xfffe
	s_or_b32 exec_lo, exec_lo, s8
	s_and_saveexec_b32 s8, s3
	s_cbranch_execnz .LBB146_59
.LBB146_24:
	s_wait_alu 0xfffe
	s_or_b32 exec_lo, exec_lo, s8
	s_and_saveexec_b32 s8, s4
	s_cbranch_execnz .LBB146_60
.LBB146_25:
	s_wait_alu 0xfffe
	s_or_b32 exec_lo, exec_lo, s8
	s_and_saveexec_b32 s8, s5
	s_cbranch_execnz .LBB146_61
.LBB146_26:
	s_wait_alu 0xfffe
	s_or_b32 exec_lo, exec_lo, s8
	s_and_saveexec_b32 s8, s6
	s_cbranch_execnz .LBB146_62
.LBB146_27:
	s_wait_alu 0xfffe
	s_or_b32 exec_lo, exec_lo, s8
	s_xor_b32 s8, s20, -1
	s_and_saveexec_b32 s9, s7
	s_cbranch_execz .LBB146_29
.LBB146_28:
	v_mul_lo_u32 v29, s28, v38
	v_mov_b32_e32 v30, 0
	s_delay_alu instid0(VALU_DEP_1) | instskip(NEXT) | instid1(VALU_DEP_1)
	v_lshlrev_b64_e32 v[29:30], 3, v[29:30]
	v_add_co_u32 v29, vcc_lo, s34, v29
	s_wait_alu 0xfffd
	s_delay_alu instid0(VALU_DEP_2)
	v_add_co_ci_u32_e64 v30, null, s35, v30, vcc_lo
	global_load_b64 v[29:30], v[29:30], off
.LBB146_29:
	s_wait_alu 0xfffe
	s_or_b32 exec_lo, exec_lo, s9
	s_wait_loadcnt 0x0
	ds_store_b64 v107, v[27:28]
	ds_store_b64 v108, v[70:71] offset:2048
	ds_store_b64 v109, v[17:18] offset:4096
	;; [unrolled: 1-line block ×7, first 2 shown]
	s_wait_dscnt 0x0
	s_barrier_signal -1
	s_barrier_wait -1
	global_inv scope:SCOPE_SE
	ds_load_2addr_b64 v[21:24], v115 offset1:1
	ds_load_2addr_b64 v[17:20], v115 offset0:2 offset1:3
	ds_load_2addr_b64 v[29:32], v115 offset0:4 offset1:5
	ds_load_2addr_b64 v[25:28], v115 offset0:6 offset1:7
	v_mbcnt_lo_u32_b32 v118, -1, 0
	v_and_b32_e32 v34, 0x3e0, v74
	v_and_b32_e32 v35, 0x1f00, v73
	s_and_b32 vcc_lo, exec_lo, s8
	v_bfe_u32 v124, v0, 10, 10
	v_bfe_u32 v125, v0, 20, 10
	v_or_b32_e32 v36, v118, v34
	v_or_b32_e32 v37, v118, v35
	v_lshlrev_b32_e32 v116, 2, v73
	v_and_b32_e32 v122, 15, v118
	v_and_b32_e32 v121, 16, v118
	v_lshlrev_b32_e32 v127, 6, v36
	v_lshlrev_b32_e32 v126, 3, v37
	v_min_u32_e32 v123, 0xe0, v34
	v_cmp_gt_u32_e64 s8, 8, v74
	v_cmp_lt_u32_e64 s9, 31, v74
	v_cmp_eq_u32_e64 s10, 0, v74
	v_lshlrev_b32_e32 v117, 2, v33
	v_mul_i32_i24_e32 v119, 0xffffffe4, v74
	v_and_b32_e32 v120, 7, v118
	v_lshlrev_b32_e32 v0, 3, v35
	s_mov_b32 s24, 0
	s_mov_b32 s11, -1
	s_wait_loadcnt_dscnt 0x0
	s_barrier_signal -1
	s_barrier_wait -1
	global_inv scope:SCOPE_SE
                                        ; implicit-def: $vgpr63_vgpr64
                                        ; implicit-def: $vgpr59_vgpr60
                                        ; implicit-def: $vgpr55_vgpr56
                                        ; implicit-def: $vgpr51_vgpr52
                                        ; implicit-def: $vgpr35_vgpr36
                                        ; implicit-def: $vgpr39_vgpr40
                                        ; implicit-def: $vgpr43_vgpr44
                                        ; implicit-def: $vgpr47_vgpr48
	s_wait_alu 0xfffe
	s_cbranch_vccz .LBB146_64
; %bb.30:
	v_xor_b32_e32 v34, 0x80000000, v14
	v_xor_b32_e32 v36, 0x80000000, v16
	v_mov_b32_e32 v33, v13
	v_dual_mov_b32 v35, v15 :: v_dual_mov_b32 v70, 0
	v_xor_b32_e32 v38, 0x80000000, v10
	v_xor_b32_e32 v40, 0x80000000, v12
	s_mov_b32 s25, s24
	s_mov_b32 s26, s24
	s_mov_b32 s27, s24
	v_mov_b32_e32 v37, v9
	v_mov_b32_e32 v39, v11
	v_xor_b32_e32 v42, 0x80000000, v6
	v_xor_b32_e32 v44, 0x80000000, v8
	v_dual_mov_b32 v41, v5 :: v_dual_add_nc_u32 v132, v116, v119
	v_mov_b32_e32 v43, v7
	v_xor_b32_e32 v46, 0x80000000, v2
	v_xor_b32_e32 v48, 0x80000000, v4
	v_mov_b32_e32 v45, v1
	v_mov_b32_e32 v47, v3
	ds_store_b128 v127, v[33:36]
	ds_store_b128 v127, v[37:40] offset:16
	ds_store_b128 v127, v[41:44] offset:32
	;; [unrolled: 1-line block ×3, first 2 shown]
	; wave barrier
	ds_load_2addr_b64 v[37:40], v126 offset1:32
	ds_load_2addr_b64 v[41:44], v126 offset0:64 offset1:96
	ds_load_2addr_b64 v[45:48], v126 offset0:128 offset1:160
	;; [unrolled: 1-line block ×3, first 2 shown]
	; wave barrier
	ds_store_b128 v127, v[21:24]
	ds_store_b128 v127, v[17:20] offset:16
	ds_store_b128 v127, v[29:32] offset:32
	;; [unrolled: 1-line block ×3, first 2 shown]
	; wave barrier
	ds_load_2addr_b64 v[49:52], v126 offset1:32
	ds_load_2addr_b64 v[53:56], v126 offset0:64 offset1:96
	ds_load_2addr_b64 v[57:60], v126 offset0:128 offset1:160
	;; [unrolled: 1-line block ×3, first 2 shown]
	s_wait_loadcnt_dscnt 0x0
	s_barrier_signal -1
	s_barrier_wait -1
	global_inv scope:SCOPE_SE
	s_load_b32 s11, s[36:37], 0xc
	s_getpc_b64 s[12:13]
	s_wait_alu 0xfffe
	s_sext_i32_i16 s13, s13
	s_add_co_u32 s12, s12, _ZN7rocprim17ROCPRIM_400000_NS16block_radix_sortIlLj256ELj8ElLj1ELj1ELj0ELNS0_26block_radix_rank_algorithmE1ELNS0_18block_padding_hintE2ELNS0_4arch9wavefront6targetE0EE19radix_bits_per_passE@rel32@lo+12
	s_wait_alu 0xfffe
	s_add_co_ci_u32 s13, s13, _ZN7rocprim17ROCPRIM_400000_NS16block_radix_sortIlLj256ELj8ElLj1ELj1ELj0ELNS0_26block_radix_rank_algorithmE1ELNS0_18block_padding_hintE2ELNS0_4arch9wavefront6targetE0EE19radix_bits_per_passE@rel32@hi+24
	v_cmp_lt_u32_e64 s15, 7, v122
	s_load_b32 s23, s[12:13], 0x0
	v_cmp_lt_u32_e64 s13, 1, v122
	v_cmp_eq_u32_e64 s16, 0, v121
	v_cmp_eq_u32_e64 s18, 0, v120
	v_cmp_lt_u32_e64 s19, 1, v120
	v_cmp_lt_u32_e64 s20, 3, v120
	v_add_nc_u32_e32 v129, -4, v117
	v_lshl_add_u32 v130, v118, 3, v0
	v_mov_b32_e32 v71, 0
	s_wait_kmcnt 0x0
	s_lshr_b32 s14, s11, 16
	s_and_b32 s12, s11, 0xffff
	s_wait_alu 0xfffe
	v_mad_u32_u24 v33, v125, s14, v124
	v_sub_co_u32 v35, s11, v118, 1
	v_cmp_lt_u32_e64 s14, 3, v122
	s_delay_alu instid0(VALU_DEP_3) | instskip(NEXT) | instid1(VALU_DEP_3)
	v_mad_co_u64_u32 v[33:34], null, v33, s12, v[74:75]
	v_cmp_gt_i32_e32 vcc_lo, 0, v35
	v_or_b32_e32 v34, 31, v123
	v_cmp_eq_u32_e64 s12, 0, v122
	s_wait_alu 0xfffd
	v_cndmask_b32_e32 v35, v35, v118, vcc_lo
	v_lshrrev_b32_e32 v33, 3, v33
	v_cmp_eq_u32_e64 s17, v74, v34
	s_delay_alu instid0(VALU_DEP_3) | instskip(NEXT) | instid1(VALU_DEP_3)
	v_lshlrev_b32_e32 v128, 2, v35
	v_dual_mov_b32 v36, s27 :: v_dual_and_b32 v131, 0x1ffffffc, v33
	v_dual_mov_b32 v35, s26 :: v_dual_mov_b32 v34, s25
	v_mov_b32_e32 v33, s24
	s_mov_b32 s24, 64
	s_branch .LBB146_32
.LBB146_31:                             ;   in Loop: Header=BB146_32 Depth=1
	s_wait_alu 0xfffe
	s_and_not1_b32 vcc_lo, exec_lo, s21
	s_wait_alu 0xfffe
	s_cbranch_vccz .LBB146_63
.LBB146_32:                             ; =>This Inner Loop Header: Depth=1
	v_dual_mov_b32 v76, v38 :: v_dual_mov_b32 v75, v37
	s_wait_alu 0xfffe
	s_min_u32 s21, s23, s24
	v_mov_b32_e32 v78, v68
	s_wait_alu 0xfffe
	s_lshl_b32 s21, -1, s21
	v_mov_b32_e32 v80, v66
	v_lshrrev_b64 v[37:38], v70, v[75:76]
	s_wait_alu 0xfffe
	s_not_b32 s25, s21
	v_mov_b32_e32 v79, v65
	ds_store_b128 v116, v[33:36] offset:32
	ds_store_b128 v116, v[33:36] offset:48
	s_wait_loadcnt_dscnt 0x0
	s_wait_alu 0xfffe
	v_dual_mov_b32 v77, v67 :: v_dual_and_b32 v38, s25, v37
	v_dual_mov_b32 v82, v48 :: v_dual_mov_b32 v81, v47
	s_barrier_signal -1
	s_delay_alu instid0(VALU_DEP_2) | instskip(SKIP_3) | instid1(VALU_DEP_3)
	v_dual_mov_b32 v100, v46 :: v_dual_lshlrev_b32 v47, 30, v38
	v_and_b32_e32 v37, 1, v38
	v_dual_mov_b32 v99, v45 :: v_dual_lshlrev_b32 v48, 29, v38
	v_dual_mov_b32 v102, v44 :: v_dual_lshlrev_b32 v65, 28, v38
	v_add_co_u32 v37, s21, v37, -1
	s_wait_alu 0xf1ff
	v_cndmask_b32_e64 v66, 0, 1, s21
	v_not_b32_e32 v84, v47
	v_cmp_gt_i32_e64 s21, 0, v47
	v_not_b32_e32 v47, v48
	v_dual_mov_b32 v104, v42 :: v_dual_lshlrev_b32 v67, 27, v38
	v_cmp_ne_u32_e32 vcc_lo, 0, v66
	v_ashrrev_i32_e32 v84, 31, v84
	s_delay_alu instid0(VALU_DEP_4)
	v_ashrrev_i32_e32 v47, 31, v47
	v_dual_mov_b32 v101, v43 :: v_dual_lshlrev_b32 v68, 26, v38
	s_wait_alu 0xfffd
	v_xor_b32_e32 v37, vcc_lo, v37
	v_cmp_gt_i32_e32 vcc_lo, 0, v48
	v_not_b32_e32 v48, v65
	s_wait_alu 0xf1ff
	v_xor_b32_e32 v84, s21, v84
	v_cmp_gt_i32_e64 s21, 0, v65
	v_and_b32_e32 v37, exec_lo, v37
	v_not_b32_e32 v65, v67
	v_ashrrev_i32_e32 v48, 31, v48
	s_wait_alu 0xfffd
	v_xor_b32_e32 v47, vcc_lo, v47
	v_dual_mov_b32 v106, v40 :: v_dual_lshlrev_b32 v83, 25, v38
	v_dual_mov_b32 v86, v62 :: v_dual_and_b32 v37, v37, v84
	v_cmp_gt_i32_e32 vcc_lo, 0, v67
	v_not_b32_e32 v67, v68
	v_ashrrev_i32_e32 v65, 31, v65
	s_wait_alu 0xf1ff
	v_xor_b32_e32 v48, s21, v48
	v_dual_mov_b32 v88, v60 :: v_dual_and_b32 v37, v37, v47
	v_dual_mov_b32 v103, v41 :: v_dual_lshlrev_b32 v66, 24, v38
	v_cmp_gt_i32_e64 s21, 0, v68
	v_not_b32_e32 v47, v83
	v_ashrrev_i32_e32 v67, 31, v67
	s_wait_alu 0xfffd
	v_xor_b32_e32 v65, vcc_lo, v65
	v_dual_mov_b32 v90, v58 :: v_dual_and_b32 v37, v37, v48
	v_cmp_gt_i32_e32 vcc_lo, 0, v83
	v_not_b32_e32 v48, v66
	v_ashrrev_i32_e32 v47, 31, v47
	s_wait_alu 0xf1ff
	v_xor_b32_e32 v67, s21, v67
	v_dual_mov_b32 v92, v56 :: v_dual_and_b32 v37, v37, v65
	v_cmp_gt_i32_e64 s21, 0, v66
	v_ashrrev_i32_e32 v45, 31, v48
	s_wait_alu 0xfffd
	v_xor_b32_e32 v46, vcc_lo, v47
	v_dual_mov_b32 v94, v54 :: v_dual_and_b32 v37, v37, v67
	v_dual_mov_b32 v105, v39 :: v_dual_mov_b32 v96, v52
	s_wait_alu 0xf1ff
	v_xor_b32_e32 v39, s21, v45
	s_delay_alu instid0(VALU_DEP_3) | instskip(SKIP_2) | instid1(VALU_DEP_3)
	v_dual_mov_b32 v98, v50 :: v_dual_and_b32 v37, v37, v46
	v_dual_mov_b32 v84, v64 :: v_dual_mov_b32 v83, v63
	v_lshlrev_b32_e32 v38, 5, v38
	v_and_b32_e32 v37, v37, v39
	v_mov_b32_e32 v85, v61
	v_mov_b32_e32 v87, v59
	;; [unrolled: 1-line block ×4, first 2 shown]
	v_mbcnt_lo_u32_b32 v45, v37, 0
	v_cmp_ne_u32_e64 s21, 0, v37
	v_mov_b32_e32 v93, v53
	v_mov_b32_e32 v95, v51
	;; [unrolled: 1-line block ×3, first 2 shown]
	v_cmp_eq_u32_e32 vcc_lo, 0, v45
	v_add_nc_u32_e32 v46, v131, v38
	s_barrier_wait -1
	global_inv scope:SCOPE_SE
	s_and_b32 s26, s21, vcc_lo
	; wave barrier
	s_wait_alu 0xfffe
	s_and_saveexec_b32 s21, s26
; %bb.33:                               ;   in Loop: Header=BB146_32 Depth=1
	v_bcnt_u32_b32 v37, v37, 0
	ds_store_b32 v46, v37 offset:32
; %bb.34:                               ;   in Loop: Header=BB146_32 Depth=1
	s_wait_alu 0xfffe
	s_or_b32 exec_lo, exec_lo, s21
	v_lshrrev_b64 v[37:38], v70, v[105:106]
	; wave barrier
	s_delay_alu instid0(VALU_DEP_1) | instskip(NEXT) | instid1(VALU_DEP_1)
	v_and_b32_e32 v37, s25, v37
	v_and_b32_e32 v38, 1, v37
	v_lshlrev_b32_e32 v39, 30, v37
	v_lshlrev_b32_e32 v40, 29, v37
	;; [unrolled: 1-line block ×4, first 2 shown]
	v_add_co_u32 v38, s21, v38, -1
	s_wait_alu 0xf1ff
	v_cndmask_b32_e64 v42, 0, 1, s21
	v_not_b32_e32 v48, v39
	v_cmp_gt_i32_e64 s21, 0, v39
	v_not_b32_e32 v39, v40
	v_lshlrev_b32_e32 v44, 26, v37
	v_cmp_ne_u32_e32 vcc_lo, 0, v42
	v_ashrrev_i32_e32 v48, 31, v48
	v_lshlrev_b32_e32 v47, 25, v37
	v_ashrrev_i32_e32 v39, 31, v39
	v_lshlrev_b32_e32 v42, 24, v37
	s_wait_alu 0xfffd
	v_xor_b32_e32 v38, vcc_lo, v38
	v_cmp_gt_i32_e32 vcc_lo, 0, v40
	v_not_b32_e32 v40, v41
	s_wait_alu 0xf1ff
	v_xor_b32_e32 v48, s21, v48
	v_cmp_gt_i32_e64 s21, 0, v41
	v_and_b32_e32 v38, exec_lo, v38
	v_not_b32_e32 v41, v43
	v_ashrrev_i32_e32 v40, 31, v40
	s_wait_alu 0xfffd
	v_xor_b32_e32 v39, vcc_lo, v39
	v_cmp_gt_i32_e32 vcc_lo, 0, v43
	v_and_b32_e32 v38, v38, v48
	v_not_b32_e32 v43, v44
	v_ashrrev_i32_e32 v41, 31, v41
	s_wait_alu 0xf1ff
	v_xor_b32_e32 v40, s21, v40
	v_cmp_gt_i32_e64 s21, 0, v44
	v_and_b32_e32 v38, v38, v39
	v_not_b32_e32 v39, v47
	v_ashrrev_i32_e32 v43, 31, v43
	s_wait_alu 0xfffd
	v_xor_b32_e32 v41, vcc_lo, v41
	v_cmp_gt_i32_e32 vcc_lo, 0, v47
	v_and_b32_e32 v38, v38, v40
	v_not_b32_e32 v40, v42
	v_ashrrev_i32_e32 v39, 31, v39
	s_wait_alu 0xf1ff
	v_xor_b32_e32 v43, s21, v43
	v_lshlrev_b32_e32 v37, 5, v37
	v_and_b32_e32 v38, v38, v41
	v_cmp_gt_i32_e64 s21, 0, v42
	v_ashrrev_i32_e32 v40, 31, v40
	s_wait_alu 0xfffd
	v_xor_b32_e32 v39, vcc_lo, v39
	v_add_nc_u32_e32 v49, v131, v37
	v_and_b32_e32 v38, v38, v43
	s_wait_alu 0xf1ff
	v_xor_b32_e32 v37, s21, v40
	ds_load_b32 v47, v49 offset:32
	v_and_b32_e32 v38, v38, v39
	; wave barrier
	s_delay_alu instid0(VALU_DEP_1) | instskip(NEXT) | instid1(VALU_DEP_1)
	v_and_b32_e32 v37, v38, v37
	v_mbcnt_lo_u32_b32 v48, v37, 0
	v_cmp_ne_u32_e64 s21, 0, v37
	s_delay_alu instid0(VALU_DEP_2)
	v_cmp_eq_u32_e32 vcc_lo, 0, v48
	s_and_b32 s26, s21, vcc_lo
	s_wait_alu 0xfffe
	s_and_saveexec_b32 s21, s26
	s_cbranch_execz .LBB146_36
; %bb.35:                               ;   in Loop: Header=BB146_32 Depth=1
	s_wait_dscnt 0x0
	v_bcnt_u32_b32 v37, v37, v47
	ds_store_b32 v49, v37 offset:32
.LBB146_36:                             ;   in Loop: Header=BB146_32 Depth=1
	s_wait_alu 0xfffe
	s_or_b32 exec_lo, exec_lo, s21
	v_lshrrev_b64 v[37:38], v70, v[103:104]
	; wave barrier
	s_delay_alu instid0(VALU_DEP_1) | instskip(NEXT) | instid1(VALU_DEP_1)
	v_and_b32_e32 v37, s25, v37
	v_and_b32_e32 v38, 1, v37
	v_lshlrev_b32_e32 v39, 30, v37
	v_lshlrev_b32_e32 v40, 29, v37
	;; [unrolled: 1-line block ×4, first 2 shown]
	v_add_co_u32 v38, s21, v38, -1
	s_wait_alu 0xf1ff
	v_cndmask_b32_e64 v42, 0, 1, s21
	v_not_b32_e32 v51, v39
	v_cmp_gt_i32_e64 s21, 0, v39
	v_not_b32_e32 v39, v40
	v_lshlrev_b32_e32 v44, 26, v37
	v_cmp_ne_u32_e32 vcc_lo, 0, v42
	v_ashrrev_i32_e32 v51, 31, v51
	v_lshlrev_b32_e32 v50, 25, v37
	v_ashrrev_i32_e32 v39, 31, v39
	v_lshlrev_b32_e32 v42, 24, v37
	s_wait_alu 0xfffd
	v_xor_b32_e32 v38, vcc_lo, v38
	v_cmp_gt_i32_e32 vcc_lo, 0, v40
	v_not_b32_e32 v40, v41
	s_wait_alu 0xf1ff
	v_xor_b32_e32 v51, s21, v51
	v_cmp_gt_i32_e64 s21, 0, v41
	v_and_b32_e32 v38, exec_lo, v38
	v_not_b32_e32 v41, v43
	v_ashrrev_i32_e32 v40, 31, v40
	s_wait_alu 0xfffd
	v_xor_b32_e32 v39, vcc_lo, v39
	v_cmp_gt_i32_e32 vcc_lo, 0, v43
	v_and_b32_e32 v38, v38, v51
	v_not_b32_e32 v43, v44
	v_ashrrev_i32_e32 v41, 31, v41
	s_wait_alu 0xf1ff
	v_xor_b32_e32 v40, s21, v40
	v_cmp_gt_i32_e64 s21, 0, v44
	v_and_b32_e32 v38, v38, v39
	v_not_b32_e32 v39, v50
	v_ashrrev_i32_e32 v43, 31, v43
	s_wait_alu 0xfffd
	v_xor_b32_e32 v41, vcc_lo, v41
	v_cmp_gt_i32_e32 vcc_lo, 0, v50
	v_and_b32_e32 v38, v38, v40
	v_not_b32_e32 v40, v42
	v_ashrrev_i32_e32 v39, 31, v39
	s_wait_alu 0xf1ff
	v_xor_b32_e32 v43, s21, v43
	v_lshlrev_b32_e32 v37, 5, v37
	v_and_b32_e32 v38, v38, v41
	v_cmp_gt_i32_e64 s21, 0, v42
	v_ashrrev_i32_e32 v40, 31, v40
	s_wait_alu 0xfffd
	v_xor_b32_e32 v39, vcc_lo, v39
	v_add_nc_u32_e32 v52, v131, v37
	v_and_b32_e32 v38, v38, v43
	s_wait_alu 0xf1ff
	v_xor_b32_e32 v37, s21, v40
	ds_load_b32 v50, v52 offset:32
	v_and_b32_e32 v38, v38, v39
	; wave barrier
	s_delay_alu instid0(VALU_DEP_1) | instskip(NEXT) | instid1(VALU_DEP_1)
	v_and_b32_e32 v37, v38, v37
	v_mbcnt_lo_u32_b32 v51, v37, 0
	v_cmp_ne_u32_e64 s21, 0, v37
	s_delay_alu instid0(VALU_DEP_2)
	v_cmp_eq_u32_e32 vcc_lo, 0, v51
	s_and_b32 s26, s21, vcc_lo
	s_wait_alu 0xfffe
	s_and_saveexec_b32 s21, s26
	s_cbranch_execz .LBB146_38
; %bb.37:                               ;   in Loop: Header=BB146_32 Depth=1
	s_wait_dscnt 0x0
	v_bcnt_u32_b32 v37, v37, v50
	ds_store_b32 v52, v37 offset:32
.LBB146_38:                             ;   in Loop: Header=BB146_32 Depth=1
	s_wait_alu 0xfffe
	s_or_b32 exec_lo, exec_lo, s21
	v_lshrrev_b64 v[37:38], v70, v[101:102]
	; wave barrier
	s_delay_alu instid0(VALU_DEP_1) | instskip(NEXT) | instid1(VALU_DEP_1)
	v_and_b32_e32 v37, s25, v37
	v_and_b32_e32 v38, 1, v37
	v_lshlrev_b32_e32 v39, 30, v37
	v_lshlrev_b32_e32 v40, 29, v37
	;; [unrolled: 1-line block ×4, first 2 shown]
	v_add_co_u32 v38, s21, v38, -1
	s_wait_alu 0xf1ff
	v_cndmask_b32_e64 v42, 0, 1, s21
	v_not_b32_e32 v54, v39
	v_cmp_gt_i32_e64 s21, 0, v39
	v_not_b32_e32 v39, v40
	v_lshlrev_b32_e32 v44, 26, v37
	v_cmp_ne_u32_e32 vcc_lo, 0, v42
	v_ashrrev_i32_e32 v54, 31, v54
	v_lshlrev_b32_e32 v53, 25, v37
	v_ashrrev_i32_e32 v39, 31, v39
	v_lshlrev_b32_e32 v42, 24, v37
	s_wait_alu 0xfffd
	v_xor_b32_e32 v38, vcc_lo, v38
	v_cmp_gt_i32_e32 vcc_lo, 0, v40
	v_not_b32_e32 v40, v41
	s_wait_alu 0xf1ff
	v_xor_b32_e32 v54, s21, v54
	v_cmp_gt_i32_e64 s21, 0, v41
	v_and_b32_e32 v38, exec_lo, v38
	v_not_b32_e32 v41, v43
	v_ashrrev_i32_e32 v40, 31, v40
	s_wait_alu 0xfffd
	v_xor_b32_e32 v39, vcc_lo, v39
	v_cmp_gt_i32_e32 vcc_lo, 0, v43
	v_and_b32_e32 v38, v38, v54
	v_not_b32_e32 v43, v44
	v_ashrrev_i32_e32 v41, 31, v41
	s_wait_alu 0xf1ff
	v_xor_b32_e32 v40, s21, v40
	v_cmp_gt_i32_e64 s21, 0, v44
	v_and_b32_e32 v38, v38, v39
	v_not_b32_e32 v39, v53
	v_ashrrev_i32_e32 v43, 31, v43
	s_wait_alu 0xfffd
	v_xor_b32_e32 v41, vcc_lo, v41
	v_cmp_gt_i32_e32 vcc_lo, 0, v53
	v_and_b32_e32 v38, v38, v40
	v_not_b32_e32 v40, v42
	v_ashrrev_i32_e32 v39, 31, v39
	s_wait_alu 0xf1ff
	v_xor_b32_e32 v43, s21, v43
	v_lshlrev_b32_e32 v37, 5, v37
	v_and_b32_e32 v38, v38, v41
	v_cmp_gt_i32_e64 s21, 0, v42
	v_ashrrev_i32_e32 v40, 31, v40
	s_wait_alu 0xfffd
	v_xor_b32_e32 v39, vcc_lo, v39
	v_add_nc_u32_e32 v55, v131, v37
	v_and_b32_e32 v38, v38, v43
	s_wait_alu 0xf1ff
	v_xor_b32_e32 v37, s21, v40
	ds_load_b32 v53, v55 offset:32
	v_and_b32_e32 v38, v38, v39
	; wave barrier
	s_delay_alu instid0(VALU_DEP_1) | instskip(NEXT) | instid1(VALU_DEP_1)
	v_and_b32_e32 v37, v38, v37
	v_mbcnt_lo_u32_b32 v54, v37, 0
	v_cmp_ne_u32_e64 s21, 0, v37
	s_delay_alu instid0(VALU_DEP_2)
	v_cmp_eq_u32_e32 vcc_lo, 0, v54
	s_and_b32 s26, s21, vcc_lo
	s_wait_alu 0xfffe
	s_and_saveexec_b32 s21, s26
	s_cbranch_execz .LBB146_40
; %bb.39:                               ;   in Loop: Header=BB146_32 Depth=1
	s_wait_dscnt 0x0
	v_bcnt_u32_b32 v37, v37, v53
	ds_store_b32 v55, v37 offset:32
.LBB146_40:                             ;   in Loop: Header=BB146_32 Depth=1
	s_wait_alu 0xfffe
	s_or_b32 exec_lo, exec_lo, s21
	v_lshrrev_b64 v[37:38], v70, v[99:100]
	; wave barrier
	s_delay_alu instid0(VALU_DEP_1) | instskip(NEXT) | instid1(VALU_DEP_1)
	v_and_b32_e32 v37, s25, v37
	v_and_b32_e32 v38, 1, v37
	v_lshlrev_b32_e32 v39, 30, v37
	v_lshlrev_b32_e32 v40, 29, v37
	;; [unrolled: 1-line block ×4, first 2 shown]
	v_add_co_u32 v38, s21, v38, -1
	s_wait_alu 0xf1ff
	v_cndmask_b32_e64 v42, 0, 1, s21
	v_not_b32_e32 v57, v39
	v_cmp_gt_i32_e64 s21, 0, v39
	v_not_b32_e32 v39, v40
	v_lshlrev_b32_e32 v44, 26, v37
	v_cmp_ne_u32_e32 vcc_lo, 0, v42
	v_ashrrev_i32_e32 v57, 31, v57
	v_lshlrev_b32_e32 v56, 25, v37
	v_ashrrev_i32_e32 v39, 31, v39
	v_lshlrev_b32_e32 v42, 24, v37
	s_wait_alu 0xfffd
	v_xor_b32_e32 v38, vcc_lo, v38
	v_cmp_gt_i32_e32 vcc_lo, 0, v40
	v_not_b32_e32 v40, v41
	s_wait_alu 0xf1ff
	v_xor_b32_e32 v57, s21, v57
	v_cmp_gt_i32_e64 s21, 0, v41
	v_and_b32_e32 v38, exec_lo, v38
	v_not_b32_e32 v41, v43
	v_ashrrev_i32_e32 v40, 31, v40
	s_wait_alu 0xfffd
	v_xor_b32_e32 v39, vcc_lo, v39
	v_cmp_gt_i32_e32 vcc_lo, 0, v43
	v_and_b32_e32 v38, v38, v57
	v_not_b32_e32 v43, v44
	v_ashrrev_i32_e32 v41, 31, v41
	s_wait_alu 0xf1ff
	v_xor_b32_e32 v40, s21, v40
	v_cmp_gt_i32_e64 s21, 0, v44
	v_and_b32_e32 v38, v38, v39
	v_not_b32_e32 v39, v56
	v_ashrrev_i32_e32 v43, 31, v43
	s_wait_alu 0xfffd
	v_xor_b32_e32 v41, vcc_lo, v41
	v_cmp_gt_i32_e32 vcc_lo, 0, v56
	v_and_b32_e32 v38, v38, v40
	v_not_b32_e32 v40, v42
	v_ashrrev_i32_e32 v39, 31, v39
	s_wait_alu 0xf1ff
	v_xor_b32_e32 v43, s21, v43
	v_lshlrev_b32_e32 v37, 5, v37
	v_and_b32_e32 v38, v38, v41
	v_cmp_gt_i32_e64 s21, 0, v42
	v_ashrrev_i32_e32 v40, 31, v40
	s_wait_alu 0xfffd
	v_xor_b32_e32 v39, vcc_lo, v39
	v_add_nc_u32_e32 v58, v131, v37
	v_and_b32_e32 v38, v38, v43
	s_wait_alu 0xf1ff
	v_xor_b32_e32 v37, s21, v40
	ds_load_b32 v56, v58 offset:32
	v_and_b32_e32 v38, v38, v39
	; wave barrier
	s_delay_alu instid0(VALU_DEP_1) | instskip(NEXT) | instid1(VALU_DEP_1)
	v_and_b32_e32 v37, v38, v37
	v_mbcnt_lo_u32_b32 v57, v37, 0
	v_cmp_ne_u32_e64 s21, 0, v37
	s_delay_alu instid0(VALU_DEP_2)
	v_cmp_eq_u32_e32 vcc_lo, 0, v57
	s_and_b32 s26, s21, vcc_lo
	s_wait_alu 0xfffe
	s_and_saveexec_b32 s21, s26
	s_cbranch_execz .LBB146_42
; %bb.41:                               ;   in Loop: Header=BB146_32 Depth=1
	s_wait_dscnt 0x0
	v_bcnt_u32_b32 v37, v37, v56
	ds_store_b32 v58, v37 offset:32
.LBB146_42:                             ;   in Loop: Header=BB146_32 Depth=1
	s_wait_alu 0xfffe
	s_or_b32 exec_lo, exec_lo, s21
	v_lshrrev_b64 v[37:38], v70, v[81:82]
	; wave barrier
	s_delay_alu instid0(VALU_DEP_1) | instskip(NEXT) | instid1(VALU_DEP_1)
	v_and_b32_e32 v37, s25, v37
	v_and_b32_e32 v38, 1, v37
	v_lshlrev_b32_e32 v39, 30, v37
	v_lshlrev_b32_e32 v40, 29, v37
	;; [unrolled: 1-line block ×4, first 2 shown]
	v_add_co_u32 v38, s21, v38, -1
	s_wait_alu 0xf1ff
	v_cndmask_b32_e64 v42, 0, 1, s21
	v_not_b32_e32 v60, v39
	v_cmp_gt_i32_e64 s21, 0, v39
	v_not_b32_e32 v39, v40
	v_lshlrev_b32_e32 v44, 26, v37
	v_cmp_ne_u32_e32 vcc_lo, 0, v42
	v_ashrrev_i32_e32 v60, 31, v60
	v_lshlrev_b32_e32 v59, 25, v37
	v_ashrrev_i32_e32 v39, 31, v39
	v_lshlrev_b32_e32 v42, 24, v37
	s_wait_alu 0xfffd
	v_xor_b32_e32 v38, vcc_lo, v38
	v_cmp_gt_i32_e32 vcc_lo, 0, v40
	v_not_b32_e32 v40, v41
	s_wait_alu 0xf1ff
	v_xor_b32_e32 v60, s21, v60
	v_cmp_gt_i32_e64 s21, 0, v41
	v_and_b32_e32 v38, exec_lo, v38
	v_not_b32_e32 v41, v43
	v_ashrrev_i32_e32 v40, 31, v40
	s_wait_alu 0xfffd
	v_xor_b32_e32 v39, vcc_lo, v39
	v_cmp_gt_i32_e32 vcc_lo, 0, v43
	v_and_b32_e32 v38, v38, v60
	v_not_b32_e32 v43, v44
	v_ashrrev_i32_e32 v41, 31, v41
	s_wait_alu 0xf1ff
	v_xor_b32_e32 v40, s21, v40
	v_cmp_gt_i32_e64 s21, 0, v44
	v_and_b32_e32 v38, v38, v39
	v_not_b32_e32 v39, v59
	v_ashrrev_i32_e32 v43, 31, v43
	s_wait_alu 0xfffd
	v_xor_b32_e32 v41, vcc_lo, v41
	v_cmp_gt_i32_e32 vcc_lo, 0, v59
	v_and_b32_e32 v38, v38, v40
	v_not_b32_e32 v40, v42
	v_ashrrev_i32_e32 v39, 31, v39
	s_wait_alu 0xf1ff
	v_xor_b32_e32 v43, s21, v43
	v_lshlrev_b32_e32 v37, 5, v37
	v_and_b32_e32 v38, v38, v41
	v_cmp_gt_i32_e64 s21, 0, v42
	v_ashrrev_i32_e32 v40, 31, v40
	s_wait_alu 0xfffd
	v_xor_b32_e32 v39, vcc_lo, v39
	v_add_nc_u32_e32 v61, v131, v37
	v_and_b32_e32 v38, v38, v43
	s_wait_alu 0xf1ff
	v_xor_b32_e32 v37, s21, v40
	ds_load_b32 v59, v61 offset:32
	v_and_b32_e32 v38, v38, v39
	; wave barrier
	s_delay_alu instid0(VALU_DEP_1) | instskip(NEXT) | instid1(VALU_DEP_1)
	v_and_b32_e32 v37, v38, v37
	v_mbcnt_lo_u32_b32 v60, v37, 0
	v_cmp_ne_u32_e64 s21, 0, v37
	s_delay_alu instid0(VALU_DEP_2)
	v_cmp_eq_u32_e32 vcc_lo, 0, v60
	s_and_b32 s26, s21, vcc_lo
	s_wait_alu 0xfffe
	s_and_saveexec_b32 s21, s26
	s_cbranch_execz .LBB146_44
; %bb.43:                               ;   in Loop: Header=BB146_32 Depth=1
	s_wait_dscnt 0x0
	v_bcnt_u32_b32 v37, v37, v59
	ds_store_b32 v61, v37 offset:32
.LBB146_44:                             ;   in Loop: Header=BB146_32 Depth=1
	s_wait_alu 0xfffe
	s_or_b32 exec_lo, exec_lo, s21
	v_lshrrev_b64 v[37:38], v70, v[79:80]
	; wave barrier
	s_delay_alu instid0(VALU_DEP_1) | instskip(NEXT) | instid1(VALU_DEP_1)
	v_and_b32_e32 v37, s25, v37
	v_and_b32_e32 v38, 1, v37
	v_lshlrev_b32_e32 v39, 30, v37
	v_lshlrev_b32_e32 v40, 29, v37
	;; [unrolled: 1-line block ×4, first 2 shown]
	v_add_co_u32 v38, s21, v38, -1
	s_wait_alu 0xf1ff
	v_cndmask_b32_e64 v42, 0, 1, s21
	v_not_b32_e32 v63, v39
	v_cmp_gt_i32_e64 s21, 0, v39
	v_not_b32_e32 v39, v40
	v_lshlrev_b32_e32 v44, 26, v37
	v_cmp_ne_u32_e32 vcc_lo, 0, v42
	v_ashrrev_i32_e32 v63, 31, v63
	v_lshlrev_b32_e32 v62, 25, v37
	v_ashrrev_i32_e32 v39, 31, v39
	v_lshlrev_b32_e32 v42, 24, v37
	s_wait_alu 0xfffd
	v_xor_b32_e32 v38, vcc_lo, v38
	v_cmp_gt_i32_e32 vcc_lo, 0, v40
	v_not_b32_e32 v40, v41
	s_wait_alu 0xf1ff
	v_xor_b32_e32 v63, s21, v63
	v_cmp_gt_i32_e64 s21, 0, v41
	v_and_b32_e32 v38, exec_lo, v38
	v_not_b32_e32 v41, v43
	v_ashrrev_i32_e32 v40, 31, v40
	s_wait_alu 0xfffd
	v_xor_b32_e32 v39, vcc_lo, v39
	v_cmp_gt_i32_e32 vcc_lo, 0, v43
	v_and_b32_e32 v38, v38, v63
	v_not_b32_e32 v43, v44
	v_ashrrev_i32_e32 v41, 31, v41
	s_wait_alu 0xf1ff
	v_xor_b32_e32 v40, s21, v40
	v_cmp_gt_i32_e64 s21, 0, v44
	v_and_b32_e32 v38, v38, v39
	v_not_b32_e32 v39, v62
	v_ashrrev_i32_e32 v43, 31, v43
	s_wait_alu 0xfffd
	v_xor_b32_e32 v41, vcc_lo, v41
	v_cmp_gt_i32_e32 vcc_lo, 0, v62
	v_and_b32_e32 v38, v38, v40
	v_not_b32_e32 v40, v42
	v_ashrrev_i32_e32 v39, 31, v39
	s_wait_alu 0xf1ff
	v_xor_b32_e32 v43, s21, v43
	v_lshlrev_b32_e32 v37, 5, v37
	v_and_b32_e32 v38, v38, v41
	v_cmp_gt_i32_e64 s21, 0, v42
	v_ashrrev_i32_e32 v40, 31, v40
	s_wait_alu 0xfffd
	v_xor_b32_e32 v39, vcc_lo, v39
	v_add_nc_u32_e32 v64, v131, v37
	v_and_b32_e32 v38, v38, v43
	s_wait_alu 0xf1ff
	v_xor_b32_e32 v37, s21, v40
	ds_load_b32 v62, v64 offset:32
	v_and_b32_e32 v38, v38, v39
	; wave barrier
	s_delay_alu instid0(VALU_DEP_1) | instskip(NEXT) | instid1(VALU_DEP_1)
	v_and_b32_e32 v37, v38, v37
	v_mbcnt_lo_u32_b32 v63, v37, 0
	v_cmp_ne_u32_e64 s21, 0, v37
	s_delay_alu instid0(VALU_DEP_2)
	v_cmp_eq_u32_e32 vcc_lo, 0, v63
	s_and_b32 s26, s21, vcc_lo
	s_wait_alu 0xfffe
	s_and_saveexec_b32 s21, s26
	s_cbranch_execz .LBB146_46
; %bb.45:                               ;   in Loop: Header=BB146_32 Depth=1
	s_wait_dscnt 0x0
	v_bcnt_u32_b32 v37, v37, v62
	ds_store_b32 v64, v37 offset:32
.LBB146_46:                             ;   in Loop: Header=BB146_32 Depth=1
	s_wait_alu 0xfffe
	s_or_b32 exec_lo, exec_lo, s21
	v_lshrrev_b64 v[37:38], v70, v[77:78]
	; wave barrier
	s_delay_alu instid0(VALU_DEP_1) | instskip(NEXT) | instid1(VALU_DEP_1)
	v_and_b32_e32 v37, s25, v37
	v_and_b32_e32 v38, 1, v37
	v_lshlrev_b32_e32 v39, 30, v37
	v_lshlrev_b32_e32 v40, 29, v37
	;; [unrolled: 1-line block ×4, first 2 shown]
	v_add_co_u32 v38, s21, v38, -1
	s_wait_alu 0xf1ff
	v_cndmask_b32_e64 v42, 0, 1, s21
	v_not_b32_e32 v66, v39
	v_cmp_gt_i32_e64 s21, 0, v39
	v_not_b32_e32 v39, v40
	v_lshlrev_b32_e32 v44, 26, v37
	v_cmp_ne_u32_e32 vcc_lo, 0, v42
	v_ashrrev_i32_e32 v66, 31, v66
	v_lshlrev_b32_e32 v65, 25, v37
	v_ashrrev_i32_e32 v39, 31, v39
	v_lshlrev_b32_e32 v42, 24, v37
	s_wait_alu 0xfffd
	v_xor_b32_e32 v38, vcc_lo, v38
	v_cmp_gt_i32_e32 vcc_lo, 0, v40
	v_not_b32_e32 v40, v41
	s_wait_alu 0xf1ff
	v_xor_b32_e32 v66, s21, v66
	v_cmp_gt_i32_e64 s21, 0, v41
	v_and_b32_e32 v38, exec_lo, v38
	v_not_b32_e32 v41, v43
	v_ashrrev_i32_e32 v40, 31, v40
	s_wait_alu 0xfffd
	v_xor_b32_e32 v39, vcc_lo, v39
	v_cmp_gt_i32_e32 vcc_lo, 0, v43
	v_and_b32_e32 v38, v38, v66
	v_not_b32_e32 v43, v44
	v_ashrrev_i32_e32 v41, 31, v41
	s_wait_alu 0xf1ff
	v_xor_b32_e32 v40, s21, v40
	v_cmp_gt_i32_e64 s21, 0, v44
	v_and_b32_e32 v38, v38, v39
	v_not_b32_e32 v39, v65
	v_ashrrev_i32_e32 v43, 31, v43
	s_wait_alu 0xfffd
	v_xor_b32_e32 v41, vcc_lo, v41
	v_cmp_gt_i32_e32 vcc_lo, 0, v65
	v_and_b32_e32 v38, v38, v40
	v_not_b32_e32 v40, v42
	v_ashrrev_i32_e32 v39, 31, v39
	s_wait_alu 0xf1ff
	v_xor_b32_e32 v43, s21, v43
	v_lshlrev_b32_e32 v37, 5, v37
	v_and_b32_e32 v38, v38, v41
	v_cmp_gt_i32_e64 s21, 0, v42
	v_ashrrev_i32_e32 v40, 31, v40
	s_wait_alu 0xfffd
	v_xor_b32_e32 v39, vcc_lo, v39
	v_add_nc_u32_e32 v67, v131, v37
	v_and_b32_e32 v38, v38, v43
	s_wait_alu 0xf1ff
	v_xor_b32_e32 v37, s21, v40
	ds_load_b32 v65, v67 offset:32
	v_and_b32_e32 v38, v38, v39
	; wave barrier
	s_delay_alu instid0(VALU_DEP_1) | instskip(NEXT) | instid1(VALU_DEP_1)
	v_and_b32_e32 v37, v38, v37
	v_mbcnt_lo_u32_b32 v66, v37, 0
	v_cmp_ne_u32_e64 s21, 0, v37
	s_delay_alu instid0(VALU_DEP_2)
	v_cmp_eq_u32_e32 vcc_lo, 0, v66
	s_and_b32 s25, s21, vcc_lo
	s_wait_alu 0xfffe
	s_and_saveexec_b32 s21, s25
	s_cbranch_execz .LBB146_48
; %bb.47:                               ;   in Loop: Header=BB146_32 Depth=1
	s_wait_dscnt 0x0
	v_bcnt_u32_b32 v37, v37, v65
	ds_store_b32 v67, v37 offset:32
.LBB146_48:                             ;   in Loop: Header=BB146_32 Depth=1
	s_wait_alu 0xfffe
	s_or_b32 exec_lo, exec_lo, s21
	; wave barrier
	s_wait_loadcnt_dscnt 0x0
	s_barrier_signal -1
	s_barrier_wait -1
	global_inv scope:SCOPE_SE
	ds_load_b128 v[41:44], v116 offset:32
	ds_load_b128 v[37:40], v116 offset:48
	s_wait_dscnt 0x1
	v_add_nc_u32_e32 v68, v42, v41
	s_delay_alu instid0(VALU_DEP_1) | instskip(SKIP_1) | instid1(VALU_DEP_1)
	v_add3_u32 v68, v68, v43, v44
	s_wait_dscnt 0x0
	v_add3_u32 v68, v68, v37, v38
	s_delay_alu instid0(VALU_DEP_1) | instskip(NEXT) | instid1(VALU_DEP_1)
	v_add3_u32 v40, v68, v39, v40
	v_mov_b32_dpp v68, v40 row_shr:1 row_mask:0xf bank_mask:0xf
	s_delay_alu instid0(VALU_DEP_1) | instskip(NEXT) | instid1(VALU_DEP_1)
	v_cndmask_b32_e64 v68, v68, 0, s12
	v_add_nc_u32_e32 v40, v68, v40
	s_delay_alu instid0(VALU_DEP_1) | instskip(NEXT) | instid1(VALU_DEP_1)
	v_mov_b32_dpp v68, v40 row_shr:2 row_mask:0xf bank_mask:0xf
	v_cndmask_b32_e64 v68, 0, v68, s13
	s_delay_alu instid0(VALU_DEP_1) | instskip(NEXT) | instid1(VALU_DEP_1)
	v_add_nc_u32_e32 v40, v40, v68
	v_mov_b32_dpp v68, v40 row_shr:4 row_mask:0xf bank_mask:0xf
	s_delay_alu instid0(VALU_DEP_1) | instskip(NEXT) | instid1(VALU_DEP_1)
	v_cndmask_b32_e64 v68, 0, v68, s14
	v_add_nc_u32_e32 v40, v40, v68
	s_delay_alu instid0(VALU_DEP_1) | instskip(NEXT) | instid1(VALU_DEP_1)
	v_mov_b32_dpp v68, v40 row_shr:8 row_mask:0xf bank_mask:0xf
	v_cndmask_b32_e64 v68, 0, v68, s15
	s_delay_alu instid0(VALU_DEP_1) | instskip(SKIP_3) | instid1(VALU_DEP_1)
	v_add_nc_u32_e32 v40, v40, v68
	ds_swizzle_b32 v68, v40 offset:swizzle(BROADCAST,32,15)
	s_wait_dscnt 0x0
	v_cndmask_b32_e64 v68, v68, 0, s16
	v_add_nc_u32_e32 v40, v40, v68
	s_and_saveexec_b32 s21, s17
; %bb.49:                               ;   in Loop: Header=BB146_32 Depth=1
	ds_store_b32 v117, v40
; %bb.50:                               ;   in Loop: Header=BB146_32 Depth=1
	s_wait_alu 0xfffe
	s_or_b32 exec_lo, exec_lo, s21
	s_wait_loadcnt_dscnt 0x0
	s_barrier_signal -1
	s_barrier_wait -1
	global_inv scope:SCOPE_SE
	s_and_saveexec_b32 s21, s8
	s_cbranch_execz .LBB146_52
; %bb.51:                               ;   in Loop: Header=BB146_32 Depth=1
	ds_load_b32 v68, v132
	s_wait_dscnt 0x0
	v_mov_b32_dpp v133, v68 row_shr:1 row_mask:0xf bank_mask:0xf
	s_delay_alu instid0(VALU_DEP_1) | instskip(NEXT) | instid1(VALU_DEP_1)
	v_cndmask_b32_e64 v133, v133, 0, s18
	v_add_nc_u32_e32 v68, v133, v68
	s_delay_alu instid0(VALU_DEP_1) | instskip(NEXT) | instid1(VALU_DEP_1)
	v_mov_b32_dpp v133, v68 row_shr:2 row_mask:0xf bank_mask:0xf
	v_cndmask_b32_e64 v133, 0, v133, s19
	s_delay_alu instid0(VALU_DEP_1) | instskip(NEXT) | instid1(VALU_DEP_1)
	v_add_nc_u32_e32 v68, v68, v133
	v_mov_b32_dpp v133, v68 row_shr:4 row_mask:0xf bank_mask:0xf
	s_delay_alu instid0(VALU_DEP_1) | instskip(NEXT) | instid1(VALU_DEP_1)
	v_cndmask_b32_e64 v133, 0, v133, s20
	v_add_nc_u32_e32 v68, v68, v133
	ds_store_b32 v132, v68
.LBB146_52:                             ;   in Loop: Header=BB146_32 Depth=1
	s_wait_alu 0xfffe
	s_or_b32 exec_lo, exec_lo, s21
	v_mov_b32_e32 v68, 0
	s_wait_loadcnt_dscnt 0x0
	s_barrier_signal -1
	s_barrier_wait -1
	global_inv scope:SCOPE_SE
	s_and_saveexec_b32 s21, s9
; %bb.53:                               ;   in Loop: Header=BB146_32 Depth=1
	ds_load_b32 v68, v129
; %bb.54:                               ;   in Loop: Header=BB146_32 Depth=1
	s_wait_alu 0xfffe
	s_or_b32 exec_lo, exec_lo, s21
	s_wait_dscnt 0x0
	v_add_nc_u32_e32 v40, v68, v40
	v_cmp_lt_u32_e32 vcc_lo, 55, v70
	s_mov_b32 s21, -1
	ds_bpermute_b32 v40, v128, v40
	s_and_b32 vcc_lo, exec_lo, vcc_lo
	s_wait_dscnt 0x0
	v_cndmask_b32_e64 v40, v40, v68, s11
	s_delay_alu instid0(VALU_DEP_1) | instskip(NEXT) | instid1(VALU_DEP_1)
	v_cndmask_b32_e64 v40, v40, 0, s10
	v_add_nc_u32_e32 v41, v40, v41
	s_delay_alu instid0(VALU_DEP_1) | instskip(NEXT) | instid1(VALU_DEP_1)
	v_add_nc_u32_e32 v42, v41, v42
	v_add_nc_u32_e32 v43, v42, v43
	s_delay_alu instid0(VALU_DEP_1) | instskip(NEXT) | instid1(VALU_DEP_1)
	v_add_nc_u32_e32 v133, v43, v44
	;; [unrolled: 3-line block ×3, first 2 shown]
	v_add_nc_u32_e32 v136, v135, v39
	ds_store_b128 v116, v[40:43] offset:32
	ds_store_b128 v116, v[133:136] offset:48
	s_wait_loadcnt_dscnt 0x0
	s_barrier_signal -1
	s_barrier_wait -1
	global_inv scope:SCOPE_SE
	ds_load_b32 v37, v46 offset:32
	ds_load_b32 v38, v49 offset:32
	;; [unrolled: 1-line block ×8, first 2 shown]
	s_wait_dscnt 0x7
	v_add_nc_u32_e32 v140, v37, v45
	s_wait_dscnt 0x6
	v_add3_u32 v139, v48, v47, v38
	s_wait_dscnt 0x5
	v_add3_u32 v138, v51, v50, v39
	;; [unrolled: 2-line block ×7, first 2 shown]
                                        ; implicit-def: $vgpr67_vgpr68
                                        ; implicit-def: $vgpr47_vgpr48
                                        ; implicit-def: $vgpr43_vgpr44
                                        ; implicit-def: $vgpr39_vgpr40
                                        ; implicit-def: $vgpr63_vgpr64
                                        ; implicit-def: $vgpr59_vgpr60
                                        ; implicit-def: $vgpr55_vgpr56
                                        ; implicit-def: $vgpr51_vgpr52
	s_wait_alu 0xfffe
	s_cbranch_vccnz .LBB146_31
; %bb.55:                               ;   in Loop: Header=BB146_32 Depth=1
	v_lshlrev_b32_e32 v49, 3, v140
	v_lshlrev_b32_e32 v52, 3, v137
	;; [unrolled: 1-line block ×8, first 2 shown]
	s_wait_loadcnt 0x0
	s_barrier_signal -1
	s_barrier_wait -1
	global_inv scope:SCOPE_SE
	ds_store_b64 v49, v[75:76]
	ds_store_b64 v50, v[105:106]
	;; [unrolled: 1-line block ×8, first 2 shown]
	s_wait_loadcnt_dscnt 0x0
	s_barrier_signal -1
	s_barrier_wait -1
	global_inv scope:SCOPE_SE
	ds_load_2addr_b64 v[37:40], v130 offset1:32
	ds_load_2addr_b64 v[41:44], v130 offset0:64 offset1:96
	ds_load_2addr_b64 v[45:48], v130 offset0:128 offset1:160
	ds_load_2addr_b64 v[65:68], v130 offset0:192 offset1:224
	s_wait_loadcnt_dscnt 0x0
	s_barrier_signal -1
	s_barrier_wait -1
	global_inv scope:SCOPE_SE
	ds_store_b64 v49, v[97:98]
	ds_store_b64 v50, v[95:96]
	;; [unrolled: 1-line block ×8, first 2 shown]
	s_wait_loadcnt_dscnt 0x0
	s_barrier_signal -1
	s_barrier_wait -1
	global_inv scope:SCOPE_SE
	ds_load_2addr_b64 v[49:52], v130 offset1:32
	ds_load_2addr_b64 v[53:56], v130 offset0:64 offset1:96
	ds_load_2addr_b64 v[57:60], v130 offset0:128 offset1:160
	;; [unrolled: 1-line block ×3, first 2 shown]
	v_add_co_u32 v70, vcc_lo, v70, 8
	s_wait_alu 0xfffd
	v_add_co_ci_u32_e64 v71, null, 0, v71, vcc_lo
	s_add_co_i32 s24, s24, -8
	s_mov_b32 s21, 0
	s_wait_loadcnt_dscnt 0x0
	s_barrier_signal -1
	s_barrier_wait -1
	global_inv scope:SCOPE_SE
	s_branch .LBB146_31
.LBB146_56:
	v_lshlrev_b64_e32 v[17:18], 3, v[69:70]
	v_mov_b32_e32 v71, v70
	v_dual_mov_b32 v19, v70 :: v_dual_mov_b32 v22, v70
	v_dual_mov_b32 v21, v70 :: v_dual_mov_b32 v24, v70
	s_delay_alu instid0(VALU_DEP_4)
	v_add_co_u32 v17, vcc_lo, s34, v17
	s_wait_alu 0xfffd
	v_add_co_ci_u32_e64 v18, null, s35, v18, vcc_lo
	v_dual_mov_b32 v23, v70 :: v_dual_mov_b32 v26, v70
	v_dual_mov_b32 v25, v70 :: v_dual_mov_b32 v30, v70
	global_load_b64 v[27:28], v[17:18], off
	v_dual_mov_b32 v17, v70 :: v_dual_mov_b32 v20, v70
	v_dual_mov_b32 v18, v70 :: v_dual_mov_b32 v29, v70
	s_wait_alu 0xfffe
	s_or_b32 exec_lo, exec_lo, s8
	s_and_saveexec_b32 s8, s1
	s_cbranch_execz .LBB146_22
.LBB146_57:
	v_mul_lo_u32 v39, s28, v31
	v_mov_b32_e32 v40, 0
	s_delay_alu instid0(VALU_DEP_1) | instskip(NEXT) | instid1(VALU_DEP_1)
	v_lshlrev_b64_e32 v[39:40], 3, v[39:40]
	v_add_co_u32 v39, vcc_lo, s34, v39
	s_wait_alu 0xfffd
	s_delay_alu instid0(VALU_DEP_2)
	v_add_co_ci_u32_e64 v40, null, s35, v40, vcc_lo
	global_load_b64 v[70:71], v[39:40], off
	s_wait_alu 0xfffe
	s_or_b32 exec_lo, exec_lo, s8
	s_and_saveexec_b32 s8, s2
	s_cbranch_execz .LBB146_23
.LBB146_58:
	v_mul_lo_u32 v17, s28, v32
	v_mov_b32_e32 v18, 0
	s_delay_alu instid0(VALU_DEP_1) | instskip(NEXT) | instid1(VALU_DEP_1)
	v_lshlrev_b64_e32 v[17:18], 3, v[17:18]
	v_add_co_u32 v17, vcc_lo, s34, v17
	s_wait_alu 0xfffd
	s_delay_alu instid0(VALU_DEP_2)
	v_add_co_ci_u32_e64 v18, null, s35, v18, vcc_lo
	global_load_b64 v[17:18], v[17:18], off
	s_wait_alu 0xfffe
	s_or_b32 exec_lo, exec_lo, s8
	s_and_saveexec_b32 s8, s3
	s_cbranch_execz .LBB146_24
.LBB146_59:
	v_mul_lo_u32 v19, s28, v34
	v_mov_b32_e32 v20, 0
	s_delay_alu instid0(VALU_DEP_1) | instskip(NEXT) | instid1(VALU_DEP_1)
	v_lshlrev_b64_e32 v[19:20], 3, v[19:20]
	v_add_co_u32 v19, vcc_lo, s34, v19
	s_wait_alu 0xfffd
	s_delay_alu instid0(VALU_DEP_2)
	v_add_co_ci_u32_e64 v20, null, s35, v20, vcc_lo
	global_load_b64 v[19:20], v[19:20], off
	s_wait_alu 0xfffe
	s_or_b32 exec_lo, exec_lo, s8
	s_and_saveexec_b32 s8, s4
	s_cbranch_execz .LBB146_25
.LBB146_60:
	v_mul_lo_u32 v21, s28, v35
	v_mov_b32_e32 v22, 0
	s_delay_alu instid0(VALU_DEP_1) | instskip(NEXT) | instid1(VALU_DEP_1)
	v_lshlrev_b64_e32 v[21:22], 3, v[21:22]
	v_add_co_u32 v21, vcc_lo, s34, v21
	s_wait_alu 0xfffd
	s_delay_alu instid0(VALU_DEP_2)
	v_add_co_ci_u32_e64 v22, null, s35, v22, vcc_lo
	global_load_b64 v[21:22], v[21:22], off
	s_wait_alu 0xfffe
	s_or_b32 exec_lo, exec_lo, s8
	s_and_saveexec_b32 s8, s5
	s_cbranch_execz .LBB146_26
.LBB146_61:
	v_mul_lo_u32 v23, s28, v36
	v_mov_b32_e32 v24, 0
	s_delay_alu instid0(VALU_DEP_1) | instskip(NEXT) | instid1(VALU_DEP_1)
	v_lshlrev_b64_e32 v[23:24], 3, v[23:24]
	v_add_co_u32 v23, vcc_lo, s34, v23
	s_wait_alu 0xfffd
	s_delay_alu instid0(VALU_DEP_2)
	v_add_co_ci_u32_e64 v24, null, s35, v24, vcc_lo
	global_load_b64 v[23:24], v[23:24], off
	s_wait_alu 0xfffe
	s_or_b32 exec_lo, exec_lo, s8
	s_and_saveexec_b32 s8, s6
	s_cbranch_execz .LBB146_27
.LBB146_62:
	v_mul_lo_u32 v25, s28, v37
	v_mov_b32_e32 v26, 0
	s_delay_alu instid0(VALU_DEP_1) | instskip(NEXT) | instid1(VALU_DEP_1)
	v_lshlrev_b64_e32 v[25:26], 3, v[25:26]
	v_add_co_u32 v25, vcc_lo, s34, v25
	s_wait_alu 0xfffd
	s_delay_alu instid0(VALU_DEP_2)
	v_add_co_ci_u32_e64 v26, null, s35, v26, vcc_lo
	global_load_b64 v[25:26], v[25:26], off
	s_wait_alu 0xfffe
	s_or_b32 exec_lo, exec_lo, s8
	s_xor_b32 s8, s20, -1
	s_and_saveexec_b32 s9, s7
	s_cbranch_execnz .LBB146_28
	s_branch .LBB146_29
.LBB146_63:
	v_lshlrev_b32_e32 v33, 3, v140
	v_lshlrev_b32_e32 v36, 3, v137
	;; [unrolled: 1-line block ×9, first 2 shown]
	s_wait_loadcnt 0x0
	s_barrier_signal -1
	s_barrier_wait -1
	global_inv scope:SCOPE_SE
	ds_store_b64 v33, v[75:76]
	ds_store_b64 v34, v[105:106]
	;; [unrolled: 1-line block ×8, first 2 shown]
	s_wait_loadcnt_dscnt 0x0
	s_barrier_signal -1
	s_barrier_wait -1
	global_inv scope:SCOPE_SE
	ds_load_b128 v[49:52], v65
	ds_load_b128 v[53:56], v65 offset:16
	ds_load_b128 v[57:60], v65 offset:32
	;; [unrolled: 1-line block ×3, first 2 shown]
	s_wait_loadcnt_dscnt 0x0
	s_barrier_signal -1
	s_barrier_wait -1
	global_inv scope:SCOPE_SE
	ds_store_b64 v33, v[97:98]
	ds_store_b64 v34, v[95:96]
	;; [unrolled: 1-line block ×8, first 2 shown]
	s_wait_loadcnt_dscnt 0x0
	s_barrier_signal -1
	s_barrier_wait -1
	global_inv scope:SCOPE_SE
	ds_load_b128 v[45:48], v65
	ds_load_b128 v[41:44], v65 offset:16
	ds_load_b128 v[37:40], v65 offset:32
	;; [unrolled: 1-line block ×3, first 2 shown]
	s_mov_b32 s11, 0
	v_xor_b32_e32 v50, 0x80000000, v50
	v_xor_b32_e32 v52, 0x80000000, v52
	;; [unrolled: 1-line block ×8, first 2 shown]
.LBB146_64:
	s_wait_alu 0xfffe
	s_and_b32 vcc_lo, exec_lo, s11
	s_wait_alu 0xfffe
	s_cbranch_vccz .LBB146_92
; %bb.65:
	v_xor_b32_e32 v14, 0x7fffffff, v14
	v_xor_b32_e32 v13, -1, v13
	v_xor_b32_e32 v16, 0x7fffffff, v16
	v_xor_b32_e32 v15, -1, v15
	;; [unrolled: 2-line block ×8, first 2 shown]
	ds_store_b128 v127, v[13:16]
	ds_store_b128 v127, v[9:12] offset:16
	ds_store_b128 v127, v[5:8] offset:32
	ds_store_b128 v127, v[1:4] offset:48
	; wave barrier
	ds_load_2addr_b64 v[4:7], v126 offset1:32
	ds_load_2addr_b64 v[8:11], v126 offset0:64 offset1:96
	ds_load_2addr_b64 v[12:15], v126 offset0:128 offset1:160
	s_wait_dscnt 0x7
	ds_load_2addr_b64 v[33:36], v126 offset0:192 offset1:224
	; wave barrier
	ds_store_b128 v127, v[21:24]
	ds_store_b128 v127, v[17:20] offset:16
	ds_store_b128 v127, v[29:32] offset:32
	;; [unrolled: 1-line block ×3, first 2 shown]
	; wave barrier
	ds_load_2addr_b64 v[16:19], v126 offset1:32
	ds_load_2addr_b64 v[20:23], v126 offset0:64 offset1:96
	ds_load_2addr_b64 v[24:27], v126 offset0:128 offset1:160
	;; [unrolled: 1-line block ×3, first 2 shown]
	s_wait_loadcnt_dscnt 0x0
	s_barrier_signal -1
	s_barrier_wait -1
	global_inv scope:SCOPE_SE
	s_load_b32 s10, s[36:37], 0xc
	s_getpc_b64 s[8:9]
	s_wait_alu 0xfffe
	s_sext_i32_i16 s9, s9
	s_add_co_u32 s8, s8, _ZN7rocprim17ROCPRIM_400000_NS16block_radix_sortIlLj256ELj8ElLj1ELj1ELj0ELNS0_26block_radix_rank_algorithmE1ELNS0_18block_padding_hintE2ELNS0_4arch9wavefront6targetE0EE19radix_bits_per_passE@rel32@lo+12
	s_wait_alu 0xfffe
	s_add_co_ci_u32 s9, s9, _ZN7rocprim17ROCPRIM_400000_NS16block_radix_sortIlLj256ELj8ElLj1ELj1ELj0ELNS0_26block_radix_rank_algorithmE1ELNS0_18block_padding_hintE2ELNS0_4arch9wavefront6targetE0EE19radix_bits_per_passE@rel32@hi+24
	v_or_b32_e32 v3, 31, v123
	s_load_b32 s23, s[8:9], 0x0
	s_mov_b32 s24, 0
	v_cmp_lt_u32_e64 s12, 7, v122
	s_wait_alu 0xfffe
	s_mov_b32 s25, s24
	s_mov_b32 s26, s24
	;; [unrolled: 1-line block ×3, first 2 shown]
	v_cmp_eq_u32_e64 s14, v74, v3
	v_cmp_eq_u32_e64 s13, 0, v121
	v_cmp_gt_u32_e64 s15, 8, v74
	v_mov_b32_e32 v37, 0
	v_cmp_lt_u32_e64 s16, 31, v74
	v_cmp_eq_u32_e64 s17, 0, v74
	v_cmp_eq_u32_e64 s18, 0, v120
	v_cmp_lt_u32_e64 s19, 1, v120
	v_cmp_lt_u32_e64 s20, 3, v120
	v_dual_mov_b32 v38, 0 :: v_dual_add_nc_u32 v77, v116, v119
	s_wait_kmcnt 0x0
	s_lshr_b32 s11, s10, 16
	s_and_b32 s8, s10, 0xffff
	s_wait_alu 0xfffe
	v_mad_u32_u24 v1, v125, s11, v124
	v_cmp_lt_u32_e64 s10, 1, v122
	v_cmp_lt_u32_e64 s11, 3, v122
	s_delay_alu instid0(VALU_DEP_3) | instskip(SKIP_4) | instid1(VALU_DEP_4)
	v_mad_co_u64_u32 v[1:2], null, v1, s8, v[74:75]
	v_sub_co_u32 v2, s9, v118, 1
	v_lshl_add_u32 v75, v118, 3, v0
	v_cmp_eq_u32_e64 s8, 0, v122
	v_add_nc_u32_e32 v74, -4, v117
	v_cmp_gt_i32_e32 vcc_lo, 0, v2
	v_lshrrev_b32_e32 v1, 3, v1
	s_wait_alu 0xfffd
	v_cndmask_b32_e32 v2, v2, v118, vcc_lo
	s_delay_alu instid0(VALU_DEP_2) | instskip(NEXT) | instid1(VALU_DEP_2)
	v_and_b32_e32 v76, 0x1ffffffc, v1
	v_lshlrev_b32_e32 v32, 2, v2
	v_dual_mov_b32 v0, s24 :: v_dual_mov_b32 v1, s25
	v_dual_mov_b32 v2, s26 :: v_dual_mov_b32 v3, s27
	s_mov_b32 s24, 64
	s_branch .LBB146_67
.LBB146_66:                             ;   in Loop: Header=BB146_67 Depth=1
	s_wait_alu 0xfffe
	s_and_not1_b32 vcc_lo, exec_lo, s21
	s_wait_alu 0xfffe
	s_cbranch_vccz .LBB146_91
.LBB146_67:                             ; =>This Inner Loop Header: Depth=1
	v_dual_mov_b32 v40, v5 :: v_dual_mov_b32 v39, v4
	s_wait_alu 0xfffe
	s_min_u32 s21, s23, s24
	v_mov_b32_e32 v52, v27
	s_wait_alu 0xfffe
	s_lshl_b32 s21, -1, s21
	v_mov_b32_e32 v60, v19
	v_lshrrev_b64 v[4:5], v37, v[39:40]
	s_wait_alu 0xfffe
	s_not_b32 s25, s21
	v_mov_b32_e32 v50, v29
	v_mov_b32_e32 v54, v25
	;; [unrolled: 1-line block ×3, first 2 shown]
	s_wait_alu 0xfffe
	v_dual_mov_b32 v42, v36 :: v_dual_and_b32 v5, s25, v4
	v_dual_mov_b32 v41, v35 :: v_dual_mov_b32 v44, v34
	v_dual_mov_b32 v43, v33 :: v_dual_mov_b32 v46, v15
	s_delay_alu instid0(VALU_DEP_3) | instskip(SKIP_3) | instid1(VALU_DEP_4)
	v_dual_mov_b32 v45, v14 :: v_dual_and_b32 v4, 1, v5
	v_lshlrev_b32_e32 v14, 30, v5
	v_dual_mov_b32 v64, v13 :: v_dual_lshlrev_b32 v15, 29, v5
	v_mov_b32_e32 v63, v12
	v_add_co_u32 v4, s21, v4, -1
	s_wait_alu 0xf1ff
	v_cndmask_b32_e64 v34, 0, 1, s21
	v_not_b32_e32 v48, v14
	v_dual_mov_b32 v66, v11 :: v_dual_lshlrev_b32 v33, 28, v5
	v_cmp_gt_i32_e64 s21, 0, v14
	s_delay_alu instid0(VALU_DEP_4)
	v_cmp_ne_u32_e32 vcc_lo, 0, v34
	v_not_b32_e32 v14, v15
	v_ashrrev_i32_e32 v48, 31, v48
	v_dual_mov_b32 v68, v9 :: v_dual_lshlrev_b32 v35, 27, v5
	s_wait_alu 0xfffd
	v_xor_b32_e32 v4, vcc_lo, v4
	v_cmp_gt_i32_e32 vcc_lo, 0, v15
	v_not_b32_e32 v15, v33
	v_ashrrev_i32_e32 v14, 31, v14
	s_wait_alu 0xf1ff
	v_xor_b32_e32 v48, s21, v48
	v_dual_mov_b32 v71, v7 :: v_dual_and_b32 v4, exec_lo, v4
	v_dual_mov_b32 v65, v10 :: v_dual_lshlrev_b32 v36, 26, v5
	v_cmp_gt_i32_e64 s21, 0, v33
	v_not_b32_e32 v33, v35
	v_ashrrev_i32_e32 v15, 31, v15
	s_wait_alu 0xfffd
	v_xor_b32_e32 v14, vcc_lo, v14
	v_and_b32_e32 v4, v4, v48
	v_dual_mov_b32 v70, v6 :: v_dual_lshlrev_b32 v47, 25, v5
	v_cmp_gt_i32_e32 vcc_lo, 0, v35
	v_not_b32_e32 v35, v36
	v_ashrrev_i32_e32 v33, 31, v33
	s_wait_alu 0xf1ff
	v_xor_b32_e32 v15, s21, v15
	v_dual_mov_b32 v51, v26 :: v_dual_and_b32 v4, v4, v14
	v_dual_mov_b32 v67, v8 :: v_dual_lshlrev_b32 v34, 24, v5
	v_cmp_gt_i32_e64 s21, 0, v36
	v_not_b32_e32 v14, v47
	v_ashrrev_i32_e32 v35, 31, v35
	s_wait_alu 0xfffd
	v_xor_b32_e32 v33, vcc_lo, v33
	v_and_b32_e32 v4, v4, v15
	v_dual_mov_b32 v56, v23 :: v_dual_lshlrev_b32 v5, 5, v5
	v_cmp_gt_i32_e32 vcc_lo, 0, v47
	v_not_b32_e32 v15, v34
	v_ashrrev_i32_e32 v14, 31, v14
	s_wait_alu 0xf1ff
	v_xor_b32_e32 v35, s21, v35
	v_dual_mov_b32 v55, v22 :: v_dual_and_b32 v4, v4, v33
	v_mov_b32_e32 v59, v18
	v_cmp_gt_i32_e64 s21, 0, v34
	v_ashrrev_i32_e32 v12, 31, v15
	s_wait_alu 0xfffd
	v_xor_b32_e32 v13, vcc_lo, v14
	v_and_b32_e32 v4, v4, v35
	v_dual_mov_b32 v48, v31 :: v_dual_mov_b32 v49, v28
	s_wait_alu 0xf1ff
	v_xor_b32_e32 v6, s21, v12
	v_mov_b32_e32 v58, v21
	v_dual_mov_b32 v47, v30 :: v_dual_and_b32 v4, v4, v13
	v_mov_b32_e32 v53, v24
	v_mov_b32_e32 v57, v20
	;; [unrolled: 1-line block ×3, first 2 shown]
	s_delay_alu instid0(VALU_DEP_4)
	v_and_b32_e32 v4, v4, v6
	v_add_nc_u32_e32 v13, v76, v5
	ds_store_b128 v116, v[0:3] offset:32
	ds_store_b128 v116, v[0:3] offset:48
	s_wait_loadcnt_dscnt 0x0
	s_barrier_signal -1
	v_mbcnt_lo_u32_b32 v12, v4, 0
	v_cmp_ne_u32_e64 s21, 0, v4
	s_barrier_wait -1
	global_inv scope:SCOPE_SE
	v_cmp_eq_u32_e32 vcc_lo, 0, v12
	; wave barrier
	s_and_b32 s26, s21, vcc_lo
	s_wait_alu 0xfffe
	s_and_saveexec_b32 s21, s26
; %bb.68:                               ;   in Loop: Header=BB146_67 Depth=1
	v_bcnt_u32_b32 v4, v4, 0
	ds_store_b32 v13, v4 offset:32
; %bb.69:                               ;   in Loop: Header=BB146_67 Depth=1
	s_wait_alu 0xfffe
	s_or_b32 exec_lo, exec_lo, s21
	v_lshrrev_b64 v[4:5], v37, v[70:71]
	; wave barrier
	s_delay_alu instid0(VALU_DEP_1) | instskip(NEXT) | instid1(VALU_DEP_1)
	v_and_b32_e32 v4, s25, v4
	v_and_b32_e32 v5, 1, v4
	v_lshlrev_b32_e32 v6, 30, v4
	v_lshlrev_b32_e32 v7, 29, v4
	;; [unrolled: 1-line block ×4, first 2 shown]
	v_add_co_u32 v5, s21, v5, -1
	s_wait_alu 0xf1ff
	v_cndmask_b32_e64 v9, 0, 1, s21
	v_not_b32_e32 v15, v6
	v_cmp_gt_i32_e64 s21, 0, v6
	v_not_b32_e32 v6, v7
	v_lshlrev_b32_e32 v11, 26, v4
	v_cmp_ne_u32_e32 vcc_lo, 0, v9
	v_ashrrev_i32_e32 v15, 31, v15
	v_lshlrev_b32_e32 v14, 25, v4
	v_ashrrev_i32_e32 v6, 31, v6
	v_lshlrev_b32_e32 v9, 24, v4
	s_wait_alu 0xfffd
	v_xor_b32_e32 v5, vcc_lo, v5
	v_cmp_gt_i32_e32 vcc_lo, 0, v7
	v_not_b32_e32 v7, v8
	s_wait_alu 0xf1ff
	v_xor_b32_e32 v15, s21, v15
	v_cmp_gt_i32_e64 s21, 0, v8
	v_and_b32_e32 v5, exec_lo, v5
	v_not_b32_e32 v8, v10
	v_ashrrev_i32_e32 v7, 31, v7
	s_wait_alu 0xfffd
	v_xor_b32_e32 v6, vcc_lo, v6
	v_cmp_gt_i32_e32 vcc_lo, 0, v10
	v_and_b32_e32 v5, v5, v15
	v_not_b32_e32 v10, v11
	v_ashrrev_i32_e32 v8, 31, v8
	s_wait_alu 0xf1ff
	v_xor_b32_e32 v7, s21, v7
	v_cmp_gt_i32_e64 s21, 0, v11
	v_and_b32_e32 v5, v5, v6
	v_not_b32_e32 v6, v14
	v_ashrrev_i32_e32 v10, 31, v10
	s_wait_alu 0xfffd
	v_xor_b32_e32 v8, vcc_lo, v8
	v_cmp_gt_i32_e32 vcc_lo, 0, v14
	v_and_b32_e32 v5, v5, v7
	v_not_b32_e32 v7, v9
	v_ashrrev_i32_e32 v6, 31, v6
	s_wait_alu 0xf1ff
	v_xor_b32_e32 v10, s21, v10
	v_lshlrev_b32_e32 v4, 5, v4
	v_and_b32_e32 v5, v5, v8
	v_cmp_gt_i32_e64 s21, 0, v9
	v_ashrrev_i32_e32 v7, 31, v7
	s_wait_alu 0xfffd
	v_xor_b32_e32 v6, vcc_lo, v6
	v_add_nc_u32_e32 v16, v76, v4
	v_and_b32_e32 v5, v5, v10
	s_wait_alu 0xf1ff
	v_xor_b32_e32 v4, s21, v7
	ds_load_b32 v14, v16 offset:32
	v_and_b32_e32 v5, v5, v6
	; wave barrier
	s_delay_alu instid0(VALU_DEP_1) | instskip(NEXT) | instid1(VALU_DEP_1)
	v_and_b32_e32 v4, v5, v4
	v_mbcnt_lo_u32_b32 v15, v4, 0
	v_cmp_ne_u32_e64 s21, 0, v4
	s_delay_alu instid0(VALU_DEP_2)
	v_cmp_eq_u32_e32 vcc_lo, 0, v15
	s_and_b32 s26, s21, vcc_lo
	s_wait_alu 0xfffe
	s_and_saveexec_b32 s21, s26
	s_cbranch_execz .LBB146_71
; %bb.70:                               ;   in Loop: Header=BB146_67 Depth=1
	s_wait_dscnt 0x0
	v_bcnt_u32_b32 v4, v4, v14
	ds_store_b32 v16, v4 offset:32
.LBB146_71:                             ;   in Loop: Header=BB146_67 Depth=1
	s_wait_alu 0xfffe
	s_or_b32 exec_lo, exec_lo, s21
	v_lshrrev_b64 v[4:5], v37, v[67:68]
	; wave barrier
	s_delay_alu instid0(VALU_DEP_1) | instskip(NEXT) | instid1(VALU_DEP_1)
	v_and_b32_e32 v4, s25, v4
	v_and_b32_e32 v5, 1, v4
	v_lshlrev_b32_e32 v6, 30, v4
	v_lshlrev_b32_e32 v7, 29, v4
	;; [unrolled: 1-line block ×4, first 2 shown]
	v_add_co_u32 v5, s21, v5, -1
	s_wait_alu 0xf1ff
	v_cndmask_b32_e64 v9, 0, 1, s21
	v_not_b32_e32 v18, v6
	v_cmp_gt_i32_e64 s21, 0, v6
	v_not_b32_e32 v6, v7
	v_lshlrev_b32_e32 v11, 26, v4
	v_cmp_ne_u32_e32 vcc_lo, 0, v9
	v_ashrrev_i32_e32 v18, 31, v18
	v_lshlrev_b32_e32 v17, 25, v4
	v_ashrrev_i32_e32 v6, 31, v6
	v_lshlrev_b32_e32 v9, 24, v4
	s_wait_alu 0xfffd
	v_xor_b32_e32 v5, vcc_lo, v5
	v_cmp_gt_i32_e32 vcc_lo, 0, v7
	v_not_b32_e32 v7, v8
	s_wait_alu 0xf1ff
	v_xor_b32_e32 v18, s21, v18
	v_cmp_gt_i32_e64 s21, 0, v8
	v_and_b32_e32 v5, exec_lo, v5
	v_not_b32_e32 v8, v10
	v_ashrrev_i32_e32 v7, 31, v7
	s_wait_alu 0xfffd
	v_xor_b32_e32 v6, vcc_lo, v6
	v_cmp_gt_i32_e32 vcc_lo, 0, v10
	v_and_b32_e32 v5, v5, v18
	v_not_b32_e32 v10, v11
	v_ashrrev_i32_e32 v8, 31, v8
	s_wait_alu 0xf1ff
	v_xor_b32_e32 v7, s21, v7
	v_cmp_gt_i32_e64 s21, 0, v11
	v_and_b32_e32 v5, v5, v6
	v_not_b32_e32 v6, v17
	v_ashrrev_i32_e32 v10, 31, v10
	s_wait_alu 0xfffd
	v_xor_b32_e32 v8, vcc_lo, v8
	v_cmp_gt_i32_e32 vcc_lo, 0, v17
	v_and_b32_e32 v5, v5, v7
	v_not_b32_e32 v7, v9
	v_ashrrev_i32_e32 v6, 31, v6
	s_wait_alu 0xf1ff
	v_xor_b32_e32 v10, s21, v10
	v_lshlrev_b32_e32 v4, 5, v4
	v_and_b32_e32 v5, v5, v8
	v_cmp_gt_i32_e64 s21, 0, v9
	v_ashrrev_i32_e32 v7, 31, v7
	s_wait_alu 0xfffd
	v_xor_b32_e32 v6, vcc_lo, v6
	v_add_nc_u32_e32 v19, v76, v4
	v_and_b32_e32 v5, v5, v10
	s_wait_alu 0xf1ff
	v_xor_b32_e32 v4, s21, v7
	ds_load_b32 v17, v19 offset:32
	v_and_b32_e32 v5, v5, v6
	; wave barrier
	s_delay_alu instid0(VALU_DEP_1) | instskip(NEXT) | instid1(VALU_DEP_1)
	v_and_b32_e32 v4, v5, v4
	v_mbcnt_lo_u32_b32 v18, v4, 0
	v_cmp_ne_u32_e64 s21, 0, v4
	s_delay_alu instid0(VALU_DEP_2)
	v_cmp_eq_u32_e32 vcc_lo, 0, v18
	s_and_b32 s26, s21, vcc_lo
	s_wait_alu 0xfffe
	s_and_saveexec_b32 s21, s26
	s_cbranch_execz .LBB146_73
; %bb.72:                               ;   in Loop: Header=BB146_67 Depth=1
	s_wait_dscnt 0x0
	v_bcnt_u32_b32 v4, v4, v17
	ds_store_b32 v19, v4 offset:32
.LBB146_73:                             ;   in Loop: Header=BB146_67 Depth=1
	s_wait_alu 0xfffe
	s_or_b32 exec_lo, exec_lo, s21
	v_lshrrev_b64 v[4:5], v37, v[65:66]
	; wave barrier
	s_delay_alu instid0(VALU_DEP_1) | instskip(NEXT) | instid1(VALU_DEP_1)
	v_and_b32_e32 v4, s25, v4
	v_and_b32_e32 v5, 1, v4
	v_lshlrev_b32_e32 v6, 30, v4
	v_lshlrev_b32_e32 v7, 29, v4
	;; [unrolled: 1-line block ×4, first 2 shown]
	v_add_co_u32 v5, s21, v5, -1
	s_wait_alu 0xf1ff
	v_cndmask_b32_e64 v9, 0, 1, s21
	v_not_b32_e32 v21, v6
	v_cmp_gt_i32_e64 s21, 0, v6
	v_not_b32_e32 v6, v7
	v_lshlrev_b32_e32 v11, 26, v4
	v_cmp_ne_u32_e32 vcc_lo, 0, v9
	v_ashrrev_i32_e32 v21, 31, v21
	v_lshlrev_b32_e32 v20, 25, v4
	v_ashrrev_i32_e32 v6, 31, v6
	v_lshlrev_b32_e32 v9, 24, v4
	s_wait_alu 0xfffd
	v_xor_b32_e32 v5, vcc_lo, v5
	v_cmp_gt_i32_e32 vcc_lo, 0, v7
	v_not_b32_e32 v7, v8
	s_wait_alu 0xf1ff
	v_xor_b32_e32 v21, s21, v21
	v_cmp_gt_i32_e64 s21, 0, v8
	v_and_b32_e32 v5, exec_lo, v5
	v_not_b32_e32 v8, v10
	v_ashrrev_i32_e32 v7, 31, v7
	s_wait_alu 0xfffd
	v_xor_b32_e32 v6, vcc_lo, v6
	v_cmp_gt_i32_e32 vcc_lo, 0, v10
	v_and_b32_e32 v5, v5, v21
	v_not_b32_e32 v10, v11
	v_ashrrev_i32_e32 v8, 31, v8
	s_wait_alu 0xf1ff
	v_xor_b32_e32 v7, s21, v7
	v_cmp_gt_i32_e64 s21, 0, v11
	v_and_b32_e32 v5, v5, v6
	v_not_b32_e32 v6, v20
	v_ashrrev_i32_e32 v10, 31, v10
	s_wait_alu 0xfffd
	v_xor_b32_e32 v8, vcc_lo, v8
	v_cmp_gt_i32_e32 vcc_lo, 0, v20
	v_and_b32_e32 v5, v5, v7
	v_not_b32_e32 v7, v9
	v_ashrrev_i32_e32 v6, 31, v6
	s_wait_alu 0xf1ff
	v_xor_b32_e32 v10, s21, v10
	v_lshlrev_b32_e32 v4, 5, v4
	v_and_b32_e32 v5, v5, v8
	v_cmp_gt_i32_e64 s21, 0, v9
	v_ashrrev_i32_e32 v7, 31, v7
	s_wait_alu 0xfffd
	v_xor_b32_e32 v6, vcc_lo, v6
	v_add_nc_u32_e32 v22, v76, v4
	v_and_b32_e32 v5, v5, v10
	s_wait_alu 0xf1ff
	v_xor_b32_e32 v4, s21, v7
	ds_load_b32 v20, v22 offset:32
	v_and_b32_e32 v5, v5, v6
	; wave barrier
	s_delay_alu instid0(VALU_DEP_1) | instskip(NEXT) | instid1(VALU_DEP_1)
	v_and_b32_e32 v4, v5, v4
	v_mbcnt_lo_u32_b32 v21, v4, 0
	v_cmp_ne_u32_e64 s21, 0, v4
	s_delay_alu instid0(VALU_DEP_2)
	v_cmp_eq_u32_e32 vcc_lo, 0, v21
	s_and_b32 s26, s21, vcc_lo
	s_wait_alu 0xfffe
	s_and_saveexec_b32 s21, s26
	s_cbranch_execz .LBB146_75
; %bb.74:                               ;   in Loop: Header=BB146_67 Depth=1
	s_wait_dscnt 0x0
	v_bcnt_u32_b32 v4, v4, v20
	ds_store_b32 v22, v4 offset:32
.LBB146_75:                             ;   in Loop: Header=BB146_67 Depth=1
	s_wait_alu 0xfffe
	s_or_b32 exec_lo, exec_lo, s21
	v_lshrrev_b64 v[4:5], v37, v[63:64]
	; wave barrier
	s_delay_alu instid0(VALU_DEP_1) | instskip(NEXT) | instid1(VALU_DEP_1)
	v_and_b32_e32 v4, s25, v4
	v_and_b32_e32 v5, 1, v4
	v_lshlrev_b32_e32 v6, 30, v4
	v_lshlrev_b32_e32 v7, 29, v4
	;; [unrolled: 1-line block ×4, first 2 shown]
	v_add_co_u32 v5, s21, v5, -1
	s_wait_alu 0xf1ff
	v_cndmask_b32_e64 v9, 0, 1, s21
	v_not_b32_e32 v24, v6
	v_cmp_gt_i32_e64 s21, 0, v6
	v_not_b32_e32 v6, v7
	v_lshlrev_b32_e32 v11, 26, v4
	v_cmp_ne_u32_e32 vcc_lo, 0, v9
	v_ashrrev_i32_e32 v24, 31, v24
	v_lshlrev_b32_e32 v23, 25, v4
	v_ashrrev_i32_e32 v6, 31, v6
	v_lshlrev_b32_e32 v9, 24, v4
	s_wait_alu 0xfffd
	v_xor_b32_e32 v5, vcc_lo, v5
	v_cmp_gt_i32_e32 vcc_lo, 0, v7
	v_not_b32_e32 v7, v8
	s_wait_alu 0xf1ff
	v_xor_b32_e32 v24, s21, v24
	v_cmp_gt_i32_e64 s21, 0, v8
	v_and_b32_e32 v5, exec_lo, v5
	v_not_b32_e32 v8, v10
	v_ashrrev_i32_e32 v7, 31, v7
	s_wait_alu 0xfffd
	v_xor_b32_e32 v6, vcc_lo, v6
	v_cmp_gt_i32_e32 vcc_lo, 0, v10
	v_and_b32_e32 v5, v5, v24
	v_not_b32_e32 v10, v11
	v_ashrrev_i32_e32 v8, 31, v8
	s_wait_alu 0xf1ff
	v_xor_b32_e32 v7, s21, v7
	v_cmp_gt_i32_e64 s21, 0, v11
	v_and_b32_e32 v5, v5, v6
	v_not_b32_e32 v6, v23
	v_ashrrev_i32_e32 v10, 31, v10
	s_wait_alu 0xfffd
	v_xor_b32_e32 v8, vcc_lo, v8
	v_cmp_gt_i32_e32 vcc_lo, 0, v23
	v_and_b32_e32 v5, v5, v7
	v_not_b32_e32 v7, v9
	v_ashrrev_i32_e32 v6, 31, v6
	s_wait_alu 0xf1ff
	v_xor_b32_e32 v10, s21, v10
	v_lshlrev_b32_e32 v4, 5, v4
	v_and_b32_e32 v5, v5, v8
	v_cmp_gt_i32_e64 s21, 0, v9
	v_ashrrev_i32_e32 v7, 31, v7
	s_wait_alu 0xfffd
	v_xor_b32_e32 v6, vcc_lo, v6
	v_add_nc_u32_e32 v25, v76, v4
	v_and_b32_e32 v5, v5, v10
	s_wait_alu 0xf1ff
	v_xor_b32_e32 v4, s21, v7
	ds_load_b32 v23, v25 offset:32
	v_and_b32_e32 v5, v5, v6
	; wave barrier
	s_delay_alu instid0(VALU_DEP_1) | instskip(NEXT) | instid1(VALU_DEP_1)
	v_and_b32_e32 v4, v5, v4
	v_mbcnt_lo_u32_b32 v24, v4, 0
	v_cmp_ne_u32_e64 s21, 0, v4
	s_delay_alu instid0(VALU_DEP_2)
	v_cmp_eq_u32_e32 vcc_lo, 0, v24
	s_and_b32 s26, s21, vcc_lo
	s_wait_alu 0xfffe
	s_and_saveexec_b32 s21, s26
	s_cbranch_execz .LBB146_77
; %bb.76:                               ;   in Loop: Header=BB146_67 Depth=1
	s_wait_dscnt 0x0
	v_bcnt_u32_b32 v4, v4, v23
	ds_store_b32 v25, v4 offset:32
.LBB146_77:                             ;   in Loop: Header=BB146_67 Depth=1
	s_wait_alu 0xfffe
	s_or_b32 exec_lo, exec_lo, s21
	v_lshrrev_b64 v[4:5], v37, v[45:46]
	; wave barrier
	s_delay_alu instid0(VALU_DEP_1) | instskip(NEXT) | instid1(VALU_DEP_1)
	v_and_b32_e32 v4, s25, v4
	v_and_b32_e32 v5, 1, v4
	v_lshlrev_b32_e32 v6, 30, v4
	v_lshlrev_b32_e32 v7, 29, v4
	;; [unrolled: 1-line block ×4, first 2 shown]
	v_add_co_u32 v5, s21, v5, -1
	s_wait_alu 0xf1ff
	v_cndmask_b32_e64 v9, 0, 1, s21
	v_not_b32_e32 v27, v6
	v_cmp_gt_i32_e64 s21, 0, v6
	v_not_b32_e32 v6, v7
	v_lshlrev_b32_e32 v11, 26, v4
	v_cmp_ne_u32_e32 vcc_lo, 0, v9
	v_ashrrev_i32_e32 v27, 31, v27
	v_lshlrev_b32_e32 v26, 25, v4
	v_ashrrev_i32_e32 v6, 31, v6
	v_lshlrev_b32_e32 v9, 24, v4
	s_wait_alu 0xfffd
	v_xor_b32_e32 v5, vcc_lo, v5
	v_cmp_gt_i32_e32 vcc_lo, 0, v7
	v_not_b32_e32 v7, v8
	s_wait_alu 0xf1ff
	v_xor_b32_e32 v27, s21, v27
	v_cmp_gt_i32_e64 s21, 0, v8
	v_and_b32_e32 v5, exec_lo, v5
	v_not_b32_e32 v8, v10
	v_ashrrev_i32_e32 v7, 31, v7
	s_wait_alu 0xfffd
	v_xor_b32_e32 v6, vcc_lo, v6
	v_cmp_gt_i32_e32 vcc_lo, 0, v10
	v_and_b32_e32 v5, v5, v27
	v_not_b32_e32 v10, v11
	v_ashrrev_i32_e32 v8, 31, v8
	s_wait_alu 0xf1ff
	v_xor_b32_e32 v7, s21, v7
	v_cmp_gt_i32_e64 s21, 0, v11
	v_and_b32_e32 v5, v5, v6
	v_not_b32_e32 v6, v26
	v_ashrrev_i32_e32 v10, 31, v10
	s_wait_alu 0xfffd
	v_xor_b32_e32 v8, vcc_lo, v8
	v_cmp_gt_i32_e32 vcc_lo, 0, v26
	v_and_b32_e32 v5, v5, v7
	v_not_b32_e32 v7, v9
	v_ashrrev_i32_e32 v6, 31, v6
	s_wait_alu 0xf1ff
	v_xor_b32_e32 v10, s21, v10
	v_lshlrev_b32_e32 v4, 5, v4
	v_and_b32_e32 v5, v5, v8
	v_cmp_gt_i32_e64 s21, 0, v9
	v_ashrrev_i32_e32 v7, 31, v7
	s_wait_alu 0xfffd
	v_xor_b32_e32 v6, vcc_lo, v6
	v_add_nc_u32_e32 v28, v76, v4
	v_and_b32_e32 v5, v5, v10
	s_wait_alu 0xf1ff
	v_xor_b32_e32 v4, s21, v7
	ds_load_b32 v26, v28 offset:32
	v_and_b32_e32 v5, v5, v6
	; wave barrier
	s_delay_alu instid0(VALU_DEP_1) | instskip(NEXT) | instid1(VALU_DEP_1)
	v_and_b32_e32 v4, v5, v4
	v_mbcnt_lo_u32_b32 v27, v4, 0
	v_cmp_ne_u32_e64 s21, 0, v4
	s_delay_alu instid0(VALU_DEP_2)
	v_cmp_eq_u32_e32 vcc_lo, 0, v27
	s_and_b32 s26, s21, vcc_lo
	s_wait_alu 0xfffe
	s_and_saveexec_b32 s21, s26
	s_cbranch_execz .LBB146_79
; %bb.78:                               ;   in Loop: Header=BB146_67 Depth=1
	s_wait_dscnt 0x0
	v_bcnt_u32_b32 v4, v4, v26
	ds_store_b32 v28, v4 offset:32
.LBB146_79:                             ;   in Loop: Header=BB146_67 Depth=1
	s_wait_alu 0xfffe
	s_or_b32 exec_lo, exec_lo, s21
	v_lshrrev_b64 v[4:5], v37, v[43:44]
	; wave barrier
	s_delay_alu instid0(VALU_DEP_1) | instskip(NEXT) | instid1(VALU_DEP_1)
	v_and_b32_e32 v4, s25, v4
	v_and_b32_e32 v5, 1, v4
	v_lshlrev_b32_e32 v6, 30, v4
	v_lshlrev_b32_e32 v7, 29, v4
	;; [unrolled: 1-line block ×4, first 2 shown]
	v_add_co_u32 v5, s21, v5, -1
	s_wait_alu 0xf1ff
	v_cndmask_b32_e64 v9, 0, 1, s21
	v_not_b32_e32 v30, v6
	v_cmp_gt_i32_e64 s21, 0, v6
	v_not_b32_e32 v6, v7
	v_lshlrev_b32_e32 v11, 26, v4
	v_cmp_ne_u32_e32 vcc_lo, 0, v9
	v_ashrrev_i32_e32 v30, 31, v30
	v_lshlrev_b32_e32 v29, 25, v4
	v_ashrrev_i32_e32 v6, 31, v6
	v_lshlrev_b32_e32 v9, 24, v4
	s_wait_alu 0xfffd
	v_xor_b32_e32 v5, vcc_lo, v5
	v_cmp_gt_i32_e32 vcc_lo, 0, v7
	v_not_b32_e32 v7, v8
	s_wait_alu 0xf1ff
	v_xor_b32_e32 v30, s21, v30
	v_cmp_gt_i32_e64 s21, 0, v8
	v_and_b32_e32 v5, exec_lo, v5
	v_not_b32_e32 v8, v10
	v_ashrrev_i32_e32 v7, 31, v7
	s_wait_alu 0xfffd
	v_xor_b32_e32 v6, vcc_lo, v6
	v_cmp_gt_i32_e32 vcc_lo, 0, v10
	v_and_b32_e32 v5, v5, v30
	v_not_b32_e32 v10, v11
	v_ashrrev_i32_e32 v8, 31, v8
	s_wait_alu 0xf1ff
	v_xor_b32_e32 v7, s21, v7
	v_cmp_gt_i32_e64 s21, 0, v11
	v_and_b32_e32 v5, v5, v6
	v_not_b32_e32 v6, v29
	v_ashrrev_i32_e32 v10, 31, v10
	s_wait_alu 0xfffd
	v_xor_b32_e32 v8, vcc_lo, v8
	v_cmp_gt_i32_e32 vcc_lo, 0, v29
	v_and_b32_e32 v5, v5, v7
	v_not_b32_e32 v7, v9
	v_ashrrev_i32_e32 v6, 31, v6
	s_wait_alu 0xf1ff
	v_xor_b32_e32 v10, s21, v10
	v_lshlrev_b32_e32 v4, 5, v4
	v_and_b32_e32 v5, v5, v8
	v_cmp_gt_i32_e64 s21, 0, v9
	v_ashrrev_i32_e32 v7, 31, v7
	s_wait_alu 0xfffd
	v_xor_b32_e32 v6, vcc_lo, v6
	v_add_nc_u32_e32 v31, v76, v4
	v_and_b32_e32 v5, v5, v10
	s_wait_alu 0xf1ff
	v_xor_b32_e32 v4, s21, v7
	ds_load_b32 v29, v31 offset:32
	v_and_b32_e32 v5, v5, v6
	; wave barrier
	s_delay_alu instid0(VALU_DEP_1) | instskip(NEXT) | instid1(VALU_DEP_1)
	v_and_b32_e32 v4, v5, v4
	v_mbcnt_lo_u32_b32 v30, v4, 0
	v_cmp_ne_u32_e64 s21, 0, v4
	s_delay_alu instid0(VALU_DEP_2)
	v_cmp_eq_u32_e32 vcc_lo, 0, v30
	s_and_b32 s26, s21, vcc_lo
	s_wait_alu 0xfffe
	s_and_saveexec_b32 s21, s26
	s_cbranch_execz .LBB146_81
; %bb.80:                               ;   in Loop: Header=BB146_67 Depth=1
	s_wait_dscnt 0x0
	v_bcnt_u32_b32 v4, v4, v29
	ds_store_b32 v31, v4 offset:32
.LBB146_81:                             ;   in Loop: Header=BB146_67 Depth=1
	s_wait_alu 0xfffe
	s_or_b32 exec_lo, exec_lo, s21
	v_lshrrev_b64 v[4:5], v37, v[41:42]
	; wave barrier
	s_delay_alu instid0(VALU_DEP_1) | instskip(NEXT) | instid1(VALU_DEP_1)
	v_and_b32_e32 v4, s25, v4
	v_and_b32_e32 v5, 1, v4
	v_lshlrev_b32_e32 v6, 30, v4
	v_lshlrev_b32_e32 v7, 29, v4
	;; [unrolled: 1-line block ×4, first 2 shown]
	v_add_co_u32 v5, s21, v5, -1
	s_wait_alu 0xf1ff
	v_cndmask_b32_e64 v9, 0, 1, s21
	v_not_b32_e32 v34, v6
	v_cmp_gt_i32_e64 s21, 0, v6
	v_not_b32_e32 v6, v7
	v_lshlrev_b32_e32 v11, 26, v4
	v_cmp_ne_u32_e32 vcc_lo, 0, v9
	v_ashrrev_i32_e32 v34, 31, v34
	v_lshlrev_b32_e32 v33, 25, v4
	v_ashrrev_i32_e32 v6, 31, v6
	v_lshlrev_b32_e32 v9, 24, v4
	s_wait_alu 0xfffd
	v_xor_b32_e32 v5, vcc_lo, v5
	v_cmp_gt_i32_e32 vcc_lo, 0, v7
	v_not_b32_e32 v7, v8
	s_wait_alu 0xf1ff
	v_xor_b32_e32 v34, s21, v34
	v_cmp_gt_i32_e64 s21, 0, v8
	v_and_b32_e32 v5, exec_lo, v5
	v_not_b32_e32 v8, v10
	v_ashrrev_i32_e32 v7, 31, v7
	s_wait_alu 0xfffd
	v_xor_b32_e32 v6, vcc_lo, v6
	v_cmp_gt_i32_e32 vcc_lo, 0, v10
	v_and_b32_e32 v5, v5, v34
	v_not_b32_e32 v10, v11
	v_ashrrev_i32_e32 v8, 31, v8
	s_wait_alu 0xf1ff
	v_xor_b32_e32 v7, s21, v7
	v_cmp_gt_i32_e64 s21, 0, v11
	v_and_b32_e32 v5, v5, v6
	v_not_b32_e32 v6, v33
	v_ashrrev_i32_e32 v10, 31, v10
	s_wait_alu 0xfffd
	v_xor_b32_e32 v8, vcc_lo, v8
	v_cmp_gt_i32_e32 vcc_lo, 0, v33
	v_and_b32_e32 v5, v5, v7
	v_not_b32_e32 v7, v9
	v_ashrrev_i32_e32 v6, 31, v6
	s_wait_alu 0xf1ff
	v_xor_b32_e32 v10, s21, v10
	v_lshlrev_b32_e32 v4, 5, v4
	v_and_b32_e32 v5, v5, v8
	v_cmp_gt_i32_e64 s21, 0, v9
	v_ashrrev_i32_e32 v7, 31, v7
	s_wait_alu 0xfffd
	v_xor_b32_e32 v6, vcc_lo, v6
	v_add_nc_u32_e32 v35, v76, v4
	v_and_b32_e32 v5, v5, v10
	s_wait_alu 0xf1ff
	v_xor_b32_e32 v4, s21, v7
	ds_load_b32 v33, v35 offset:32
	v_and_b32_e32 v5, v5, v6
	; wave barrier
	s_delay_alu instid0(VALU_DEP_1) | instskip(NEXT) | instid1(VALU_DEP_1)
	v_and_b32_e32 v4, v5, v4
	v_mbcnt_lo_u32_b32 v34, v4, 0
	v_cmp_ne_u32_e64 s21, 0, v4
	s_delay_alu instid0(VALU_DEP_2)
	v_cmp_eq_u32_e32 vcc_lo, 0, v34
	s_and_b32 s25, s21, vcc_lo
	s_wait_alu 0xfffe
	s_and_saveexec_b32 s21, s25
	s_cbranch_execz .LBB146_83
; %bb.82:                               ;   in Loop: Header=BB146_67 Depth=1
	s_wait_dscnt 0x0
	v_bcnt_u32_b32 v4, v4, v33
	ds_store_b32 v35, v4 offset:32
.LBB146_83:                             ;   in Loop: Header=BB146_67 Depth=1
	s_wait_alu 0xfffe
	s_or_b32 exec_lo, exec_lo, s21
	; wave barrier
	s_wait_loadcnt_dscnt 0x0
	s_barrier_signal -1
	s_barrier_wait -1
	global_inv scope:SCOPE_SE
	ds_load_b128 v[8:11], v116 offset:32
	ds_load_b128 v[4:7], v116 offset:48
	s_wait_dscnt 0x1
	v_add_nc_u32_e32 v36, v9, v8
	s_delay_alu instid0(VALU_DEP_1) | instskip(SKIP_1) | instid1(VALU_DEP_1)
	v_add3_u32 v36, v36, v10, v11
	s_wait_dscnt 0x0
	v_add3_u32 v36, v36, v4, v5
	s_delay_alu instid0(VALU_DEP_1) | instskip(NEXT) | instid1(VALU_DEP_1)
	v_add3_u32 v7, v36, v6, v7
	v_mov_b32_dpp v36, v7 row_shr:1 row_mask:0xf bank_mask:0xf
	s_delay_alu instid0(VALU_DEP_1) | instskip(NEXT) | instid1(VALU_DEP_1)
	v_cndmask_b32_e64 v36, v36, 0, s8
	v_add_nc_u32_e32 v7, v36, v7
	s_delay_alu instid0(VALU_DEP_1) | instskip(NEXT) | instid1(VALU_DEP_1)
	v_mov_b32_dpp v36, v7 row_shr:2 row_mask:0xf bank_mask:0xf
	v_cndmask_b32_e64 v36, 0, v36, s10
	s_delay_alu instid0(VALU_DEP_1) | instskip(NEXT) | instid1(VALU_DEP_1)
	v_add_nc_u32_e32 v7, v7, v36
	v_mov_b32_dpp v36, v7 row_shr:4 row_mask:0xf bank_mask:0xf
	s_delay_alu instid0(VALU_DEP_1) | instskip(NEXT) | instid1(VALU_DEP_1)
	v_cndmask_b32_e64 v36, 0, v36, s11
	v_add_nc_u32_e32 v7, v7, v36
	s_delay_alu instid0(VALU_DEP_1) | instskip(NEXT) | instid1(VALU_DEP_1)
	v_mov_b32_dpp v36, v7 row_shr:8 row_mask:0xf bank_mask:0xf
	v_cndmask_b32_e64 v36, 0, v36, s12
	s_delay_alu instid0(VALU_DEP_1) | instskip(SKIP_3) | instid1(VALU_DEP_1)
	v_add_nc_u32_e32 v7, v7, v36
	ds_swizzle_b32 v36, v7 offset:swizzle(BROADCAST,32,15)
	s_wait_dscnt 0x0
	v_cndmask_b32_e64 v36, v36, 0, s13
	v_add_nc_u32_e32 v7, v7, v36
	s_and_saveexec_b32 s21, s14
; %bb.84:                               ;   in Loop: Header=BB146_67 Depth=1
	ds_store_b32 v117, v7
; %bb.85:                               ;   in Loop: Header=BB146_67 Depth=1
	s_wait_alu 0xfffe
	s_or_b32 exec_lo, exec_lo, s21
	s_wait_loadcnt_dscnt 0x0
	s_barrier_signal -1
	s_barrier_wait -1
	global_inv scope:SCOPE_SE
	s_and_saveexec_b32 s21, s15
	s_cbranch_execz .LBB146_87
; %bb.86:                               ;   in Loop: Header=BB146_67 Depth=1
	ds_load_b32 v36, v77
	s_wait_dscnt 0x0
	v_mov_b32_dpp v78, v36 row_shr:1 row_mask:0xf bank_mask:0xf
	s_delay_alu instid0(VALU_DEP_1) | instskip(NEXT) | instid1(VALU_DEP_1)
	v_cndmask_b32_e64 v78, v78, 0, s18
	v_add_nc_u32_e32 v36, v78, v36
	s_delay_alu instid0(VALU_DEP_1) | instskip(NEXT) | instid1(VALU_DEP_1)
	v_mov_b32_dpp v78, v36 row_shr:2 row_mask:0xf bank_mask:0xf
	v_cndmask_b32_e64 v78, 0, v78, s19
	s_delay_alu instid0(VALU_DEP_1) | instskip(NEXT) | instid1(VALU_DEP_1)
	v_add_nc_u32_e32 v36, v36, v78
	v_mov_b32_dpp v78, v36 row_shr:4 row_mask:0xf bank_mask:0xf
	s_delay_alu instid0(VALU_DEP_1) | instskip(NEXT) | instid1(VALU_DEP_1)
	v_cndmask_b32_e64 v78, 0, v78, s20
	v_add_nc_u32_e32 v36, v36, v78
	ds_store_b32 v77, v36
.LBB146_87:                             ;   in Loop: Header=BB146_67 Depth=1
	s_wait_alu 0xfffe
	s_or_b32 exec_lo, exec_lo, s21
	v_mov_b32_e32 v36, 0
	s_wait_loadcnt_dscnt 0x0
	s_barrier_signal -1
	s_barrier_wait -1
	global_inv scope:SCOPE_SE
	s_and_saveexec_b32 s21, s16
; %bb.88:                               ;   in Loop: Header=BB146_67 Depth=1
	ds_load_b32 v36, v74
; %bb.89:                               ;   in Loop: Header=BB146_67 Depth=1
	s_wait_alu 0xfffe
	s_or_b32 exec_lo, exec_lo, s21
	s_wait_dscnt 0x0
	v_add_nc_u32_e32 v7, v36, v7
	v_cmp_lt_u32_e32 vcc_lo, 55, v37
	s_mov_b32 s21, -1
	ds_bpermute_b32 v7, v32, v7
	s_and_b32 vcc_lo, exec_lo, vcc_lo
	s_wait_dscnt 0x0
	v_cndmask_b32_e64 v7, v7, v36, s9
	s_delay_alu instid0(VALU_DEP_1) | instskip(NEXT) | instid1(VALU_DEP_1)
	v_cndmask_b32_e64 v7, v7, 0, s17
	v_add_nc_u32_e32 v8, v7, v8
	s_delay_alu instid0(VALU_DEP_1) | instskip(NEXT) | instid1(VALU_DEP_1)
	v_add_nc_u32_e32 v9, v8, v9
	v_add_nc_u32_e32 v10, v9, v10
	s_delay_alu instid0(VALU_DEP_1) | instskip(NEXT) | instid1(VALU_DEP_1)
	v_add_nc_u32_e32 v78, v10, v11
	;; [unrolled: 3-line block ×3, first 2 shown]
	v_add_nc_u32_e32 v81, v80, v6
	ds_store_b128 v116, v[7:10] offset:32
	ds_store_b128 v116, v[78:81] offset:48
	s_wait_loadcnt_dscnt 0x0
	s_barrier_signal -1
	s_barrier_wait -1
	global_inv scope:SCOPE_SE
	ds_load_b32 v4, v13 offset:32
	ds_load_b32 v5, v16 offset:32
	;; [unrolled: 1-line block ×8, first 2 shown]
	s_wait_dscnt 0x7
	v_add_nc_u32_e32 v85, v4, v12
	s_wait_dscnt 0x6
	v_add3_u32 v84, v15, v14, v5
	s_wait_dscnt 0x5
	v_add3_u32 v83, v18, v17, v6
	;; [unrolled: 2-line block ×7, first 2 shown]
                                        ; implicit-def: $vgpr35_vgpr36
                                        ; implicit-def: $vgpr14_vgpr15
                                        ; implicit-def: $vgpr10_vgpr11
                                        ; implicit-def: $vgpr6_vgpr7
                                        ; implicit-def: $vgpr30_vgpr31
                                        ; implicit-def: $vgpr26_vgpr27
                                        ; implicit-def: $vgpr22_vgpr23
                                        ; implicit-def: $vgpr18_vgpr19
	s_wait_alu 0xfffe
	s_cbranch_vccnz .LBB146_66
; %bb.90:                               ;   in Loop: Header=BB146_67 Depth=1
	v_lshlrev_b32_e32 v16, 3, v85
	v_lshlrev_b32_e32 v19, 3, v82
	;; [unrolled: 1-line block ×8, first 2 shown]
	s_wait_loadcnt 0x0
	s_barrier_signal -1
	s_barrier_wait -1
	global_inv scope:SCOPE_SE
	ds_store_b64 v16, v[39:40]
	ds_store_b64 v17, v[70:71]
	;; [unrolled: 1-line block ×8, first 2 shown]
	s_wait_loadcnt_dscnt 0x0
	s_barrier_signal -1
	s_barrier_wait -1
	global_inv scope:SCOPE_SE
	ds_load_2addr_b64 v[4:7], v75 offset1:32
	ds_load_2addr_b64 v[8:11], v75 offset0:64 offset1:96
	ds_load_2addr_b64 v[12:15], v75 offset0:128 offset1:160
	;; [unrolled: 1-line block ×3, first 2 shown]
	s_wait_loadcnt_dscnt 0x0
	s_barrier_signal -1
	s_barrier_wait -1
	global_inv scope:SCOPE_SE
	ds_store_b64 v16, v[61:62]
	ds_store_b64 v17, v[59:60]
	;; [unrolled: 1-line block ×8, first 2 shown]
	s_wait_loadcnt_dscnt 0x0
	s_barrier_signal -1
	s_barrier_wait -1
	global_inv scope:SCOPE_SE
	ds_load_2addr_b64 v[16:19], v75 offset1:32
	ds_load_2addr_b64 v[20:23], v75 offset0:64 offset1:96
	ds_load_2addr_b64 v[24:27], v75 offset0:128 offset1:160
	;; [unrolled: 1-line block ×3, first 2 shown]
	v_add_co_u32 v37, vcc_lo, v37, 8
	s_wait_alu 0xfffd
	v_add_co_ci_u32_e64 v38, null, 0, v38, vcc_lo
	s_add_co_i32 s24, s24, -8
	s_mov_b32 s21, 0
	s_wait_loadcnt_dscnt 0x0
	s_barrier_signal -1
	s_barrier_wait -1
	global_inv scope:SCOPE_SE
	s_branch .LBB146_66
.LBB146_91:
	v_lshlrev_b32_e32 v16, 3, v85
	v_lshlrev_b32_e32 v19, 3, v82
	;; [unrolled: 1-line block ×9, first 2 shown]
	s_wait_loadcnt 0x0
	s_barrier_signal -1
	s_barrier_wait -1
	global_inv scope:SCOPE_SE
	ds_store_b64 v16, v[39:40]
	ds_store_b64 v17, v[70:71]
	;; [unrolled: 1-line block ×8, first 2 shown]
	s_wait_loadcnt_dscnt 0x0
	s_barrier_signal -1
	s_barrier_wait -1
	global_inv scope:SCOPE_SE
	ds_load_b128 v[0:3], v24
	ds_load_b128 v[4:7], v24 offset:16
	ds_load_b128 v[8:11], v24 offset:32
	;; [unrolled: 1-line block ×3, first 2 shown]
	s_wait_loadcnt_dscnt 0x0
	s_barrier_signal -1
	s_barrier_wait -1
	global_inv scope:SCOPE_SE
	ds_store_b64 v16, v[61:62]
	ds_store_b64 v17, v[59:60]
	;; [unrolled: 1-line block ×8, first 2 shown]
	s_wait_loadcnt_dscnt 0x0
	s_barrier_signal -1
	s_barrier_wait -1
	global_inv scope:SCOPE_SE
	ds_load_b128 v[45:48], v24
	ds_load_b128 v[41:44], v24 offset:16
	ds_load_b128 v[37:40], v24 offset:32
	;; [unrolled: 1-line block ×3, first 2 shown]
	v_xor_b32_e32 v50, 0x7fffffff, v1
	v_xor_b32_e32 v49, -1, v0
	v_xor_b32_e32 v52, 0x7fffffff, v3
	v_xor_b32_e32 v51, -1, v2
	;; [unrolled: 2-line block ×8, first 2 shown]
.LBB146_92:
	s_wait_loadcnt_dscnt 0x0
	s_barrier_signal -1
	s_barrier_wait -1
	global_inv scope:SCOPE_SE
	ds_store_2addr_b64 v115, v[49:50], v[51:52] offset1:1
	ds_store_2addr_b64 v115, v[53:54], v[55:56] offset0:2 offset1:3
	ds_store_2addr_b64 v115, v[57:58], v[59:60] offset0:4 offset1:5
	;; [unrolled: 1-line block ×3, first 2 shown]
	s_wait_loadcnt_dscnt 0x0
	s_barrier_signal -1
	s_barrier_wait -1
	global_inv scope:SCOPE_SE
	ds_load_b64 v[14:15], v108 offset:2048
	ds_load_b64 v[12:13], v109 offset:4096
	;; [unrolled: 1-line block ×7, first 2 shown]
	v_mov_b32_e32 v73, 0
	s_delay_alu instid0(VALU_DEP_1) | instskip(NEXT) | instid1(VALU_DEP_1)
	v_lshlrev_b64_e32 v[2:3], 3, v[72:73]
	v_add_co_u32 v2, vcc_lo, s30, v2
	s_wait_alu 0xfffd
	s_delay_alu instid0(VALU_DEP_2)
	v_add_co_ci_u32_e64 v3, null, s31, v3, vcc_lo
	s_and_saveexec_b32 s8, s0
	s_cbranch_execnz .LBB146_111
; %bb.93:
	s_wait_alu 0xfffe
	s_or_b32 exec_lo, exec_lo, s8
	s_and_saveexec_b32 s8, s1
	s_cbranch_execnz .LBB146_112
.LBB146_94:
	s_wait_alu 0xfffe
	s_or_b32 exec_lo, exec_lo, s8
	s_and_saveexec_b32 s8, s2
	s_cbranch_execnz .LBB146_113
.LBB146_95:
	s_wait_alu 0xfffe
	s_or_b32 exec_lo, exec_lo, s8
	s_and_saveexec_b32 s8, s3
	s_cbranch_execnz .LBB146_114
.LBB146_96:
	s_wait_alu 0xfffe
	s_or_b32 exec_lo, exec_lo, s8
	s_and_saveexec_b32 s8, s4
	s_cbranch_execnz .LBB146_115
.LBB146_97:
	s_wait_alu 0xfffe
	s_or_b32 exec_lo, exec_lo, s8
	s_and_saveexec_b32 s8, s5
	s_cbranch_execnz .LBB146_116
.LBB146_98:
	s_wait_alu 0xfffe
	s_or_b32 exec_lo, exec_lo, s8
	s_and_saveexec_b32 s8, s6
	s_cbranch_execnz .LBB146_117
.LBB146_99:
	s_wait_alu 0xfffe
	s_or_b32 exec_lo, exec_lo, s8
	s_and_saveexec_b32 s8, s7
	s_cbranch_execz .LBB146_101
.LBB146_100:
	s_mul_i32 s10, s22, 0x700
	s_mov_b32 s11, 0
	s_wait_alu 0xfffe
	s_lshl_b64 s[10:11], s[10:11], 3
	s_wait_alu 0xfffe
	v_add_co_u32 v2, vcc_lo, v2, s10
	s_wait_alu 0xfffd
	v_add_co_ci_u32_e64 v3, null, s11, v3, vcc_lo
	s_wait_dscnt 0x0
	global_store_b64 v[2:3], v[0:1], off
.LBB146_101:
	s_wait_alu 0xfffe
	s_or_b32 exec_lo, exec_lo, s8
	s_wait_storecnt 0x0
	s_wait_loadcnt_dscnt 0x0
	s_barrier_signal -1
	s_barrier_wait -1
	global_inv scope:SCOPE_SE
	ds_store_2addr_b64 v115, v[45:46], v[47:48] offset1:1
	ds_store_2addr_b64 v115, v[41:42], v[43:44] offset0:2 offset1:3
	ds_store_2addr_b64 v115, v[37:38], v[39:40] offset0:4 offset1:5
	;; [unrolled: 1-line block ×3, first 2 shown]
	s_wait_loadcnt_dscnt 0x0
	s_barrier_signal -1
	s_barrier_wait -1
	global_inv scope:SCOPE_SE
	ds_load_b64 v[14:15], v108 offset:2048
	ds_load_b64 v[12:13], v109 offset:4096
	;; [unrolled: 1-line block ×7, first 2 shown]
	v_mov_b32_e32 v70, 0
	s_delay_alu instid0(VALU_DEP_1) | instskip(NEXT) | instid1(VALU_DEP_1)
	v_lshlrev_b64_e32 v[2:3], 3, v[69:70]
	v_add_co_u32 v2, vcc_lo, s34, v2
	s_wait_alu 0xfffd
	s_delay_alu instid0(VALU_DEP_2)
	v_add_co_ci_u32_e64 v3, null, s35, v3, vcc_lo
	s_and_saveexec_b32 s8, s0
	s_cbranch_execnz .LBB146_118
; %bb.102:
	s_wait_alu 0xfffe
	s_or_b32 exec_lo, exec_lo, s8
	s_and_saveexec_b32 s0, s1
	s_cbranch_execnz .LBB146_119
.LBB146_103:
	s_or_b32 exec_lo, exec_lo, s0
	s_and_saveexec_b32 s0, s2
	s_cbranch_execnz .LBB146_120
.LBB146_104:
	s_or_b32 exec_lo, exec_lo, s0
	s_and_saveexec_b32 s0, s3
	s_cbranch_execnz .LBB146_121
.LBB146_105:
	s_or_b32 exec_lo, exec_lo, s0
	s_and_saveexec_b32 s0, s4
	s_cbranch_execnz .LBB146_122
.LBB146_106:
	s_or_b32 exec_lo, exec_lo, s0
	s_and_saveexec_b32 s0, s5
	s_cbranch_execnz .LBB146_123
.LBB146_107:
	s_or_b32 exec_lo, exec_lo, s0
	s_and_saveexec_b32 s0, s6
	s_cbranch_execnz .LBB146_124
.LBB146_108:
	s_or_b32 exec_lo, exec_lo, s0
	s_and_saveexec_b32 s0, s7
	s_cbranch_execz .LBB146_110
.LBB146_109:
	s_mul_i32 s0, s28, 0x700
	s_mov_b32 s1, 0
	s_delay_alu instid0(SALU_CYCLE_1) | instskip(NEXT) | instid1(SALU_CYCLE_1)
	s_lshl_b64 s[0:1], s[0:1], 3
	v_add_co_u32 v2, vcc_lo, v2, s0
	s_wait_alu 0xfffd
	v_add_co_ci_u32_e64 v3, null, s1, v3, vcc_lo
	s_wait_dscnt 0x0
	global_store_b64 v[2:3], v[0:1], off
.LBB146_110:
	s_nop 0
	s_sendmsg sendmsg(MSG_DEALLOC_VGPRS)
	s_endpgm
.LBB146_111:
	ds_load_b64 v[16:17], v107
	s_wait_dscnt 0x0
	global_store_b64 v[2:3], v[16:17], off
	s_wait_alu 0xfffe
	s_or_b32 exec_lo, exec_lo, s8
	s_and_saveexec_b32 s8, s1
	s_cbranch_execz .LBB146_94
.LBB146_112:
	s_lshl_b32 s10, s22, 8
	s_mov_b32 s11, 0
	s_wait_alu 0xfffe
	s_lshl_b64 s[10:11], s[10:11], 3
	s_wait_alu 0xfffe
	v_add_co_u32 v16, vcc_lo, v2, s10
	s_wait_alu 0xfffd
	v_add_co_ci_u32_e64 v17, null, s11, v3, vcc_lo
	s_wait_dscnt 0x6
	global_store_b64 v[16:17], v[14:15], off
	s_or_b32 exec_lo, exec_lo, s8
	s_and_saveexec_b32 s8, s2
	s_cbranch_execz .LBB146_95
.LBB146_113:
	s_lshl_b32 s10, s22, 9
	s_mov_b32 s11, 0
	s_wait_alu 0xfffe
	s_lshl_b64 s[10:11], s[10:11], 3
	s_wait_dscnt 0x6
	s_wait_alu 0xfffe
	v_add_co_u32 v14, vcc_lo, v2, s10
	s_wait_alu 0xfffd
	v_add_co_ci_u32_e64 v15, null, s11, v3, vcc_lo
	s_wait_dscnt 0x5
	global_store_b64 v[14:15], v[12:13], off
	s_or_b32 exec_lo, exec_lo, s8
	s_and_saveexec_b32 s8, s3
	s_cbranch_execz .LBB146_96
.LBB146_114:
	s_mul_i32 s10, s22, 0x300
	s_mov_b32 s11, 0
	s_wait_alu 0xfffe
	s_lshl_b64 s[10:11], s[10:11], 3
	s_wait_dscnt 0x5
	s_wait_alu 0xfffe
	v_add_co_u32 v12, vcc_lo, v2, s10
	s_wait_alu 0xfffd
	v_add_co_ci_u32_e64 v13, null, s11, v3, vcc_lo
	s_wait_dscnt 0x4
	global_store_b64 v[12:13], v[10:11], off
	s_or_b32 exec_lo, exec_lo, s8
	s_and_saveexec_b32 s8, s4
	s_cbranch_execz .LBB146_97
.LBB146_115:
	s_lshl_b32 s10, s22, 10
	s_mov_b32 s11, 0
	s_wait_alu 0xfffe
	s_lshl_b64 s[10:11], s[10:11], 3
	s_wait_dscnt 0x4
	s_wait_alu 0xfffe
	v_add_co_u32 v10, vcc_lo, v2, s10
	s_wait_alu 0xfffd
	v_add_co_ci_u32_e64 v11, null, s11, v3, vcc_lo
	s_wait_dscnt 0x3
	global_store_b64 v[10:11], v[8:9], off
	s_or_b32 exec_lo, exec_lo, s8
	s_and_saveexec_b32 s8, s5
	s_cbranch_execz .LBB146_98
.LBB146_116:
	s_mul_i32 s10, s22, 0x500
	s_mov_b32 s11, 0
	s_wait_alu 0xfffe
	s_lshl_b64 s[10:11], s[10:11], 3
	s_wait_dscnt 0x3
	s_wait_alu 0xfffe
	v_add_co_u32 v8, vcc_lo, v2, s10
	s_wait_alu 0xfffd
	v_add_co_ci_u32_e64 v9, null, s11, v3, vcc_lo
	s_wait_dscnt 0x2
	global_store_b64 v[8:9], v[6:7], off
	s_or_b32 exec_lo, exec_lo, s8
	s_and_saveexec_b32 s8, s6
	s_cbranch_execz .LBB146_99
.LBB146_117:
	s_mul_i32 s10, s22, 0x600
	s_mov_b32 s11, 0
	s_wait_alu 0xfffe
	s_lshl_b64 s[10:11], s[10:11], 3
	s_wait_dscnt 0x2
	s_wait_alu 0xfffe
	v_add_co_u32 v6, vcc_lo, v2, s10
	s_wait_alu 0xfffd
	v_add_co_ci_u32_e64 v7, null, s11, v3, vcc_lo
	s_wait_dscnt 0x1
	global_store_b64 v[6:7], v[4:5], off
	s_or_b32 exec_lo, exec_lo, s8
	s_and_saveexec_b32 s8, s7
	s_cbranch_execnz .LBB146_100
	s_branch .LBB146_101
.LBB146_118:
	ds_load_b64 v[16:17], v107
	s_wait_dscnt 0x0
	global_store_b64 v[2:3], v[16:17], off
	s_wait_alu 0xfffe
	s_or_b32 exec_lo, exec_lo, s8
	s_and_saveexec_b32 s0, s1
	s_cbranch_execz .LBB146_103
.LBB146_119:
	s_lshl_b32 s8, s28, 8
	s_mov_b32 s9, 0
	s_wait_alu 0xfffe
	s_lshl_b64 s[8:9], s[8:9], 3
	s_wait_alu 0xfffe
	v_add_co_u32 v16, vcc_lo, v2, s8
	s_wait_alu 0xfffd
	v_add_co_ci_u32_e64 v17, null, s9, v3, vcc_lo
	s_wait_dscnt 0x6
	global_store_b64 v[16:17], v[14:15], off
	s_or_b32 exec_lo, exec_lo, s0
	s_and_saveexec_b32 s0, s2
	s_cbranch_execz .LBB146_104
.LBB146_120:
	s_lshl_b32 s8, s28, 9
	s_mov_b32 s9, 0
	s_wait_alu 0xfffe
	s_lshl_b64 s[8:9], s[8:9], 3
	s_wait_dscnt 0x6
	s_wait_alu 0xfffe
	v_add_co_u32 v14, vcc_lo, v2, s8
	s_wait_alu 0xfffd
	v_add_co_ci_u32_e64 v15, null, s9, v3, vcc_lo
	s_wait_dscnt 0x5
	global_store_b64 v[14:15], v[12:13], off
	s_or_b32 exec_lo, exec_lo, s0
	s_and_saveexec_b32 s0, s3
	s_cbranch_execz .LBB146_105
.LBB146_121:
	s_mul_i32 s2, s28, 0x300
	s_mov_b32 s3, 0
	s_wait_alu 0xfffe
	s_lshl_b64 s[2:3], s[2:3], 3
	s_wait_dscnt 0x5
	s_wait_alu 0xfffe
	v_add_co_u32 v12, vcc_lo, v2, s2
	s_wait_alu 0xfffd
	v_add_co_ci_u32_e64 v13, null, s3, v3, vcc_lo
	s_wait_dscnt 0x4
	global_store_b64 v[12:13], v[10:11], off
	s_or_b32 exec_lo, exec_lo, s0
	s_and_saveexec_b32 s0, s4
	s_cbranch_execz .LBB146_106
.LBB146_122:
	s_lshl_b32 s2, s28, 10
	s_mov_b32 s3, 0
	s_wait_alu 0xfffe
	s_lshl_b64 s[2:3], s[2:3], 3
	s_wait_dscnt 0x4
	s_wait_alu 0xfffe
	v_add_co_u32 v10, vcc_lo, v2, s2
	s_wait_alu 0xfffd
	v_add_co_ci_u32_e64 v11, null, s3, v3, vcc_lo
	s_wait_dscnt 0x3
	global_store_b64 v[10:11], v[8:9], off
	s_or_b32 exec_lo, exec_lo, s0
	s_and_saveexec_b32 s0, s5
	s_cbranch_execz .LBB146_107
.LBB146_123:
	s_mul_i32 s2, s28, 0x500
	s_mov_b32 s3, 0
	s_wait_alu 0xfffe
	s_lshl_b64 s[2:3], s[2:3], 3
	s_wait_dscnt 0x3
	s_wait_alu 0xfffe
	v_add_co_u32 v8, vcc_lo, v2, s2
	s_wait_alu 0xfffd
	v_add_co_ci_u32_e64 v9, null, s3, v3, vcc_lo
	s_wait_dscnt 0x2
	global_store_b64 v[8:9], v[6:7], off
	s_or_b32 exec_lo, exec_lo, s0
	s_and_saveexec_b32 s0, s6
	s_cbranch_execz .LBB146_108
.LBB146_124:
	s_mul_i32 s2, s28, 0x600
	s_mov_b32 s3, 0
	s_wait_alu 0xfffe
	s_lshl_b64 s[2:3], s[2:3], 3
	s_wait_dscnt 0x2
	s_wait_alu 0xfffe
	v_add_co_u32 v6, vcc_lo, v2, s2
	s_wait_alu 0xfffd
	v_add_co_ci_u32_e64 v7, null, s3, v3, vcc_lo
	s_wait_dscnt 0x1
	global_store_b64 v[6:7], v[4:5], off
	s_or_b32 exec_lo, exec_lo, s0
	s_and_saveexec_b32 s0, s7
	s_cbranch_execnz .LBB146_109
	s_branch .LBB146_110
	.section	.rodata,"a",@progbits
	.p2align	6, 0x0
	.amdhsa_kernel _ZN2at6native18radixSortKVInPlaceILi2ELin1ELi256ELi8ElljEEvNS_4cuda6detail10TensorInfoIT3_T5_EES6_S6_S6_NS4_IT4_S6_EES6_b
		.amdhsa_group_segment_fixed_size 16896
		.amdhsa_private_segment_fixed_size 0
		.amdhsa_kernarg_size 712
		.amdhsa_user_sgpr_count 2
		.amdhsa_user_sgpr_dispatch_ptr 0
		.amdhsa_user_sgpr_queue_ptr 0
		.amdhsa_user_sgpr_kernarg_segment_ptr 1
		.amdhsa_user_sgpr_dispatch_id 0
		.amdhsa_user_sgpr_private_segment_size 0
		.amdhsa_wavefront_size32 1
		.amdhsa_uses_dynamic_stack 0
		.amdhsa_enable_private_segment 0
		.amdhsa_system_sgpr_workgroup_id_x 1
		.amdhsa_system_sgpr_workgroup_id_y 1
		.amdhsa_system_sgpr_workgroup_id_z 1
		.amdhsa_system_sgpr_workgroup_info 0
		.amdhsa_system_vgpr_workitem_id 2
		.amdhsa_next_free_vgpr 141
		.amdhsa_next_free_sgpr 38
		.amdhsa_reserve_vcc 1
		.amdhsa_float_round_mode_32 0
		.amdhsa_float_round_mode_16_64 0
		.amdhsa_float_denorm_mode_32 3
		.amdhsa_float_denorm_mode_16_64 3
		.amdhsa_fp16_overflow 0
		.amdhsa_workgroup_processor_mode 1
		.amdhsa_memory_ordered 1
		.amdhsa_forward_progress 1
		.amdhsa_inst_pref_size 116
		.amdhsa_round_robin_scheduling 0
		.amdhsa_exception_fp_ieee_invalid_op 0
		.amdhsa_exception_fp_denorm_src 0
		.amdhsa_exception_fp_ieee_div_zero 0
		.amdhsa_exception_fp_ieee_overflow 0
		.amdhsa_exception_fp_ieee_underflow 0
		.amdhsa_exception_fp_ieee_inexact 0
		.amdhsa_exception_int_div_zero 0
	.end_amdhsa_kernel
	.section	.text._ZN2at6native18radixSortKVInPlaceILi2ELin1ELi256ELi8ElljEEvNS_4cuda6detail10TensorInfoIT3_T5_EES6_S6_S6_NS4_IT4_S6_EES6_b,"axG",@progbits,_ZN2at6native18radixSortKVInPlaceILi2ELin1ELi256ELi8ElljEEvNS_4cuda6detail10TensorInfoIT3_T5_EES6_S6_S6_NS4_IT4_S6_EES6_b,comdat
.Lfunc_end146:
	.size	_ZN2at6native18radixSortKVInPlaceILi2ELin1ELi256ELi8ElljEEvNS_4cuda6detail10TensorInfoIT3_T5_EES6_S6_S6_NS4_IT4_S6_EES6_b, .Lfunc_end146-_ZN2at6native18radixSortKVInPlaceILi2ELin1ELi256ELi8ElljEEvNS_4cuda6detail10TensorInfoIT3_T5_EES6_S6_S6_NS4_IT4_S6_EES6_b
                                        ; -- End function
	.set _ZN2at6native18radixSortKVInPlaceILi2ELin1ELi256ELi8ElljEEvNS_4cuda6detail10TensorInfoIT3_T5_EES6_S6_S6_NS4_IT4_S6_EES6_b.num_vgpr, 141
	.set _ZN2at6native18radixSortKVInPlaceILi2ELin1ELi256ELi8ElljEEvNS_4cuda6detail10TensorInfoIT3_T5_EES6_S6_S6_NS4_IT4_S6_EES6_b.num_agpr, 0
	.set _ZN2at6native18radixSortKVInPlaceILi2ELin1ELi256ELi8ElljEEvNS_4cuda6detail10TensorInfoIT3_T5_EES6_S6_S6_NS4_IT4_S6_EES6_b.numbered_sgpr, 38
	.set _ZN2at6native18radixSortKVInPlaceILi2ELin1ELi256ELi8ElljEEvNS_4cuda6detail10TensorInfoIT3_T5_EES6_S6_S6_NS4_IT4_S6_EES6_b.num_named_barrier, 0
	.set _ZN2at6native18radixSortKVInPlaceILi2ELin1ELi256ELi8ElljEEvNS_4cuda6detail10TensorInfoIT3_T5_EES6_S6_S6_NS4_IT4_S6_EES6_b.private_seg_size, 0
	.set _ZN2at6native18radixSortKVInPlaceILi2ELin1ELi256ELi8ElljEEvNS_4cuda6detail10TensorInfoIT3_T5_EES6_S6_S6_NS4_IT4_S6_EES6_b.uses_vcc, 1
	.set _ZN2at6native18radixSortKVInPlaceILi2ELin1ELi256ELi8ElljEEvNS_4cuda6detail10TensorInfoIT3_T5_EES6_S6_S6_NS4_IT4_S6_EES6_b.uses_flat_scratch, 0
	.set _ZN2at6native18radixSortKVInPlaceILi2ELin1ELi256ELi8ElljEEvNS_4cuda6detail10TensorInfoIT3_T5_EES6_S6_S6_NS4_IT4_S6_EES6_b.has_dyn_sized_stack, 0
	.set _ZN2at6native18radixSortKVInPlaceILi2ELin1ELi256ELi8ElljEEvNS_4cuda6detail10TensorInfoIT3_T5_EES6_S6_S6_NS4_IT4_S6_EES6_b.has_recursion, 0
	.set _ZN2at6native18radixSortKVInPlaceILi2ELin1ELi256ELi8ElljEEvNS_4cuda6detail10TensorInfoIT3_T5_EES6_S6_S6_NS4_IT4_S6_EES6_b.has_indirect_call, 0
	.section	.AMDGPU.csdata,"",@progbits
; Kernel info:
; codeLenInByte = 14796
; TotalNumSgprs: 40
; NumVgprs: 141
; ScratchSize: 0
; MemoryBound: 0
; FloatMode: 240
; IeeeMode: 1
; LDSByteSize: 16896 bytes/workgroup (compile time only)
; SGPRBlocks: 0
; VGPRBlocks: 17
; NumSGPRsForWavesPerEU: 40
; NumVGPRsForWavesPerEU: 141
; Occupancy: 10
; WaveLimiterHint : 1
; COMPUTE_PGM_RSRC2:SCRATCH_EN: 0
; COMPUTE_PGM_RSRC2:USER_SGPR: 2
; COMPUTE_PGM_RSRC2:TRAP_HANDLER: 0
; COMPUTE_PGM_RSRC2:TGID_X_EN: 1
; COMPUTE_PGM_RSRC2:TGID_Y_EN: 1
; COMPUTE_PGM_RSRC2:TGID_Z_EN: 1
; COMPUTE_PGM_RSRC2:TIDIG_COMP_CNT: 2
	.section	.text._ZN2at6native18radixSortKVInPlaceILi2ELin1ELi128ELi8ElljEEvNS_4cuda6detail10TensorInfoIT3_T5_EES6_S6_S6_NS4_IT4_S6_EES6_b,"axG",@progbits,_ZN2at6native18radixSortKVInPlaceILi2ELin1ELi128ELi8ElljEEvNS_4cuda6detail10TensorInfoIT3_T5_EES6_S6_S6_NS4_IT4_S6_EES6_b,comdat
	.protected	_ZN2at6native18radixSortKVInPlaceILi2ELin1ELi128ELi8ElljEEvNS_4cuda6detail10TensorInfoIT3_T5_EES6_S6_S6_NS4_IT4_S6_EES6_b ; -- Begin function _ZN2at6native18radixSortKVInPlaceILi2ELin1ELi128ELi8ElljEEvNS_4cuda6detail10TensorInfoIT3_T5_EES6_S6_S6_NS4_IT4_S6_EES6_b
	.globl	_ZN2at6native18radixSortKVInPlaceILi2ELin1ELi128ELi8ElljEEvNS_4cuda6detail10TensorInfoIT3_T5_EES6_S6_S6_NS4_IT4_S6_EES6_b
	.p2align	8
	.type	_ZN2at6native18radixSortKVInPlaceILi2ELin1ELi128ELi8ElljEEvNS_4cuda6detail10TensorInfoIT3_T5_EES6_S6_S6_NS4_IT4_S6_EES6_b,@function
_ZN2at6native18radixSortKVInPlaceILi2ELin1ELi128ELi8ElljEEvNS_4cuda6detail10TensorInfoIT3_T5_EES6_S6_S6_NS4_IT4_S6_EES6_b: ; @_ZN2at6native18radixSortKVInPlaceILi2ELin1ELi128ELi8ElljEEvNS_4cuda6detail10TensorInfoIT3_T5_EES6_S6_S6_NS4_IT4_S6_EES6_b
; %bb.0:
	s_clause 0x1
	s_load_b64 s[2:3], s[0:1], 0x1c8
	s_load_b96 s[24:26], s[0:1], 0xd8
	s_lshr_b32 s4, ttmp7, 16
	s_wait_kmcnt 0x0
	s_mul_i32 s3, s3, s4
	s_and_b32 s4, ttmp7, 0xffff
	s_delay_alu instid0(SALU_CYCLE_1) | instskip(NEXT) | instid1(SALU_CYCLE_1)
	s_add_co_i32 s3, s3, s4
	s_mul_i32 s2, s3, s2
	s_delay_alu instid0(SALU_CYCLE_1) | instskip(NEXT) | instid1(SALU_CYCLE_1)
	s_add_co_i32 s2, s2, ttmp9
	s_cmp_ge_u32 s2, s24
	s_cbranch_scc1 .LBB147_110
; %bb.1:
	s_clause 0x2
	s_load_b32 s10, s[0:1], 0xc
	s_load_b64 s[4:5], s[0:1], 0x6c
	s_load_b32 s8, s[0:1], 0x1b8
	s_add_nc_u64 s[22:23], s[0:1], 0xe8
	s_mov_b32 s24, s2
	s_wait_kmcnt 0x0
	s_cvt_f32_u32 s3, s10
	s_delay_alu instid0(SALU_CYCLE_3) | instskip(NEXT) | instid1(TRANS32_DEP_1)
	v_rcp_iflag_f32_e32 v1, s3
	v_readfirstlane_b32 s3, v1
	s_mul_f32 s3, s3, 0x4f7ffffe
	s_wait_alu 0xfffe
	s_delay_alu instid0(SALU_CYCLE_2) | instskip(SKIP_2) | instid1(SALU_CYCLE_1)
	s_cvt_u32_f32 s6, s3
	s_sub_co_i32 s3, 0, s10
	s_wait_alu 0xfffe
	s_mul_i32 s7, s3, s6
	s_mov_b32 s3, 0
	s_mul_hi_u32 s9, s6, s7
	s_wait_alu 0xfffe
	s_mov_b32 s7, s3
	s_add_co_i32 s6, s6, s9
	s_cmp_lt_i32 s8, 2
	s_mov_b32 s21, s3
	s_cbranch_scc1 .LBB147_4
; %bb.2:
	s_add_co_i32 s20, s8, -1
	s_mov_b32 s21, 0
	s_add_co_i32 s11, s8, 1
	s_lshl_b64 s[12:13], s[20:21], 2
	s_mov_b32 s24, s2
	s_add_nc_u64 s[12:13], s[22:23], s[12:13]
	s_delay_alu instid0(SALU_CYCLE_1)
	s_add_nc_u64 s[8:9], s[12:13], 8
.LBB147_3:                              ; =>This Inner Loop Header: Depth=1
	s_clause 0x1
	s_load_b32 s12, s[8:9], 0x0
	s_load_b32 s13, s[8:9], 0x64
	s_mov_b32 s16, s24
	s_add_nc_u64 s[8:9], s[8:9], -4
	s_wait_kmcnt 0x0
	s_cvt_f32_u32 s14, s12
	s_sub_co_i32 s15, 0, s12
	s_wait_alu 0xfffe
	s_delay_alu instid0(SALU_CYCLE_1) | instskip(NEXT) | instid1(TRANS32_DEP_1)
	v_rcp_iflag_f32_e32 v1, s14
	v_readfirstlane_b32 s14, v1
	s_mul_f32 s14, s14, 0x4f7ffffe
	s_wait_alu 0xfffe
	s_delay_alu instid0(SALU_CYCLE_2) | instskip(SKIP_1) | instid1(SALU_CYCLE_2)
	s_cvt_u32_f32 s14, s14
	s_wait_alu 0xfffe
	s_mul_i32 s15, s15, s14
	s_wait_alu 0xfffe
	s_mul_hi_u32 s15, s14, s15
	s_wait_alu 0xfffe
	s_add_co_i32 s14, s14, s15
	s_wait_alu 0xfffe
	s_mul_hi_u32 s14, s24, s14
	s_wait_alu 0xfffe
	s_mul_i32 s15, s14, s12
	s_add_co_i32 s17, s14, 1
	s_wait_alu 0xfffe
	s_sub_co_i32 s15, s24, s15
	s_wait_alu 0xfffe
	s_sub_co_i32 s18, s15, s12
	s_cmp_ge_u32 s15, s12
	s_cselect_b32 s14, s17, s14
	s_cselect_b32 s15, s18, s15
	s_wait_alu 0xfffe
	s_add_co_i32 s17, s14, 1
	s_cmp_ge_u32 s15, s12
	s_cselect_b32 s24, s17, s14
	s_add_co_i32 s11, s11, -1
	s_mul_i32 s12, s24, s12
	s_delay_alu instid0(SALU_CYCLE_1) | instskip(NEXT) | instid1(SALU_CYCLE_1)
	s_sub_co_i32 s12, s16, s12
	s_mul_i32 s12, s13, s12
	s_delay_alu instid0(SALU_CYCLE_1)
	s_add_co_i32 s21, s12, s21
	s_cmp_gt_u32 s11, 2
	s_cbranch_scc1 .LBB147_3
.LBB147_4:
	s_mul_u64 s[6:7], s[2:3], s[6:7]
	s_clause 0x1
	s_load_b64 s[30:31], s[0:1], 0x0
	s_load_b64 s[28:29], s[0:1], 0x1c0
	s_mul_i32 s3, s7, s10
	s_add_nc_u64 s[34:35], s[0:1], 0x1c8
	s_wait_alu 0xfffe
	s_sub_co_i32 s0, s2, s3
	s_add_co_i32 s1, s7, 1
	s_sub_co_i32 s3, s0, s10
	s_cmp_ge_u32 s0, s10
	s_cselect_b32 s1, s1, s7
	s_wait_alu 0xfffe
	s_cselect_b32 s0, s3, s0
	s_add_co_i32 s3, s1, 1
	s_cmp_ge_u32 s0, s10
	s_wait_alu 0xfffe
	s_cselect_b32 s0, s3, s1
	s_mov_b32 s1, 0
	s_mul_i32 s3, s0, s10
	s_mul_i32 s0, s0, s4
	s_wait_alu 0xfffe
	s_sub_co_i32 s2, s2, s3
	s_wait_alu 0xfffe
	s_mul_i32 s2, s2, s5
	s_brev_b32 s5, 1
	s_wait_alu 0xfffe
	s_add_co_i32 s0, s0, s2
	s_wait_kmcnt 0x0
	s_bitcmp1_b32 s29, 0
	s_cselect_b32 s20, -1, 0
	s_lshl_b64 s[2:3], s[0:1], 3
	s_and_b32 s0, s20, exec_lo
	s_cselect_b32 s4, 0, -1
	s_cselect_b32 s5, s5, 0x7fffffff
	s_mov_b32 s6, s4
	s_mov_b32 s7, s5
	;; [unrolled: 1-line block ×14, first 2 shown]
	v_dual_mov_b32 v1, s4 :: v_dual_and_b32 v74, 0x3ff, v0
	v_mov_b32_e32 v18, s5
	v_dual_mov_b32 v2, s5 :: v_dual_mov_b32 v3, s6
	s_delay_alu instid0(VALU_DEP_3)
	v_mul_lo_u32 v72, s26, v74
	v_cmp_gt_u32_e64 s0, s25, v74
	v_dual_mov_b32 v4, s7 :: v_dual_mov_b32 v5, s8
	v_dual_mov_b32 v6, s9 :: v_dual_mov_b32 v7, s10
	v_dual_mov_b32 v8, s11 :: v_dual_mov_b32 v9, s12
	s_wait_alu 0xfffe
	v_dual_mov_b32 v10, s13 :: v_dual_mov_b32 v11, s14
	v_dual_mov_b32 v12, s15 :: v_dual_mov_b32 v13, s16
	;; [unrolled: 1-line block ×4, first 2 shown]
	s_add_nc_u64 s[30:31], s[30:31], s[2:3]
	s_and_saveexec_b32 s1, s0
	s_cbranch_execz .LBB147_6
; %bb.5:
	v_mov_b32_e32 v73, 0
	s_delay_alu instid0(VALU_DEP_1) | instskip(NEXT) | instid1(VALU_DEP_1)
	v_lshlrev_b64_e32 v[1:2], 3, v[72:73]
	v_add_co_u32 v1, vcc_lo, s30, v1
	s_delay_alu instid0(VALU_DEP_1)
	v_add_co_ci_u32_e64 v2, null, s31, v2, vcc_lo
	global_load_b64 v[17:18], v[1:2], off
	v_dual_mov_b32 v1, s4 :: v_dual_mov_b32 v4, s7
	v_dual_mov_b32 v3, s6 :: v_dual_mov_b32 v6, s9
	;; [unrolled: 1-line block ×8, first 2 shown]
.LBB147_6:
	s_or_b32 exec_lo, exec_lo, s1
	v_add_nc_u32_e32 v31, 0x80, v74
	s_delay_alu instid0(VALU_DEP_1)
	v_cmp_gt_u32_e64 s1, s25, v31
	s_and_saveexec_b32 s2, s1
	s_cbranch_execz .LBB147_8
; %bb.7:
	v_mul_lo_u32 v1, s26, v31
	v_mov_b32_e32 v2, 0
	s_delay_alu instid0(VALU_DEP_1) | instskip(NEXT) | instid1(VALU_DEP_1)
	v_lshlrev_b64_e32 v[1:2], 3, v[1:2]
	v_add_co_u32 v1, vcc_lo, s30, v1
	s_wait_alu 0xfffd
	s_delay_alu instid0(VALU_DEP_2)
	v_add_co_ci_u32_e64 v2, null, s31, v2, vcc_lo
	global_load_b64 v[3:4], v[1:2], off
.LBB147_8:
	s_wait_alu 0xfffe
	s_or_b32 exec_lo, exec_lo, s2
	v_add_nc_u32_e32 v32, 0x100, v74
	s_delay_alu instid0(VALU_DEP_1)
	v_cmp_gt_u32_e64 s2, s25, v32
	s_and_saveexec_b32 s3, s2
	s_cbranch_execz .LBB147_10
; %bb.9:
	v_mul_lo_u32 v1, s26, v32
	v_mov_b32_e32 v2, 0
	s_delay_alu instid0(VALU_DEP_1) | instskip(NEXT) | instid1(VALU_DEP_1)
	v_lshlrev_b64_e32 v[1:2], 3, v[1:2]
	v_add_co_u32 v1, vcc_lo, s30, v1
	s_wait_alu 0xfffd
	s_delay_alu instid0(VALU_DEP_2)
	v_add_co_ci_u32_e64 v2, null, s31, v2, vcc_lo
	global_load_b64 v[5:6], v[1:2], off
.LBB147_10:
	s_wait_alu 0xfffe
	;; [unrolled: 18-line block ×6, first 2 shown]
	s_or_b32 exec_lo, exec_lo, s7
	s_clause 0x1
	s_load_b32 s10, s[22:23], 0x6c
	s_load_b64 s[8:9], s[22:23], 0x0
	v_add_nc_u32_e32 v38, 0x380, v74
	s_delay_alu instid0(VALU_DEP_1)
	v_cmp_gt_u32_e64 s7, s25, v38
	s_and_saveexec_b32 s11, s7
	s_cbranch_execz .LBB147_20
; %bb.19:
	v_mul_lo_u32 v1, s26, v38
	v_mov_b32_e32 v2, 0
	s_delay_alu instid0(VALU_DEP_1) | instskip(NEXT) | instid1(VALU_DEP_1)
	v_lshlrev_b64_e32 v[1:2], 3, v[1:2]
	v_add_co_u32 v1, vcc_lo, s30, v1
	s_wait_alu 0xfffd
	s_delay_alu instid0(VALU_DEP_2)
	v_add_co_ci_u32_e64 v2, null, s31, v2, vcc_lo
	global_load_b64 v[15:16], v[1:2], off
.LBB147_20:
	s_wait_alu 0xfffe
	s_or_b32 exec_lo, exec_lo, s11
	v_lshrrev_b32_e32 v2, 2, v32
	v_dual_mov_b32 v70, 0 :: v_dual_lshlrev_b32 v73, 3, v74
	v_lshrrev_b32_e32 v1, 2, v31
	v_lshrrev_b32_e32 v19, 2, v34
	s_delay_alu instid0(VALU_DEP_4)
	v_and_b32_e32 v2, 0x1f8, v2
	v_lshrrev_b32_e32 v33, 5, v74
	v_mov_b32_e32 v71, v70
	v_and_b32_e32 v1, 0x1f8, v1
	v_and_b32_e32 v19, 0x1f8, v19
	v_add_nc_u32_e32 v109, v2, v73
	v_lshrrev_b32_e32 v2, 2, v36
	v_lshl_add_u32 v107, v33, 3, v73
	v_add_nc_u32_e32 v108, v1, v73
	v_lshrrev_b32_e32 v1, 2, v35
	v_add_nc_u32_e32 v110, v19, v73
	v_dual_mov_b32 v21, v70 :: v_dual_and_b32 v2, 0x1f8, v2
	v_lshrrev_b32_e32 v19, 2, v37
	s_delay_alu instid0(VALU_DEP_4) | instskip(NEXT) | instid1(VALU_DEP_3)
	v_dual_mov_b32 v22, v70 :: v_dual_and_b32 v1, 0x1f8, v1
	v_dual_mov_b32 v27, 0 :: v_dual_add_nc_u32 v112, v2, v73
	v_mov_b32_e32 v28, 0
	s_wait_loadcnt 0x0
	ds_store_b64 v107, v[17:18]
	ds_store_b64 v108, v[3:4] offset:1024
	ds_store_b64 v109, v[5:6] offset:2048
	ds_store_b64 v110, v[7:8] offset:3072
	v_dual_mov_b32 v26, v70 :: v_dual_lshlrev_b32 v5, 1, v74
	v_lshrrev_b32_e32 v20, 2, v38
	v_dual_mov_b32 v30, v70 :: v_dual_add_nc_u32 v111, v1, v73
	s_delay_alu instid0(VALU_DEP_3) | instskip(SKIP_1) | instid1(VALU_DEP_4)
	v_and_b32_e32 v1, 0x7f8, v5
	v_dual_mov_b32 v24, v70 :: v_dual_and_b32 v3, 0x1f8, v19
	v_dual_mov_b32 v23, v70 :: v_dual_and_b32 v4, 0x1f8, v20
	s_delay_alu instid0(VALU_DEP_3) | instskip(NEXT) | instid1(VALU_DEP_3)
	v_lshl_add_u32 v115, v74, 6, v1
	v_add_nc_u32_e32 v113, v3, v73
	s_delay_alu instid0(VALU_DEP_3)
	v_dual_mov_b32 v25, v70 :: v_dual_add_nc_u32 v114, v4, v73
	ds_store_b64 v111, v[9:10] offset:4096
	ds_store_b64 v112, v[11:12] offset:5120
	;; [unrolled: 1-line block ×4, first 2 shown]
	s_wait_dscnt 0x0
	s_barrier_signal -1
	s_barrier_wait -1
	global_inv scope:SCOPE_SE
	ds_load_2addr_b64 v[13:16], v115 offset1:1
	ds_load_2addr_b64 v[9:12], v115 offset0:2 offset1:3
	ds_load_2addr_b64 v[5:8], v115 offset0:4 offset1:5
	;; [unrolled: 1-line block ×3, first 2 shown]
	s_wait_kmcnt 0x0
	s_mul_i32 s10, s10, s24
	v_mul_lo_u32 v69, s28, v74
	s_mov_b32 s11, 0
	s_wait_alu 0xfffe
	s_add_co_i32 s10, s10, s21
	v_dual_mov_b32 v17, v70 :: v_dual_mov_b32 v18, v70
	v_dual_mov_b32 v19, v70 :: v_dual_mov_b32 v20, v70
	v_mov_b32_e32 v29, v70
	s_wait_alu 0xfffe
	s_lshl_b64 s[10:11], s[10:11], 3
	s_wait_loadcnt_dscnt 0x0
	s_wait_alu 0xfffe
	s_add_nc_u64 s[24:25], s[8:9], s[10:11]
	s_barrier_signal -1
	s_barrier_wait -1
	global_inv scope:SCOPE_SE
	s_and_saveexec_b32 s8, s0
	s_cbranch_execnz .LBB147_56
; %bb.21:
	s_wait_alu 0xfffe
	s_or_b32 exec_lo, exec_lo, s8
	s_and_saveexec_b32 s8, s1
	s_cbranch_execnz .LBB147_57
.LBB147_22:
	s_wait_alu 0xfffe
	s_or_b32 exec_lo, exec_lo, s8
	s_and_saveexec_b32 s8, s2
	s_cbranch_execnz .LBB147_58
.LBB147_23:
	s_wait_alu 0xfffe
	s_or_b32 exec_lo, exec_lo, s8
	s_and_saveexec_b32 s8, s3
	s_cbranch_execnz .LBB147_59
.LBB147_24:
	s_wait_alu 0xfffe
	s_or_b32 exec_lo, exec_lo, s8
	s_and_saveexec_b32 s8, s4
	s_cbranch_execnz .LBB147_60
.LBB147_25:
	s_wait_alu 0xfffe
	s_or_b32 exec_lo, exec_lo, s8
	s_and_saveexec_b32 s8, s5
	s_cbranch_execnz .LBB147_61
.LBB147_26:
	s_wait_alu 0xfffe
	s_or_b32 exec_lo, exec_lo, s8
	s_and_saveexec_b32 s8, s6
	s_cbranch_execnz .LBB147_62
.LBB147_27:
	s_wait_alu 0xfffe
	s_or_b32 exec_lo, exec_lo, s8
	s_xor_b32 s8, s20, -1
	s_and_saveexec_b32 s9, s7
	s_cbranch_execz .LBB147_29
.LBB147_28:
	v_mul_lo_u32 v29, s28, v38
	v_mov_b32_e32 v30, 0
	s_delay_alu instid0(VALU_DEP_1) | instskip(NEXT) | instid1(VALU_DEP_1)
	v_lshlrev_b64_e32 v[29:30], 3, v[29:30]
	v_add_co_u32 v29, vcc_lo, s24, v29
	s_wait_alu 0xfffd
	s_delay_alu instid0(VALU_DEP_2)
	v_add_co_ci_u32_e64 v30, null, s25, v30, vcc_lo
	global_load_b64 v[29:30], v[29:30], off
.LBB147_29:
	s_wait_alu 0xfffe
	s_or_b32 exec_lo, exec_lo, s9
	s_wait_loadcnt 0x0
	ds_store_b64 v107, v[27:28]
	ds_store_b64 v108, v[70:71] offset:1024
	ds_store_b64 v109, v[17:18] offset:2048
	;; [unrolled: 1-line block ×7, first 2 shown]
	s_wait_dscnt 0x0
	s_barrier_signal -1
	s_barrier_wait -1
	global_inv scope:SCOPE_SE
	ds_load_2addr_b64 v[21:24], v115 offset1:1
	ds_load_2addr_b64 v[17:20], v115 offset0:2 offset1:3
	ds_load_2addr_b64 v[29:32], v115 offset0:4 offset1:5
	;; [unrolled: 1-line block ×3, first 2 shown]
	v_mbcnt_lo_u32_b32 v118, -1, 0
	v_and_b32_e32 v34, 0x3e0, v74
	v_and_b32_e32 v35, 0x1f00, v73
	s_and_b32 vcc_lo, exec_lo, s8
	v_bfe_u32 v124, v0, 10, 10
	v_bfe_u32 v125, v0, 20, 10
	v_or_b32_e32 v36, v118, v34
	v_or_b32_e32 v37, v118, v35
	v_lshlrev_b32_e32 v116, 2, v73
	v_and_b32_e32 v122, 15, v118
	v_and_b32_e32 v121, 16, v118
	v_lshlrev_b32_e32 v127, 6, v36
	v_lshlrev_b32_e32 v126, 3, v37
	v_min_u32_e32 v123, 0x60, v34
	v_cmp_gt_u32_e64 s8, 4, v74
	v_cmp_lt_u32_e64 s9, 31, v74
	v_cmp_eq_u32_e64 s10, 0, v74
	v_lshlrev_b32_e32 v117, 2, v33
	v_mul_i32_i24_e32 v119, 0xffffffe4, v74
	v_and_b32_e32 v120, 3, v118
	v_lshlrev_b32_e32 v0, 3, v35
	s_mov_b32 s20, 0
	s_mov_b32 s11, -1
	s_wait_loadcnt_dscnt 0x0
	s_barrier_signal -1
	s_barrier_wait -1
	global_inv scope:SCOPE_SE
                                        ; implicit-def: $vgpr63_vgpr64
                                        ; implicit-def: $vgpr59_vgpr60
                                        ; implicit-def: $vgpr55_vgpr56
                                        ; implicit-def: $vgpr51_vgpr52
                                        ; implicit-def: $vgpr35_vgpr36
                                        ; implicit-def: $vgpr39_vgpr40
                                        ; implicit-def: $vgpr43_vgpr44
                                        ; implicit-def: $vgpr47_vgpr48
	s_wait_alu 0xfffe
	s_cbranch_vccz .LBB147_64
; %bb.30:
	v_xor_b32_e32 v34, 0x80000000, v14
	v_xor_b32_e32 v36, 0x80000000, v16
	v_mov_b32_e32 v33, v13
	v_dual_mov_b32 v35, v15 :: v_dual_mov_b32 v70, 0
	v_xor_b32_e32 v38, 0x80000000, v10
	v_xor_b32_e32 v40, 0x80000000, v12
	s_mov_b32 s21, s20
	s_mov_b32 s22, s20
	;; [unrolled: 1-line block ×3, first 2 shown]
	v_mov_b32_e32 v37, v9
	v_mov_b32_e32 v39, v11
	v_xor_b32_e32 v42, 0x80000000, v6
	v_xor_b32_e32 v44, 0x80000000, v8
	v_dual_mov_b32 v41, v5 :: v_dual_add_nc_u32 v132, v116, v119
	v_mov_b32_e32 v43, v7
	v_xor_b32_e32 v46, 0x80000000, v2
	v_xor_b32_e32 v48, 0x80000000, v4
	v_mov_b32_e32 v45, v1
	v_mov_b32_e32 v47, v3
	ds_store_b128 v127, v[33:36]
	ds_store_b128 v127, v[37:40] offset:16
	ds_store_b128 v127, v[41:44] offset:32
	;; [unrolled: 1-line block ×3, first 2 shown]
	; wave barrier
	ds_load_2addr_b64 v[37:40], v126 offset1:32
	ds_load_2addr_b64 v[41:44], v126 offset0:64 offset1:96
	ds_load_2addr_b64 v[45:48], v126 offset0:128 offset1:160
	;; [unrolled: 1-line block ×3, first 2 shown]
	; wave barrier
	ds_store_b128 v127, v[21:24]
	ds_store_b128 v127, v[17:20] offset:16
	ds_store_b128 v127, v[29:32] offset:32
	;; [unrolled: 1-line block ×3, first 2 shown]
	; wave barrier
	ds_load_2addr_b64 v[49:52], v126 offset1:32
	ds_load_2addr_b64 v[53:56], v126 offset0:64 offset1:96
	ds_load_2addr_b64 v[57:60], v126 offset0:128 offset1:160
	;; [unrolled: 1-line block ×3, first 2 shown]
	s_wait_loadcnt_dscnt 0x0
	s_barrier_signal -1
	s_barrier_wait -1
	global_inv scope:SCOPE_SE
	s_load_b32 s11, s[34:35], 0xc
	s_getpc_b64 s[12:13]
	s_wait_alu 0xfffe
	s_sext_i32_i16 s13, s13
	s_add_co_u32 s12, s12, _ZN7rocprim17ROCPRIM_400000_NS16block_radix_sortIlLj128ELj8ElLj1ELj1ELj0ELNS0_26block_radix_rank_algorithmE1ELNS0_18block_padding_hintE2ELNS0_4arch9wavefront6targetE0EE19radix_bits_per_passE@rel32@lo+12
	s_wait_alu 0xfffe
	s_add_co_ci_u32 s13, s13, _ZN7rocprim17ROCPRIM_400000_NS16block_radix_sortIlLj128ELj8ElLj1ELj1ELj0ELNS0_26block_radix_rank_algorithmE1ELNS0_18block_padding_hintE2ELNS0_4arch9wavefront6targetE0EE19radix_bits_per_passE@rel32@hi+24
	v_cmp_lt_u32_e64 s15, 7, v122
	s_load_b32 s27, s[12:13], 0x0
	v_cmp_lt_u32_e64 s13, 1, v122
	v_cmp_eq_u32_e64 s16, 0, v121
	v_cmp_eq_u32_e64 s18, 0, v120
	v_cmp_lt_u32_e64 s19, 1, v120
	v_add_nc_u32_e32 v129, -4, v117
	v_lshl_add_u32 v130, v118, 3, v0
	v_mov_b32_e32 v71, 0
	s_wait_kmcnt 0x0
	s_lshr_b32 s14, s11, 16
	s_and_b32 s12, s11, 0xffff
	s_wait_alu 0xfffe
	v_mad_u32_u24 v33, v125, s14, v124
	v_sub_co_u32 v35, s11, v118, 1
	v_cmp_lt_u32_e64 s14, 3, v122
	s_delay_alu instid0(VALU_DEP_3) | instskip(NEXT) | instid1(VALU_DEP_3)
	v_mad_co_u64_u32 v[33:34], null, v33, s12, v[74:75]
	v_cmp_gt_i32_e32 vcc_lo, 0, v35
	v_or_b32_e32 v34, 31, v123
	v_cmp_eq_u32_e64 s12, 0, v122
	s_wait_alu 0xfffd
	v_cndmask_b32_e32 v35, v35, v118, vcc_lo
	v_lshrrev_b32_e32 v33, 3, v33
	v_cmp_eq_u32_e64 s17, v74, v34
	s_delay_alu instid0(VALU_DEP_3) | instskip(NEXT) | instid1(VALU_DEP_3)
	v_lshlrev_b32_e32 v128, 2, v35
	v_dual_mov_b32 v36, s23 :: v_dual_and_b32 v131, 0x1ffffffc, v33
	v_dual_mov_b32 v35, s22 :: v_dual_mov_b32 v34, s21
	v_mov_b32_e32 v33, s20
	s_mov_b32 s21, 64
	s_branch .LBB147_32
.LBB147_31:                             ;   in Loop: Header=BB147_32 Depth=1
	s_wait_alu 0xfffe
	s_and_not1_b32 vcc_lo, exec_lo, s20
	s_wait_alu 0xfffe
	s_cbranch_vccz .LBB147_63
.LBB147_32:                             ; =>This Inner Loop Header: Depth=1
	v_dual_mov_b32 v76, v38 :: v_dual_mov_b32 v75, v37
	s_wait_alu 0xfffe
	s_min_u32 s20, s27, s21
	v_mov_b32_e32 v78, v68
	s_wait_alu 0xfffe
	s_lshl_b32 s20, -1, s20
	v_mov_b32_e32 v80, v66
	v_lshrrev_b64 v[37:38], v70, v[75:76]
	s_wait_alu 0xfffe
	s_not_b32 s22, s20
	v_mov_b32_e32 v79, v65
	ds_store_b128 v116, v[33:36] offset:16
	ds_store_b128 v116, v[33:36] offset:32
	s_wait_loadcnt_dscnt 0x0
	s_wait_alu 0xfffe
	v_dual_mov_b32 v77, v67 :: v_dual_and_b32 v38, s22, v37
	v_dual_mov_b32 v82, v48 :: v_dual_mov_b32 v81, v47
	s_barrier_signal -1
	s_delay_alu instid0(VALU_DEP_2) | instskip(SKIP_3) | instid1(VALU_DEP_3)
	v_dual_mov_b32 v100, v46 :: v_dual_lshlrev_b32 v47, 30, v38
	v_and_b32_e32 v37, 1, v38
	v_dual_mov_b32 v99, v45 :: v_dual_lshlrev_b32 v48, 29, v38
	v_dual_mov_b32 v102, v44 :: v_dual_lshlrev_b32 v65, 28, v38
	v_add_co_u32 v37, s20, v37, -1
	s_wait_alu 0xf1ff
	v_cndmask_b32_e64 v66, 0, 1, s20
	v_not_b32_e32 v84, v47
	v_cmp_gt_i32_e64 s20, 0, v47
	v_not_b32_e32 v47, v48
	v_dual_mov_b32 v104, v42 :: v_dual_lshlrev_b32 v67, 27, v38
	v_cmp_ne_u32_e32 vcc_lo, 0, v66
	v_ashrrev_i32_e32 v84, 31, v84
	s_delay_alu instid0(VALU_DEP_4)
	v_ashrrev_i32_e32 v47, 31, v47
	v_dual_mov_b32 v101, v43 :: v_dual_lshlrev_b32 v68, 26, v38
	s_wait_alu 0xfffd
	v_xor_b32_e32 v37, vcc_lo, v37
	v_cmp_gt_i32_e32 vcc_lo, 0, v48
	v_not_b32_e32 v48, v65
	s_wait_alu 0xf1ff
	v_xor_b32_e32 v84, s20, v84
	v_cmp_gt_i32_e64 s20, 0, v65
	v_and_b32_e32 v37, exec_lo, v37
	v_not_b32_e32 v65, v67
	v_ashrrev_i32_e32 v48, 31, v48
	s_wait_alu 0xfffd
	v_xor_b32_e32 v47, vcc_lo, v47
	v_dual_mov_b32 v106, v40 :: v_dual_lshlrev_b32 v83, 25, v38
	v_dual_mov_b32 v86, v62 :: v_dual_and_b32 v37, v37, v84
	v_cmp_gt_i32_e32 vcc_lo, 0, v67
	v_not_b32_e32 v67, v68
	v_ashrrev_i32_e32 v65, 31, v65
	s_wait_alu 0xf1ff
	v_xor_b32_e32 v48, s20, v48
	v_dual_mov_b32 v88, v60 :: v_dual_and_b32 v37, v37, v47
	v_dual_mov_b32 v103, v41 :: v_dual_lshlrev_b32 v66, 24, v38
	v_cmp_gt_i32_e64 s20, 0, v68
	v_not_b32_e32 v47, v83
	v_ashrrev_i32_e32 v67, 31, v67
	s_wait_alu 0xfffd
	v_xor_b32_e32 v65, vcc_lo, v65
	v_dual_mov_b32 v90, v58 :: v_dual_and_b32 v37, v37, v48
	v_cmp_gt_i32_e32 vcc_lo, 0, v83
	v_not_b32_e32 v48, v66
	v_ashrrev_i32_e32 v47, 31, v47
	s_wait_alu 0xf1ff
	v_xor_b32_e32 v67, s20, v67
	v_dual_mov_b32 v92, v56 :: v_dual_and_b32 v37, v37, v65
	v_cmp_gt_i32_e64 s20, 0, v66
	v_ashrrev_i32_e32 v45, 31, v48
	s_wait_alu 0xfffd
	v_xor_b32_e32 v46, vcc_lo, v47
	v_dual_mov_b32 v94, v54 :: v_dual_and_b32 v37, v37, v67
	v_dual_mov_b32 v105, v39 :: v_dual_mov_b32 v96, v52
	s_wait_alu 0xf1ff
	v_xor_b32_e32 v39, s20, v45
	s_delay_alu instid0(VALU_DEP_3) | instskip(SKIP_2) | instid1(VALU_DEP_3)
	v_dual_mov_b32 v98, v50 :: v_dual_and_b32 v37, v37, v46
	v_dual_mov_b32 v84, v64 :: v_dual_mov_b32 v83, v63
	v_lshlrev_b32_e32 v38, 4, v38
	v_and_b32_e32 v37, v37, v39
	v_mov_b32_e32 v85, v61
	v_mov_b32_e32 v87, v59
	;; [unrolled: 1-line block ×4, first 2 shown]
	v_mbcnt_lo_u32_b32 v45, v37, 0
	v_cmp_ne_u32_e64 s20, 0, v37
	v_mov_b32_e32 v93, v53
	v_mov_b32_e32 v95, v51
	;; [unrolled: 1-line block ×3, first 2 shown]
	v_cmp_eq_u32_e32 vcc_lo, 0, v45
	v_add_nc_u32_e32 v46, v131, v38
	s_barrier_wait -1
	global_inv scope:SCOPE_SE
	s_and_b32 s23, s20, vcc_lo
	; wave barrier
	s_wait_alu 0xfffe
	s_and_saveexec_b32 s20, s23
; %bb.33:                               ;   in Loop: Header=BB147_32 Depth=1
	v_bcnt_u32_b32 v37, v37, 0
	ds_store_b32 v46, v37 offset:16
; %bb.34:                               ;   in Loop: Header=BB147_32 Depth=1
	s_wait_alu 0xfffe
	s_or_b32 exec_lo, exec_lo, s20
	v_lshrrev_b64 v[37:38], v70, v[105:106]
	; wave barrier
	s_delay_alu instid0(VALU_DEP_1) | instskip(NEXT) | instid1(VALU_DEP_1)
	v_and_b32_e32 v37, s22, v37
	v_and_b32_e32 v38, 1, v37
	v_lshlrev_b32_e32 v39, 30, v37
	v_lshlrev_b32_e32 v40, 29, v37
	;; [unrolled: 1-line block ×4, first 2 shown]
	v_add_co_u32 v38, s20, v38, -1
	s_wait_alu 0xf1ff
	v_cndmask_b32_e64 v42, 0, 1, s20
	v_not_b32_e32 v48, v39
	v_cmp_gt_i32_e64 s20, 0, v39
	v_not_b32_e32 v39, v40
	v_lshlrev_b32_e32 v44, 26, v37
	v_cmp_ne_u32_e32 vcc_lo, 0, v42
	v_ashrrev_i32_e32 v48, 31, v48
	v_lshlrev_b32_e32 v47, 25, v37
	v_ashrrev_i32_e32 v39, 31, v39
	v_lshlrev_b32_e32 v42, 24, v37
	s_wait_alu 0xfffd
	v_xor_b32_e32 v38, vcc_lo, v38
	v_cmp_gt_i32_e32 vcc_lo, 0, v40
	v_not_b32_e32 v40, v41
	s_wait_alu 0xf1ff
	v_xor_b32_e32 v48, s20, v48
	v_cmp_gt_i32_e64 s20, 0, v41
	v_and_b32_e32 v38, exec_lo, v38
	v_not_b32_e32 v41, v43
	v_ashrrev_i32_e32 v40, 31, v40
	s_wait_alu 0xfffd
	v_xor_b32_e32 v39, vcc_lo, v39
	v_cmp_gt_i32_e32 vcc_lo, 0, v43
	v_and_b32_e32 v38, v38, v48
	v_not_b32_e32 v43, v44
	v_ashrrev_i32_e32 v41, 31, v41
	s_wait_alu 0xf1ff
	v_xor_b32_e32 v40, s20, v40
	v_cmp_gt_i32_e64 s20, 0, v44
	v_and_b32_e32 v38, v38, v39
	v_not_b32_e32 v39, v47
	v_ashrrev_i32_e32 v43, 31, v43
	s_wait_alu 0xfffd
	v_xor_b32_e32 v41, vcc_lo, v41
	v_cmp_gt_i32_e32 vcc_lo, 0, v47
	v_and_b32_e32 v38, v38, v40
	v_not_b32_e32 v40, v42
	v_ashrrev_i32_e32 v39, 31, v39
	s_wait_alu 0xf1ff
	v_xor_b32_e32 v43, s20, v43
	v_lshlrev_b32_e32 v37, 4, v37
	v_and_b32_e32 v38, v38, v41
	v_cmp_gt_i32_e64 s20, 0, v42
	v_ashrrev_i32_e32 v40, 31, v40
	s_wait_alu 0xfffd
	v_xor_b32_e32 v39, vcc_lo, v39
	v_add_nc_u32_e32 v49, v131, v37
	v_and_b32_e32 v38, v38, v43
	s_wait_alu 0xf1ff
	v_xor_b32_e32 v37, s20, v40
	ds_load_b32 v47, v49 offset:16
	v_and_b32_e32 v38, v38, v39
	; wave barrier
	s_delay_alu instid0(VALU_DEP_1) | instskip(NEXT) | instid1(VALU_DEP_1)
	v_and_b32_e32 v37, v38, v37
	v_mbcnt_lo_u32_b32 v48, v37, 0
	v_cmp_ne_u32_e64 s20, 0, v37
	s_delay_alu instid0(VALU_DEP_2)
	v_cmp_eq_u32_e32 vcc_lo, 0, v48
	s_and_b32 s23, s20, vcc_lo
	s_wait_alu 0xfffe
	s_and_saveexec_b32 s20, s23
	s_cbranch_execz .LBB147_36
; %bb.35:                               ;   in Loop: Header=BB147_32 Depth=1
	s_wait_dscnt 0x0
	v_bcnt_u32_b32 v37, v37, v47
	ds_store_b32 v49, v37 offset:16
.LBB147_36:                             ;   in Loop: Header=BB147_32 Depth=1
	s_wait_alu 0xfffe
	s_or_b32 exec_lo, exec_lo, s20
	v_lshrrev_b64 v[37:38], v70, v[103:104]
	; wave barrier
	s_delay_alu instid0(VALU_DEP_1) | instskip(NEXT) | instid1(VALU_DEP_1)
	v_and_b32_e32 v37, s22, v37
	v_and_b32_e32 v38, 1, v37
	v_lshlrev_b32_e32 v39, 30, v37
	v_lshlrev_b32_e32 v40, 29, v37
	;; [unrolled: 1-line block ×4, first 2 shown]
	v_add_co_u32 v38, s20, v38, -1
	s_wait_alu 0xf1ff
	v_cndmask_b32_e64 v42, 0, 1, s20
	v_not_b32_e32 v51, v39
	v_cmp_gt_i32_e64 s20, 0, v39
	v_not_b32_e32 v39, v40
	v_lshlrev_b32_e32 v44, 26, v37
	v_cmp_ne_u32_e32 vcc_lo, 0, v42
	v_ashrrev_i32_e32 v51, 31, v51
	v_lshlrev_b32_e32 v50, 25, v37
	v_ashrrev_i32_e32 v39, 31, v39
	v_lshlrev_b32_e32 v42, 24, v37
	s_wait_alu 0xfffd
	v_xor_b32_e32 v38, vcc_lo, v38
	v_cmp_gt_i32_e32 vcc_lo, 0, v40
	v_not_b32_e32 v40, v41
	s_wait_alu 0xf1ff
	v_xor_b32_e32 v51, s20, v51
	v_cmp_gt_i32_e64 s20, 0, v41
	v_and_b32_e32 v38, exec_lo, v38
	v_not_b32_e32 v41, v43
	v_ashrrev_i32_e32 v40, 31, v40
	s_wait_alu 0xfffd
	v_xor_b32_e32 v39, vcc_lo, v39
	v_cmp_gt_i32_e32 vcc_lo, 0, v43
	v_and_b32_e32 v38, v38, v51
	v_not_b32_e32 v43, v44
	v_ashrrev_i32_e32 v41, 31, v41
	s_wait_alu 0xf1ff
	v_xor_b32_e32 v40, s20, v40
	v_cmp_gt_i32_e64 s20, 0, v44
	v_and_b32_e32 v38, v38, v39
	v_not_b32_e32 v39, v50
	v_ashrrev_i32_e32 v43, 31, v43
	s_wait_alu 0xfffd
	v_xor_b32_e32 v41, vcc_lo, v41
	v_cmp_gt_i32_e32 vcc_lo, 0, v50
	v_and_b32_e32 v38, v38, v40
	v_not_b32_e32 v40, v42
	v_ashrrev_i32_e32 v39, 31, v39
	s_wait_alu 0xf1ff
	v_xor_b32_e32 v43, s20, v43
	v_lshlrev_b32_e32 v37, 4, v37
	v_and_b32_e32 v38, v38, v41
	v_cmp_gt_i32_e64 s20, 0, v42
	v_ashrrev_i32_e32 v40, 31, v40
	s_wait_alu 0xfffd
	v_xor_b32_e32 v39, vcc_lo, v39
	v_add_nc_u32_e32 v52, v131, v37
	v_and_b32_e32 v38, v38, v43
	s_wait_alu 0xf1ff
	v_xor_b32_e32 v37, s20, v40
	ds_load_b32 v50, v52 offset:16
	v_and_b32_e32 v38, v38, v39
	; wave barrier
	s_delay_alu instid0(VALU_DEP_1) | instskip(NEXT) | instid1(VALU_DEP_1)
	v_and_b32_e32 v37, v38, v37
	v_mbcnt_lo_u32_b32 v51, v37, 0
	v_cmp_ne_u32_e64 s20, 0, v37
	s_delay_alu instid0(VALU_DEP_2)
	v_cmp_eq_u32_e32 vcc_lo, 0, v51
	s_and_b32 s23, s20, vcc_lo
	s_wait_alu 0xfffe
	s_and_saveexec_b32 s20, s23
	s_cbranch_execz .LBB147_38
; %bb.37:                               ;   in Loop: Header=BB147_32 Depth=1
	s_wait_dscnt 0x0
	v_bcnt_u32_b32 v37, v37, v50
	ds_store_b32 v52, v37 offset:16
.LBB147_38:                             ;   in Loop: Header=BB147_32 Depth=1
	s_wait_alu 0xfffe
	s_or_b32 exec_lo, exec_lo, s20
	v_lshrrev_b64 v[37:38], v70, v[101:102]
	; wave barrier
	s_delay_alu instid0(VALU_DEP_1) | instskip(NEXT) | instid1(VALU_DEP_1)
	v_and_b32_e32 v37, s22, v37
	v_and_b32_e32 v38, 1, v37
	v_lshlrev_b32_e32 v39, 30, v37
	v_lshlrev_b32_e32 v40, 29, v37
	;; [unrolled: 1-line block ×4, first 2 shown]
	v_add_co_u32 v38, s20, v38, -1
	s_wait_alu 0xf1ff
	v_cndmask_b32_e64 v42, 0, 1, s20
	v_not_b32_e32 v54, v39
	v_cmp_gt_i32_e64 s20, 0, v39
	v_not_b32_e32 v39, v40
	v_lshlrev_b32_e32 v44, 26, v37
	v_cmp_ne_u32_e32 vcc_lo, 0, v42
	v_ashrrev_i32_e32 v54, 31, v54
	v_lshlrev_b32_e32 v53, 25, v37
	v_ashrrev_i32_e32 v39, 31, v39
	v_lshlrev_b32_e32 v42, 24, v37
	s_wait_alu 0xfffd
	v_xor_b32_e32 v38, vcc_lo, v38
	v_cmp_gt_i32_e32 vcc_lo, 0, v40
	v_not_b32_e32 v40, v41
	s_wait_alu 0xf1ff
	v_xor_b32_e32 v54, s20, v54
	v_cmp_gt_i32_e64 s20, 0, v41
	v_and_b32_e32 v38, exec_lo, v38
	v_not_b32_e32 v41, v43
	v_ashrrev_i32_e32 v40, 31, v40
	s_wait_alu 0xfffd
	v_xor_b32_e32 v39, vcc_lo, v39
	v_cmp_gt_i32_e32 vcc_lo, 0, v43
	v_and_b32_e32 v38, v38, v54
	v_not_b32_e32 v43, v44
	v_ashrrev_i32_e32 v41, 31, v41
	s_wait_alu 0xf1ff
	v_xor_b32_e32 v40, s20, v40
	v_cmp_gt_i32_e64 s20, 0, v44
	v_and_b32_e32 v38, v38, v39
	v_not_b32_e32 v39, v53
	v_ashrrev_i32_e32 v43, 31, v43
	s_wait_alu 0xfffd
	v_xor_b32_e32 v41, vcc_lo, v41
	v_cmp_gt_i32_e32 vcc_lo, 0, v53
	v_and_b32_e32 v38, v38, v40
	v_not_b32_e32 v40, v42
	v_ashrrev_i32_e32 v39, 31, v39
	s_wait_alu 0xf1ff
	v_xor_b32_e32 v43, s20, v43
	v_lshlrev_b32_e32 v37, 4, v37
	v_and_b32_e32 v38, v38, v41
	v_cmp_gt_i32_e64 s20, 0, v42
	v_ashrrev_i32_e32 v40, 31, v40
	s_wait_alu 0xfffd
	v_xor_b32_e32 v39, vcc_lo, v39
	v_add_nc_u32_e32 v55, v131, v37
	v_and_b32_e32 v38, v38, v43
	s_wait_alu 0xf1ff
	v_xor_b32_e32 v37, s20, v40
	ds_load_b32 v53, v55 offset:16
	v_and_b32_e32 v38, v38, v39
	; wave barrier
	s_delay_alu instid0(VALU_DEP_1) | instskip(NEXT) | instid1(VALU_DEP_1)
	v_and_b32_e32 v37, v38, v37
	v_mbcnt_lo_u32_b32 v54, v37, 0
	v_cmp_ne_u32_e64 s20, 0, v37
	s_delay_alu instid0(VALU_DEP_2)
	v_cmp_eq_u32_e32 vcc_lo, 0, v54
	s_and_b32 s23, s20, vcc_lo
	s_wait_alu 0xfffe
	s_and_saveexec_b32 s20, s23
	s_cbranch_execz .LBB147_40
; %bb.39:                               ;   in Loop: Header=BB147_32 Depth=1
	s_wait_dscnt 0x0
	v_bcnt_u32_b32 v37, v37, v53
	ds_store_b32 v55, v37 offset:16
.LBB147_40:                             ;   in Loop: Header=BB147_32 Depth=1
	s_wait_alu 0xfffe
	s_or_b32 exec_lo, exec_lo, s20
	v_lshrrev_b64 v[37:38], v70, v[99:100]
	; wave barrier
	s_delay_alu instid0(VALU_DEP_1) | instskip(NEXT) | instid1(VALU_DEP_1)
	v_and_b32_e32 v37, s22, v37
	v_and_b32_e32 v38, 1, v37
	v_lshlrev_b32_e32 v39, 30, v37
	v_lshlrev_b32_e32 v40, 29, v37
	;; [unrolled: 1-line block ×4, first 2 shown]
	v_add_co_u32 v38, s20, v38, -1
	s_wait_alu 0xf1ff
	v_cndmask_b32_e64 v42, 0, 1, s20
	v_not_b32_e32 v57, v39
	v_cmp_gt_i32_e64 s20, 0, v39
	v_not_b32_e32 v39, v40
	v_lshlrev_b32_e32 v44, 26, v37
	v_cmp_ne_u32_e32 vcc_lo, 0, v42
	v_ashrrev_i32_e32 v57, 31, v57
	v_lshlrev_b32_e32 v56, 25, v37
	v_ashrrev_i32_e32 v39, 31, v39
	v_lshlrev_b32_e32 v42, 24, v37
	s_wait_alu 0xfffd
	v_xor_b32_e32 v38, vcc_lo, v38
	v_cmp_gt_i32_e32 vcc_lo, 0, v40
	v_not_b32_e32 v40, v41
	s_wait_alu 0xf1ff
	v_xor_b32_e32 v57, s20, v57
	v_cmp_gt_i32_e64 s20, 0, v41
	v_and_b32_e32 v38, exec_lo, v38
	v_not_b32_e32 v41, v43
	v_ashrrev_i32_e32 v40, 31, v40
	s_wait_alu 0xfffd
	v_xor_b32_e32 v39, vcc_lo, v39
	v_cmp_gt_i32_e32 vcc_lo, 0, v43
	v_and_b32_e32 v38, v38, v57
	v_not_b32_e32 v43, v44
	v_ashrrev_i32_e32 v41, 31, v41
	s_wait_alu 0xf1ff
	v_xor_b32_e32 v40, s20, v40
	v_cmp_gt_i32_e64 s20, 0, v44
	v_and_b32_e32 v38, v38, v39
	v_not_b32_e32 v39, v56
	v_ashrrev_i32_e32 v43, 31, v43
	s_wait_alu 0xfffd
	v_xor_b32_e32 v41, vcc_lo, v41
	v_cmp_gt_i32_e32 vcc_lo, 0, v56
	v_and_b32_e32 v38, v38, v40
	v_not_b32_e32 v40, v42
	v_ashrrev_i32_e32 v39, 31, v39
	s_wait_alu 0xf1ff
	v_xor_b32_e32 v43, s20, v43
	v_lshlrev_b32_e32 v37, 4, v37
	v_and_b32_e32 v38, v38, v41
	v_cmp_gt_i32_e64 s20, 0, v42
	v_ashrrev_i32_e32 v40, 31, v40
	s_wait_alu 0xfffd
	v_xor_b32_e32 v39, vcc_lo, v39
	v_add_nc_u32_e32 v58, v131, v37
	v_and_b32_e32 v38, v38, v43
	s_wait_alu 0xf1ff
	v_xor_b32_e32 v37, s20, v40
	ds_load_b32 v56, v58 offset:16
	v_and_b32_e32 v38, v38, v39
	; wave barrier
	s_delay_alu instid0(VALU_DEP_1) | instskip(NEXT) | instid1(VALU_DEP_1)
	v_and_b32_e32 v37, v38, v37
	v_mbcnt_lo_u32_b32 v57, v37, 0
	v_cmp_ne_u32_e64 s20, 0, v37
	s_delay_alu instid0(VALU_DEP_2)
	v_cmp_eq_u32_e32 vcc_lo, 0, v57
	s_and_b32 s23, s20, vcc_lo
	s_wait_alu 0xfffe
	s_and_saveexec_b32 s20, s23
	s_cbranch_execz .LBB147_42
; %bb.41:                               ;   in Loop: Header=BB147_32 Depth=1
	s_wait_dscnt 0x0
	v_bcnt_u32_b32 v37, v37, v56
	ds_store_b32 v58, v37 offset:16
.LBB147_42:                             ;   in Loop: Header=BB147_32 Depth=1
	s_wait_alu 0xfffe
	s_or_b32 exec_lo, exec_lo, s20
	v_lshrrev_b64 v[37:38], v70, v[81:82]
	; wave barrier
	s_delay_alu instid0(VALU_DEP_1) | instskip(NEXT) | instid1(VALU_DEP_1)
	v_and_b32_e32 v37, s22, v37
	v_and_b32_e32 v38, 1, v37
	v_lshlrev_b32_e32 v39, 30, v37
	v_lshlrev_b32_e32 v40, 29, v37
	;; [unrolled: 1-line block ×4, first 2 shown]
	v_add_co_u32 v38, s20, v38, -1
	s_wait_alu 0xf1ff
	v_cndmask_b32_e64 v42, 0, 1, s20
	v_not_b32_e32 v60, v39
	v_cmp_gt_i32_e64 s20, 0, v39
	v_not_b32_e32 v39, v40
	v_lshlrev_b32_e32 v44, 26, v37
	v_cmp_ne_u32_e32 vcc_lo, 0, v42
	v_ashrrev_i32_e32 v60, 31, v60
	v_lshlrev_b32_e32 v59, 25, v37
	v_ashrrev_i32_e32 v39, 31, v39
	v_lshlrev_b32_e32 v42, 24, v37
	s_wait_alu 0xfffd
	v_xor_b32_e32 v38, vcc_lo, v38
	v_cmp_gt_i32_e32 vcc_lo, 0, v40
	v_not_b32_e32 v40, v41
	s_wait_alu 0xf1ff
	v_xor_b32_e32 v60, s20, v60
	v_cmp_gt_i32_e64 s20, 0, v41
	v_and_b32_e32 v38, exec_lo, v38
	v_not_b32_e32 v41, v43
	v_ashrrev_i32_e32 v40, 31, v40
	s_wait_alu 0xfffd
	v_xor_b32_e32 v39, vcc_lo, v39
	v_cmp_gt_i32_e32 vcc_lo, 0, v43
	v_and_b32_e32 v38, v38, v60
	v_not_b32_e32 v43, v44
	v_ashrrev_i32_e32 v41, 31, v41
	s_wait_alu 0xf1ff
	v_xor_b32_e32 v40, s20, v40
	v_cmp_gt_i32_e64 s20, 0, v44
	v_and_b32_e32 v38, v38, v39
	v_not_b32_e32 v39, v59
	v_ashrrev_i32_e32 v43, 31, v43
	s_wait_alu 0xfffd
	v_xor_b32_e32 v41, vcc_lo, v41
	v_cmp_gt_i32_e32 vcc_lo, 0, v59
	v_and_b32_e32 v38, v38, v40
	v_not_b32_e32 v40, v42
	v_ashrrev_i32_e32 v39, 31, v39
	s_wait_alu 0xf1ff
	v_xor_b32_e32 v43, s20, v43
	v_lshlrev_b32_e32 v37, 4, v37
	v_and_b32_e32 v38, v38, v41
	v_cmp_gt_i32_e64 s20, 0, v42
	v_ashrrev_i32_e32 v40, 31, v40
	s_wait_alu 0xfffd
	v_xor_b32_e32 v39, vcc_lo, v39
	v_add_nc_u32_e32 v61, v131, v37
	v_and_b32_e32 v38, v38, v43
	s_wait_alu 0xf1ff
	v_xor_b32_e32 v37, s20, v40
	ds_load_b32 v59, v61 offset:16
	v_and_b32_e32 v38, v38, v39
	; wave barrier
	s_delay_alu instid0(VALU_DEP_1) | instskip(NEXT) | instid1(VALU_DEP_1)
	v_and_b32_e32 v37, v38, v37
	v_mbcnt_lo_u32_b32 v60, v37, 0
	v_cmp_ne_u32_e64 s20, 0, v37
	s_delay_alu instid0(VALU_DEP_2)
	v_cmp_eq_u32_e32 vcc_lo, 0, v60
	s_and_b32 s23, s20, vcc_lo
	s_wait_alu 0xfffe
	s_and_saveexec_b32 s20, s23
	s_cbranch_execz .LBB147_44
; %bb.43:                               ;   in Loop: Header=BB147_32 Depth=1
	s_wait_dscnt 0x0
	v_bcnt_u32_b32 v37, v37, v59
	ds_store_b32 v61, v37 offset:16
.LBB147_44:                             ;   in Loop: Header=BB147_32 Depth=1
	s_wait_alu 0xfffe
	s_or_b32 exec_lo, exec_lo, s20
	v_lshrrev_b64 v[37:38], v70, v[79:80]
	; wave barrier
	s_delay_alu instid0(VALU_DEP_1) | instskip(NEXT) | instid1(VALU_DEP_1)
	v_and_b32_e32 v37, s22, v37
	v_and_b32_e32 v38, 1, v37
	v_lshlrev_b32_e32 v39, 30, v37
	v_lshlrev_b32_e32 v40, 29, v37
	;; [unrolled: 1-line block ×4, first 2 shown]
	v_add_co_u32 v38, s20, v38, -1
	s_wait_alu 0xf1ff
	v_cndmask_b32_e64 v42, 0, 1, s20
	v_not_b32_e32 v63, v39
	v_cmp_gt_i32_e64 s20, 0, v39
	v_not_b32_e32 v39, v40
	v_lshlrev_b32_e32 v44, 26, v37
	v_cmp_ne_u32_e32 vcc_lo, 0, v42
	v_ashrrev_i32_e32 v63, 31, v63
	v_lshlrev_b32_e32 v62, 25, v37
	v_ashrrev_i32_e32 v39, 31, v39
	v_lshlrev_b32_e32 v42, 24, v37
	s_wait_alu 0xfffd
	v_xor_b32_e32 v38, vcc_lo, v38
	v_cmp_gt_i32_e32 vcc_lo, 0, v40
	v_not_b32_e32 v40, v41
	s_wait_alu 0xf1ff
	v_xor_b32_e32 v63, s20, v63
	v_cmp_gt_i32_e64 s20, 0, v41
	v_and_b32_e32 v38, exec_lo, v38
	v_not_b32_e32 v41, v43
	v_ashrrev_i32_e32 v40, 31, v40
	s_wait_alu 0xfffd
	v_xor_b32_e32 v39, vcc_lo, v39
	v_cmp_gt_i32_e32 vcc_lo, 0, v43
	v_and_b32_e32 v38, v38, v63
	v_not_b32_e32 v43, v44
	v_ashrrev_i32_e32 v41, 31, v41
	s_wait_alu 0xf1ff
	v_xor_b32_e32 v40, s20, v40
	v_cmp_gt_i32_e64 s20, 0, v44
	v_and_b32_e32 v38, v38, v39
	v_not_b32_e32 v39, v62
	v_ashrrev_i32_e32 v43, 31, v43
	s_wait_alu 0xfffd
	v_xor_b32_e32 v41, vcc_lo, v41
	v_cmp_gt_i32_e32 vcc_lo, 0, v62
	v_and_b32_e32 v38, v38, v40
	v_not_b32_e32 v40, v42
	v_ashrrev_i32_e32 v39, 31, v39
	s_wait_alu 0xf1ff
	v_xor_b32_e32 v43, s20, v43
	v_lshlrev_b32_e32 v37, 4, v37
	v_and_b32_e32 v38, v38, v41
	v_cmp_gt_i32_e64 s20, 0, v42
	v_ashrrev_i32_e32 v40, 31, v40
	s_wait_alu 0xfffd
	v_xor_b32_e32 v39, vcc_lo, v39
	v_add_nc_u32_e32 v64, v131, v37
	v_and_b32_e32 v38, v38, v43
	s_wait_alu 0xf1ff
	v_xor_b32_e32 v37, s20, v40
	ds_load_b32 v62, v64 offset:16
	v_and_b32_e32 v38, v38, v39
	; wave barrier
	s_delay_alu instid0(VALU_DEP_1) | instskip(NEXT) | instid1(VALU_DEP_1)
	v_and_b32_e32 v37, v38, v37
	v_mbcnt_lo_u32_b32 v63, v37, 0
	v_cmp_ne_u32_e64 s20, 0, v37
	s_delay_alu instid0(VALU_DEP_2)
	v_cmp_eq_u32_e32 vcc_lo, 0, v63
	s_and_b32 s23, s20, vcc_lo
	s_wait_alu 0xfffe
	s_and_saveexec_b32 s20, s23
	s_cbranch_execz .LBB147_46
; %bb.45:                               ;   in Loop: Header=BB147_32 Depth=1
	s_wait_dscnt 0x0
	v_bcnt_u32_b32 v37, v37, v62
	ds_store_b32 v64, v37 offset:16
.LBB147_46:                             ;   in Loop: Header=BB147_32 Depth=1
	s_wait_alu 0xfffe
	s_or_b32 exec_lo, exec_lo, s20
	v_lshrrev_b64 v[37:38], v70, v[77:78]
	; wave barrier
	s_delay_alu instid0(VALU_DEP_1) | instskip(NEXT) | instid1(VALU_DEP_1)
	v_and_b32_e32 v37, s22, v37
	v_and_b32_e32 v38, 1, v37
	v_lshlrev_b32_e32 v39, 30, v37
	v_lshlrev_b32_e32 v40, 29, v37
	;; [unrolled: 1-line block ×4, first 2 shown]
	v_add_co_u32 v38, s20, v38, -1
	s_wait_alu 0xf1ff
	v_cndmask_b32_e64 v42, 0, 1, s20
	v_not_b32_e32 v66, v39
	v_cmp_gt_i32_e64 s20, 0, v39
	v_not_b32_e32 v39, v40
	v_lshlrev_b32_e32 v44, 26, v37
	v_cmp_ne_u32_e32 vcc_lo, 0, v42
	v_ashrrev_i32_e32 v66, 31, v66
	v_lshlrev_b32_e32 v65, 25, v37
	v_ashrrev_i32_e32 v39, 31, v39
	v_lshlrev_b32_e32 v42, 24, v37
	s_wait_alu 0xfffd
	v_xor_b32_e32 v38, vcc_lo, v38
	v_cmp_gt_i32_e32 vcc_lo, 0, v40
	v_not_b32_e32 v40, v41
	s_wait_alu 0xf1ff
	v_xor_b32_e32 v66, s20, v66
	v_cmp_gt_i32_e64 s20, 0, v41
	v_and_b32_e32 v38, exec_lo, v38
	v_not_b32_e32 v41, v43
	v_ashrrev_i32_e32 v40, 31, v40
	s_wait_alu 0xfffd
	v_xor_b32_e32 v39, vcc_lo, v39
	v_cmp_gt_i32_e32 vcc_lo, 0, v43
	v_and_b32_e32 v38, v38, v66
	v_not_b32_e32 v43, v44
	v_ashrrev_i32_e32 v41, 31, v41
	s_wait_alu 0xf1ff
	v_xor_b32_e32 v40, s20, v40
	v_cmp_gt_i32_e64 s20, 0, v44
	v_and_b32_e32 v38, v38, v39
	v_not_b32_e32 v39, v65
	v_ashrrev_i32_e32 v43, 31, v43
	s_wait_alu 0xfffd
	v_xor_b32_e32 v41, vcc_lo, v41
	v_cmp_gt_i32_e32 vcc_lo, 0, v65
	v_and_b32_e32 v38, v38, v40
	v_not_b32_e32 v40, v42
	v_ashrrev_i32_e32 v39, 31, v39
	s_wait_alu 0xf1ff
	v_xor_b32_e32 v43, s20, v43
	v_lshlrev_b32_e32 v37, 4, v37
	v_and_b32_e32 v38, v38, v41
	v_cmp_gt_i32_e64 s20, 0, v42
	v_ashrrev_i32_e32 v40, 31, v40
	s_wait_alu 0xfffd
	v_xor_b32_e32 v39, vcc_lo, v39
	v_add_nc_u32_e32 v67, v131, v37
	v_and_b32_e32 v38, v38, v43
	s_wait_alu 0xf1ff
	v_xor_b32_e32 v37, s20, v40
	ds_load_b32 v65, v67 offset:16
	v_and_b32_e32 v38, v38, v39
	; wave barrier
	s_delay_alu instid0(VALU_DEP_1) | instskip(NEXT) | instid1(VALU_DEP_1)
	v_and_b32_e32 v37, v38, v37
	v_mbcnt_lo_u32_b32 v66, v37, 0
	v_cmp_ne_u32_e64 s20, 0, v37
	s_delay_alu instid0(VALU_DEP_2)
	v_cmp_eq_u32_e32 vcc_lo, 0, v66
	s_and_b32 s22, s20, vcc_lo
	s_wait_alu 0xfffe
	s_and_saveexec_b32 s20, s22
	s_cbranch_execz .LBB147_48
; %bb.47:                               ;   in Loop: Header=BB147_32 Depth=1
	s_wait_dscnt 0x0
	v_bcnt_u32_b32 v37, v37, v65
	ds_store_b32 v67, v37 offset:16
.LBB147_48:                             ;   in Loop: Header=BB147_32 Depth=1
	s_wait_alu 0xfffe
	s_or_b32 exec_lo, exec_lo, s20
	; wave barrier
	s_wait_loadcnt_dscnt 0x0
	s_barrier_signal -1
	s_barrier_wait -1
	global_inv scope:SCOPE_SE
	ds_load_b128 v[41:44], v116 offset:16
	ds_load_b128 v[37:40], v116 offset:32
	s_wait_dscnt 0x1
	v_add_nc_u32_e32 v68, v42, v41
	s_delay_alu instid0(VALU_DEP_1) | instskip(SKIP_1) | instid1(VALU_DEP_1)
	v_add3_u32 v68, v68, v43, v44
	s_wait_dscnt 0x0
	v_add3_u32 v68, v68, v37, v38
	s_delay_alu instid0(VALU_DEP_1) | instskip(NEXT) | instid1(VALU_DEP_1)
	v_add3_u32 v40, v68, v39, v40
	v_mov_b32_dpp v68, v40 row_shr:1 row_mask:0xf bank_mask:0xf
	s_delay_alu instid0(VALU_DEP_1) | instskip(NEXT) | instid1(VALU_DEP_1)
	v_cndmask_b32_e64 v68, v68, 0, s12
	v_add_nc_u32_e32 v40, v68, v40
	s_delay_alu instid0(VALU_DEP_1) | instskip(NEXT) | instid1(VALU_DEP_1)
	v_mov_b32_dpp v68, v40 row_shr:2 row_mask:0xf bank_mask:0xf
	v_cndmask_b32_e64 v68, 0, v68, s13
	s_delay_alu instid0(VALU_DEP_1) | instskip(NEXT) | instid1(VALU_DEP_1)
	v_add_nc_u32_e32 v40, v40, v68
	v_mov_b32_dpp v68, v40 row_shr:4 row_mask:0xf bank_mask:0xf
	s_delay_alu instid0(VALU_DEP_1) | instskip(NEXT) | instid1(VALU_DEP_1)
	v_cndmask_b32_e64 v68, 0, v68, s14
	v_add_nc_u32_e32 v40, v40, v68
	s_delay_alu instid0(VALU_DEP_1) | instskip(NEXT) | instid1(VALU_DEP_1)
	v_mov_b32_dpp v68, v40 row_shr:8 row_mask:0xf bank_mask:0xf
	v_cndmask_b32_e64 v68, 0, v68, s15
	s_delay_alu instid0(VALU_DEP_1) | instskip(SKIP_3) | instid1(VALU_DEP_1)
	v_add_nc_u32_e32 v40, v40, v68
	ds_swizzle_b32 v68, v40 offset:swizzle(BROADCAST,32,15)
	s_wait_dscnt 0x0
	v_cndmask_b32_e64 v68, v68, 0, s16
	v_add_nc_u32_e32 v40, v40, v68
	s_and_saveexec_b32 s20, s17
; %bb.49:                               ;   in Loop: Header=BB147_32 Depth=1
	ds_store_b32 v117, v40
; %bb.50:                               ;   in Loop: Header=BB147_32 Depth=1
	s_wait_alu 0xfffe
	s_or_b32 exec_lo, exec_lo, s20
	s_wait_loadcnt_dscnt 0x0
	s_barrier_signal -1
	s_barrier_wait -1
	global_inv scope:SCOPE_SE
	s_and_saveexec_b32 s20, s8
	s_cbranch_execz .LBB147_52
; %bb.51:                               ;   in Loop: Header=BB147_32 Depth=1
	ds_load_b32 v68, v132
	s_wait_dscnt 0x0
	v_mov_b32_dpp v133, v68 row_shr:1 row_mask:0xf bank_mask:0xf
	s_delay_alu instid0(VALU_DEP_1) | instskip(NEXT) | instid1(VALU_DEP_1)
	v_cndmask_b32_e64 v133, v133, 0, s18
	v_add_nc_u32_e32 v68, v133, v68
	s_delay_alu instid0(VALU_DEP_1) | instskip(NEXT) | instid1(VALU_DEP_1)
	v_mov_b32_dpp v133, v68 row_shr:2 row_mask:0xf bank_mask:0xf
	v_cndmask_b32_e64 v133, 0, v133, s19
	s_delay_alu instid0(VALU_DEP_1)
	v_add_nc_u32_e32 v68, v68, v133
	ds_store_b32 v132, v68
.LBB147_52:                             ;   in Loop: Header=BB147_32 Depth=1
	s_wait_alu 0xfffe
	s_or_b32 exec_lo, exec_lo, s20
	v_mov_b32_e32 v68, 0
	s_wait_loadcnt_dscnt 0x0
	s_barrier_signal -1
	s_barrier_wait -1
	global_inv scope:SCOPE_SE
	s_and_saveexec_b32 s20, s9
; %bb.53:                               ;   in Loop: Header=BB147_32 Depth=1
	ds_load_b32 v68, v129
; %bb.54:                               ;   in Loop: Header=BB147_32 Depth=1
	s_wait_alu 0xfffe
	s_or_b32 exec_lo, exec_lo, s20
	s_wait_dscnt 0x0
	v_add_nc_u32_e32 v40, v68, v40
	v_cmp_lt_u32_e32 vcc_lo, 55, v70
	s_mov_b32 s20, -1
	ds_bpermute_b32 v40, v128, v40
	s_and_b32 vcc_lo, exec_lo, vcc_lo
	s_wait_dscnt 0x0
	v_cndmask_b32_e64 v40, v40, v68, s11
	s_delay_alu instid0(VALU_DEP_1) | instskip(NEXT) | instid1(VALU_DEP_1)
	v_cndmask_b32_e64 v40, v40, 0, s10
	v_add_nc_u32_e32 v41, v40, v41
	s_delay_alu instid0(VALU_DEP_1) | instskip(NEXT) | instid1(VALU_DEP_1)
	v_add_nc_u32_e32 v42, v41, v42
	v_add_nc_u32_e32 v43, v42, v43
	s_delay_alu instid0(VALU_DEP_1) | instskip(NEXT) | instid1(VALU_DEP_1)
	v_add_nc_u32_e32 v133, v43, v44
	;; [unrolled: 3-line block ×3, first 2 shown]
	v_add_nc_u32_e32 v136, v135, v39
	ds_store_b128 v116, v[40:43] offset:16
	ds_store_b128 v116, v[133:136] offset:32
	s_wait_loadcnt_dscnt 0x0
	s_barrier_signal -1
	s_barrier_wait -1
	global_inv scope:SCOPE_SE
	ds_load_b32 v37, v46 offset:16
	ds_load_b32 v38, v49 offset:16
	ds_load_b32 v39, v52 offset:16
	ds_load_b32 v40, v55 offset:16
	ds_load_b32 v41, v58 offset:16
	ds_load_b32 v42, v61 offset:16
	ds_load_b32 v43, v64 offset:16
	ds_load_b32 v44, v67 offset:16
	s_wait_dscnt 0x7
	v_add_nc_u32_e32 v140, v37, v45
	s_wait_dscnt 0x6
	v_add3_u32 v139, v48, v47, v38
	s_wait_dscnt 0x5
	v_add3_u32 v138, v51, v50, v39
	;; [unrolled: 2-line block ×7, first 2 shown]
                                        ; implicit-def: $vgpr67_vgpr68
                                        ; implicit-def: $vgpr47_vgpr48
                                        ; implicit-def: $vgpr43_vgpr44
                                        ; implicit-def: $vgpr39_vgpr40
                                        ; implicit-def: $vgpr63_vgpr64
                                        ; implicit-def: $vgpr59_vgpr60
                                        ; implicit-def: $vgpr55_vgpr56
                                        ; implicit-def: $vgpr51_vgpr52
	s_wait_alu 0xfffe
	s_cbranch_vccnz .LBB147_31
; %bb.55:                               ;   in Loop: Header=BB147_32 Depth=1
	v_lshlrev_b32_e32 v49, 3, v140
	v_lshlrev_b32_e32 v52, 3, v137
	;; [unrolled: 1-line block ×8, first 2 shown]
	s_wait_loadcnt 0x0
	s_barrier_signal -1
	s_barrier_wait -1
	global_inv scope:SCOPE_SE
	ds_store_b64 v49, v[75:76]
	ds_store_b64 v50, v[105:106]
	;; [unrolled: 1-line block ×8, first 2 shown]
	s_wait_loadcnt_dscnt 0x0
	s_barrier_signal -1
	s_barrier_wait -1
	global_inv scope:SCOPE_SE
	ds_load_2addr_b64 v[37:40], v130 offset1:32
	ds_load_2addr_b64 v[41:44], v130 offset0:64 offset1:96
	ds_load_2addr_b64 v[45:48], v130 offset0:128 offset1:160
	ds_load_2addr_b64 v[65:68], v130 offset0:192 offset1:224
	s_wait_loadcnt_dscnt 0x0
	s_barrier_signal -1
	s_barrier_wait -1
	global_inv scope:SCOPE_SE
	ds_store_b64 v49, v[97:98]
	ds_store_b64 v50, v[95:96]
	;; [unrolled: 1-line block ×8, first 2 shown]
	s_wait_loadcnt_dscnt 0x0
	s_barrier_signal -1
	s_barrier_wait -1
	global_inv scope:SCOPE_SE
	ds_load_2addr_b64 v[49:52], v130 offset1:32
	ds_load_2addr_b64 v[53:56], v130 offset0:64 offset1:96
	ds_load_2addr_b64 v[57:60], v130 offset0:128 offset1:160
	;; [unrolled: 1-line block ×3, first 2 shown]
	v_add_co_u32 v70, vcc_lo, v70, 8
	s_wait_alu 0xfffd
	v_add_co_ci_u32_e64 v71, null, 0, v71, vcc_lo
	s_add_co_i32 s21, s21, -8
	s_mov_b32 s20, 0
	s_wait_loadcnt_dscnt 0x0
	s_barrier_signal -1
	s_barrier_wait -1
	global_inv scope:SCOPE_SE
	s_branch .LBB147_31
.LBB147_56:
	v_lshlrev_b64_e32 v[17:18], 3, v[69:70]
	v_mov_b32_e32 v71, v70
	v_dual_mov_b32 v19, v70 :: v_dual_mov_b32 v22, v70
	v_dual_mov_b32 v21, v70 :: v_dual_mov_b32 v24, v70
	s_wait_alu 0xfffe
	s_delay_alu instid0(VALU_DEP_4)
	v_add_co_u32 v17, vcc_lo, s24, v17
	s_wait_alu 0xfffd
	v_add_co_ci_u32_e64 v18, null, s25, v18, vcc_lo
	v_dual_mov_b32 v23, v70 :: v_dual_mov_b32 v26, v70
	v_dual_mov_b32 v25, v70 :: v_dual_mov_b32 v30, v70
	global_load_b64 v[27:28], v[17:18], off
	v_dual_mov_b32 v17, v70 :: v_dual_mov_b32 v20, v70
	v_dual_mov_b32 v18, v70 :: v_dual_mov_b32 v29, v70
	s_or_b32 exec_lo, exec_lo, s8
	s_and_saveexec_b32 s8, s1
	s_cbranch_execz .LBB147_22
.LBB147_57:
	v_mul_lo_u32 v39, s28, v31
	v_mov_b32_e32 v40, 0
	s_delay_alu instid0(VALU_DEP_1) | instskip(NEXT) | instid1(VALU_DEP_1)
	v_lshlrev_b64_e32 v[39:40], 3, v[39:40]
	v_add_co_u32 v39, vcc_lo, s24, v39
	s_wait_alu 0xfffd
	s_delay_alu instid0(VALU_DEP_2)
	v_add_co_ci_u32_e64 v40, null, s25, v40, vcc_lo
	global_load_b64 v[70:71], v[39:40], off
	s_wait_alu 0xfffe
	s_or_b32 exec_lo, exec_lo, s8
	s_and_saveexec_b32 s8, s2
	s_cbranch_execz .LBB147_23
.LBB147_58:
	v_mul_lo_u32 v17, s28, v32
	v_mov_b32_e32 v18, 0
	s_delay_alu instid0(VALU_DEP_1) | instskip(NEXT) | instid1(VALU_DEP_1)
	v_lshlrev_b64_e32 v[17:18], 3, v[17:18]
	v_add_co_u32 v17, vcc_lo, s24, v17
	s_wait_alu 0xfffd
	s_delay_alu instid0(VALU_DEP_2)
	v_add_co_ci_u32_e64 v18, null, s25, v18, vcc_lo
	global_load_b64 v[17:18], v[17:18], off
	s_wait_alu 0xfffe
	s_or_b32 exec_lo, exec_lo, s8
	s_and_saveexec_b32 s8, s3
	s_cbranch_execz .LBB147_24
.LBB147_59:
	v_mul_lo_u32 v19, s28, v34
	v_mov_b32_e32 v20, 0
	s_delay_alu instid0(VALU_DEP_1) | instskip(NEXT) | instid1(VALU_DEP_1)
	v_lshlrev_b64_e32 v[19:20], 3, v[19:20]
	v_add_co_u32 v19, vcc_lo, s24, v19
	s_wait_alu 0xfffd
	s_delay_alu instid0(VALU_DEP_2)
	v_add_co_ci_u32_e64 v20, null, s25, v20, vcc_lo
	global_load_b64 v[19:20], v[19:20], off
	s_wait_alu 0xfffe
	s_or_b32 exec_lo, exec_lo, s8
	s_and_saveexec_b32 s8, s4
	s_cbranch_execz .LBB147_25
.LBB147_60:
	v_mul_lo_u32 v21, s28, v35
	v_mov_b32_e32 v22, 0
	s_delay_alu instid0(VALU_DEP_1) | instskip(NEXT) | instid1(VALU_DEP_1)
	v_lshlrev_b64_e32 v[21:22], 3, v[21:22]
	v_add_co_u32 v21, vcc_lo, s24, v21
	s_wait_alu 0xfffd
	s_delay_alu instid0(VALU_DEP_2)
	v_add_co_ci_u32_e64 v22, null, s25, v22, vcc_lo
	global_load_b64 v[21:22], v[21:22], off
	s_wait_alu 0xfffe
	s_or_b32 exec_lo, exec_lo, s8
	s_and_saveexec_b32 s8, s5
	s_cbranch_execz .LBB147_26
.LBB147_61:
	v_mul_lo_u32 v23, s28, v36
	v_mov_b32_e32 v24, 0
	s_delay_alu instid0(VALU_DEP_1) | instskip(NEXT) | instid1(VALU_DEP_1)
	v_lshlrev_b64_e32 v[23:24], 3, v[23:24]
	v_add_co_u32 v23, vcc_lo, s24, v23
	s_wait_alu 0xfffd
	s_delay_alu instid0(VALU_DEP_2)
	v_add_co_ci_u32_e64 v24, null, s25, v24, vcc_lo
	global_load_b64 v[23:24], v[23:24], off
	s_wait_alu 0xfffe
	s_or_b32 exec_lo, exec_lo, s8
	s_and_saveexec_b32 s8, s6
	s_cbranch_execz .LBB147_27
.LBB147_62:
	v_mul_lo_u32 v25, s28, v37
	v_mov_b32_e32 v26, 0
	s_delay_alu instid0(VALU_DEP_1) | instskip(NEXT) | instid1(VALU_DEP_1)
	v_lshlrev_b64_e32 v[25:26], 3, v[25:26]
	v_add_co_u32 v25, vcc_lo, s24, v25
	s_wait_alu 0xfffd
	s_delay_alu instid0(VALU_DEP_2)
	v_add_co_ci_u32_e64 v26, null, s25, v26, vcc_lo
	global_load_b64 v[25:26], v[25:26], off
	s_wait_alu 0xfffe
	s_or_b32 exec_lo, exec_lo, s8
	s_xor_b32 s8, s20, -1
	s_and_saveexec_b32 s9, s7
	s_cbranch_execnz .LBB147_28
	s_branch .LBB147_29
.LBB147_63:
	v_lshlrev_b32_e32 v33, 3, v140
	v_lshlrev_b32_e32 v36, 3, v137
	;; [unrolled: 1-line block ×9, first 2 shown]
	s_wait_loadcnt 0x0
	s_barrier_signal -1
	s_barrier_wait -1
	global_inv scope:SCOPE_SE
	ds_store_b64 v33, v[75:76]
	ds_store_b64 v34, v[105:106]
	ds_store_b64 v35, v[103:104]
	ds_store_b64 v36, v[101:102]
	ds_store_b64 v37, v[99:100]
	ds_store_b64 v38, v[81:82]
	ds_store_b64 v39, v[79:80]
	ds_store_b64 v40, v[77:78]
	s_wait_loadcnt_dscnt 0x0
	s_barrier_signal -1
	s_barrier_wait -1
	global_inv scope:SCOPE_SE
	ds_load_b128 v[49:52], v65
	ds_load_b128 v[53:56], v65 offset:16
	ds_load_b128 v[57:60], v65 offset:32
	;; [unrolled: 1-line block ×3, first 2 shown]
	s_wait_loadcnt_dscnt 0x0
	s_barrier_signal -1
	s_barrier_wait -1
	global_inv scope:SCOPE_SE
	ds_store_b64 v33, v[97:98]
	ds_store_b64 v34, v[95:96]
	;; [unrolled: 1-line block ×8, first 2 shown]
	s_wait_loadcnt_dscnt 0x0
	s_barrier_signal -1
	s_barrier_wait -1
	global_inv scope:SCOPE_SE
	ds_load_b128 v[45:48], v65
	ds_load_b128 v[41:44], v65 offset:16
	ds_load_b128 v[37:40], v65 offset:32
	ds_load_b128 v[33:36], v65 offset:48
	s_mov_b32 s11, 0
	v_xor_b32_e32 v50, 0x80000000, v50
	v_xor_b32_e32 v52, 0x80000000, v52
	;; [unrolled: 1-line block ×8, first 2 shown]
.LBB147_64:
	s_wait_alu 0xfffe
	s_and_b32 vcc_lo, exec_lo, s11
	s_wait_alu 0xfffe
	s_cbranch_vccz .LBB147_92
; %bb.65:
	v_xor_b32_e32 v14, 0x7fffffff, v14
	v_xor_b32_e32 v13, -1, v13
	v_xor_b32_e32 v16, 0x7fffffff, v16
	v_xor_b32_e32 v15, -1, v15
	;; [unrolled: 2-line block ×8, first 2 shown]
	ds_store_b128 v127, v[13:16]
	ds_store_b128 v127, v[9:12] offset:16
	ds_store_b128 v127, v[5:8] offset:32
	;; [unrolled: 1-line block ×3, first 2 shown]
	; wave barrier
	ds_load_2addr_b64 v[4:7], v126 offset1:32
	ds_load_2addr_b64 v[8:11], v126 offset0:64 offset1:96
	ds_load_2addr_b64 v[12:15], v126 offset0:128 offset1:160
	s_wait_dscnt 0x7
	ds_load_2addr_b64 v[33:36], v126 offset0:192 offset1:224
	; wave barrier
	ds_store_b128 v127, v[21:24]
	ds_store_b128 v127, v[17:20] offset:16
	ds_store_b128 v127, v[29:32] offset:32
	;; [unrolled: 1-line block ×3, first 2 shown]
	; wave barrier
	ds_load_2addr_b64 v[16:19], v126 offset1:32
	ds_load_2addr_b64 v[20:23], v126 offset0:64 offset1:96
	ds_load_2addr_b64 v[24:27], v126 offset0:128 offset1:160
	ds_load_2addr_b64 v[28:31], v126 offset0:192 offset1:224
	s_wait_loadcnt_dscnt 0x0
	s_barrier_signal -1
	s_barrier_wait -1
	global_inv scope:SCOPE_SE
	s_load_b32 s10, s[34:35], 0xc
	s_getpc_b64 s[8:9]
	s_wait_alu 0xfffe
	s_sext_i32_i16 s9, s9
	s_add_co_u32 s8, s8, _ZN7rocprim17ROCPRIM_400000_NS16block_radix_sortIlLj128ELj8ElLj1ELj1ELj0ELNS0_26block_radix_rank_algorithmE1ELNS0_18block_padding_hintE2ELNS0_4arch9wavefront6targetE0EE19radix_bits_per_passE@rel32@lo+12
	s_wait_alu 0xfffe
	s_add_co_ci_u32 s9, s9, _ZN7rocprim17ROCPRIM_400000_NS16block_radix_sortIlLj128ELj8ElLj1ELj1ELj0ELNS0_26block_radix_rank_algorithmE1ELNS0_18block_padding_hintE2ELNS0_4arch9wavefront6targetE0EE19radix_bits_per_passE@rel32@hi+24
	v_or_b32_e32 v3, 31, v123
	s_load_b32 s21, s[8:9], 0x0
	s_mov_b32 s36, 0
	v_cmp_lt_u32_e64 s12, 7, v122
	s_mov_b32 s37, s36
	s_mov_b32 s38, s36
	;; [unrolled: 1-line block ×3, first 2 shown]
	v_cmp_eq_u32_e64 s14, v74, v3
	v_cmp_eq_u32_e64 s13, 0, v121
	v_cmp_gt_u32_e64 s15, 4, v74
	v_mov_b32_e32 v37, 0
	v_cmp_lt_u32_e64 s16, 31, v74
	v_cmp_eq_u32_e64 s17, 0, v74
	v_cmp_eq_u32_e64 s18, 0, v120
	v_cmp_lt_u32_e64 s19, 1, v120
	v_dual_mov_b32 v38, 0 :: v_dual_add_nc_u32 v77, v116, v119
	s_mov_b32 s22, 64
	s_wait_kmcnt 0x0
	s_lshr_b32 s11, s10, 16
	s_and_b32 s8, s10, 0xffff
	s_wait_alu 0xfffe
	v_mad_u32_u24 v1, v125, s11, v124
	v_cmp_lt_u32_e64 s10, 1, v122
	v_cmp_lt_u32_e64 s11, 3, v122
	s_delay_alu instid0(VALU_DEP_3) | instskip(SKIP_4) | instid1(VALU_DEP_4)
	v_mad_co_u64_u32 v[1:2], null, v1, s8, v[74:75]
	v_sub_co_u32 v2, s9, v118, 1
	v_lshl_add_u32 v75, v118, 3, v0
	v_cmp_eq_u32_e64 s8, 0, v122
	v_add_nc_u32_e32 v74, -4, v117
	v_cmp_gt_i32_e32 vcc_lo, 0, v2
	v_lshrrev_b32_e32 v1, 3, v1
	s_wait_alu 0xfffd
	v_cndmask_b32_e32 v2, v2, v118, vcc_lo
	s_delay_alu instid0(VALU_DEP_2) | instskip(NEXT) | instid1(VALU_DEP_2)
	v_and_b32_e32 v76, 0x1ffffffc, v1
	v_lshlrev_b32_e32 v32, 2, v2
	v_dual_mov_b32 v0, s36 :: v_dual_mov_b32 v1, s37
	v_dual_mov_b32 v2, s38 :: v_dual_mov_b32 v3, s39
	s_branch .LBB147_67
.LBB147_66:                             ;   in Loop: Header=BB147_67 Depth=1
	s_wait_alu 0xfffe
	s_and_not1_b32 vcc_lo, exec_lo, s20
	s_wait_alu 0xfffe
	s_cbranch_vccz .LBB147_91
.LBB147_67:                             ; =>This Inner Loop Header: Depth=1
	v_dual_mov_b32 v40, v5 :: v_dual_mov_b32 v39, v4
	s_min_u32 s20, s21, s22
	v_mov_b32_e32 v52, v27
	s_wait_alu 0xfffe
	s_lshl_b32 s20, -1, s20
	v_mov_b32_e32 v60, v19
	v_lshrrev_b64 v[4:5], v37, v[39:40]
	s_wait_alu 0xfffe
	s_not_b32 s23, s20
	v_mov_b32_e32 v50, v29
	v_mov_b32_e32 v54, v25
	;; [unrolled: 1-line block ×3, first 2 shown]
	s_wait_alu 0xfffe
	v_dual_mov_b32 v42, v36 :: v_dual_and_b32 v5, s23, v4
	v_dual_mov_b32 v41, v35 :: v_dual_mov_b32 v44, v34
	v_dual_mov_b32 v43, v33 :: v_dual_mov_b32 v46, v15
	s_delay_alu instid0(VALU_DEP_3) | instskip(SKIP_3) | instid1(VALU_DEP_4)
	v_dual_mov_b32 v45, v14 :: v_dual_and_b32 v4, 1, v5
	v_lshlrev_b32_e32 v14, 30, v5
	v_dual_mov_b32 v64, v13 :: v_dual_lshlrev_b32 v15, 29, v5
	v_mov_b32_e32 v63, v12
	v_add_co_u32 v4, s20, v4, -1
	s_wait_alu 0xf1ff
	v_cndmask_b32_e64 v34, 0, 1, s20
	v_not_b32_e32 v48, v14
	v_dual_mov_b32 v66, v11 :: v_dual_lshlrev_b32 v33, 28, v5
	v_cmp_gt_i32_e64 s20, 0, v14
	s_delay_alu instid0(VALU_DEP_4)
	v_cmp_ne_u32_e32 vcc_lo, 0, v34
	v_not_b32_e32 v14, v15
	v_ashrrev_i32_e32 v48, 31, v48
	v_dual_mov_b32 v68, v9 :: v_dual_lshlrev_b32 v35, 27, v5
	s_wait_alu 0xfffd
	v_xor_b32_e32 v4, vcc_lo, v4
	v_cmp_gt_i32_e32 vcc_lo, 0, v15
	v_not_b32_e32 v15, v33
	v_ashrrev_i32_e32 v14, 31, v14
	s_wait_alu 0xf1ff
	v_xor_b32_e32 v48, s20, v48
	v_dual_mov_b32 v71, v7 :: v_dual_and_b32 v4, exec_lo, v4
	v_dual_mov_b32 v65, v10 :: v_dual_lshlrev_b32 v36, 26, v5
	v_cmp_gt_i32_e64 s20, 0, v33
	v_not_b32_e32 v33, v35
	v_ashrrev_i32_e32 v15, 31, v15
	s_wait_alu 0xfffd
	v_xor_b32_e32 v14, vcc_lo, v14
	v_and_b32_e32 v4, v4, v48
	v_dual_mov_b32 v70, v6 :: v_dual_lshlrev_b32 v47, 25, v5
	v_cmp_gt_i32_e32 vcc_lo, 0, v35
	v_not_b32_e32 v35, v36
	v_ashrrev_i32_e32 v33, 31, v33
	s_wait_alu 0xf1ff
	v_xor_b32_e32 v15, s20, v15
	v_dual_mov_b32 v51, v26 :: v_dual_and_b32 v4, v4, v14
	v_dual_mov_b32 v67, v8 :: v_dual_lshlrev_b32 v34, 24, v5
	v_cmp_gt_i32_e64 s20, 0, v36
	v_not_b32_e32 v14, v47
	v_ashrrev_i32_e32 v35, 31, v35
	s_wait_alu 0xfffd
	v_xor_b32_e32 v33, vcc_lo, v33
	v_and_b32_e32 v4, v4, v15
	v_dual_mov_b32 v56, v23 :: v_dual_lshlrev_b32 v5, 4, v5
	v_cmp_gt_i32_e32 vcc_lo, 0, v47
	v_not_b32_e32 v15, v34
	v_ashrrev_i32_e32 v14, 31, v14
	s_wait_alu 0xf1ff
	v_xor_b32_e32 v35, s20, v35
	v_dual_mov_b32 v55, v22 :: v_dual_and_b32 v4, v4, v33
	v_mov_b32_e32 v59, v18
	v_cmp_gt_i32_e64 s20, 0, v34
	v_ashrrev_i32_e32 v12, 31, v15
	s_wait_alu 0xfffd
	v_xor_b32_e32 v13, vcc_lo, v14
	v_and_b32_e32 v4, v4, v35
	v_dual_mov_b32 v48, v31 :: v_dual_mov_b32 v49, v28
	s_wait_alu 0xf1ff
	v_xor_b32_e32 v6, s20, v12
	v_mov_b32_e32 v58, v21
	v_dual_mov_b32 v47, v30 :: v_dual_and_b32 v4, v4, v13
	v_mov_b32_e32 v53, v24
	v_mov_b32_e32 v57, v20
	;; [unrolled: 1-line block ×3, first 2 shown]
	s_delay_alu instid0(VALU_DEP_4)
	v_and_b32_e32 v4, v4, v6
	v_add_nc_u32_e32 v13, v76, v5
	ds_store_b128 v116, v[0:3] offset:16
	ds_store_b128 v116, v[0:3] offset:32
	s_wait_loadcnt_dscnt 0x0
	s_barrier_signal -1
	v_mbcnt_lo_u32_b32 v12, v4, 0
	v_cmp_ne_u32_e64 s20, 0, v4
	s_barrier_wait -1
	global_inv scope:SCOPE_SE
	v_cmp_eq_u32_e32 vcc_lo, 0, v12
	; wave barrier
	s_and_b32 s27, s20, vcc_lo
	s_wait_alu 0xfffe
	s_and_saveexec_b32 s20, s27
; %bb.68:                               ;   in Loop: Header=BB147_67 Depth=1
	v_bcnt_u32_b32 v4, v4, 0
	ds_store_b32 v13, v4 offset:16
; %bb.69:                               ;   in Loop: Header=BB147_67 Depth=1
	s_wait_alu 0xfffe
	s_or_b32 exec_lo, exec_lo, s20
	v_lshrrev_b64 v[4:5], v37, v[70:71]
	; wave barrier
	s_delay_alu instid0(VALU_DEP_1) | instskip(NEXT) | instid1(VALU_DEP_1)
	v_and_b32_e32 v4, s23, v4
	v_and_b32_e32 v5, 1, v4
	v_lshlrev_b32_e32 v6, 30, v4
	v_lshlrev_b32_e32 v7, 29, v4
	;; [unrolled: 1-line block ×4, first 2 shown]
	v_add_co_u32 v5, s20, v5, -1
	s_wait_alu 0xf1ff
	v_cndmask_b32_e64 v9, 0, 1, s20
	v_not_b32_e32 v15, v6
	v_cmp_gt_i32_e64 s20, 0, v6
	v_not_b32_e32 v6, v7
	v_lshlrev_b32_e32 v11, 26, v4
	v_cmp_ne_u32_e32 vcc_lo, 0, v9
	v_ashrrev_i32_e32 v15, 31, v15
	v_lshlrev_b32_e32 v14, 25, v4
	v_ashrrev_i32_e32 v6, 31, v6
	v_lshlrev_b32_e32 v9, 24, v4
	s_wait_alu 0xfffd
	v_xor_b32_e32 v5, vcc_lo, v5
	v_cmp_gt_i32_e32 vcc_lo, 0, v7
	v_not_b32_e32 v7, v8
	s_wait_alu 0xf1ff
	v_xor_b32_e32 v15, s20, v15
	v_cmp_gt_i32_e64 s20, 0, v8
	v_and_b32_e32 v5, exec_lo, v5
	v_not_b32_e32 v8, v10
	v_ashrrev_i32_e32 v7, 31, v7
	s_wait_alu 0xfffd
	v_xor_b32_e32 v6, vcc_lo, v6
	v_cmp_gt_i32_e32 vcc_lo, 0, v10
	v_and_b32_e32 v5, v5, v15
	v_not_b32_e32 v10, v11
	v_ashrrev_i32_e32 v8, 31, v8
	s_wait_alu 0xf1ff
	v_xor_b32_e32 v7, s20, v7
	v_cmp_gt_i32_e64 s20, 0, v11
	v_and_b32_e32 v5, v5, v6
	v_not_b32_e32 v6, v14
	v_ashrrev_i32_e32 v10, 31, v10
	s_wait_alu 0xfffd
	v_xor_b32_e32 v8, vcc_lo, v8
	v_cmp_gt_i32_e32 vcc_lo, 0, v14
	v_and_b32_e32 v5, v5, v7
	v_not_b32_e32 v7, v9
	v_ashrrev_i32_e32 v6, 31, v6
	s_wait_alu 0xf1ff
	v_xor_b32_e32 v10, s20, v10
	v_lshlrev_b32_e32 v4, 4, v4
	v_and_b32_e32 v5, v5, v8
	v_cmp_gt_i32_e64 s20, 0, v9
	v_ashrrev_i32_e32 v7, 31, v7
	s_wait_alu 0xfffd
	v_xor_b32_e32 v6, vcc_lo, v6
	v_add_nc_u32_e32 v16, v76, v4
	v_and_b32_e32 v5, v5, v10
	s_wait_alu 0xf1ff
	v_xor_b32_e32 v4, s20, v7
	ds_load_b32 v14, v16 offset:16
	v_and_b32_e32 v5, v5, v6
	; wave barrier
	s_delay_alu instid0(VALU_DEP_1) | instskip(NEXT) | instid1(VALU_DEP_1)
	v_and_b32_e32 v4, v5, v4
	v_mbcnt_lo_u32_b32 v15, v4, 0
	v_cmp_ne_u32_e64 s20, 0, v4
	s_delay_alu instid0(VALU_DEP_2)
	v_cmp_eq_u32_e32 vcc_lo, 0, v15
	s_and_b32 s27, s20, vcc_lo
	s_wait_alu 0xfffe
	s_and_saveexec_b32 s20, s27
	s_cbranch_execz .LBB147_71
; %bb.70:                               ;   in Loop: Header=BB147_67 Depth=1
	s_wait_dscnt 0x0
	v_bcnt_u32_b32 v4, v4, v14
	ds_store_b32 v16, v4 offset:16
.LBB147_71:                             ;   in Loop: Header=BB147_67 Depth=1
	s_wait_alu 0xfffe
	s_or_b32 exec_lo, exec_lo, s20
	v_lshrrev_b64 v[4:5], v37, v[67:68]
	; wave barrier
	s_delay_alu instid0(VALU_DEP_1) | instskip(NEXT) | instid1(VALU_DEP_1)
	v_and_b32_e32 v4, s23, v4
	v_and_b32_e32 v5, 1, v4
	v_lshlrev_b32_e32 v6, 30, v4
	v_lshlrev_b32_e32 v7, 29, v4
	;; [unrolled: 1-line block ×4, first 2 shown]
	v_add_co_u32 v5, s20, v5, -1
	s_wait_alu 0xf1ff
	v_cndmask_b32_e64 v9, 0, 1, s20
	v_not_b32_e32 v18, v6
	v_cmp_gt_i32_e64 s20, 0, v6
	v_not_b32_e32 v6, v7
	v_lshlrev_b32_e32 v11, 26, v4
	v_cmp_ne_u32_e32 vcc_lo, 0, v9
	v_ashrrev_i32_e32 v18, 31, v18
	v_lshlrev_b32_e32 v17, 25, v4
	v_ashrrev_i32_e32 v6, 31, v6
	v_lshlrev_b32_e32 v9, 24, v4
	s_wait_alu 0xfffd
	v_xor_b32_e32 v5, vcc_lo, v5
	v_cmp_gt_i32_e32 vcc_lo, 0, v7
	v_not_b32_e32 v7, v8
	s_wait_alu 0xf1ff
	v_xor_b32_e32 v18, s20, v18
	v_cmp_gt_i32_e64 s20, 0, v8
	v_and_b32_e32 v5, exec_lo, v5
	v_not_b32_e32 v8, v10
	v_ashrrev_i32_e32 v7, 31, v7
	s_wait_alu 0xfffd
	v_xor_b32_e32 v6, vcc_lo, v6
	v_cmp_gt_i32_e32 vcc_lo, 0, v10
	v_and_b32_e32 v5, v5, v18
	v_not_b32_e32 v10, v11
	v_ashrrev_i32_e32 v8, 31, v8
	s_wait_alu 0xf1ff
	v_xor_b32_e32 v7, s20, v7
	v_cmp_gt_i32_e64 s20, 0, v11
	v_and_b32_e32 v5, v5, v6
	v_not_b32_e32 v6, v17
	v_ashrrev_i32_e32 v10, 31, v10
	s_wait_alu 0xfffd
	v_xor_b32_e32 v8, vcc_lo, v8
	v_cmp_gt_i32_e32 vcc_lo, 0, v17
	v_and_b32_e32 v5, v5, v7
	v_not_b32_e32 v7, v9
	v_ashrrev_i32_e32 v6, 31, v6
	s_wait_alu 0xf1ff
	v_xor_b32_e32 v10, s20, v10
	v_lshlrev_b32_e32 v4, 4, v4
	v_and_b32_e32 v5, v5, v8
	v_cmp_gt_i32_e64 s20, 0, v9
	v_ashrrev_i32_e32 v7, 31, v7
	s_wait_alu 0xfffd
	v_xor_b32_e32 v6, vcc_lo, v6
	v_add_nc_u32_e32 v19, v76, v4
	v_and_b32_e32 v5, v5, v10
	s_wait_alu 0xf1ff
	v_xor_b32_e32 v4, s20, v7
	ds_load_b32 v17, v19 offset:16
	v_and_b32_e32 v5, v5, v6
	; wave barrier
	s_delay_alu instid0(VALU_DEP_1) | instskip(NEXT) | instid1(VALU_DEP_1)
	v_and_b32_e32 v4, v5, v4
	v_mbcnt_lo_u32_b32 v18, v4, 0
	v_cmp_ne_u32_e64 s20, 0, v4
	s_delay_alu instid0(VALU_DEP_2)
	v_cmp_eq_u32_e32 vcc_lo, 0, v18
	s_and_b32 s27, s20, vcc_lo
	s_wait_alu 0xfffe
	s_and_saveexec_b32 s20, s27
	s_cbranch_execz .LBB147_73
; %bb.72:                               ;   in Loop: Header=BB147_67 Depth=1
	s_wait_dscnt 0x0
	v_bcnt_u32_b32 v4, v4, v17
	ds_store_b32 v19, v4 offset:16
.LBB147_73:                             ;   in Loop: Header=BB147_67 Depth=1
	s_wait_alu 0xfffe
	s_or_b32 exec_lo, exec_lo, s20
	v_lshrrev_b64 v[4:5], v37, v[65:66]
	; wave barrier
	s_delay_alu instid0(VALU_DEP_1) | instskip(NEXT) | instid1(VALU_DEP_1)
	v_and_b32_e32 v4, s23, v4
	v_and_b32_e32 v5, 1, v4
	v_lshlrev_b32_e32 v6, 30, v4
	v_lshlrev_b32_e32 v7, 29, v4
	;; [unrolled: 1-line block ×4, first 2 shown]
	v_add_co_u32 v5, s20, v5, -1
	s_wait_alu 0xf1ff
	v_cndmask_b32_e64 v9, 0, 1, s20
	v_not_b32_e32 v21, v6
	v_cmp_gt_i32_e64 s20, 0, v6
	v_not_b32_e32 v6, v7
	v_lshlrev_b32_e32 v11, 26, v4
	v_cmp_ne_u32_e32 vcc_lo, 0, v9
	v_ashrrev_i32_e32 v21, 31, v21
	v_lshlrev_b32_e32 v20, 25, v4
	v_ashrrev_i32_e32 v6, 31, v6
	v_lshlrev_b32_e32 v9, 24, v4
	s_wait_alu 0xfffd
	v_xor_b32_e32 v5, vcc_lo, v5
	v_cmp_gt_i32_e32 vcc_lo, 0, v7
	v_not_b32_e32 v7, v8
	s_wait_alu 0xf1ff
	v_xor_b32_e32 v21, s20, v21
	v_cmp_gt_i32_e64 s20, 0, v8
	v_and_b32_e32 v5, exec_lo, v5
	v_not_b32_e32 v8, v10
	v_ashrrev_i32_e32 v7, 31, v7
	s_wait_alu 0xfffd
	v_xor_b32_e32 v6, vcc_lo, v6
	v_cmp_gt_i32_e32 vcc_lo, 0, v10
	v_and_b32_e32 v5, v5, v21
	v_not_b32_e32 v10, v11
	v_ashrrev_i32_e32 v8, 31, v8
	s_wait_alu 0xf1ff
	v_xor_b32_e32 v7, s20, v7
	v_cmp_gt_i32_e64 s20, 0, v11
	v_and_b32_e32 v5, v5, v6
	v_not_b32_e32 v6, v20
	v_ashrrev_i32_e32 v10, 31, v10
	s_wait_alu 0xfffd
	v_xor_b32_e32 v8, vcc_lo, v8
	v_cmp_gt_i32_e32 vcc_lo, 0, v20
	v_and_b32_e32 v5, v5, v7
	v_not_b32_e32 v7, v9
	v_ashrrev_i32_e32 v6, 31, v6
	s_wait_alu 0xf1ff
	v_xor_b32_e32 v10, s20, v10
	v_lshlrev_b32_e32 v4, 4, v4
	v_and_b32_e32 v5, v5, v8
	v_cmp_gt_i32_e64 s20, 0, v9
	v_ashrrev_i32_e32 v7, 31, v7
	s_wait_alu 0xfffd
	v_xor_b32_e32 v6, vcc_lo, v6
	v_add_nc_u32_e32 v22, v76, v4
	v_and_b32_e32 v5, v5, v10
	s_wait_alu 0xf1ff
	v_xor_b32_e32 v4, s20, v7
	ds_load_b32 v20, v22 offset:16
	v_and_b32_e32 v5, v5, v6
	; wave barrier
	s_delay_alu instid0(VALU_DEP_1) | instskip(NEXT) | instid1(VALU_DEP_1)
	v_and_b32_e32 v4, v5, v4
	v_mbcnt_lo_u32_b32 v21, v4, 0
	v_cmp_ne_u32_e64 s20, 0, v4
	s_delay_alu instid0(VALU_DEP_2)
	v_cmp_eq_u32_e32 vcc_lo, 0, v21
	s_and_b32 s27, s20, vcc_lo
	s_wait_alu 0xfffe
	s_and_saveexec_b32 s20, s27
	s_cbranch_execz .LBB147_75
; %bb.74:                               ;   in Loop: Header=BB147_67 Depth=1
	s_wait_dscnt 0x0
	v_bcnt_u32_b32 v4, v4, v20
	ds_store_b32 v22, v4 offset:16
.LBB147_75:                             ;   in Loop: Header=BB147_67 Depth=1
	s_wait_alu 0xfffe
	s_or_b32 exec_lo, exec_lo, s20
	v_lshrrev_b64 v[4:5], v37, v[63:64]
	; wave barrier
	s_delay_alu instid0(VALU_DEP_1) | instskip(NEXT) | instid1(VALU_DEP_1)
	v_and_b32_e32 v4, s23, v4
	v_and_b32_e32 v5, 1, v4
	v_lshlrev_b32_e32 v6, 30, v4
	v_lshlrev_b32_e32 v7, 29, v4
	;; [unrolled: 1-line block ×4, first 2 shown]
	v_add_co_u32 v5, s20, v5, -1
	s_wait_alu 0xf1ff
	v_cndmask_b32_e64 v9, 0, 1, s20
	v_not_b32_e32 v24, v6
	v_cmp_gt_i32_e64 s20, 0, v6
	v_not_b32_e32 v6, v7
	v_lshlrev_b32_e32 v11, 26, v4
	v_cmp_ne_u32_e32 vcc_lo, 0, v9
	v_ashrrev_i32_e32 v24, 31, v24
	v_lshlrev_b32_e32 v23, 25, v4
	v_ashrrev_i32_e32 v6, 31, v6
	v_lshlrev_b32_e32 v9, 24, v4
	s_wait_alu 0xfffd
	v_xor_b32_e32 v5, vcc_lo, v5
	v_cmp_gt_i32_e32 vcc_lo, 0, v7
	v_not_b32_e32 v7, v8
	s_wait_alu 0xf1ff
	v_xor_b32_e32 v24, s20, v24
	v_cmp_gt_i32_e64 s20, 0, v8
	v_and_b32_e32 v5, exec_lo, v5
	v_not_b32_e32 v8, v10
	v_ashrrev_i32_e32 v7, 31, v7
	s_wait_alu 0xfffd
	v_xor_b32_e32 v6, vcc_lo, v6
	v_cmp_gt_i32_e32 vcc_lo, 0, v10
	v_and_b32_e32 v5, v5, v24
	v_not_b32_e32 v10, v11
	v_ashrrev_i32_e32 v8, 31, v8
	s_wait_alu 0xf1ff
	v_xor_b32_e32 v7, s20, v7
	v_cmp_gt_i32_e64 s20, 0, v11
	v_and_b32_e32 v5, v5, v6
	v_not_b32_e32 v6, v23
	v_ashrrev_i32_e32 v10, 31, v10
	s_wait_alu 0xfffd
	v_xor_b32_e32 v8, vcc_lo, v8
	v_cmp_gt_i32_e32 vcc_lo, 0, v23
	v_and_b32_e32 v5, v5, v7
	v_not_b32_e32 v7, v9
	v_ashrrev_i32_e32 v6, 31, v6
	s_wait_alu 0xf1ff
	v_xor_b32_e32 v10, s20, v10
	v_lshlrev_b32_e32 v4, 4, v4
	v_and_b32_e32 v5, v5, v8
	v_cmp_gt_i32_e64 s20, 0, v9
	v_ashrrev_i32_e32 v7, 31, v7
	s_wait_alu 0xfffd
	v_xor_b32_e32 v6, vcc_lo, v6
	v_add_nc_u32_e32 v25, v76, v4
	v_and_b32_e32 v5, v5, v10
	s_wait_alu 0xf1ff
	v_xor_b32_e32 v4, s20, v7
	ds_load_b32 v23, v25 offset:16
	v_and_b32_e32 v5, v5, v6
	; wave barrier
	s_delay_alu instid0(VALU_DEP_1) | instskip(NEXT) | instid1(VALU_DEP_1)
	v_and_b32_e32 v4, v5, v4
	v_mbcnt_lo_u32_b32 v24, v4, 0
	v_cmp_ne_u32_e64 s20, 0, v4
	s_delay_alu instid0(VALU_DEP_2)
	v_cmp_eq_u32_e32 vcc_lo, 0, v24
	s_and_b32 s27, s20, vcc_lo
	s_wait_alu 0xfffe
	s_and_saveexec_b32 s20, s27
	s_cbranch_execz .LBB147_77
; %bb.76:                               ;   in Loop: Header=BB147_67 Depth=1
	s_wait_dscnt 0x0
	v_bcnt_u32_b32 v4, v4, v23
	ds_store_b32 v25, v4 offset:16
.LBB147_77:                             ;   in Loop: Header=BB147_67 Depth=1
	s_wait_alu 0xfffe
	s_or_b32 exec_lo, exec_lo, s20
	v_lshrrev_b64 v[4:5], v37, v[45:46]
	; wave barrier
	s_delay_alu instid0(VALU_DEP_1) | instskip(NEXT) | instid1(VALU_DEP_1)
	v_and_b32_e32 v4, s23, v4
	v_and_b32_e32 v5, 1, v4
	v_lshlrev_b32_e32 v6, 30, v4
	v_lshlrev_b32_e32 v7, 29, v4
	;; [unrolled: 1-line block ×4, first 2 shown]
	v_add_co_u32 v5, s20, v5, -1
	s_wait_alu 0xf1ff
	v_cndmask_b32_e64 v9, 0, 1, s20
	v_not_b32_e32 v27, v6
	v_cmp_gt_i32_e64 s20, 0, v6
	v_not_b32_e32 v6, v7
	v_lshlrev_b32_e32 v11, 26, v4
	v_cmp_ne_u32_e32 vcc_lo, 0, v9
	v_ashrrev_i32_e32 v27, 31, v27
	v_lshlrev_b32_e32 v26, 25, v4
	v_ashrrev_i32_e32 v6, 31, v6
	v_lshlrev_b32_e32 v9, 24, v4
	s_wait_alu 0xfffd
	v_xor_b32_e32 v5, vcc_lo, v5
	v_cmp_gt_i32_e32 vcc_lo, 0, v7
	v_not_b32_e32 v7, v8
	s_wait_alu 0xf1ff
	v_xor_b32_e32 v27, s20, v27
	v_cmp_gt_i32_e64 s20, 0, v8
	v_and_b32_e32 v5, exec_lo, v5
	v_not_b32_e32 v8, v10
	v_ashrrev_i32_e32 v7, 31, v7
	s_wait_alu 0xfffd
	v_xor_b32_e32 v6, vcc_lo, v6
	v_cmp_gt_i32_e32 vcc_lo, 0, v10
	v_and_b32_e32 v5, v5, v27
	v_not_b32_e32 v10, v11
	v_ashrrev_i32_e32 v8, 31, v8
	s_wait_alu 0xf1ff
	v_xor_b32_e32 v7, s20, v7
	v_cmp_gt_i32_e64 s20, 0, v11
	v_and_b32_e32 v5, v5, v6
	v_not_b32_e32 v6, v26
	v_ashrrev_i32_e32 v10, 31, v10
	s_wait_alu 0xfffd
	v_xor_b32_e32 v8, vcc_lo, v8
	v_cmp_gt_i32_e32 vcc_lo, 0, v26
	v_and_b32_e32 v5, v5, v7
	v_not_b32_e32 v7, v9
	v_ashrrev_i32_e32 v6, 31, v6
	s_wait_alu 0xf1ff
	v_xor_b32_e32 v10, s20, v10
	v_lshlrev_b32_e32 v4, 4, v4
	v_and_b32_e32 v5, v5, v8
	v_cmp_gt_i32_e64 s20, 0, v9
	v_ashrrev_i32_e32 v7, 31, v7
	s_wait_alu 0xfffd
	v_xor_b32_e32 v6, vcc_lo, v6
	v_add_nc_u32_e32 v28, v76, v4
	v_and_b32_e32 v5, v5, v10
	s_wait_alu 0xf1ff
	v_xor_b32_e32 v4, s20, v7
	ds_load_b32 v26, v28 offset:16
	v_and_b32_e32 v5, v5, v6
	; wave barrier
	s_delay_alu instid0(VALU_DEP_1) | instskip(NEXT) | instid1(VALU_DEP_1)
	v_and_b32_e32 v4, v5, v4
	v_mbcnt_lo_u32_b32 v27, v4, 0
	v_cmp_ne_u32_e64 s20, 0, v4
	s_delay_alu instid0(VALU_DEP_2)
	v_cmp_eq_u32_e32 vcc_lo, 0, v27
	s_and_b32 s27, s20, vcc_lo
	s_wait_alu 0xfffe
	s_and_saveexec_b32 s20, s27
	s_cbranch_execz .LBB147_79
; %bb.78:                               ;   in Loop: Header=BB147_67 Depth=1
	s_wait_dscnt 0x0
	v_bcnt_u32_b32 v4, v4, v26
	ds_store_b32 v28, v4 offset:16
.LBB147_79:                             ;   in Loop: Header=BB147_67 Depth=1
	s_wait_alu 0xfffe
	s_or_b32 exec_lo, exec_lo, s20
	v_lshrrev_b64 v[4:5], v37, v[43:44]
	; wave barrier
	s_delay_alu instid0(VALU_DEP_1) | instskip(NEXT) | instid1(VALU_DEP_1)
	v_and_b32_e32 v4, s23, v4
	v_and_b32_e32 v5, 1, v4
	v_lshlrev_b32_e32 v6, 30, v4
	v_lshlrev_b32_e32 v7, 29, v4
	;; [unrolled: 1-line block ×4, first 2 shown]
	v_add_co_u32 v5, s20, v5, -1
	s_wait_alu 0xf1ff
	v_cndmask_b32_e64 v9, 0, 1, s20
	v_not_b32_e32 v30, v6
	v_cmp_gt_i32_e64 s20, 0, v6
	v_not_b32_e32 v6, v7
	v_lshlrev_b32_e32 v11, 26, v4
	v_cmp_ne_u32_e32 vcc_lo, 0, v9
	v_ashrrev_i32_e32 v30, 31, v30
	v_lshlrev_b32_e32 v29, 25, v4
	v_ashrrev_i32_e32 v6, 31, v6
	v_lshlrev_b32_e32 v9, 24, v4
	s_wait_alu 0xfffd
	v_xor_b32_e32 v5, vcc_lo, v5
	v_cmp_gt_i32_e32 vcc_lo, 0, v7
	v_not_b32_e32 v7, v8
	s_wait_alu 0xf1ff
	v_xor_b32_e32 v30, s20, v30
	v_cmp_gt_i32_e64 s20, 0, v8
	v_and_b32_e32 v5, exec_lo, v5
	v_not_b32_e32 v8, v10
	v_ashrrev_i32_e32 v7, 31, v7
	s_wait_alu 0xfffd
	v_xor_b32_e32 v6, vcc_lo, v6
	v_cmp_gt_i32_e32 vcc_lo, 0, v10
	v_and_b32_e32 v5, v5, v30
	v_not_b32_e32 v10, v11
	v_ashrrev_i32_e32 v8, 31, v8
	s_wait_alu 0xf1ff
	v_xor_b32_e32 v7, s20, v7
	v_cmp_gt_i32_e64 s20, 0, v11
	v_and_b32_e32 v5, v5, v6
	v_not_b32_e32 v6, v29
	v_ashrrev_i32_e32 v10, 31, v10
	s_wait_alu 0xfffd
	v_xor_b32_e32 v8, vcc_lo, v8
	v_cmp_gt_i32_e32 vcc_lo, 0, v29
	v_and_b32_e32 v5, v5, v7
	v_not_b32_e32 v7, v9
	v_ashrrev_i32_e32 v6, 31, v6
	s_wait_alu 0xf1ff
	v_xor_b32_e32 v10, s20, v10
	v_lshlrev_b32_e32 v4, 4, v4
	v_and_b32_e32 v5, v5, v8
	v_cmp_gt_i32_e64 s20, 0, v9
	v_ashrrev_i32_e32 v7, 31, v7
	s_wait_alu 0xfffd
	v_xor_b32_e32 v6, vcc_lo, v6
	v_add_nc_u32_e32 v31, v76, v4
	v_and_b32_e32 v5, v5, v10
	s_wait_alu 0xf1ff
	v_xor_b32_e32 v4, s20, v7
	ds_load_b32 v29, v31 offset:16
	v_and_b32_e32 v5, v5, v6
	; wave barrier
	s_delay_alu instid0(VALU_DEP_1) | instskip(NEXT) | instid1(VALU_DEP_1)
	v_and_b32_e32 v4, v5, v4
	v_mbcnt_lo_u32_b32 v30, v4, 0
	v_cmp_ne_u32_e64 s20, 0, v4
	s_delay_alu instid0(VALU_DEP_2)
	v_cmp_eq_u32_e32 vcc_lo, 0, v30
	s_and_b32 s27, s20, vcc_lo
	s_wait_alu 0xfffe
	s_and_saveexec_b32 s20, s27
	s_cbranch_execz .LBB147_81
; %bb.80:                               ;   in Loop: Header=BB147_67 Depth=1
	s_wait_dscnt 0x0
	v_bcnt_u32_b32 v4, v4, v29
	ds_store_b32 v31, v4 offset:16
.LBB147_81:                             ;   in Loop: Header=BB147_67 Depth=1
	s_wait_alu 0xfffe
	s_or_b32 exec_lo, exec_lo, s20
	v_lshrrev_b64 v[4:5], v37, v[41:42]
	; wave barrier
	s_delay_alu instid0(VALU_DEP_1) | instskip(NEXT) | instid1(VALU_DEP_1)
	v_and_b32_e32 v4, s23, v4
	v_and_b32_e32 v5, 1, v4
	v_lshlrev_b32_e32 v6, 30, v4
	v_lshlrev_b32_e32 v7, 29, v4
	;; [unrolled: 1-line block ×4, first 2 shown]
	v_add_co_u32 v5, s20, v5, -1
	s_wait_alu 0xf1ff
	v_cndmask_b32_e64 v9, 0, 1, s20
	v_not_b32_e32 v34, v6
	v_cmp_gt_i32_e64 s20, 0, v6
	v_not_b32_e32 v6, v7
	v_lshlrev_b32_e32 v11, 26, v4
	v_cmp_ne_u32_e32 vcc_lo, 0, v9
	v_ashrrev_i32_e32 v34, 31, v34
	v_lshlrev_b32_e32 v33, 25, v4
	v_ashrrev_i32_e32 v6, 31, v6
	v_lshlrev_b32_e32 v9, 24, v4
	s_wait_alu 0xfffd
	v_xor_b32_e32 v5, vcc_lo, v5
	v_cmp_gt_i32_e32 vcc_lo, 0, v7
	v_not_b32_e32 v7, v8
	s_wait_alu 0xf1ff
	v_xor_b32_e32 v34, s20, v34
	v_cmp_gt_i32_e64 s20, 0, v8
	v_and_b32_e32 v5, exec_lo, v5
	v_not_b32_e32 v8, v10
	v_ashrrev_i32_e32 v7, 31, v7
	s_wait_alu 0xfffd
	v_xor_b32_e32 v6, vcc_lo, v6
	v_cmp_gt_i32_e32 vcc_lo, 0, v10
	v_and_b32_e32 v5, v5, v34
	v_not_b32_e32 v10, v11
	v_ashrrev_i32_e32 v8, 31, v8
	s_wait_alu 0xf1ff
	v_xor_b32_e32 v7, s20, v7
	v_cmp_gt_i32_e64 s20, 0, v11
	v_and_b32_e32 v5, v5, v6
	v_not_b32_e32 v6, v33
	v_ashrrev_i32_e32 v10, 31, v10
	s_wait_alu 0xfffd
	v_xor_b32_e32 v8, vcc_lo, v8
	v_cmp_gt_i32_e32 vcc_lo, 0, v33
	v_and_b32_e32 v5, v5, v7
	v_not_b32_e32 v7, v9
	v_ashrrev_i32_e32 v6, 31, v6
	s_wait_alu 0xf1ff
	v_xor_b32_e32 v10, s20, v10
	v_lshlrev_b32_e32 v4, 4, v4
	v_and_b32_e32 v5, v5, v8
	v_cmp_gt_i32_e64 s20, 0, v9
	v_ashrrev_i32_e32 v7, 31, v7
	s_wait_alu 0xfffd
	v_xor_b32_e32 v6, vcc_lo, v6
	v_add_nc_u32_e32 v35, v76, v4
	v_and_b32_e32 v5, v5, v10
	s_wait_alu 0xf1ff
	v_xor_b32_e32 v4, s20, v7
	ds_load_b32 v33, v35 offset:16
	v_and_b32_e32 v5, v5, v6
	; wave barrier
	s_delay_alu instid0(VALU_DEP_1) | instskip(NEXT) | instid1(VALU_DEP_1)
	v_and_b32_e32 v4, v5, v4
	v_mbcnt_lo_u32_b32 v34, v4, 0
	v_cmp_ne_u32_e64 s20, 0, v4
	s_delay_alu instid0(VALU_DEP_2)
	v_cmp_eq_u32_e32 vcc_lo, 0, v34
	s_and_b32 s23, s20, vcc_lo
	s_wait_alu 0xfffe
	s_and_saveexec_b32 s20, s23
	s_cbranch_execz .LBB147_83
; %bb.82:                               ;   in Loop: Header=BB147_67 Depth=1
	s_wait_dscnt 0x0
	v_bcnt_u32_b32 v4, v4, v33
	ds_store_b32 v35, v4 offset:16
.LBB147_83:                             ;   in Loop: Header=BB147_67 Depth=1
	s_wait_alu 0xfffe
	s_or_b32 exec_lo, exec_lo, s20
	; wave barrier
	s_wait_loadcnt_dscnt 0x0
	s_barrier_signal -1
	s_barrier_wait -1
	global_inv scope:SCOPE_SE
	ds_load_b128 v[8:11], v116 offset:16
	ds_load_b128 v[4:7], v116 offset:32
	s_wait_dscnt 0x1
	v_add_nc_u32_e32 v36, v9, v8
	s_delay_alu instid0(VALU_DEP_1) | instskip(SKIP_1) | instid1(VALU_DEP_1)
	v_add3_u32 v36, v36, v10, v11
	s_wait_dscnt 0x0
	v_add3_u32 v36, v36, v4, v5
	s_delay_alu instid0(VALU_DEP_1) | instskip(NEXT) | instid1(VALU_DEP_1)
	v_add3_u32 v7, v36, v6, v7
	v_mov_b32_dpp v36, v7 row_shr:1 row_mask:0xf bank_mask:0xf
	s_delay_alu instid0(VALU_DEP_1) | instskip(NEXT) | instid1(VALU_DEP_1)
	v_cndmask_b32_e64 v36, v36, 0, s8
	v_add_nc_u32_e32 v7, v36, v7
	s_delay_alu instid0(VALU_DEP_1) | instskip(NEXT) | instid1(VALU_DEP_1)
	v_mov_b32_dpp v36, v7 row_shr:2 row_mask:0xf bank_mask:0xf
	v_cndmask_b32_e64 v36, 0, v36, s10
	s_delay_alu instid0(VALU_DEP_1) | instskip(NEXT) | instid1(VALU_DEP_1)
	v_add_nc_u32_e32 v7, v7, v36
	v_mov_b32_dpp v36, v7 row_shr:4 row_mask:0xf bank_mask:0xf
	s_delay_alu instid0(VALU_DEP_1) | instskip(NEXT) | instid1(VALU_DEP_1)
	v_cndmask_b32_e64 v36, 0, v36, s11
	v_add_nc_u32_e32 v7, v7, v36
	s_delay_alu instid0(VALU_DEP_1) | instskip(NEXT) | instid1(VALU_DEP_1)
	v_mov_b32_dpp v36, v7 row_shr:8 row_mask:0xf bank_mask:0xf
	v_cndmask_b32_e64 v36, 0, v36, s12
	s_delay_alu instid0(VALU_DEP_1) | instskip(SKIP_3) | instid1(VALU_DEP_1)
	v_add_nc_u32_e32 v7, v7, v36
	ds_swizzle_b32 v36, v7 offset:swizzle(BROADCAST,32,15)
	s_wait_dscnt 0x0
	v_cndmask_b32_e64 v36, v36, 0, s13
	v_add_nc_u32_e32 v7, v7, v36
	s_and_saveexec_b32 s20, s14
; %bb.84:                               ;   in Loop: Header=BB147_67 Depth=1
	ds_store_b32 v117, v7
; %bb.85:                               ;   in Loop: Header=BB147_67 Depth=1
	s_wait_alu 0xfffe
	s_or_b32 exec_lo, exec_lo, s20
	s_wait_loadcnt_dscnt 0x0
	s_barrier_signal -1
	s_barrier_wait -1
	global_inv scope:SCOPE_SE
	s_and_saveexec_b32 s20, s15
	s_cbranch_execz .LBB147_87
; %bb.86:                               ;   in Loop: Header=BB147_67 Depth=1
	ds_load_b32 v36, v77
	s_wait_dscnt 0x0
	v_mov_b32_dpp v78, v36 row_shr:1 row_mask:0xf bank_mask:0xf
	s_delay_alu instid0(VALU_DEP_1) | instskip(NEXT) | instid1(VALU_DEP_1)
	v_cndmask_b32_e64 v78, v78, 0, s18
	v_add_nc_u32_e32 v36, v78, v36
	s_delay_alu instid0(VALU_DEP_1) | instskip(NEXT) | instid1(VALU_DEP_1)
	v_mov_b32_dpp v78, v36 row_shr:2 row_mask:0xf bank_mask:0xf
	v_cndmask_b32_e64 v78, 0, v78, s19
	s_delay_alu instid0(VALU_DEP_1)
	v_add_nc_u32_e32 v36, v36, v78
	ds_store_b32 v77, v36
.LBB147_87:                             ;   in Loop: Header=BB147_67 Depth=1
	s_wait_alu 0xfffe
	s_or_b32 exec_lo, exec_lo, s20
	v_mov_b32_e32 v36, 0
	s_wait_loadcnt_dscnt 0x0
	s_barrier_signal -1
	s_barrier_wait -1
	global_inv scope:SCOPE_SE
	s_and_saveexec_b32 s20, s16
; %bb.88:                               ;   in Loop: Header=BB147_67 Depth=1
	ds_load_b32 v36, v74
; %bb.89:                               ;   in Loop: Header=BB147_67 Depth=1
	s_wait_alu 0xfffe
	s_or_b32 exec_lo, exec_lo, s20
	s_wait_dscnt 0x0
	v_add_nc_u32_e32 v7, v36, v7
	v_cmp_lt_u32_e32 vcc_lo, 55, v37
	s_mov_b32 s20, -1
	ds_bpermute_b32 v7, v32, v7
	s_and_b32 vcc_lo, exec_lo, vcc_lo
	s_wait_dscnt 0x0
	v_cndmask_b32_e64 v7, v7, v36, s9
	s_delay_alu instid0(VALU_DEP_1) | instskip(NEXT) | instid1(VALU_DEP_1)
	v_cndmask_b32_e64 v7, v7, 0, s17
	v_add_nc_u32_e32 v8, v7, v8
	s_delay_alu instid0(VALU_DEP_1) | instskip(NEXT) | instid1(VALU_DEP_1)
	v_add_nc_u32_e32 v9, v8, v9
	v_add_nc_u32_e32 v10, v9, v10
	s_delay_alu instid0(VALU_DEP_1) | instskip(NEXT) | instid1(VALU_DEP_1)
	v_add_nc_u32_e32 v78, v10, v11
	;; [unrolled: 3-line block ×3, first 2 shown]
	v_add_nc_u32_e32 v81, v80, v6
	ds_store_b128 v116, v[7:10] offset:16
	ds_store_b128 v116, v[78:81] offset:32
	s_wait_loadcnt_dscnt 0x0
	s_barrier_signal -1
	s_barrier_wait -1
	global_inv scope:SCOPE_SE
	ds_load_b32 v4, v13 offset:16
	ds_load_b32 v5, v16 offset:16
	;; [unrolled: 1-line block ×8, first 2 shown]
	s_wait_dscnt 0x7
	v_add_nc_u32_e32 v85, v4, v12
	s_wait_dscnt 0x6
	v_add3_u32 v84, v15, v14, v5
	s_wait_dscnt 0x5
	v_add3_u32 v83, v18, v17, v6
	;; [unrolled: 2-line block ×7, first 2 shown]
                                        ; implicit-def: $vgpr35_vgpr36
                                        ; implicit-def: $vgpr14_vgpr15
                                        ; implicit-def: $vgpr10_vgpr11
                                        ; implicit-def: $vgpr6_vgpr7
                                        ; implicit-def: $vgpr30_vgpr31
                                        ; implicit-def: $vgpr26_vgpr27
                                        ; implicit-def: $vgpr22_vgpr23
                                        ; implicit-def: $vgpr18_vgpr19
	s_wait_alu 0xfffe
	s_cbranch_vccnz .LBB147_66
; %bb.90:                               ;   in Loop: Header=BB147_67 Depth=1
	v_lshlrev_b32_e32 v16, 3, v85
	v_lshlrev_b32_e32 v19, 3, v82
	;; [unrolled: 1-line block ×8, first 2 shown]
	s_wait_loadcnt 0x0
	s_barrier_signal -1
	s_barrier_wait -1
	global_inv scope:SCOPE_SE
	ds_store_b64 v16, v[39:40]
	ds_store_b64 v17, v[70:71]
	;; [unrolled: 1-line block ×8, first 2 shown]
	s_wait_loadcnt_dscnt 0x0
	s_barrier_signal -1
	s_barrier_wait -1
	global_inv scope:SCOPE_SE
	ds_load_2addr_b64 v[4:7], v75 offset1:32
	ds_load_2addr_b64 v[8:11], v75 offset0:64 offset1:96
	ds_load_2addr_b64 v[12:15], v75 offset0:128 offset1:160
	;; [unrolled: 1-line block ×3, first 2 shown]
	s_wait_loadcnt_dscnt 0x0
	s_barrier_signal -1
	s_barrier_wait -1
	global_inv scope:SCOPE_SE
	ds_store_b64 v16, v[61:62]
	ds_store_b64 v17, v[59:60]
	;; [unrolled: 1-line block ×8, first 2 shown]
	s_wait_loadcnt_dscnt 0x0
	s_barrier_signal -1
	s_barrier_wait -1
	global_inv scope:SCOPE_SE
	ds_load_2addr_b64 v[16:19], v75 offset1:32
	ds_load_2addr_b64 v[20:23], v75 offset0:64 offset1:96
	ds_load_2addr_b64 v[24:27], v75 offset0:128 offset1:160
	;; [unrolled: 1-line block ×3, first 2 shown]
	v_add_co_u32 v37, vcc_lo, v37, 8
	s_wait_alu 0xfffd
	v_add_co_ci_u32_e64 v38, null, 0, v38, vcc_lo
	s_add_co_i32 s22, s22, -8
	s_mov_b32 s20, 0
	s_wait_loadcnt_dscnt 0x0
	s_barrier_signal -1
	s_barrier_wait -1
	global_inv scope:SCOPE_SE
	s_branch .LBB147_66
.LBB147_91:
	v_lshlrev_b32_e32 v16, 3, v85
	v_lshlrev_b32_e32 v19, 3, v82
	;; [unrolled: 1-line block ×9, first 2 shown]
	s_wait_loadcnt 0x0
	s_barrier_signal -1
	s_barrier_wait -1
	global_inv scope:SCOPE_SE
	ds_store_b64 v16, v[39:40]
	ds_store_b64 v17, v[70:71]
	;; [unrolled: 1-line block ×8, first 2 shown]
	s_wait_loadcnt_dscnt 0x0
	s_barrier_signal -1
	s_barrier_wait -1
	global_inv scope:SCOPE_SE
	ds_load_b128 v[0:3], v24
	ds_load_b128 v[4:7], v24 offset:16
	ds_load_b128 v[8:11], v24 offset:32
	;; [unrolled: 1-line block ×3, first 2 shown]
	s_wait_loadcnt_dscnt 0x0
	s_barrier_signal -1
	s_barrier_wait -1
	global_inv scope:SCOPE_SE
	ds_store_b64 v16, v[61:62]
	ds_store_b64 v17, v[59:60]
	;; [unrolled: 1-line block ×8, first 2 shown]
	s_wait_loadcnt_dscnt 0x0
	s_barrier_signal -1
	s_barrier_wait -1
	global_inv scope:SCOPE_SE
	ds_load_b128 v[45:48], v24
	ds_load_b128 v[41:44], v24 offset:16
	ds_load_b128 v[37:40], v24 offset:32
	;; [unrolled: 1-line block ×3, first 2 shown]
	v_xor_b32_e32 v50, 0x7fffffff, v1
	v_xor_b32_e32 v49, -1, v0
	v_xor_b32_e32 v52, 0x7fffffff, v3
	v_xor_b32_e32 v51, -1, v2
	;; [unrolled: 2-line block ×8, first 2 shown]
.LBB147_92:
	s_wait_loadcnt_dscnt 0x0
	s_barrier_signal -1
	s_barrier_wait -1
	global_inv scope:SCOPE_SE
	ds_store_2addr_b64 v115, v[49:50], v[51:52] offset1:1
	ds_store_2addr_b64 v115, v[53:54], v[55:56] offset0:2 offset1:3
	ds_store_2addr_b64 v115, v[57:58], v[59:60] offset0:4 offset1:5
	;; [unrolled: 1-line block ×3, first 2 shown]
	s_wait_loadcnt_dscnt 0x0
	s_barrier_signal -1
	s_barrier_wait -1
	global_inv scope:SCOPE_SE
	ds_load_b64 v[14:15], v108 offset:1024
	ds_load_b64 v[12:13], v109 offset:2048
	;; [unrolled: 1-line block ×7, first 2 shown]
	v_mov_b32_e32 v73, 0
	s_delay_alu instid0(VALU_DEP_1) | instskip(NEXT) | instid1(VALU_DEP_1)
	v_lshlrev_b64_e32 v[2:3], 3, v[72:73]
	v_add_co_u32 v2, vcc_lo, s30, v2
	s_wait_alu 0xfffd
	s_delay_alu instid0(VALU_DEP_2)
	v_add_co_ci_u32_e64 v3, null, s31, v3, vcc_lo
	s_and_saveexec_b32 s8, s0
	s_cbranch_execnz .LBB147_111
; %bb.93:
	s_wait_alu 0xfffe
	s_or_b32 exec_lo, exec_lo, s8
	s_and_saveexec_b32 s8, s1
	s_cbranch_execnz .LBB147_112
.LBB147_94:
	s_wait_alu 0xfffe
	s_or_b32 exec_lo, exec_lo, s8
	s_and_saveexec_b32 s8, s2
	s_cbranch_execnz .LBB147_113
.LBB147_95:
	s_wait_alu 0xfffe
	s_or_b32 exec_lo, exec_lo, s8
	s_and_saveexec_b32 s8, s3
	s_cbranch_execnz .LBB147_114
.LBB147_96:
	s_wait_alu 0xfffe
	s_or_b32 exec_lo, exec_lo, s8
	s_and_saveexec_b32 s8, s4
	s_cbranch_execnz .LBB147_115
.LBB147_97:
	s_wait_alu 0xfffe
	s_or_b32 exec_lo, exec_lo, s8
	s_and_saveexec_b32 s8, s5
	s_cbranch_execnz .LBB147_116
.LBB147_98:
	s_wait_alu 0xfffe
	s_or_b32 exec_lo, exec_lo, s8
	s_and_saveexec_b32 s8, s6
	s_cbranch_execnz .LBB147_117
.LBB147_99:
	s_wait_alu 0xfffe
	s_or_b32 exec_lo, exec_lo, s8
	s_and_saveexec_b32 s8, s7
	s_cbranch_execz .LBB147_101
.LBB147_100:
	s_mul_i32 s10, s26, 0x380
	s_mov_b32 s11, 0
	s_wait_alu 0xfffe
	s_lshl_b64 s[10:11], s[10:11], 3
	s_wait_alu 0xfffe
	v_add_co_u32 v2, vcc_lo, v2, s10
	s_wait_alu 0xfffd
	v_add_co_ci_u32_e64 v3, null, s11, v3, vcc_lo
	s_wait_dscnt 0x0
	global_store_b64 v[2:3], v[0:1], off
.LBB147_101:
	s_wait_alu 0xfffe
	s_or_b32 exec_lo, exec_lo, s8
	s_wait_storecnt 0x0
	s_wait_loadcnt_dscnt 0x0
	s_barrier_signal -1
	s_barrier_wait -1
	global_inv scope:SCOPE_SE
	ds_store_2addr_b64 v115, v[45:46], v[47:48] offset1:1
	ds_store_2addr_b64 v115, v[41:42], v[43:44] offset0:2 offset1:3
	ds_store_2addr_b64 v115, v[37:38], v[39:40] offset0:4 offset1:5
	;; [unrolled: 1-line block ×3, first 2 shown]
	s_wait_loadcnt_dscnt 0x0
	s_barrier_signal -1
	s_barrier_wait -1
	global_inv scope:SCOPE_SE
	ds_load_b64 v[14:15], v108 offset:1024
	ds_load_b64 v[12:13], v109 offset:2048
	;; [unrolled: 1-line block ×7, first 2 shown]
	v_mov_b32_e32 v70, 0
	s_delay_alu instid0(VALU_DEP_1) | instskip(NEXT) | instid1(VALU_DEP_1)
	v_lshlrev_b64_e32 v[2:3], 3, v[69:70]
	v_add_co_u32 v2, vcc_lo, s24, v2
	s_wait_alu 0xfffd
	s_delay_alu instid0(VALU_DEP_2)
	v_add_co_ci_u32_e64 v3, null, s25, v3, vcc_lo
	s_and_saveexec_b32 s8, s0
	s_cbranch_execnz .LBB147_118
; %bb.102:
	s_wait_alu 0xfffe
	s_or_b32 exec_lo, exec_lo, s8
	s_and_saveexec_b32 s0, s1
	s_cbranch_execnz .LBB147_119
.LBB147_103:
	s_or_b32 exec_lo, exec_lo, s0
	s_and_saveexec_b32 s0, s2
	s_cbranch_execnz .LBB147_120
.LBB147_104:
	s_or_b32 exec_lo, exec_lo, s0
	s_and_saveexec_b32 s0, s3
	s_cbranch_execnz .LBB147_121
.LBB147_105:
	s_or_b32 exec_lo, exec_lo, s0
	s_and_saveexec_b32 s0, s4
	s_cbranch_execnz .LBB147_122
.LBB147_106:
	s_or_b32 exec_lo, exec_lo, s0
	s_and_saveexec_b32 s0, s5
	s_cbranch_execnz .LBB147_123
.LBB147_107:
	s_or_b32 exec_lo, exec_lo, s0
	s_and_saveexec_b32 s0, s6
	s_cbranch_execnz .LBB147_124
.LBB147_108:
	s_or_b32 exec_lo, exec_lo, s0
	s_and_saveexec_b32 s0, s7
	s_cbranch_execz .LBB147_110
.LBB147_109:
	s_mul_i32 s0, s28, 0x380
	s_mov_b32 s1, 0
	s_delay_alu instid0(SALU_CYCLE_1) | instskip(NEXT) | instid1(SALU_CYCLE_1)
	s_lshl_b64 s[0:1], s[0:1], 3
	v_add_co_u32 v2, vcc_lo, v2, s0
	s_wait_alu 0xfffd
	v_add_co_ci_u32_e64 v3, null, s1, v3, vcc_lo
	s_wait_dscnt 0x0
	global_store_b64 v[2:3], v[0:1], off
.LBB147_110:
	s_nop 0
	s_sendmsg sendmsg(MSG_DEALLOC_VGPRS)
	s_endpgm
.LBB147_111:
	ds_load_b64 v[16:17], v107
	s_wait_dscnt 0x0
	global_store_b64 v[2:3], v[16:17], off
	s_wait_alu 0xfffe
	s_or_b32 exec_lo, exec_lo, s8
	s_and_saveexec_b32 s8, s1
	s_cbranch_execz .LBB147_94
.LBB147_112:
	s_lshl_b32 s10, s26, 7
	s_mov_b32 s11, 0
	s_wait_alu 0xfffe
	s_lshl_b64 s[10:11], s[10:11], 3
	s_wait_alu 0xfffe
	v_add_co_u32 v16, vcc_lo, v2, s10
	s_wait_alu 0xfffd
	v_add_co_ci_u32_e64 v17, null, s11, v3, vcc_lo
	s_wait_dscnt 0x6
	global_store_b64 v[16:17], v[14:15], off
	s_or_b32 exec_lo, exec_lo, s8
	s_and_saveexec_b32 s8, s2
	s_cbranch_execz .LBB147_95
.LBB147_113:
	s_lshl_b32 s10, s26, 8
	s_mov_b32 s11, 0
	s_wait_alu 0xfffe
	s_lshl_b64 s[10:11], s[10:11], 3
	s_wait_dscnt 0x6
	s_wait_alu 0xfffe
	v_add_co_u32 v14, vcc_lo, v2, s10
	s_wait_alu 0xfffd
	v_add_co_ci_u32_e64 v15, null, s11, v3, vcc_lo
	s_wait_dscnt 0x5
	global_store_b64 v[14:15], v[12:13], off
	s_or_b32 exec_lo, exec_lo, s8
	s_and_saveexec_b32 s8, s3
	s_cbranch_execz .LBB147_96
.LBB147_114:
	s_mul_i32 s10, s26, 0x180
	s_mov_b32 s11, 0
	s_wait_alu 0xfffe
	s_lshl_b64 s[10:11], s[10:11], 3
	s_wait_dscnt 0x5
	s_wait_alu 0xfffe
	v_add_co_u32 v12, vcc_lo, v2, s10
	s_wait_alu 0xfffd
	v_add_co_ci_u32_e64 v13, null, s11, v3, vcc_lo
	s_wait_dscnt 0x4
	global_store_b64 v[12:13], v[10:11], off
	s_or_b32 exec_lo, exec_lo, s8
	s_and_saveexec_b32 s8, s4
	s_cbranch_execz .LBB147_97
.LBB147_115:
	s_lshl_b32 s10, s26, 9
	s_mov_b32 s11, 0
	s_wait_alu 0xfffe
	s_lshl_b64 s[10:11], s[10:11], 3
	s_wait_dscnt 0x4
	s_wait_alu 0xfffe
	v_add_co_u32 v10, vcc_lo, v2, s10
	s_wait_alu 0xfffd
	v_add_co_ci_u32_e64 v11, null, s11, v3, vcc_lo
	s_wait_dscnt 0x3
	global_store_b64 v[10:11], v[8:9], off
	s_or_b32 exec_lo, exec_lo, s8
	s_and_saveexec_b32 s8, s5
	s_cbranch_execz .LBB147_98
.LBB147_116:
	s_mul_i32 s10, s26, 0x280
	s_mov_b32 s11, 0
	s_wait_alu 0xfffe
	s_lshl_b64 s[10:11], s[10:11], 3
	s_wait_dscnt 0x3
	s_wait_alu 0xfffe
	v_add_co_u32 v8, vcc_lo, v2, s10
	s_wait_alu 0xfffd
	v_add_co_ci_u32_e64 v9, null, s11, v3, vcc_lo
	s_wait_dscnt 0x2
	global_store_b64 v[8:9], v[6:7], off
	s_or_b32 exec_lo, exec_lo, s8
	s_and_saveexec_b32 s8, s6
	s_cbranch_execz .LBB147_99
.LBB147_117:
	s_mul_i32 s10, s26, 0x300
	s_mov_b32 s11, 0
	s_wait_alu 0xfffe
	s_lshl_b64 s[10:11], s[10:11], 3
	s_wait_dscnt 0x2
	s_wait_alu 0xfffe
	v_add_co_u32 v6, vcc_lo, v2, s10
	s_wait_alu 0xfffd
	v_add_co_ci_u32_e64 v7, null, s11, v3, vcc_lo
	s_wait_dscnt 0x1
	global_store_b64 v[6:7], v[4:5], off
	s_or_b32 exec_lo, exec_lo, s8
	s_and_saveexec_b32 s8, s7
	s_cbranch_execnz .LBB147_100
	s_branch .LBB147_101
.LBB147_118:
	ds_load_b64 v[16:17], v107
	s_wait_dscnt 0x0
	global_store_b64 v[2:3], v[16:17], off
	s_wait_alu 0xfffe
	s_or_b32 exec_lo, exec_lo, s8
	s_and_saveexec_b32 s0, s1
	s_cbranch_execz .LBB147_103
.LBB147_119:
	s_lshl_b32 s8, s28, 7
	s_mov_b32 s9, 0
	s_wait_alu 0xfffe
	s_lshl_b64 s[8:9], s[8:9], 3
	s_wait_alu 0xfffe
	v_add_co_u32 v16, vcc_lo, v2, s8
	s_wait_alu 0xfffd
	v_add_co_ci_u32_e64 v17, null, s9, v3, vcc_lo
	s_wait_dscnt 0x6
	global_store_b64 v[16:17], v[14:15], off
	s_or_b32 exec_lo, exec_lo, s0
	s_and_saveexec_b32 s0, s2
	s_cbranch_execz .LBB147_104
.LBB147_120:
	s_lshl_b32 s8, s28, 8
	s_mov_b32 s9, 0
	s_wait_alu 0xfffe
	s_lshl_b64 s[8:9], s[8:9], 3
	s_wait_dscnt 0x6
	s_wait_alu 0xfffe
	v_add_co_u32 v14, vcc_lo, v2, s8
	s_wait_alu 0xfffd
	v_add_co_ci_u32_e64 v15, null, s9, v3, vcc_lo
	s_wait_dscnt 0x5
	global_store_b64 v[14:15], v[12:13], off
	s_or_b32 exec_lo, exec_lo, s0
	s_and_saveexec_b32 s0, s3
	s_cbranch_execz .LBB147_105
.LBB147_121:
	s_mul_i32 s2, s28, 0x180
	s_mov_b32 s3, 0
	s_wait_alu 0xfffe
	s_lshl_b64 s[2:3], s[2:3], 3
	s_wait_dscnt 0x5
	s_wait_alu 0xfffe
	v_add_co_u32 v12, vcc_lo, v2, s2
	s_wait_alu 0xfffd
	v_add_co_ci_u32_e64 v13, null, s3, v3, vcc_lo
	s_wait_dscnt 0x4
	global_store_b64 v[12:13], v[10:11], off
	s_or_b32 exec_lo, exec_lo, s0
	s_and_saveexec_b32 s0, s4
	s_cbranch_execz .LBB147_106
.LBB147_122:
	s_lshl_b32 s2, s28, 9
	s_mov_b32 s3, 0
	s_wait_alu 0xfffe
	s_lshl_b64 s[2:3], s[2:3], 3
	s_wait_dscnt 0x4
	s_wait_alu 0xfffe
	v_add_co_u32 v10, vcc_lo, v2, s2
	s_wait_alu 0xfffd
	v_add_co_ci_u32_e64 v11, null, s3, v3, vcc_lo
	s_wait_dscnt 0x3
	global_store_b64 v[10:11], v[8:9], off
	s_or_b32 exec_lo, exec_lo, s0
	s_and_saveexec_b32 s0, s5
	s_cbranch_execz .LBB147_107
.LBB147_123:
	s_mul_i32 s2, s28, 0x280
	s_mov_b32 s3, 0
	s_wait_alu 0xfffe
	s_lshl_b64 s[2:3], s[2:3], 3
	s_wait_dscnt 0x3
	s_wait_alu 0xfffe
	v_add_co_u32 v8, vcc_lo, v2, s2
	s_wait_alu 0xfffd
	v_add_co_ci_u32_e64 v9, null, s3, v3, vcc_lo
	s_wait_dscnt 0x2
	global_store_b64 v[8:9], v[6:7], off
	s_or_b32 exec_lo, exec_lo, s0
	s_and_saveexec_b32 s0, s6
	s_cbranch_execz .LBB147_108
.LBB147_124:
	s_mul_i32 s2, s28, 0x300
	s_mov_b32 s3, 0
	s_wait_alu 0xfffe
	s_lshl_b64 s[2:3], s[2:3], 3
	s_wait_dscnt 0x2
	s_wait_alu 0xfffe
	v_add_co_u32 v6, vcc_lo, v2, s2
	s_wait_alu 0xfffd
	v_add_co_ci_u32_e64 v7, null, s3, v3, vcc_lo
	s_wait_dscnt 0x1
	global_store_b64 v[6:7], v[4:5], off
	s_or_b32 exec_lo, exec_lo, s0
	s_and_saveexec_b32 s0, s7
	s_cbranch_execnz .LBB147_109
	s_branch .LBB147_110
	.section	.rodata,"a",@progbits
	.p2align	6, 0x0
	.amdhsa_kernel _ZN2at6native18radixSortKVInPlaceILi2ELin1ELi128ELi8ElljEEvNS_4cuda6detail10TensorInfoIT3_T5_EES6_S6_S6_NS4_IT4_S6_EES6_b
		.amdhsa_group_segment_fixed_size 8448
		.amdhsa_private_segment_fixed_size 0
		.amdhsa_kernarg_size 712
		.amdhsa_user_sgpr_count 2
		.amdhsa_user_sgpr_dispatch_ptr 0
		.amdhsa_user_sgpr_queue_ptr 0
		.amdhsa_user_sgpr_kernarg_segment_ptr 1
		.amdhsa_user_sgpr_dispatch_id 0
		.amdhsa_user_sgpr_private_segment_size 0
		.amdhsa_wavefront_size32 1
		.amdhsa_uses_dynamic_stack 0
		.amdhsa_enable_private_segment 0
		.amdhsa_system_sgpr_workgroup_id_x 1
		.amdhsa_system_sgpr_workgroup_id_y 1
		.amdhsa_system_sgpr_workgroup_id_z 1
		.amdhsa_system_sgpr_workgroup_info 0
		.amdhsa_system_vgpr_workitem_id 2
		.amdhsa_next_free_vgpr 141
		.amdhsa_next_free_sgpr 40
		.amdhsa_reserve_vcc 1
		.amdhsa_float_round_mode_32 0
		.amdhsa_float_round_mode_16_64 0
		.amdhsa_float_denorm_mode_32 3
		.amdhsa_float_denorm_mode_16_64 3
		.amdhsa_fp16_overflow 0
		.amdhsa_workgroup_processor_mode 1
		.amdhsa_memory_ordered 1
		.amdhsa_forward_progress 1
		.amdhsa_inst_pref_size 116
		.amdhsa_round_robin_scheduling 0
		.amdhsa_exception_fp_ieee_invalid_op 0
		.amdhsa_exception_fp_denorm_src 0
		.amdhsa_exception_fp_ieee_div_zero 0
		.amdhsa_exception_fp_ieee_overflow 0
		.amdhsa_exception_fp_ieee_underflow 0
		.amdhsa_exception_fp_ieee_inexact 0
		.amdhsa_exception_int_div_zero 0
	.end_amdhsa_kernel
	.section	.text._ZN2at6native18radixSortKVInPlaceILi2ELin1ELi128ELi8ElljEEvNS_4cuda6detail10TensorInfoIT3_T5_EES6_S6_S6_NS4_IT4_S6_EES6_b,"axG",@progbits,_ZN2at6native18radixSortKVInPlaceILi2ELin1ELi128ELi8ElljEEvNS_4cuda6detail10TensorInfoIT3_T5_EES6_S6_S6_NS4_IT4_S6_EES6_b,comdat
.Lfunc_end147:
	.size	_ZN2at6native18radixSortKVInPlaceILi2ELin1ELi128ELi8ElljEEvNS_4cuda6detail10TensorInfoIT3_T5_EES6_S6_S6_NS4_IT4_S6_EES6_b, .Lfunc_end147-_ZN2at6native18radixSortKVInPlaceILi2ELin1ELi128ELi8ElljEEvNS_4cuda6detail10TensorInfoIT3_T5_EES6_S6_S6_NS4_IT4_S6_EES6_b
                                        ; -- End function
	.set _ZN2at6native18radixSortKVInPlaceILi2ELin1ELi128ELi8ElljEEvNS_4cuda6detail10TensorInfoIT3_T5_EES6_S6_S6_NS4_IT4_S6_EES6_b.num_vgpr, 141
	.set _ZN2at6native18radixSortKVInPlaceILi2ELin1ELi128ELi8ElljEEvNS_4cuda6detail10TensorInfoIT3_T5_EES6_S6_S6_NS4_IT4_S6_EES6_b.num_agpr, 0
	.set _ZN2at6native18radixSortKVInPlaceILi2ELin1ELi128ELi8ElljEEvNS_4cuda6detail10TensorInfoIT3_T5_EES6_S6_S6_NS4_IT4_S6_EES6_b.numbered_sgpr, 40
	.set _ZN2at6native18radixSortKVInPlaceILi2ELin1ELi128ELi8ElljEEvNS_4cuda6detail10TensorInfoIT3_T5_EES6_S6_S6_NS4_IT4_S6_EES6_b.num_named_barrier, 0
	.set _ZN2at6native18radixSortKVInPlaceILi2ELin1ELi128ELi8ElljEEvNS_4cuda6detail10TensorInfoIT3_T5_EES6_S6_S6_NS4_IT4_S6_EES6_b.private_seg_size, 0
	.set _ZN2at6native18radixSortKVInPlaceILi2ELin1ELi128ELi8ElljEEvNS_4cuda6detail10TensorInfoIT3_T5_EES6_S6_S6_NS4_IT4_S6_EES6_b.uses_vcc, 1
	.set _ZN2at6native18radixSortKVInPlaceILi2ELin1ELi128ELi8ElljEEvNS_4cuda6detail10TensorInfoIT3_T5_EES6_S6_S6_NS4_IT4_S6_EES6_b.uses_flat_scratch, 0
	.set _ZN2at6native18radixSortKVInPlaceILi2ELin1ELi128ELi8ElljEEvNS_4cuda6detail10TensorInfoIT3_T5_EES6_S6_S6_NS4_IT4_S6_EES6_b.has_dyn_sized_stack, 0
	.set _ZN2at6native18radixSortKVInPlaceILi2ELin1ELi128ELi8ElljEEvNS_4cuda6detail10TensorInfoIT3_T5_EES6_S6_S6_NS4_IT4_S6_EES6_b.has_recursion, 0
	.set _ZN2at6native18radixSortKVInPlaceILi2ELin1ELi128ELi8ElljEEvNS_4cuda6detail10TensorInfoIT3_T5_EES6_S6_S6_NS4_IT4_S6_EES6_b.has_indirect_call, 0
	.section	.AMDGPU.csdata,"",@progbits
; Kernel info:
; codeLenInByte = 14724
; TotalNumSgprs: 42
; NumVgprs: 141
; ScratchSize: 0
; MemoryBound: 0
; FloatMode: 240
; IeeeMode: 1
; LDSByteSize: 8448 bytes/workgroup (compile time only)
; SGPRBlocks: 0
; VGPRBlocks: 17
; NumSGPRsForWavesPerEU: 42
; NumVGPRsForWavesPerEU: 141
; Occupancy: 10
; WaveLimiterHint : 1
; COMPUTE_PGM_RSRC2:SCRATCH_EN: 0
; COMPUTE_PGM_RSRC2:USER_SGPR: 2
; COMPUTE_PGM_RSRC2:TRAP_HANDLER: 0
; COMPUTE_PGM_RSRC2:TGID_X_EN: 1
; COMPUTE_PGM_RSRC2:TGID_Y_EN: 1
; COMPUTE_PGM_RSRC2:TGID_Z_EN: 1
; COMPUTE_PGM_RSRC2:TIDIG_COMP_CNT: 2
	.section	.text._ZN2at6native18radixSortKVInPlaceILi2ELin1ELi32ELi4ElljEEvNS_4cuda6detail10TensorInfoIT3_T5_EES6_S6_S6_NS4_IT4_S6_EES6_b,"axG",@progbits,_ZN2at6native18radixSortKVInPlaceILi2ELin1ELi32ELi4ElljEEvNS_4cuda6detail10TensorInfoIT3_T5_EES6_S6_S6_NS4_IT4_S6_EES6_b,comdat
	.protected	_ZN2at6native18radixSortKVInPlaceILi2ELin1ELi32ELi4ElljEEvNS_4cuda6detail10TensorInfoIT3_T5_EES6_S6_S6_NS4_IT4_S6_EES6_b ; -- Begin function _ZN2at6native18radixSortKVInPlaceILi2ELin1ELi32ELi4ElljEEvNS_4cuda6detail10TensorInfoIT3_T5_EES6_S6_S6_NS4_IT4_S6_EES6_b
	.globl	_ZN2at6native18radixSortKVInPlaceILi2ELin1ELi32ELi4ElljEEvNS_4cuda6detail10TensorInfoIT3_T5_EES6_S6_S6_NS4_IT4_S6_EES6_b
	.p2align	8
	.type	_ZN2at6native18radixSortKVInPlaceILi2ELin1ELi32ELi4ElljEEvNS_4cuda6detail10TensorInfoIT3_T5_EES6_S6_S6_NS4_IT4_S6_EES6_b,@function
_ZN2at6native18radixSortKVInPlaceILi2ELin1ELi32ELi4ElljEEvNS_4cuda6detail10TensorInfoIT3_T5_EES6_S6_S6_NS4_IT4_S6_EES6_b: ; @_ZN2at6native18radixSortKVInPlaceILi2ELin1ELi32ELi4ElljEEvNS_4cuda6detail10TensorInfoIT3_T5_EES6_S6_S6_NS4_IT4_S6_EES6_b
; %bb.0:
	s_clause 0x1
	s_load_b64 s[2:3], s[0:1], 0x1c8
	s_load_b96 s[12:14], s[0:1], 0xd8
	s_lshr_b32 s4, ttmp7, 16
	s_wait_kmcnt 0x0
	s_mul_i32 s3, s3, s4
	s_and_b32 s4, ttmp7, 0xffff
	s_delay_alu instid0(SALU_CYCLE_1) | instskip(NEXT) | instid1(SALU_CYCLE_1)
	s_add_co_i32 s3, s3, s4
	s_mul_i32 s2, s3, s2
	s_delay_alu instid0(SALU_CYCLE_1) | instskip(NEXT) | instid1(SALU_CYCLE_1)
	s_add_co_i32 s2, s2, ttmp9
	s_cmp_ge_u32 s2, s12
	s_cbranch_scc1 .LBB148_62
; %bb.1:
	s_clause 0x2
	s_load_b32 s10, s[0:1], 0xc
	s_load_b64 s[4:5], s[0:1], 0x6c
	s_load_b32 s8, s[0:1], 0x1b8
	s_add_nc_u64 s[24:25], s[0:1], 0xe8
	s_mov_b32 s12, s2
	s_wait_kmcnt 0x0
	s_cvt_f32_u32 s3, s10
	s_delay_alu instid0(SALU_CYCLE_3) | instskip(NEXT) | instid1(TRANS32_DEP_1)
	v_rcp_iflag_f32_e32 v1, s3
	v_readfirstlane_b32 s3, v1
	s_mul_f32 s3, s3, 0x4f7ffffe
	s_wait_alu 0xfffe
	s_delay_alu instid0(SALU_CYCLE_2) | instskip(SKIP_2) | instid1(SALU_CYCLE_1)
	s_cvt_u32_f32 s6, s3
	s_sub_co_i32 s3, 0, s10
	s_wait_alu 0xfffe
	s_mul_i32 s7, s3, s6
	s_mov_b32 s3, 0
	s_mul_hi_u32 s9, s6, s7
	s_wait_alu 0xfffe
	s_mov_b32 s7, s3
	s_add_co_i32 s6, s6, s9
	s_cmp_lt_i32 s8, 2
	s_mov_b32 s23, s3
	s_cbranch_scc1 .LBB148_4
; %bb.2:
	s_add_co_i32 s22, s8, -1
	s_mov_b32 s23, 0
	s_add_co_i32 s11, s8, 1
	s_lshl_b64 s[16:17], s[22:23], 2
	s_mov_b32 s12, s2
	s_add_nc_u64 s[16:17], s[24:25], s[16:17]
	s_delay_alu instid0(SALU_CYCLE_1)
	s_add_nc_u64 s[8:9], s[16:17], 8
.LBB148_3:                              ; =>This Inner Loop Header: Depth=1
	s_clause 0x1
	s_load_b32 s15, s[8:9], 0x0
	s_load_b32 s16, s[8:9], 0x64
	s_mov_b32 s19, s12
	s_add_nc_u64 s[8:9], s[8:9], -4
	s_wait_kmcnt 0x0
	s_cvt_f32_u32 s17, s15
	s_sub_co_i32 s18, 0, s15
	s_wait_alu 0xfffe
	s_delay_alu instid0(SALU_CYCLE_1) | instskip(NEXT) | instid1(TRANS32_DEP_1)
	v_rcp_iflag_f32_e32 v1, s17
	v_readfirstlane_b32 s17, v1
	s_mul_f32 s17, s17, 0x4f7ffffe
	s_wait_alu 0xfffe
	s_delay_alu instid0(SALU_CYCLE_2) | instskip(SKIP_1) | instid1(SALU_CYCLE_2)
	s_cvt_u32_f32 s17, s17
	s_wait_alu 0xfffe
	s_mul_i32 s18, s18, s17
	s_delay_alu instid0(SALU_CYCLE_1) | instskip(NEXT) | instid1(SALU_CYCLE_1)
	s_mul_hi_u32 s18, s17, s18
	s_add_co_i32 s17, s17, s18
	s_wait_alu 0xfffe
	s_mul_hi_u32 s12, s12, s17
	s_delay_alu instid0(SALU_CYCLE_1)
	s_mul_i32 s17, s12, s15
	s_add_co_i32 s18, s12, 1
	s_wait_alu 0xfffe
	s_sub_co_i32 s17, s19, s17
	s_wait_alu 0xfffe
	s_sub_co_i32 s20, s17, s15
	s_cmp_ge_u32 s17, s15
	s_cselect_b32 s12, s18, s12
	s_cselect_b32 s17, s20, s17
	s_add_co_i32 s18, s12, 1
	s_wait_alu 0xfffe
	s_cmp_ge_u32 s17, s15
	s_cselect_b32 s12, s18, s12
	s_add_co_i32 s11, s11, -1
	s_mul_i32 s15, s12, s15
	s_delay_alu instid0(SALU_CYCLE_1) | instskip(NEXT) | instid1(SALU_CYCLE_1)
	s_sub_co_i32 s15, s19, s15
	s_mul_i32 s15, s16, s15
	s_delay_alu instid0(SALU_CYCLE_1)
	s_add_co_i32 s23, s15, s23
	s_cmp_gt_u32 s11, 2
	s_cbranch_scc1 .LBB148_3
.LBB148_4:
	s_mul_u64 s[6:7], s[2:3], s[6:7]
	s_clause 0x1
	s_load_b64 s[18:19], s[0:1], 0x0
	s_load_b64 s[16:17], s[0:1], 0x1c0
	s_mul_i32 s3, s7, s10
	s_add_nc_u64 s[20:21], s[0:1], 0x1c8
	s_wait_alu 0xfffe
	s_sub_co_i32 s0, s2, s3
	s_add_co_i32 s1, s7, 1
	s_sub_co_i32 s3, s0, s10
	s_cmp_ge_u32 s0, s10
	s_cselect_b32 s1, s1, s7
	s_wait_alu 0xfffe
	s_cselect_b32 s0, s3, s0
	s_add_co_i32 s3, s1, 1
	s_cmp_ge_u32 s0, s10
	s_wait_alu 0xfffe
	s_cselect_b32 s0, s3, s1
	s_mov_b32 s1, 0
	s_mul_i32 s3, s0, s10
	s_mul_i32 s0, s0, s4
	s_wait_alu 0xfffe
	s_sub_co_i32 s2, s2, s3
	s_wait_alu 0xfffe
	s_mul_i32 s2, s2, s5
	s_brev_b32 s5, 1
	s_wait_alu 0xfffe
	s_add_co_i32 s0, s0, s2
	s_wait_kmcnt 0x0
	s_bitcmp1_b32 s17, 0
	s_cselect_b32 s15, -1, 0
	s_lshl_b64 s[2:3], s[0:1], 3
	s_and_b32 s0, s15, exec_lo
	s_cselect_b32 s4, 0, -1
	s_cselect_b32 s5, s5, 0x7fffffff
	s_mov_b32 s6, s4
	s_mov_b32 s7, s5
	;; [unrolled: 1-line block ×6, first 2 shown]
	v_and_b32_e32 v37, 0x3ff, v0
	v_dual_mov_b32 v1, s4 :: v_dual_mov_b32 v4, s7
	v_dual_mov_b32 v2, s5 :: v_dual_mov_b32 v7, s10
	v_mov_b32_e32 v10, s5
	s_delay_alu instid0(VALU_DEP_4)
	v_mul_lo_u32 v33, s14, v37
	v_cmp_gt_u32_e64 s0, s13, v37
	v_dual_mov_b32 v3, s6 :: v_dual_mov_b32 v6, s9
	v_dual_mov_b32 v5, s8 :: v_dual_mov_b32 v8, s11
	v_mov_b32_e32 v9, s4
	s_wait_alu 0xfffe
	s_add_nc_u64 s[18:19], s[18:19], s[2:3]
	s_and_saveexec_b32 s1, s0
	s_cbranch_execz .LBB148_6
; %bb.5:
	v_mov_b32_e32 v34, 0
	s_delay_alu instid0(VALU_DEP_1) | instskip(NEXT) | instid1(VALU_DEP_1)
	v_lshlrev_b64_e32 v[1:2], 3, v[33:34]
	v_add_co_u32 v1, vcc_lo, s18, v1
	s_delay_alu instid0(VALU_DEP_1)
	v_add_co_ci_u32_e64 v2, null, s19, v2, vcc_lo
	global_load_b64 v[9:10], v[1:2], off
	v_dual_mov_b32 v1, s4 :: v_dual_mov_b32 v2, s5
	v_dual_mov_b32 v3, s6 :: v_dual_mov_b32 v4, s7
	;; [unrolled: 1-line block ×4, first 2 shown]
.LBB148_6:
	s_or_b32 exec_lo, exec_lo, s1
	v_add_nc_u32_e32 v17, 32, v37
	s_delay_alu instid0(VALU_DEP_1)
	v_cmp_gt_u32_e64 s1, s13, v17
	s_and_saveexec_b32 s2, s1
	s_cbranch_execz .LBB148_8
; %bb.7:
	v_mul_lo_u32 v1, s14, v17
	v_mov_b32_e32 v2, 0
	s_delay_alu instid0(VALU_DEP_1) | instskip(NEXT) | instid1(VALU_DEP_1)
	v_lshlrev_b64_e32 v[1:2], 3, v[1:2]
	v_add_co_u32 v1, vcc_lo, s18, v1
	s_wait_alu 0xfffd
	s_delay_alu instid0(VALU_DEP_2)
	v_add_co_ci_u32_e64 v2, null, s19, v2, vcc_lo
	global_load_b64 v[3:4], v[1:2], off
.LBB148_8:
	s_wait_alu 0xfffe
	s_or_b32 exec_lo, exec_lo, s2
	v_add_nc_u32_e32 v18, 64, v37
	s_delay_alu instid0(VALU_DEP_1)
	v_cmp_gt_u32_e64 s2, s13, v18
	s_and_saveexec_b32 s3, s2
	s_cbranch_execz .LBB148_10
; %bb.9:
	v_mul_lo_u32 v1, s14, v18
	v_mov_b32_e32 v2, 0
	s_delay_alu instid0(VALU_DEP_1) | instskip(NEXT) | instid1(VALU_DEP_1)
	v_lshlrev_b64_e32 v[1:2], 3, v[1:2]
	v_add_co_u32 v1, vcc_lo, s18, v1
	s_wait_alu 0xfffd
	s_delay_alu instid0(VALU_DEP_2)
	v_add_co_ci_u32_e64 v2, null, s19, v2, vcc_lo
	global_load_b64 v[5:6], v[1:2], off
.LBB148_10:
	s_wait_alu 0xfffe
	s_or_b32 exec_lo, exec_lo, s3
	s_clause 0x1
	s_load_b32 s6, s[24:25], 0x6c
	s_load_b64 s[4:5], s[24:25], 0x0
	v_add_nc_u32_e32 v19, 0x60, v37
	s_delay_alu instid0(VALU_DEP_1)
	v_cmp_gt_u32_e64 s3, s13, v19
	s_and_saveexec_b32 s7, s3
	s_cbranch_execz .LBB148_12
; %bb.11:
	v_mul_lo_u32 v1, s14, v19
	v_mov_b32_e32 v2, 0
	s_delay_alu instid0(VALU_DEP_1) | instskip(NEXT) | instid1(VALU_DEP_1)
	v_lshlrev_b64_e32 v[1:2], 3, v[1:2]
	v_add_co_u32 v1, vcc_lo, s18, v1
	s_wait_alu 0xfffd
	s_delay_alu instid0(VALU_DEP_2)
	v_add_co_ci_u32_e64 v2, null, s19, v2, vcc_lo
	global_load_b64 v[7:8], v[1:2], off
.LBB148_12:
	s_wait_alu 0xfffe
	s_or_b32 exec_lo, exec_lo, s7
	v_lshrrev_b32_e32 v1, 2, v37
	v_lshrrev_b32_e32 v2, 2, v17
	v_lshlrev_b32_e32 v11, 3, v37
	v_lshrrev_b32_e32 v12, 2, v18
	v_lshrrev_b32_e32 v13, 2, v19
	v_and_b32_e32 v1, 0xf8, v1
	v_and_b32_e32 v2, 0x1f8, v2
	s_wait_kmcnt 0x0
	s_mul_i32 s6, s6, s12
	v_and_b32_e32 v12, 0x1f8, v12
	v_and_b32_e32 v13, 0x1f8, v13
	v_add_nc_u32_e32 v56, v1, v11
	v_and_b32_e32 v1, 0x3f8, v37
	v_add_nc_u32_e32 v57, v2, v11
	v_mul_lo_u32 v35, s16, v37
	s_wait_alu 0xfffe
	s_add_co_i32 s6, s6, s23
	s_wait_loadcnt 0x0
	ds_store_b64 v56, v[9:10]
	ds_store_b64 v57, v[3:4] offset:256
	v_lshl_add_u32 v60, v37, 5, v1
	v_mov_b32_e32 v1, 0
	v_mov_b32_e32 v2, 0
	v_add_nc_u32_e32 v58, v12, v11
	v_add_nc_u32_e32 v59, v13, v11
	ds_store_b64 v58, v[5:6] offset:512
	ds_store_b64 v59, v[7:8] offset:768
	s_wait_dscnt 0x0
	; wave barrier
	global_inv scope:SCOPE_SE
	ds_load_2addr_b64 v[13:16], v60 offset1:1
	ds_load_2addr_b64 v[9:12], v60 offset0:2 offset1:3
	s_mov_b32 s7, 0
	v_mov_b32_e32 v3, 0
	v_mov_b32_e32 v4, 0
	s_wait_alu 0xfffe
	s_lshl_b64 s[6:7], s[6:7], 3
	s_wait_loadcnt_dscnt 0x0
	s_wait_alu 0xfffe
	s_add_nc_u64 s[12:13], s[4:5], s[6:7]
	; wave barrier
	global_inv scope:SCOPE_SE
	s_and_saveexec_b32 s4, s0
	s_cbranch_execz .LBB148_14
; %bb.13:
	v_mov_b32_e32 v36, 0
	s_delay_alu instid0(VALU_DEP_1) | instskip(SKIP_1) | instid1(VALU_DEP_1)
	v_lshlrev_b64_e32 v[3:4], 3, v[35:36]
	s_wait_alu 0xfffe
	v_add_co_u32 v3, vcc_lo, s12, v3
	s_wait_alu 0xfffd
	s_delay_alu instid0(VALU_DEP_2)
	v_add_co_ci_u32_e64 v4, null, s13, v4, vcc_lo
	global_load_b64 v[3:4], v[3:4], off
.LBB148_14:
	s_wait_alu 0xfffe
	s_or_b32 exec_lo, exec_lo, s4
	s_and_saveexec_b32 s4, s1
	s_cbranch_execz .LBB148_16
; %bb.15:
	v_mul_lo_u32 v1, s16, v17
	v_mov_b32_e32 v2, 0
	s_delay_alu instid0(VALU_DEP_1) | instskip(NEXT) | instid1(VALU_DEP_1)
	v_lshlrev_b64_e32 v[1:2], 3, v[1:2]
	v_add_co_u32 v1, vcc_lo, s12, v1
	s_wait_alu 0xfffd
	s_delay_alu instid0(VALU_DEP_2)
	v_add_co_ci_u32_e64 v2, null, s13, v2, vcc_lo
	global_load_b64 v[1:2], v[1:2], off
.LBB148_16:
	s_wait_alu 0xfffe
	s_or_b32 exec_lo, exec_lo, s4
	v_mov_b32_e32 v5, 0
	v_dual_mov_b32 v6, 0 :: v_dual_mov_b32 v7, 0
	v_mov_b32_e32 v8, 0
	s_and_saveexec_b32 s4, s2
	s_cbranch_execz .LBB148_18
; %bb.17:
	v_mul_lo_u32 v7, s16, v18
	v_mov_b32_e32 v8, 0
	s_delay_alu instid0(VALU_DEP_1) | instskip(NEXT) | instid1(VALU_DEP_1)
	v_lshlrev_b64_e32 v[7:8], 3, v[7:8]
	v_add_co_u32 v7, vcc_lo, s12, v7
	s_wait_alu 0xfffd
	s_delay_alu instid0(VALU_DEP_2)
	v_add_co_ci_u32_e64 v8, null, s13, v8, vcc_lo
	global_load_b64 v[7:8], v[7:8], off
.LBB148_18:
	s_wait_alu 0xfffe
	s_or_b32 exec_lo, exec_lo, s4
	s_xor_b32 s4, s15, -1
	s_and_saveexec_b32 s5, s3
	s_cbranch_execz .LBB148_20
; %bb.19:
	v_mul_lo_u32 v5, s16, v19
	v_mov_b32_e32 v6, 0
	s_delay_alu instid0(VALU_DEP_1) | instskip(NEXT) | instid1(VALU_DEP_1)
	v_lshlrev_b64_e32 v[5:6], 3, v[5:6]
	v_add_co_u32 v5, vcc_lo, s12, v5
	s_wait_alu 0xfffd
	s_delay_alu instid0(VALU_DEP_2)
	v_add_co_ci_u32_e64 v6, null, s13, v6, vcc_lo
	global_load_b64 v[5:6], v[5:6], off
.LBB148_20:
	s_wait_alu 0xfffe
	s_or_b32 exec_lo, exec_lo, s5
	s_wait_loadcnt 0x0
	ds_store_b64 v56, v[3:4]
	ds_store_b64 v57, v[1:2] offset:256
	ds_store_b64 v58, v[7:8] offset:512
	;; [unrolled: 1-line block ×3, first 2 shown]
	s_wait_dscnt 0x0
	; wave barrier
	global_inv scope:SCOPE_SE
	ds_load_2addr_b64 v[5:8], v60 offset1:1
	ds_load_2addr_b64 v[1:4], v60 offset0:2 offset1:3
	v_lshlrev_b32_e32 v34, 2, v37
	s_and_b32 vcc_lo, exec_lo, s4
	v_bfe_u32 v62, v0, 10, 10
	v_bfe_u32 v63, v0, 20, 10
	v_mbcnt_lo_u32_b32 v36, -1, 0
	v_lshlrev_b32_e32 v61, 5, v37
	v_cmp_eq_u32_e64 s4, 31, v37
	v_cmp_eq_u32_e64 s10, 0, v37
	; wave barrier
	s_wait_loadcnt_dscnt 0x0
	global_inv scope:SCOPE_SE
	s_wait_alu 0xfffe
	s_cbranch_vccz .LBB148_35
; %bb.21:
	v_and_b32_e32 v21, 3, v36
	v_xor_b32_e32 v17, 0x80000000, v14
	v_xor_b32_e32 v19, 0x80000000, v16
	;; [unrolled: 1-line block ×4, first 2 shown]
	v_cmp_eq_u32_e32 vcc_lo, 0, v21
	v_and_b32_e32 v0, 28, v36
	s_wait_loadcnt 0x0
	; wave barrier
	global_inv scope:SCOPE_SE
	s_load_b32 s15, s[20:21], 0xc
	s_getpc_b64 s[8:9]
	s_wait_alu 0xfffe
	s_sext_i32_i16 s9, s9
	s_add_co_u32 s8, s8, _ZN7rocprim17ROCPRIM_400000_NS16block_radix_sortIlLj32ELj4ElLj1ELj1ELj0ELNS0_26block_radix_rank_algorithmE1ELNS0_18block_padding_hintE2ELNS0_4arch9wavefront6targetE0EE19radix_bits_per_passE@rel32@lo+12
	s_wait_alu 0xfffe
	s_add_co_ci_u32 s9, s9, _ZN7rocprim17ROCPRIM_400000_NS16block_radix_sortIlLj32ELj4ElLj1ELj1ELj0ELNS0_26block_radix_rank_algorithmE1ELNS0_18block_padding_hintE2ELNS0_4arch9wavefront6targetE0EE19radix_bits_per_passE@rel32@hi+24
	ds_bpermute_b32 v31, v0, v17 offset:32
	s_load_b32 s11, s[8:9], 0x0
	s_mov_b32 s17, 64
	s_wait_dscnt 0x0
	v_dual_mov_b32 v66, 0 :: v_dual_cndmask_b32 v31, 0, v31
	ds_bpermute_b32 v18, v0, v13
	ds_bpermute_b32 v20, v0, v17
	;; [unrolled: 1-line block ×5, first 2 shown]
	ds_bpermute_b32 v38, v0, v19 offset:32
	ds_bpermute_b32 v27, v0, v23
	ds_bpermute_b32 v29, v0, v11
	ds_bpermute_b32 v40, v0, v23 offset:32
	ds_bpermute_b32 v30, v0, v24
	ds_bpermute_b32 v43, v0, v13 offset:64
	ds_bpermute_b32 v28, v0, v13 offset:32
	;; [unrolled: 1-line block ×10, first 2 shown]
	s_wait_dscnt 0x13
	v_cndmask_b32_e32 v18, 0, v18, vcc_lo
	v_cmp_eq_u32_e64 s5, 1, v21
	v_cmp_eq_u32_e64 s6, 2, v21
	;; [unrolled: 1-line block ×3, first 2 shown]
	ds_bpermute_b32 v21, v0, v17 offset:96
	s_wait_dscnt 0x13
	v_cndmask_b32_e32 v20, 0, v20, vcc_lo
	s_wait_dscnt 0x12
	s_wait_alu 0xf1ff
	v_cndmask_b32_e64 v18, v18, v25, s5
	s_wait_dscnt 0xf
	v_cndmask_b32_e64 v17, v31, v38, s5
	ds_bpermute_b32 v31, v0, v19 offset:96
	ds_bpermute_b32 v25, v0, v23 offset:64
	;; [unrolled: 1-line block ×3, first 2 shown]
	v_cndmask_b32_e64 v26, v18, v26, s6
	s_wait_dscnt 0xf
	v_cndmask_b32_e64 v19, v17, v40, s6
	ds_bpermute_b32 v38, v0, v8
	ds_bpermute_b32 v40, v0, v5 offset:32
	ds_bpermute_b32 v24, v0, v24 offset:96
	v_cndmask_b32_e64 v17, v26, v29, s7
	ds_bpermute_b32 v29, v0, v6
	s_wait_dscnt 0x10
	v_cndmask_b32_e32 v28, 0, v28, vcc_lo
	ds_bpermute_b32 v48, v0, v8 offset:32
	ds_bpermute_b32 v50, v0, v1 offset:96
	;; [unrolled: 1-line block ×4, first 2 shown]
	s_wait_dscnt 0xb
	v_cndmask_b32_e32 v21, 0, v21, vcc_lo
	v_cndmask_b32_e64 v20, v20, v22, s5
	ds_bpermute_b32 v22, v0, v15 offset:64
	s_wait_dscnt 0xb
	v_cndmask_b32_e64 v31, v21, v31, s5
	v_cndmask_b32_e64 v20, v20, v27, s6
	ds_bpermute_b32 v27, v0, v11 offset:32
	s_wait_dscnt 0xa
	v_cndmask_b32_e64 v23, v31, v23, s6
	v_cndmask_b32_e64 v18, v20, v30, s7
	v_cndmask_b32_e32 v30, 0, v43, vcc_lo
	ds_bpermute_b32 v43, v0, v6 offset:32
	v_cndmask_b32_e32 v20, 0, v41, vcc_lo
	s_wait_dscnt 0x7
	v_cndmask_b32_e32 v29, 0, v29, vcc_lo
	v_cndmask_b32_e64 v28, v28, v32, s5
	ds_bpermute_b32 v41, v0, v2
	ds_bpermute_b32 v32, v0, v9 offset:96
	v_cndmask_b32_e64 v24, v23, v24, s7
	v_cndmask_b32_e64 v28, v28, v39, s6
	s_wait_dscnt 0x4
	v_cndmask_b32_e64 v22, v30, v22, s5
	ds_bpermute_b32 v30, v0, v5
	ds_bpermute_b32 v39, v0, v7
	v_cndmask_b32_e64 v26, v22, v45, s6
	ds_bpermute_b32 v45, v0, v7 offset:32
	s_wait_dscnt 0x5
	v_cndmask_b32_e32 v31, 0, v43, vcc_lo
	v_cndmask_b32_e64 v20, v20, v44, s5
	ds_bpermute_b32 v44, v0, v11 offset:96
	ds_bpermute_b32 v43, v0, v8 offset:96
	v_cndmask_b32_e64 v25, v20, v25, s6
	v_cndmask_b32_e64 v20, v19, v42, s7
	;; [unrolled: 1-line block ×3, first 2 shown]
	ds_bpermute_b32 v27, v0, v11 offset:64
	ds_bpermute_b32 v42, v0, v1
	v_cndmask_b32_e64 v22, v25, v46, s7
	ds_bpermute_b32 v25, v0, v15 offset:96
	s_wait_dscnt 0x7
	v_cndmask_b32_e32 v30, 0, v30, vcc_lo
	ds_bpermute_b32 v46, v0, v4
	s_wait_dscnt 0x3
	v_cndmask_b32_e64 v21, v26, v27, s7
	v_cndmask_b32_e64 v26, v29, v38, s5
	v_cndmask_b32_e64 v27, v30, v39, s5
	v_cndmask_b32_e32 v30, 0, v40, vcc_lo
	ds_bpermute_b32 v29, v0, v6 offset:64
	ds_bpermute_b32 v39, v0, v6 offset:96
	v_cndmask_b32_e64 v26, v26, v41, s6
	ds_bpermute_b32 v41, v0, v5 offset:96
	v_cndmask_b32_e32 v28, 0, v47, vcc_lo
	ds_bpermute_b32 v47, v0, v3
	s_wait_dscnt 0x6
	v_cndmask_b32_e64 v27, v27, v42, s6
	v_cndmask_b32_e64 v30, v30, v45, s5
	ds_bpermute_b32 v38, v0, v4 offset:32
	s_wait_dscnt 0x6
	v_cndmask_b32_e64 v25, v28, v25, s5
	ds_bpermute_b32 v28, v0, v1 offset:32
	ds_bpermute_b32 v40, v0, v8 offset:64
	ds_bpermute_b32 v42, v0, v7 offset:64
	ds_bpermute_b32 v45, v0, v7 offset:96
	v_cndmask_b32_e64 v25, v25, v32, s6
	s_wait_dscnt 0x9
	v_cndmask_b32_e64 v26, v26, v46, s7
	ds_bpermute_b32 v32, v0, v3 offset:32
	ds_bpermute_b32 v46, v0, v1 offset:64
	v_cndmask_b32_e64 v23, v25, v44, s7
	ds_bpermute_b32 v44, v0, v2 offset:64
	s_wait_dscnt 0xb
	v_cndmask_b32_e32 v29, 0, v29, vcc_lo
	s_wait_dscnt 0x8
	v_cndmask_b32_e64 v25, v27, v47, s7
	v_cndmask_b32_e64 v27, v31, v48, s5
	ds_bpermute_b32 v31, v0, v2 offset:32
	ds_bpermute_b32 v48, v0, v2 offset:96
	;; [unrolled: 1-line block ×3, first 2 shown]
	s_wait_dscnt 0x9
	v_cndmask_b32_e64 v30, v30, v28, s6
	ds_bpermute_b32 v28, v0, v5 offset:64
	ds_bpermute_b32 v0, v0, v3 offset:96
	s_wait_dscnt 0xa
	v_cndmask_b32_e64 v29, v29, v40, s5
	s_wait_dscnt 0x5
	s_delay_alu instid0(VALU_DEP_1)
	v_cndmask_b32_e64 v29, v29, v44, s6
	s_wait_dscnt 0x4
	v_cndmask_b32_e64 v27, v27, v31, s6
	v_cndmask_b32_e32 v31, 0, v39, vcc_lo
	v_cndmask_b32_e32 v39, 0, v41, vcc_lo
	v_and_or_b32 v41, 0xf80, v34, v36
	s_wait_dscnt 0x1
	v_cndmask_b32_e32 v28, 0, v28, vcc_lo
	v_cndmask_b32_e64 v31, v31, v43, s5
	s_delay_alu instid0(VALU_DEP_3) | instskip(NEXT) | instid1(VALU_DEP_3)
	v_lshlrev_b32_e32 v64, 3, v41
	v_cndmask_b32_e64 v40, v28, v42, s5
	v_cndmask_b32_e64 v28, v27, v38, s7
	;; [unrolled: 1-line block ×4, first 2 shown]
	s_wait_kmcnt 0x0
	s_lshr_b32 s5, s15, 16
	v_cndmask_b32_e64 v39, v40, v46, s6
	v_cndmask_b32_e64 v27, v30, v32, s7
	;; [unrolled: 1-line block ×6, first 2 shown]
	v_and_b32_e32 v40, 15, v36
	s_wait_dscnt 0x0
	v_cndmask_b32_e64 v31, v38, v0, s7
	s_wait_alu 0xfffe
	v_mad_u32_u24 v0, v63, s5, v62
	s_and_b32 s5, s15, 0xffff
	v_cmp_lt_u32_e64 s6, 1, v40
	v_cmp_lt_u32_e64 s7, 3, v40
	s_wait_alu 0xfffe
	v_mad_co_u64_u32 v[38:39], null, v0, s5, v[37:38]
	v_sub_co_u32 v0, s15, v36, 1
	v_and_b32_e32 v39, 16, v36
	v_cmp_eq_u32_e64 s5, 0, v40
	v_cmp_lt_u32_e64 s8, 7, v40
	s_delay_alu instid0(VALU_DEP_4)
	v_cmp_gt_i32_e32 vcc_lo, 0, v0
	v_lshrrev_b32_e32 v38, 3, v38
	v_cmp_eq_u32_e64 s9, 0, v39
	s_or_b32 s15, s10, s15
	s_wait_alu 0xfffd
	v_dual_cndmask_b32 v0, v0, v36 :: v_dual_and_b32 v65, 0x1ffffffc, v38
	v_mov_b32_e32 v38, 0
	s_delay_alu instid0(VALU_DEP_2)
	v_dual_mov_b32 v39, 0 :: v_dual_lshlrev_b32 v0, 2, v0
	s_branch .LBB148_23
.LBB148_22:                             ;   in Loop: Header=BB148_23 Depth=1
	s_wait_alu 0xfffe
	s_and_not1_b32 vcc_lo, exec_lo, s10
	s_wait_alu 0xfffe
	s_cbranch_vccz .LBB148_36
.LBB148_23:                             ; =>This Inner Loop Header: Depth=1
	v_dual_mov_b32 v41, v18 :: v_dual_mov_b32 v40, v17
	s_min_u32 s10, s11, s17
	ds_store_2addr_b32 v61, v66, v66 offset0:1 offset1:2
	ds_store_2addr_b32 v61, v66, v66 offset0:3 offset1:4
	;; [unrolled: 1-line block ×4, first 2 shown]
	s_wait_alu 0xfffe
	s_lshl_b32 s10, -1, s10
	s_wait_loadcnt_dscnt 0x0
	v_lshrrev_b64 v[17:18], v38, v[40:41]
	s_wait_alu 0xfffe
	s_not_b32 s22, s10
	; wave barrier
	global_inv scope:SCOPE_SE
	; wave barrier
	s_wait_alu 0xfffe
	v_dual_mov_b32 v51, v24 :: v_dual_and_b32 v18, s22, v17
	v_dual_mov_b32 v50, v23 :: v_dual_mov_b32 v53, v22
	v_dual_mov_b32 v55, v20 :: v_dual_mov_b32 v52, v21
	s_delay_alu instid0(VALU_DEP_3)
	v_lshlrev_b32_e32 v43, 29, v18
	v_and_b32_e32 v17, 1, v18
	v_lshlrev_b32_e32 v42, 30, v18
	v_lshlrev_b32_e32 v44, 28, v18
	;; [unrolled: 1-line block ×3, first 2 shown]
	v_dual_mov_b32 v54, v19 :: v_dual_lshlrev_b32 v47, 26, v18
	v_add_co_u32 v17, s10, v17, -1
	s_wait_alu 0xf1ff
	v_cndmask_b32_e64 v45, 0, 1, s10
	v_not_b32_e32 v49, v42
	v_cmp_gt_i32_e64 s10, 0, v42
	v_not_b32_e32 v42, v43
	v_lshlrev_b32_e32 v48, 25, v18
	v_cmp_ne_u32_e32 vcc_lo, 0, v45
	v_ashrrev_i32_e32 v49, 31, v49
	v_lshlrev_b32_e32 v45, 24, v18
	v_ashrrev_i32_e32 v42, 31, v42
	s_wait_alu 0xfffd
	v_xor_b32_e32 v17, vcc_lo, v17
	v_cmp_gt_i32_e32 vcc_lo, 0, v43
	v_not_b32_e32 v43, v44
	s_wait_alu 0xf1ff
	v_xor_b32_e32 v49, s10, v49
	v_cmp_gt_i32_e64 s10, 0, v44
	v_and_b32_e32 v17, exec_lo, v17
	v_not_b32_e32 v44, v46
	v_ashrrev_i32_e32 v43, 31, v43
	s_wait_alu 0xfffd
	v_xor_b32_e32 v42, vcc_lo, v42
	v_cmp_gt_i32_e32 vcc_lo, 0, v46
	v_and_b32_e32 v17, v17, v49
	v_not_b32_e32 v46, v47
	v_ashrrev_i32_e32 v44, 31, v44
	s_wait_alu 0xf1ff
	v_xor_b32_e32 v43, s10, v43
	v_cmp_gt_i32_e64 s10, 0, v47
	v_and_b32_e32 v17, v17, v42
	v_ashrrev_i32_e32 v46, 31, v46
	s_wait_alu 0xfffd
	v_xor_b32_e32 v44, vcc_lo, v44
	s_delay_alu instid0(VALU_DEP_3) | instskip(SKIP_2) | instid1(VALU_DEP_2)
	v_and_b32_e32 v17, v17, v43
	s_wait_alu 0xf1ff
	v_xor_b32_e32 v46, s10, v46
	v_and_b32_e32 v17, v17, v44
	s_delay_alu instid0(VALU_DEP_1)
	v_and_b32_e32 v17, v17, v46
	v_mov_b32_e32 v47, v28
	v_not_b32_e32 v42, v48
	v_cmp_gt_i32_e32 vcc_lo, 0, v48
	v_dual_mov_b32 v49, v26 :: v_dual_mov_b32 v48, v25
	v_not_b32_e32 v43, v45
	s_delay_alu instid0(VALU_DEP_4)
	v_ashrrev_i32_e32 v42, 31, v42
	v_cmp_gt_i32_e64 s10, 0, v45
	v_dual_mov_b32 v46, v27 :: v_dual_mov_b32 v45, v30
	v_mov_b32_e32 v44, v29
	v_ashrrev_i32_e32 v43, 31, v43
	s_wait_alu 0xfffd
	v_xor_b32_e32 v42, vcc_lo, v42
	v_lshl_add_u32 v26, v18, 2, v65
	s_wait_alu 0xf1ff
	v_xor_b32_e32 v43, s10, v43
	s_delay_alu instid0(VALU_DEP_3) | instskip(NEXT) | instid1(VALU_DEP_1)
	v_and_b32_e32 v17, v17, v42
	v_and_b32_e32 v17, v17, v43
	v_dual_mov_b32 v43, v32 :: v_dual_mov_b32 v42, v31
	s_delay_alu instid0(VALU_DEP_2) | instskip(SKIP_1) | instid1(VALU_DEP_2)
	v_mbcnt_lo_u32_b32 v25, v17, 0
	v_cmp_ne_u32_e64 s10, 0, v17
	v_cmp_eq_u32_e32 vcc_lo, 0, v25
	s_and_b32 s23, s10, vcc_lo
	s_wait_alu 0xfffe
	s_and_saveexec_b32 s10, s23
; %bb.24:                               ;   in Loop: Header=BB148_23 Depth=1
	v_bcnt_u32_b32 v17, v17, 0
	ds_store_b32 v26, v17 offset:4
; %bb.25:                               ;   in Loop: Header=BB148_23 Depth=1
	s_wait_alu 0xfffe
	s_or_b32 exec_lo, exec_lo, s10
	v_lshrrev_b64 v[17:18], v38, v[54:55]
	; wave barrier
	s_delay_alu instid0(VALU_DEP_1) | instskip(NEXT) | instid1(VALU_DEP_1)
	v_and_b32_e32 v17, s22, v17
	v_and_b32_e32 v18, 1, v17
	v_lshlrev_b32_e32 v19, 30, v17
	v_lshlrev_b32_e32 v20, 29, v17
	;; [unrolled: 1-line block ×4, first 2 shown]
	v_add_co_u32 v18, s10, v18, -1
	s_wait_alu 0xf1ff
	v_cndmask_b32_e64 v22, 0, 1, s10
	v_not_b32_e32 v28, v19
	v_cmp_gt_i32_e64 s10, 0, v19
	v_not_b32_e32 v19, v20
	v_lshlrev_b32_e32 v24, 26, v17
	v_cmp_ne_u32_e32 vcc_lo, 0, v22
	v_ashrrev_i32_e32 v28, 31, v28
	v_lshlrev_b32_e32 v27, 25, v17
	v_ashrrev_i32_e32 v19, 31, v19
	v_lshlrev_b32_e32 v22, 24, v17
	s_wait_alu 0xfffd
	v_xor_b32_e32 v18, vcc_lo, v18
	v_cmp_gt_i32_e32 vcc_lo, 0, v20
	v_not_b32_e32 v20, v21
	s_wait_alu 0xf1ff
	v_xor_b32_e32 v28, s10, v28
	v_cmp_gt_i32_e64 s10, 0, v21
	v_and_b32_e32 v18, exec_lo, v18
	v_not_b32_e32 v21, v23
	v_ashrrev_i32_e32 v20, 31, v20
	s_wait_alu 0xfffd
	v_xor_b32_e32 v19, vcc_lo, v19
	v_cmp_gt_i32_e32 vcc_lo, 0, v23
	v_and_b32_e32 v18, v18, v28
	v_not_b32_e32 v23, v24
	v_ashrrev_i32_e32 v21, 31, v21
	s_wait_alu 0xf1ff
	v_xor_b32_e32 v20, s10, v20
	v_cmp_gt_i32_e64 s10, 0, v24
	v_and_b32_e32 v18, v18, v19
	v_not_b32_e32 v19, v27
	v_ashrrev_i32_e32 v23, 31, v23
	s_wait_alu 0xfffd
	v_xor_b32_e32 v21, vcc_lo, v21
	v_cmp_gt_i32_e32 vcc_lo, 0, v27
	v_and_b32_e32 v18, v18, v20
	v_not_b32_e32 v20, v22
	v_ashrrev_i32_e32 v19, 31, v19
	s_wait_alu 0xf1ff
	v_xor_b32_e32 v23, s10, v23
	v_cmp_gt_i32_e64 s10, 0, v22
	v_and_b32_e32 v18, v18, v21
	v_ashrrev_i32_e32 v20, 31, v20
	s_wait_alu 0xfffd
	v_xor_b32_e32 v19, vcc_lo, v19
	v_lshl_add_u32 v28, v17, 2, v65
	v_and_b32_e32 v18, v18, v23
	s_wait_alu 0xf1ff
	v_xor_b32_e32 v17, s10, v20
	ds_load_b32 v27, v28 offset:4
	v_and_b32_e32 v18, v18, v19
	; wave barrier
	s_delay_alu instid0(VALU_DEP_1) | instskip(NEXT) | instid1(VALU_DEP_1)
	v_and_b32_e32 v17, v18, v17
	v_mbcnt_lo_u32_b32 v29, v17, 0
	v_cmp_ne_u32_e64 s10, 0, v17
	s_delay_alu instid0(VALU_DEP_2)
	v_cmp_eq_u32_e32 vcc_lo, 0, v29
	s_and_b32 s23, s10, vcc_lo
	s_wait_alu 0xfffe
	s_and_saveexec_b32 s10, s23
	s_cbranch_execz .LBB148_27
; %bb.26:                               ;   in Loop: Header=BB148_23 Depth=1
	s_wait_dscnt 0x0
	v_bcnt_u32_b32 v17, v17, v27
	ds_store_b32 v28, v17 offset:4
.LBB148_27:                             ;   in Loop: Header=BB148_23 Depth=1
	s_wait_alu 0xfffe
	s_or_b32 exec_lo, exec_lo, s10
	v_lshrrev_b64 v[17:18], v38, v[52:53]
	; wave barrier
	s_delay_alu instid0(VALU_DEP_1) | instskip(NEXT) | instid1(VALU_DEP_1)
	v_and_b32_e32 v17, s22, v17
	v_and_b32_e32 v18, 1, v17
	v_lshlrev_b32_e32 v19, 30, v17
	v_lshlrev_b32_e32 v20, 29, v17
	;; [unrolled: 1-line block ×4, first 2 shown]
	v_add_co_u32 v18, s10, v18, -1
	s_wait_alu 0xf1ff
	v_cndmask_b32_e64 v22, 0, 1, s10
	v_not_b32_e32 v31, v19
	v_cmp_gt_i32_e64 s10, 0, v19
	v_not_b32_e32 v19, v20
	v_lshlrev_b32_e32 v24, 26, v17
	v_cmp_ne_u32_e32 vcc_lo, 0, v22
	v_ashrrev_i32_e32 v31, 31, v31
	v_lshlrev_b32_e32 v30, 25, v17
	v_ashrrev_i32_e32 v19, 31, v19
	v_lshlrev_b32_e32 v22, 24, v17
	s_wait_alu 0xfffd
	v_xor_b32_e32 v18, vcc_lo, v18
	v_cmp_gt_i32_e32 vcc_lo, 0, v20
	v_not_b32_e32 v20, v21
	s_wait_alu 0xf1ff
	v_xor_b32_e32 v31, s10, v31
	v_cmp_gt_i32_e64 s10, 0, v21
	v_and_b32_e32 v18, exec_lo, v18
	v_not_b32_e32 v21, v23
	v_ashrrev_i32_e32 v20, 31, v20
	s_wait_alu 0xfffd
	v_xor_b32_e32 v19, vcc_lo, v19
	v_cmp_gt_i32_e32 vcc_lo, 0, v23
	v_and_b32_e32 v18, v18, v31
	v_not_b32_e32 v23, v24
	v_ashrrev_i32_e32 v21, 31, v21
	s_wait_alu 0xf1ff
	v_xor_b32_e32 v20, s10, v20
	v_cmp_gt_i32_e64 s10, 0, v24
	v_and_b32_e32 v18, v18, v19
	v_not_b32_e32 v19, v30
	v_ashrrev_i32_e32 v23, 31, v23
	s_wait_alu 0xfffd
	v_xor_b32_e32 v21, vcc_lo, v21
	v_cmp_gt_i32_e32 vcc_lo, 0, v30
	v_and_b32_e32 v18, v18, v20
	v_not_b32_e32 v20, v22
	v_ashrrev_i32_e32 v19, 31, v19
	s_wait_alu 0xf1ff
	v_xor_b32_e32 v23, s10, v23
	v_cmp_gt_i32_e64 s10, 0, v22
	v_and_b32_e32 v18, v18, v21
	v_ashrrev_i32_e32 v20, 31, v20
	s_wait_alu 0xfffd
	v_xor_b32_e32 v19, vcc_lo, v19
	v_lshl_add_u32 v31, v17, 2, v65
	v_and_b32_e32 v18, v18, v23
	s_wait_alu 0xf1ff
	v_xor_b32_e32 v17, s10, v20
	ds_load_b32 v30, v31 offset:4
	v_and_b32_e32 v18, v18, v19
	; wave barrier
	s_delay_alu instid0(VALU_DEP_1) | instskip(NEXT) | instid1(VALU_DEP_1)
	v_and_b32_e32 v17, v18, v17
	v_mbcnt_lo_u32_b32 v32, v17, 0
	v_cmp_ne_u32_e64 s10, 0, v17
	s_delay_alu instid0(VALU_DEP_2)
	v_cmp_eq_u32_e32 vcc_lo, 0, v32
	s_and_b32 s23, s10, vcc_lo
	s_wait_alu 0xfffe
	s_and_saveexec_b32 s10, s23
	s_cbranch_execz .LBB148_29
; %bb.28:                               ;   in Loop: Header=BB148_23 Depth=1
	s_wait_dscnt 0x0
	v_bcnt_u32_b32 v17, v17, v30
	ds_store_b32 v31, v17 offset:4
.LBB148_29:                             ;   in Loop: Header=BB148_23 Depth=1
	s_wait_alu 0xfffe
	s_or_b32 exec_lo, exec_lo, s10
	v_lshrrev_b64 v[17:18], v38, v[50:51]
	; wave barrier
	s_delay_alu instid0(VALU_DEP_1) | instskip(NEXT) | instid1(VALU_DEP_1)
	v_and_b32_e32 v17, s22, v17
	v_and_b32_e32 v18, 1, v17
	v_lshlrev_b32_e32 v19, 30, v17
	v_lshlrev_b32_e32 v20, 29, v17
	;; [unrolled: 1-line block ×4, first 2 shown]
	v_add_co_u32 v18, s10, v18, -1
	s_wait_alu 0xf1ff
	v_cndmask_b32_e64 v22, 0, 1, s10
	v_not_b32_e32 v68, v19
	v_cmp_gt_i32_e64 s10, 0, v19
	v_not_b32_e32 v19, v20
	v_lshlrev_b32_e32 v24, 26, v17
	v_cmp_ne_u32_e32 vcc_lo, 0, v22
	v_ashrrev_i32_e32 v68, 31, v68
	v_lshlrev_b32_e32 v67, 25, v17
	v_ashrrev_i32_e32 v19, 31, v19
	v_lshlrev_b32_e32 v22, 24, v17
	s_wait_alu 0xfffd
	v_xor_b32_e32 v18, vcc_lo, v18
	v_cmp_gt_i32_e32 vcc_lo, 0, v20
	v_not_b32_e32 v20, v21
	s_wait_alu 0xf1ff
	v_xor_b32_e32 v68, s10, v68
	v_cmp_gt_i32_e64 s10, 0, v21
	v_and_b32_e32 v18, exec_lo, v18
	v_not_b32_e32 v21, v23
	v_ashrrev_i32_e32 v20, 31, v20
	s_wait_alu 0xfffd
	v_xor_b32_e32 v19, vcc_lo, v19
	v_cmp_gt_i32_e32 vcc_lo, 0, v23
	v_and_b32_e32 v18, v18, v68
	v_not_b32_e32 v23, v24
	v_ashrrev_i32_e32 v21, 31, v21
	s_wait_alu 0xf1ff
	v_xor_b32_e32 v20, s10, v20
	v_cmp_gt_i32_e64 s10, 0, v24
	v_and_b32_e32 v18, v18, v19
	v_not_b32_e32 v19, v67
	v_ashrrev_i32_e32 v23, 31, v23
	s_wait_alu 0xfffd
	v_xor_b32_e32 v21, vcc_lo, v21
	v_cmp_gt_i32_e32 vcc_lo, 0, v67
	v_and_b32_e32 v18, v18, v20
	v_not_b32_e32 v20, v22
	v_ashrrev_i32_e32 v19, 31, v19
	s_wait_alu 0xf1ff
	v_xor_b32_e32 v23, s10, v23
	v_cmp_gt_i32_e64 s10, 0, v22
	v_and_b32_e32 v18, v18, v21
	v_ashrrev_i32_e32 v20, 31, v20
	s_wait_alu 0xfffd
	v_xor_b32_e32 v19, vcc_lo, v19
	v_lshl_add_u32 v68, v17, 2, v65
	v_and_b32_e32 v18, v18, v23
	s_wait_alu 0xf1ff
	v_xor_b32_e32 v17, s10, v20
	ds_load_b32 v67, v68 offset:4
	v_and_b32_e32 v18, v18, v19
	; wave barrier
	s_delay_alu instid0(VALU_DEP_1) | instskip(NEXT) | instid1(VALU_DEP_1)
	v_and_b32_e32 v17, v18, v17
	v_mbcnt_lo_u32_b32 v71, v17, 0
	v_cmp_ne_u32_e64 s10, 0, v17
	s_delay_alu instid0(VALU_DEP_2)
	v_cmp_eq_u32_e32 vcc_lo, 0, v71
	s_and_b32 s22, s10, vcc_lo
	s_wait_alu 0xfffe
	s_and_saveexec_b32 s10, s22
	s_cbranch_execz .LBB148_31
; %bb.30:                               ;   in Loop: Header=BB148_23 Depth=1
	s_wait_dscnt 0x0
	v_bcnt_u32_b32 v17, v17, v67
	ds_store_b32 v68, v17 offset:4
.LBB148_31:                             ;   in Loop: Header=BB148_23 Depth=1
	s_wait_alu 0xfffe
	s_or_b32 exec_lo, exec_lo, s10
	; wave barrier
	; wave barrier
	s_wait_loadcnt_dscnt 0x0
	global_inv scope:SCOPE_SE
	ds_load_2addr_b32 v[23:24], v61 offset0:1 offset1:2
	ds_load_2addr_b32 v[21:22], v61 offset0:3 offset1:4
	;; [unrolled: 1-line block ×4, first 2 shown]
	s_wait_dscnt 0x3
	v_add_nc_u32_e32 v69, v24, v23
	s_wait_dscnt 0x2
	s_delay_alu instid0(VALU_DEP_1) | instskip(SKIP_1) | instid1(VALU_DEP_1)
	v_add3_u32 v69, v69, v21, v22
	s_wait_dscnt 0x1
	v_add3_u32 v69, v69, v19, v20
	s_wait_dscnt 0x0
	s_delay_alu instid0(VALU_DEP_1) | instskip(NEXT) | instid1(VALU_DEP_1)
	v_add3_u32 v18, v69, v17, v18
	v_mov_b32_dpp v69, v18 row_shr:1 row_mask:0xf bank_mask:0xf
	s_delay_alu instid0(VALU_DEP_1) | instskip(NEXT) | instid1(VALU_DEP_1)
	v_cndmask_b32_e64 v69, v69, 0, s5
	v_add_nc_u32_e32 v18, v69, v18
	s_delay_alu instid0(VALU_DEP_1) | instskip(NEXT) | instid1(VALU_DEP_1)
	v_mov_b32_dpp v69, v18 row_shr:2 row_mask:0xf bank_mask:0xf
	v_cndmask_b32_e64 v69, 0, v69, s6
	s_delay_alu instid0(VALU_DEP_1) | instskip(NEXT) | instid1(VALU_DEP_1)
	v_add_nc_u32_e32 v18, v18, v69
	v_mov_b32_dpp v69, v18 row_shr:4 row_mask:0xf bank_mask:0xf
	s_delay_alu instid0(VALU_DEP_1) | instskip(NEXT) | instid1(VALU_DEP_1)
	v_cndmask_b32_e64 v69, 0, v69, s7
	v_add_nc_u32_e32 v18, v18, v69
	s_delay_alu instid0(VALU_DEP_1) | instskip(NEXT) | instid1(VALU_DEP_1)
	v_mov_b32_dpp v69, v18 row_shr:8 row_mask:0xf bank_mask:0xf
	v_cndmask_b32_e64 v69, 0, v69, s8
	s_delay_alu instid0(VALU_DEP_1) | instskip(SKIP_3) | instid1(VALU_DEP_1)
	v_add_nc_u32_e32 v18, v18, v69
	ds_swizzle_b32 v69, v18 offset:swizzle(BROADCAST,32,15)
	s_wait_dscnt 0x0
	v_cndmask_b32_e64 v69, v69, 0, s9
	v_add_nc_u32_e32 v18, v18, v69
	s_and_saveexec_b32 s10, s4
; %bb.32:                               ;   in Loop: Header=BB148_23 Depth=1
	ds_store_b32 v66, v18
; %bb.33:                               ;   in Loop: Header=BB148_23 Depth=1
	s_wait_alu 0xfffe
	s_or_b32 exec_lo, exec_lo, s10
	ds_bpermute_b32 v18, v0, v18
	; wave barrier
	s_wait_loadcnt_dscnt 0x0
	global_inv scope:SCOPE_SE
	v_cmp_lt_u32_e32 vcc_lo, 55, v38
	s_mov_b32 s10, -1
	s_and_b32 vcc_lo, exec_lo, vcc_lo
	v_cndmask_b32_e64 v18, v18, 0, s15
	s_delay_alu instid0(VALU_DEP_1) | instskip(NEXT) | instid1(VALU_DEP_1)
	v_add_nc_u32_e32 v23, v18, v23
	v_add_nc_u32_e32 v24, v23, v24
	s_delay_alu instid0(VALU_DEP_1) | instskip(NEXT) | instid1(VALU_DEP_1)
	v_add_nc_u32_e32 v21, v24, v21
	v_add_nc_u32_e32 v22, v21, v22
	;; [unrolled: 3-line block ×3, first 2 shown]
	s_delay_alu instid0(VALU_DEP_1)
	v_add_nc_u32_e32 v17, v20, v17
	ds_store_2addr_b32 v61, v18, v23 offset0:1 offset1:2
	ds_store_2addr_b32 v61, v24, v21 offset0:3 offset1:4
	;; [unrolled: 1-line block ×4, first 2 shown]
	; wave barrier
	s_wait_loadcnt_dscnt 0x0
	global_inv scope:SCOPE_SE
	ds_load_b32 v17, v26 offset:4
	ds_load_b32 v18, v28 offset:4
	;; [unrolled: 1-line block ×4, first 2 shown]
                                        ; implicit-def: $vgpr23_vgpr24
	s_wait_dscnt 0x3
	v_add_nc_u32_e32 v70, v17, v25
	s_wait_dscnt 0x2
	v_add3_u32 v69, v29, v27, v18
	s_wait_dscnt 0x1
	v_add3_u32 v68, v32, v30, v19
	;; [unrolled: 2-line block ×3, first 2 shown]
                                        ; implicit-def: $vgpr19_vgpr20
                                        ; implicit-def: $vgpr25_vgpr26
                                        ; implicit-def: $vgpr29_vgpr30
	s_wait_alu 0xfffe
	s_cbranch_vccnz .LBB148_22
; %bb.34:                               ;   in Loop: Header=BB148_23 Depth=1
	v_lshlrev_b32_e32 v25, 3, v70
	v_lshlrev_b32_e32 v26, 3, v69
	;; [unrolled: 1-line block ×4, first 2 shown]
	s_wait_loadcnt 0x0
	; wave barrier
	global_inv scope:SCOPE_SE
	ds_store_b64 v25, v[40:41]
	ds_store_b64 v26, v[54:55]
	ds_store_b64 v27, v[52:53]
	ds_store_b64 v28, v[50:51]
	; wave barrier
	s_wait_loadcnt_dscnt 0x0
	global_inv scope:SCOPE_SE
	ds_load_2addr_b64 v[17:20], v64 offset1:32
	ds_load_2addr_b64 v[21:24], v64 offset0:64 offset1:96
	; wave barrier
	s_wait_loadcnt_dscnt 0x0
	global_inv scope:SCOPE_SE
	ds_store_b64 v25, v[48:49]
	ds_store_b64 v26, v[46:47]
	;; [unrolled: 1-line block ×4, first 2 shown]
	; wave barrier
	s_wait_loadcnt_dscnt 0x0
	global_inv scope:SCOPE_SE
	ds_load_2addr_b64 v[25:28], v64 offset1:32
	ds_load_2addr_b64 v[29:32], v64 offset0:64 offset1:96
	v_add_co_u32 v38, vcc_lo, v38, 8
	s_wait_alu 0xfffd
	v_add_co_ci_u32_e64 v39, null, 0, v39, vcc_lo
	s_add_co_i32 s17, s17, -8
	s_mov_b32 s10, 0
	; wave barrier
	s_wait_loadcnt_dscnt 0x0
	global_inv scope:SCOPE_SE
	s_branch .LBB148_22
.LBB148_35:
                                        ; implicit-def: $vgpr23_vgpr24
                                        ; implicit-def: $vgpr19_vgpr20
                                        ; implicit-def: $vgpr38
	s_cbranch_execnz .LBB148_37
	s_branch .LBB148_52
.LBB148_36:
	v_lshlrev_b32_e32 v0, 3, v70
	v_lshlrev_b32_e32 v26, 3, v68
	;; [unrolled: 1-line block ×5, first 2 shown]
	s_wait_loadcnt 0x0
	; wave barrier
	global_inv scope:SCOPE_SE
	ds_store_b64 v0, v[40:41]
	ds_store_b64 v25, v[54:55]
	;; [unrolled: 1-line block ×4, first 2 shown]
	; wave barrier
	s_wait_loadcnt_dscnt 0x0
	global_inv scope:SCOPE_SE
	ds_load_b128 v[17:20], v38
	ds_load_b128 v[21:24], v38 offset:16
	; wave barrier
	s_wait_loadcnt_dscnt 0x0
	global_inv scope:SCOPE_SE
	ds_store_b64 v0, v[48:49]
	ds_store_b64 v25, v[46:47]
	;; [unrolled: 1-line block ×4, first 2 shown]
	; wave barrier
	s_wait_loadcnt_dscnt 0x0
	global_inv scope:SCOPE_SE
	v_xor_b32_e32 v18, 0x80000000, v18
	v_xor_b32_e32 v20, 0x80000000, v20
	;; [unrolled: 1-line block ×4, first 2 shown]
	s_branch .LBB148_52
.LBB148_37:
	v_xor_b32_e32 v21, 0x7fffffff, v10
	v_and_b32_e32 v10, 3, v36
	v_xor_b32_e32 v0, -1, v13
	v_xor_b32_e32 v13, 0x7fffffff, v14
	v_xor_b32_e32 v14, 0x7fffffff, v16
	v_xor_b32_e32 v18, -1, v9
	v_cmp_eq_u32_e32 vcc_lo, 0, v10
	v_and_b32_e32 v19, 28, v36
	v_xor_b32_e32 v22, 0x7fffffff, v12
	v_xor_b32_e32 v15, -1, v15
	v_xor_b32_e32 v23, -1, v11
	s_wait_loadcnt 0x0
	ds_bpermute_b32 v17, v19, v13
	ds_bpermute_b32 v9, v19, v14
	;; [unrolled: 1-line block ×4, first 2 shown]
	ds_bpermute_b32 v31, v19, v13 offset:64
	; wave barrier
	s_wait_dscnt 0x0
	global_inv scope:SCOPE_SE
	s_load_b32 s7, s[20:21], 0xc
	v_cmp_eq_u32_e64 s9, 31, v37
	s_mov_b32 s17, 64
	v_cndmask_b32_e32 v17, 0, v17, vcc_lo
	v_cmp_eq_u32_e64 s4, 1, v10
	v_cmp_eq_u32_e64 s5, 2, v10
	v_cmp_eq_u32_e64 s6, 3, v10
	s_wait_alu 0xf1ff
	s_delay_alu instid0(VALU_DEP_3) | instskip(NEXT) | instid1(VALU_DEP_1)
	v_cndmask_b32_e64 v9, v17, v9, s4
	v_cndmask_b32_e64 v9, v9, v12, s5
	s_delay_alu instid0(VALU_DEP_1)
	v_cndmask_b32_e64 v10, v9, v26, s6
	v_cndmask_b32_e32 v26, 0, v31, vcc_lo
	ds_bpermute_b32 v16, v19, v0
	ds_bpermute_b32 v20, v19, v15
	ds_bpermute_b32 v27, v19, v13 offset:32
	ds_bpermute_b32 v11, v19, v18
	ds_bpermute_b32 v24, v19, v0 offset:32
	ds_bpermute_b32 v29, v19, v14 offset:32
	ds_bpermute_b32 v28, v19, v15 offset:32
	ds_bpermute_b32 v17, v19, v0 offset:64
	ds_bpermute_b32 v32, v19, v14 offset:64
	ds_bpermute_b32 v30, v19, v18 offset:32
	ds_bpermute_b32 v12, v19, v15 offset:64
	ds_bpermute_b32 v25, v19, v23
	ds_bpermute_b32 v39, v19, v23 offset:32
	ds_bpermute_b32 v41, v19, v22 offset:64
	;; [unrolled: 1-line block ×8, first 2 shown]
	s_wait_dscnt 0x13
	v_cndmask_b32_e32 v16, 0, v16, vcc_lo
	ds_bpermute_b32 v22, v19, v22 offset:96
	s_wait_dscnt 0x12
	v_cndmask_b32_e32 v27, 0, v27, vcc_lo
	ds_bpermute_b32 v31, v19, v7 offset:32
	v_cndmask_b32_e64 v16, v16, v20, s4
	ds_bpermute_b32 v20, v19, v21 offset:32
	s_wait_dscnt 0x11
	v_cndmask_b32_e64 v9, v27, v29, s4
	ds_bpermute_b32 v27, v19, v14 offset:96
	s_wait_dscnt 0x10
	v_cndmask_b32_e32 v17, 0, v17, vcc_lo
	v_cndmask_b32_e64 v11, v16, v11, s5
	v_cndmask_b32_e32 v16, 0, v24, vcc_lo
	ds_bpermute_b32 v24, v19, v21 offset:64
	s_wait_dscnt 0x10
	v_cndmask_b32_e64 v26, v26, v32, s4
	s_wait_dscnt 0x9
	v_dual_cndmask_b32 v0, 0, v0 :: v_dual_cndmask_b32 v13, 0, v13
	v_cndmask_b32_e64 v16, v16, v28, s4
	ds_bpermute_b32 v21, v19, v21 offset:96
	ds_bpermute_b32 v28, v19, v2
	ds_bpermute_b32 v32, v19, v4
	ds_bpermute_b32 v29, v19, v1
	v_cndmask_b32_e64 v14, v16, v30, s5
	v_cndmask_b32_e64 v16, v17, v12, s4
	ds_bpermute_b32 v30, v19, v6 offset:32
	s_wait_dscnt 0xc
	v_cndmask_b32_e64 v0, v0, v15, s4
	s_wait_dscnt 0x7
	v_cndmask_b32_e64 v20, v9, v20, s5
	v_cndmask_b32_e64 v9, v11, v25, s6
	v_cndmask_b32_e64 v11, v14, v39, s6
	ds_bpermute_b32 v25, v19, v8
	s_wait_dscnt 0x7
	v_cndmask_b32_e64 v13, v13, v27, s4
	ds_bpermute_b32 v27, v19, v5 offset:32
	s_wait_dscnt 0x7
	v_cndmask_b32_e64 v17, v26, v24, s5
	v_cndmask_b32_e64 v12, v20, v38, s6
	ds_bpermute_b32 v20, v19, v23 offset:64
	ds_bpermute_b32 v24, v19, v5
	ds_bpermute_b32 v26, v19, v7
	v_cndmask_b32_e64 v14, v17, v41, s6
	ds_bpermute_b32 v17, v19, v6
	ds_bpermute_b32 v23, v19, v23 offset:96
	ds_bpermute_b32 v39, v19, v8 offset:32
	v_cndmask_b32_e64 v16, v16, v40, s5
	s_wait_dscnt 0xc
	v_cndmask_b32_e64 v21, v13, v21, s5
	v_cndmask_b32_e64 v0, v0, v18, s5
	ds_bpermute_b32 v38, v19, v3
	ds_bpermute_b32 v40, v19, v1 offset:32
	s_wait_dscnt 0x8
	v_dual_mov_b32 v41, 0 :: v_dual_cndmask_b32 v18, 0, v27
	ds_bpermute_b32 v27, v19, v7 offset:64
	ds_bpermute_b32 v7, v19, v7 offset:96
	s_wait_dscnt 0x9
	v_cndmask_b32_e64 v13, v16, v20, s6
	ds_bpermute_b32 v20, v19, v6 offset:64
	ds_bpermute_b32 v6, v19, v6 offset:96
	v_cndmask_b32_e64 v16, v21, v22, s6
	s_wait_dscnt 0x8
	v_cndmask_b32_e32 v15, 0, v17, vcc_lo
	v_dual_cndmask_b32 v17, 0, v24 :: v_dual_cndmask_b32 v22, 0, v30
	ds_bpermute_b32 v24, v19, v5 offset:64
	ds_bpermute_b32 v5, v19, v5 offset:96
	v_cndmask_b32_e64 v15, v15, v25, s4
	v_cndmask_b32_e64 v17, v17, v26, s4
	ds_bpermute_b32 v26, v19, v8 offset:64
	ds_bpermute_b32 v8, v19, v8 offset:96
	;; [unrolled: 1-line block ×3, first 2 shown]
	v_cndmask_b32_e64 v21, v15, v28, s5
	s_wait_dscnt 0xc
	v_cndmask_b32_e64 v15, v0, v23, s6
	v_cndmask_b32_e64 v0, v18, v31, s4
	ds_bpermute_b32 v28, v19, v2 offset:64
	v_cndmask_b32_e64 v17, v17, v29, s5
	v_cndmask_b32_e64 v18, v21, v32, s6
	s_wait_dscnt 0xc
	v_cndmask_b32_e64 v21, v22, v39, s4
	ds_bpermute_b32 v22, v19, v2 offset:32
	ds_bpermute_b32 v2, v19, v2 offset:96
	;; [unrolled: 1-line block ×6, first 2 shown]
	s_wait_dscnt 0x11
	v_cndmask_b32_e64 v17, v17, v38, s6
	ds_bpermute_b32 v23, v19, v3 offset:32
	s_wait_dscnt 0xe
	v_cndmask_b32_e32 v20, 0, v20, vcc_lo
	ds_bpermute_b32 v30, v19, v3 offset:64
	ds_bpermute_b32 v38, v19, v3 offset:96
	s_wait_dscnt 0xf
	v_cndmask_b32_e32 v3, 0, v6, vcc_lo
	s_wait_dscnt 0xe
	v_cndmask_b32_e32 v1, 0, v24, vcc_lo
	;; [unrolled: 2-line block ×3, first 2 shown]
	s_wait_dscnt 0xc
	v_cndmask_b32_e64 v19, v20, v26, s4
	v_cndmask_b32_e64 v0, v0, v40, s5
	s_wait_dscnt 0xb
	v_cndmask_b32_e64 v3, v3, v8, s4
	v_cndmask_b32_e64 v1, v1, v27, s4
	;; [unrolled: 1-line block ×3, first 2 shown]
	s_wait_dscnt 0x8
	v_cndmask_b32_e64 v6, v21, v22, s5
	s_wait_dscnt 0x7
	v_cndmask_b32_e64 v2, v3, v2, s5
	;; [unrolled: 2-line block ×4, first 2 shown]
	v_cndmask_b32_e64 v20, v6, v25, s6
	v_cndmask_b32_e64 v6, v19, v28, s5
	s_getpc_b64 s[4:5]
	s_wait_alu 0xfffe
	s_sext_i32_i16 s5, s5
	s_add_co_u32 s4, s4, _ZN7rocprim17ROCPRIM_400000_NS16block_radix_sortIlLj32ELj4ElLj1ELj1ELj0ELNS0_26block_radix_rank_algorithmE1ELNS0_18block_padding_hintE2ELNS0_4arch9wavefront6targetE0EE19radix_bits_per_passE@rel32@lo+12
	s_wait_alu 0xfffe
	s_add_co_ci_u32 s5, s5, _ZN7rocprim17ROCPRIM_400000_NS16block_radix_sortIlLj32ELj4ElLj1ELj1ELj0ELNS0_26block_radix_rank_algorithmE1ELNS0_18block_padding_hintE2ELNS0_4arch9wavefront6targetE0EE19radix_bits_per_passE@rel32@hi+24
	s_wait_kmcnt 0x0
	s_lshr_b32 s8, s7, 16
	s_wait_dscnt 0x3
	v_cndmask_b32_e64 v3, v2, v4, s6
	s_wait_alu 0xfffe
	v_mad_u32_u24 v4, v63, s8, v62
	s_load_b32 s11, s[4:5], 0x0
	s_and_b32 s4, s7, 0xffff
	s_wait_dscnt 0x0
	v_cndmask_b32_e64 v2, v5, v38, s6
	v_cndmask_b32_e64 v1, v6, v31, s6
	s_wait_alu 0xfffe
	v_mad_co_u64_u32 v[4:5], null, v4, s4, v[37:38]
	v_sub_co_u32 v5, s10, v36, 1
	v_and_b32_e32 v6, 15, v36
	v_cndmask_b32_e64 v19, v0, v23, s6
	v_cndmask_b32_e64 v0, v7, v30, s6
	s_delay_alu instid0(VALU_DEP_4)
	v_cmp_gt_i32_e32 vcc_lo, 0, v5
	v_lshrrev_b32_e32 v4, 3, v4
	v_cmp_eq_u32_e64 s4, 0, v6
	v_cmp_lt_u32_e64 s5, 1, v6
	v_and_b32_e32 v7, 16, v36
	s_wait_alu 0xfffd
	v_cndmask_b32_e32 v5, v5, v36, vcc_lo
	v_cmp_lt_u32_e64 s6, 3, v6
	v_cmp_lt_u32_e64 s7, 7, v6
	v_and_or_b32 v6, 0xf80, v34, v36
	v_cmp_eq_u32_e32 vcc_lo, 0, v37
	v_lshlrev_b32_e32 v38, 2, v5
	v_and_b32_e32 v40, 0x1ffffffc, v4
	v_mov_b32_e32 v4, 0
	v_cmp_eq_u32_e64 s8, 0, v7
	v_lshlrev_b32_e32 v39, 3, v6
	v_mov_b32_e32 v5, 0
	s_or_b32 s15, vcc_lo, s10
	s_branch .LBB148_39
.LBB148_38:                             ;   in Loop: Header=BB148_39 Depth=1
	s_wait_alu 0xfffe
	s_and_not1_b32 vcc_lo, exec_lo, s10
	s_wait_alu 0xfffe
	s_cbranch_vccz .LBB148_51
.LBB148_39:                             ; =>This Inner Loop Header: Depth=1
	v_dual_mov_b32 v6, v9 :: v_dual_mov_b32 v7, v10
	s_wait_kmcnt 0x0
	s_min_u32 s10, s11, s17
	ds_store_2addr_b32 v61, v41, v41 offset0:1 offset1:2
	ds_store_2addr_b32 v61, v41, v41 offset0:3 offset1:4
	;; [unrolled: 1-line block ×4, first 2 shown]
	s_wait_alu 0xfffe
	s_lshl_b32 s10, -1, s10
	s_wait_loadcnt_dscnt 0x0
	v_lshrrev_b64 v[8:9], v4, v[6:7]
	s_wait_alu 0xfffe
	s_not_b32 s20, s10
	; wave barrier
	global_inv scope:SCOPE_SE
	; wave barrier
	s_wait_alu 0xfffe
	v_dual_mov_b32 v30, v16 :: v_dual_and_b32 v9, s20, v8
	v_dual_mov_b32 v29, v15 :: v_dual_mov_b32 v32, v14
	v_mov_b32_e32 v37, v12
	s_delay_alu instid0(VALU_DEP_3)
	v_dual_mov_b32 v31, v13 :: v_dual_lshlrev_b32 v10, 30, v9
	v_and_b32_e32 v8, 1, v9
	v_lshlrev_b32_e32 v21, 29, v9
	v_lshlrev_b32_e32 v22, 28, v9
	;; [unrolled: 1-line block ×3, first 2 shown]
	v_not_b32_e32 v27, v10
	v_add_co_u32 v8, s10, v8, -1
	s_wait_alu 0xf1ff
	v_cndmask_b32_e64 v23, 0, 1, s10
	v_cmp_gt_i32_e64 s10, 0, v10
	v_not_b32_e32 v10, v21
	v_ashrrev_i32_e32 v27, 31, v27
	v_dual_mov_b32 v36, v11 :: v_dual_lshlrev_b32 v25, 26, v9
	v_cmp_ne_u32_e32 vcc_lo, 0, v23
	s_delay_alu instid0(VALU_DEP_4)
	v_ashrrev_i32_e32 v10, 31, v10
	s_wait_alu 0xf1ff
	v_xor_b32_e32 v27, s10, v27
	v_cmp_gt_i32_e64 s10, 0, v22
	v_lshlrev_b32_e32 v26, 25, v9
	s_wait_alu 0xfffd
	v_xor_b32_e32 v8, vcc_lo, v8
	v_cmp_gt_i32_e32 vcc_lo, 0, v21
	v_not_b32_e32 v21, v22
	v_not_b32_e32 v22, v24
	v_lshlrev_b32_e32 v23, 24, v9
	v_and_b32_e32 v8, exec_lo, v8
	s_wait_alu 0xfffd
	v_xor_b32_e32 v10, vcc_lo, v10
	v_ashrrev_i32_e32 v21, 31, v21
	v_cmp_gt_i32_e32 vcc_lo, 0, v24
	v_not_b32_e32 v24, v25
	v_and_b32_e32 v8, v8, v27
	v_ashrrev_i32_e32 v22, 31, v22
	s_wait_alu 0xf1ff
	v_xor_b32_e32 v21, s10, v21
	v_cmp_gt_i32_e64 s10, 0, v25
	v_ashrrev_i32_e32 v24, 31, v24
	v_and_b32_e32 v8, v8, v10
	v_not_b32_e32 v10, v26
	s_wait_alu 0xfffd
	v_xor_b32_e32 v22, vcc_lo, v22
	v_cmp_gt_i32_e32 vcc_lo, 0, v26
	s_wait_alu 0xf1ff
	v_xor_b32_e32 v24, s10, v24
	v_and_b32_e32 v8, v8, v21
	v_not_b32_e32 v21, v23
	v_ashrrev_i32_e32 v10, 31, v10
	v_cmp_gt_i32_e64 s10, 0, v23
	v_mov_b32_e32 v28, v1
	v_and_b32_e32 v8, v8, v22
	v_ashrrev_i32_e32 v21, 31, v21
	s_wait_alu 0xfffd
	v_xor_b32_e32 v10, vcc_lo, v10
	v_dual_mov_b32 v26, v3 :: v_dual_mov_b32 v27, v0
	v_and_b32_e32 v8, v8, v24
	s_wait_alu 0xf1ff
	v_xor_b32_e32 v21, s10, v21
	v_dual_mov_b32 v24, v18 :: v_dual_mov_b32 v23, v17
	s_delay_alu instid0(VALU_DEP_3) | instskip(SKIP_1) | instid1(VALU_DEP_2)
	v_dual_mov_b32 v25, v2 :: v_dual_and_b32 v8, v8, v10
	v_lshl_add_u32 v13, v9, 2, v40
	v_and_b32_e32 v8, v8, v21
	v_dual_mov_b32 v22, v20 :: v_dual_mov_b32 v21, v19
	s_delay_alu instid0(VALU_DEP_2) | instskip(SKIP_1) | instid1(VALU_DEP_2)
	v_mbcnt_lo_u32_b32 v12, v8, 0
	v_cmp_ne_u32_e64 s10, 0, v8
	v_cmp_eq_u32_e32 vcc_lo, 0, v12
	s_and_b32 s21, s10, vcc_lo
	s_wait_alu 0xfffe
	s_and_saveexec_b32 s10, s21
; %bb.40:                               ;   in Loop: Header=BB148_39 Depth=1
	v_bcnt_u32_b32 v0, v8, 0
	ds_store_b32 v13, v0 offset:4
; %bb.41:                               ;   in Loop: Header=BB148_39 Depth=1
	s_wait_alu 0xfffe
	s_or_b32 exec_lo, exec_lo, s10
	v_lshrrev_b64 v[0:1], v4, v[36:37]
	; wave barrier
	s_delay_alu instid0(VALU_DEP_1) | instskip(NEXT) | instid1(VALU_DEP_1)
	v_and_b32_e32 v0, s20, v0
	v_and_b32_e32 v1, 1, v0
	v_lshlrev_b32_e32 v2, 30, v0
	v_lshlrev_b32_e32 v3, 29, v0
	;; [unrolled: 1-line block ×4, first 2 shown]
	v_add_co_u32 v1, s10, v1, -1
	s_wait_alu 0xf1ff
	v_cndmask_b32_e64 v9, 0, 1, s10
	v_not_b32_e32 v15, v2
	v_cmp_gt_i32_e64 s10, 0, v2
	v_not_b32_e32 v2, v3
	v_lshlrev_b32_e32 v11, 26, v0
	v_cmp_ne_u32_e32 vcc_lo, 0, v9
	v_ashrrev_i32_e32 v15, 31, v15
	v_lshlrev_b32_e32 v14, 25, v0
	v_ashrrev_i32_e32 v2, 31, v2
	v_lshlrev_b32_e32 v9, 24, v0
	s_wait_alu 0xfffd
	v_xor_b32_e32 v1, vcc_lo, v1
	v_cmp_gt_i32_e32 vcc_lo, 0, v3
	v_not_b32_e32 v3, v8
	s_wait_alu 0xf1ff
	v_xor_b32_e32 v15, s10, v15
	v_cmp_gt_i32_e64 s10, 0, v8
	v_and_b32_e32 v1, exec_lo, v1
	v_not_b32_e32 v8, v10
	v_ashrrev_i32_e32 v3, 31, v3
	s_wait_alu 0xfffd
	v_xor_b32_e32 v2, vcc_lo, v2
	v_cmp_gt_i32_e32 vcc_lo, 0, v10
	v_and_b32_e32 v1, v1, v15
	v_not_b32_e32 v10, v11
	v_ashrrev_i32_e32 v8, 31, v8
	s_wait_alu 0xf1ff
	v_xor_b32_e32 v3, s10, v3
	v_cmp_gt_i32_e64 s10, 0, v11
	v_and_b32_e32 v1, v1, v2
	v_not_b32_e32 v2, v14
	v_ashrrev_i32_e32 v10, 31, v10
	s_wait_alu 0xfffd
	v_xor_b32_e32 v8, vcc_lo, v8
	v_cmp_gt_i32_e32 vcc_lo, 0, v14
	v_and_b32_e32 v1, v1, v3
	v_not_b32_e32 v3, v9
	v_ashrrev_i32_e32 v2, 31, v2
	s_wait_alu 0xf1ff
	v_xor_b32_e32 v10, s10, v10
	v_cmp_gt_i32_e64 s10, 0, v9
	v_and_b32_e32 v1, v1, v8
	v_ashrrev_i32_e32 v3, 31, v3
	s_wait_alu 0xfffd
	v_xor_b32_e32 v2, vcc_lo, v2
	v_lshl_add_u32 v15, v0, 2, v40
	v_and_b32_e32 v1, v1, v10
	s_wait_alu 0xf1ff
	v_xor_b32_e32 v0, s10, v3
	ds_load_b32 v14, v15 offset:4
	v_and_b32_e32 v1, v1, v2
	; wave barrier
	s_delay_alu instid0(VALU_DEP_1) | instskip(NEXT) | instid1(VALU_DEP_1)
	v_and_b32_e32 v0, v1, v0
	v_mbcnt_lo_u32_b32 v16, v0, 0
	v_cmp_ne_u32_e64 s10, 0, v0
	s_delay_alu instid0(VALU_DEP_2)
	v_cmp_eq_u32_e32 vcc_lo, 0, v16
	s_and_b32 s21, s10, vcc_lo
	s_wait_alu 0xfffe
	s_and_saveexec_b32 s10, s21
	s_cbranch_execz .LBB148_43
; %bb.42:                               ;   in Loop: Header=BB148_39 Depth=1
	s_wait_dscnt 0x0
	v_bcnt_u32_b32 v0, v0, v14
	ds_store_b32 v15, v0 offset:4
.LBB148_43:                             ;   in Loop: Header=BB148_39 Depth=1
	s_wait_alu 0xfffe
	s_or_b32 exec_lo, exec_lo, s10
	v_lshrrev_b64 v[0:1], v4, v[31:32]
	; wave barrier
	s_delay_alu instid0(VALU_DEP_1) | instskip(NEXT) | instid1(VALU_DEP_1)
	v_and_b32_e32 v0, s20, v0
	v_and_b32_e32 v1, 1, v0
	v_lshlrev_b32_e32 v2, 30, v0
	v_lshlrev_b32_e32 v3, 29, v0
	;; [unrolled: 1-line block ×4, first 2 shown]
	v_add_co_u32 v1, s10, v1, -1
	s_wait_alu 0xf1ff
	v_cndmask_b32_e64 v9, 0, 1, s10
	v_not_b32_e32 v18, v2
	v_cmp_gt_i32_e64 s10, 0, v2
	v_not_b32_e32 v2, v3
	v_lshlrev_b32_e32 v11, 26, v0
	v_cmp_ne_u32_e32 vcc_lo, 0, v9
	v_ashrrev_i32_e32 v18, 31, v18
	v_lshlrev_b32_e32 v17, 25, v0
	v_ashrrev_i32_e32 v2, 31, v2
	v_lshlrev_b32_e32 v9, 24, v0
	s_wait_alu 0xfffd
	v_xor_b32_e32 v1, vcc_lo, v1
	v_cmp_gt_i32_e32 vcc_lo, 0, v3
	v_not_b32_e32 v3, v8
	s_wait_alu 0xf1ff
	v_xor_b32_e32 v18, s10, v18
	v_cmp_gt_i32_e64 s10, 0, v8
	v_and_b32_e32 v1, exec_lo, v1
	v_not_b32_e32 v8, v10
	v_ashrrev_i32_e32 v3, 31, v3
	s_wait_alu 0xfffd
	v_xor_b32_e32 v2, vcc_lo, v2
	v_cmp_gt_i32_e32 vcc_lo, 0, v10
	v_and_b32_e32 v1, v1, v18
	v_not_b32_e32 v10, v11
	v_ashrrev_i32_e32 v8, 31, v8
	s_wait_alu 0xf1ff
	v_xor_b32_e32 v3, s10, v3
	v_cmp_gt_i32_e64 s10, 0, v11
	v_and_b32_e32 v1, v1, v2
	v_not_b32_e32 v2, v17
	v_ashrrev_i32_e32 v10, 31, v10
	s_wait_alu 0xfffd
	v_xor_b32_e32 v8, vcc_lo, v8
	v_cmp_gt_i32_e32 vcc_lo, 0, v17
	v_and_b32_e32 v1, v1, v3
	v_not_b32_e32 v3, v9
	v_ashrrev_i32_e32 v2, 31, v2
	s_wait_alu 0xf1ff
	v_xor_b32_e32 v10, s10, v10
	v_cmp_gt_i32_e64 s10, 0, v9
	v_and_b32_e32 v1, v1, v8
	v_ashrrev_i32_e32 v3, 31, v3
	s_wait_alu 0xfffd
	v_xor_b32_e32 v2, vcc_lo, v2
	v_lshl_add_u32 v18, v0, 2, v40
	v_and_b32_e32 v1, v1, v10
	s_wait_alu 0xf1ff
	v_xor_b32_e32 v0, s10, v3
	ds_load_b32 v17, v18 offset:4
	v_and_b32_e32 v1, v1, v2
	; wave barrier
	s_delay_alu instid0(VALU_DEP_1) | instskip(NEXT) | instid1(VALU_DEP_1)
	v_and_b32_e32 v0, v1, v0
	v_mbcnt_lo_u32_b32 v19, v0, 0
	v_cmp_ne_u32_e64 s10, 0, v0
	s_delay_alu instid0(VALU_DEP_2)
	v_cmp_eq_u32_e32 vcc_lo, 0, v19
	s_and_b32 s21, s10, vcc_lo
	s_wait_alu 0xfffe
	s_and_saveexec_b32 s10, s21
	s_cbranch_execz .LBB148_45
; %bb.44:                               ;   in Loop: Header=BB148_39 Depth=1
	s_wait_dscnt 0x0
	v_bcnt_u32_b32 v0, v0, v17
	ds_store_b32 v18, v0 offset:4
.LBB148_45:                             ;   in Loop: Header=BB148_39 Depth=1
	s_wait_alu 0xfffe
	s_or_b32 exec_lo, exec_lo, s10
	v_lshrrev_b64 v[0:1], v4, v[29:30]
	; wave barrier
	s_delay_alu instid0(VALU_DEP_1) | instskip(NEXT) | instid1(VALU_DEP_1)
	v_and_b32_e32 v0, s20, v0
	v_and_b32_e32 v1, 1, v0
	v_lshlrev_b32_e32 v2, 30, v0
	v_lshlrev_b32_e32 v3, 29, v0
	;; [unrolled: 1-line block ×4, first 2 shown]
	v_add_co_u32 v1, s10, v1, -1
	s_wait_alu 0xf1ff
	v_cndmask_b32_e64 v9, 0, 1, s10
	v_not_b32_e32 v42, v2
	v_cmp_gt_i32_e64 s10, 0, v2
	v_not_b32_e32 v2, v3
	v_lshlrev_b32_e32 v11, 26, v0
	v_cmp_ne_u32_e32 vcc_lo, 0, v9
	v_ashrrev_i32_e32 v42, 31, v42
	v_lshlrev_b32_e32 v20, 25, v0
	v_ashrrev_i32_e32 v2, 31, v2
	v_lshlrev_b32_e32 v9, 24, v0
	s_wait_alu 0xfffd
	v_xor_b32_e32 v1, vcc_lo, v1
	v_cmp_gt_i32_e32 vcc_lo, 0, v3
	v_not_b32_e32 v3, v8
	s_wait_alu 0xf1ff
	v_xor_b32_e32 v42, s10, v42
	v_cmp_gt_i32_e64 s10, 0, v8
	v_and_b32_e32 v1, exec_lo, v1
	v_not_b32_e32 v8, v10
	v_ashrrev_i32_e32 v3, 31, v3
	s_wait_alu 0xfffd
	v_xor_b32_e32 v2, vcc_lo, v2
	v_cmp_gt_i32_e32 vcc_lo, 0, v10
	v_and_b32_e32 v1, v1, v42
	v_not_b32_e32 v10, v11
	v_ashrrev_i32_e32 v8, 31, v8
	s_wait_alu 0xf1ff
	v_xor_b32_e32 v3, s10, v3
	v_cmp_gt_i32_e64 s10, 0, v11
	v_and_b32_e32 v1, v1, v2
	v_not_b32_e32 v2, v20
	v_ashrrev_i32_e32 v10, 31, v10
	s_wait_alu 0xfffd
	v_xor_b32_e32 v8, vcc_lo, v8
	v_cmp_gt_i32_e32 vcc_lo, 0, v20
	v_and_b32_e32 v1, v1, v3
	v_not_b32_e32 v3, v9
	v_ashrrev_i32_e32 v2, 31, v2
	s_wait_alu 0xf1ff
	v_xor_b32_e32 v10, s10, v10
	v_cmp_gt_i32_e64 s10, 0, v9
	v_and_b32_e32 v1, v1, v8
	v_ashrrev_i32_e32 v3, 31, v3
	s_wait_alu 0xfffd
	v_xor_b32_e32 v2, vcc_lo, v2
	v_lshl_add_u32 v42, v0, 2, v40
	v_and_b32_e32 v1, v1, v10
	s_wait_alu 0xf1ff
	v_xor_b32_e32 v0, s10, v3
	ds_load_b32 v20, v42 offset:4
	v_and_b32_e32 v1, v1, v2
	; wave barrier
	s_delay_alu instid0(VALU_DEP_1) | instskip(NEXT) | instid1(VALU_DEP_1)
	v_and_b32_e32 v0, v1, v0
	v_mbcnt_lo_u32_b32 v45, v0, 0
	v_cmp_ne_u32_e64 s10, 0, v0
	s_delay_alu instid0(VALU_DEP_2)
	v_cmp_eq_u32_e32 vcc_lo, 0, v45
	s_and_b32 s20, s10, vcc_lo
	s_wait_alu 0xfffe
	s_and_saveexec_b32 s10, s20
	s_cbranch_execz .LBB148_47
; %bb.46:                               ;   in Loop: Header=BB148_39 Depth=1
	s_wait_dscnt 0x0
	v_bcnt_u32_b32 v0, v0, v20
	ds_store_b32 v42, v0 offset:4
.LBB148_47:                             ;   in Loop: Header=BB148_39 Depth=1
	s_wait_alu 0xfffe
	s_or_b32 exec_lo, exec_lo, s10
	; wave barrier
	; wave barrier
	s_wait_loadcnt_dscnt 0x0
	global_inv scope:SCOPE_SE
	ds_load_2addr_b32 v[10:11], v61 offset0:1 offset1:2
	ds_load_2addr_b32 v[8:9], v61 offset0:3 offset1:4
	;; [unrolled: 1-line block ×4, first 2 shown]
	s_wait_dscnt 0x3
	v_add_nc_u32_e32 v43, v11, v10
	s_wait_dscnt 0x2
	s_delay_alu instid0(VALU_DEP_1) | instskip(SKIP_1) | instid1(VALU_DEP_1)
	v_add3_u32 v43, v43, v8, v9
	s_wait_dscnt 0x1
	v_add3_u32 v43, v43, v2, v3
	s_wait_dscnt 0x0
	s_delay_alu instid0(VALU_DEP_1) | instskip(NEXT) | instid1(VALU_DEP_1)
	v_add3_u32 v1, v43, v0, v1
	v_mov_b32_dpp v43, v1 row_shr:1 row_mask:0xf bank_mask:0xf
	s_delay_alu instid0(VALU_DEP_1) | instskip(NEXT) | instid1(VALU_DEP_1)
	v_cndmask_b32_e64 v43, v43, 0, s4
	v_add_nc_u32_e32 v1, v43, v1
	s_delay_alu instid0(VALU_DEP_1) | instskip(NEXT) | instid1(VALU_DEP_1)
	v_mov_b32_dpp v43, v1 row_shr:2 row_mask:0xf bank_mask:0xf
	v_cndmask_b32_e64 v43, 0, v43, s5
	s_delay_alu instid0(VALU_DEP_1) | instskip(NEXT) | instid1(VALU_DEP_1)
	v_add_nc_u32_e32 v1, v1, v43
	v_mov_b32_dpp v43, v1 row_shr:4 row_mask:0xf bank_mask:0xf
	s_delay_alu instid0(VALU_DEP_1) | instskip(NEXT) | instid1(VALU_DEP_1)
	v_cndmask_b32_e64 v43, 0, v43, s6
	v_add_nc_u32_e32 v1, v1, v43
	s_delay_alu instid0(VALU_DEP_1) | instskip(NEXT) | instid1(VALU_DEP_1)
	v_mov_b32_dpp v43, v1 row_shr:8 row_mask:0xf bank_mask:0xf
	v_cndmask_b32_e64 v43, 0, v43, s7
	s_delay_alu instid0(VALU_DEP_1) | instskip(SKIP_3) | instid1(VALU_DEP_1)
	v_add_nc_u32_e32 v1, v1, v43
	ds_swizzle_b32 v43, v1 offset:swizzle(BROADCAST,32,15)
	s_wait_dscnt 0x0
	v_cndmask_b32_e64 v43, v43, 0, s8
	v_add_nc_u32_e32 v1, v1, v43
	s_and_saveexec_b32 s10, s9
; %bb.48:                               ;   in Loop: Header=BB148_39 Depth=1
	ds_store_b32 v41, v1
; %bb.49:                               ;   in Loop: Header=BB148_39 Depth=1
	s_wait_alu 0xfffe
	s_or_b32 exec_lo, exec_lo, s10
	ds_bpermute_b32 v1, v38, v1
	; wave barrier
	s_wait_loadcnt_dscnt 0x0
	global_inv scope:SCOPE_SE
	v_cmp_lt_u32_e32 vcc_lo, 55, v4
	s_mov_b32 s10, -1
	s_and_b32 vcc_lo, exec_lo, vcc_lo
	v_cndmask_b32_e64 v1, v1, 0, s15
	s_delay_alu instid0(VALU_DEP_1) | instskip(NEXT) | instid1(VALU_DEP_1)
	v_add_nc_u32_e32 v10, v1, v10
	v_add_nc_u32_e32 v11, v10, v11
	s_delay_alu instid0(VALU_DEP_1) | instskip(NEXT) | instid1(VALU_DEP_1)
	v_add_nc_u32_e32 v8, v11, v8
	v_add_nc_u32_e32 v9, v8, v9
	;; [unrolled: 3-line block ×3, first 2 shown]
	s_delay_alu instid0(VALU_DEP_1)
	v_add_nc_u32_e32 v0, v3, v0
	ds_store_2addr_b32 v61, v1, v10 offset0:1 offset1:2
	ds_store_2addr_b32 v61, v11, v8 offset0:3 offset1:4
	;; [unrolled: 1-line block ×4, first 2 shown]
	; wave barrier
	s_wait_loadcnt_dscnt 0x0
	global_inv scope:SCOPE_SE
	ds_load_b32 v0, v13 offset:4
	ds_load_b32 v1, v15 offset:4
	;; [unrolled: 1-line block ×4, first 2 shown]
	s_wait_dscnt 0x3
	v_add_nc_u32_e32 v44, v0, v12
	s_wait_dscnt 0x2
	v_add3_u32 v43, v16, v14, v1
	s_wait_dscnt 0x1
	v_add3_u32 v42, v19, v17, v2
	;; [unrolled: 2-line block ×3, first 2 shown]
                                        ; implicit-def: $vgpr15_vgpr16
                                        ; implicit-def: $vgpr11_vgpr12
                                        ; implicit-def: $vgpr17_vgpr18
                                        ; implicit-def: $vgpr0_vgpr1
	s_wait_alu 0xfffe
	s_cbranch_vccnz .LBB148_38
; %bb.50:                               ;   in Loop: Header=BB148_39 Depth=1
	v_lshlrev_b32_e32 v0, 3, v44
	v_lshlrev_b32_e32 v1, 3, v43
	;; [unrolled: 1-line block ×4, first 2 shown]
	s_wait_loadcnt 0x0
	; wave barrier
	global_inv scope:SCOPE_SE
	ds_store_b64 v0, v[6:7]
	ds_store_b64 v1, v[36:37]
	;; [unrolled: 1-line block ×4, first 2 shown]
	; wave barrier
	s_wait_loadcnt_dscnt 0x0
	global_inv scope:SCOPE_SE
	ds_load_2addr_b64 v[9:12], v39 offset1:32
	ds_load_2addr_b64 v[13:16], v39 offset0:64 offset1:96
	; wave barrier
	s_wait_loadcnt_dscnt 0x0
	global_inv scope:SCOPE_SE
	ds_store_b64 v0, v[23:24]
	ds_store_b64 v1, v[21:22]
	;; [unrolled: 1-line block ×4, first 2 shown]
	; wave barrier
	s_wait_loadcnt_dscnt 0x0
	global_inv scope:SCOPE_SE
	ds_load_2addr_b64 v[17:20], v39 offset1:32
	ds_load_2addr_b64 v[0:3], v39 offset0:64 offset1:96
	v_add_co_u32 v4, vcc_lo, v4, 8
	s_wait_alu 0xfffd
	v_add_co_ci_u32_e64 v5, null, 0, v5, vcc_lo
	s_add_co_i32 s17, s17, -8
	s_mov_b32 s10, 0
	; wave barrier
	s_wait_loadcnt_dscnt 0x0
	global_inv scope:SCOPE_SE
	s_branch .LBB148_38
.LBB148_51:
	v_lshlrev_b32_e32 v9, 3, v44
	v_lshlrev_b32_e32 v11, 3, v42
	;; [unrolled: 1-line block ×5, first 2 shown]
	s_wait_loadcnt 0x0
	; wave barrier
	global_inv scope:SCOPE_SE
	ds_store_b64 v9, v[6:7]
	ds_store_b64 v10, v[36:37]
	;; [unrolled: 1-line block ×4, first 2 shown]
	; wave barrier
	s_wait_loadcnt_dscnt 0x0
	global_inv scope:SCOPE_SE
	ds_load_b128 v[0:3], v38
	ds_load_b128 v[4:7], v38 offset:16
	; wave barrier
	s_wait_loadcnt_dscnt 0x0
	global_inv scope:SCOPE_SE
	ds_store_b64 v9, v[23:24]
	ds_store_b64 v10, v[21:22]
	;; [unrolled: 1-line block ×4, first 2 shown]
	; wave barrier
	s_wait_loadcnt_dscnt 0x0
	global_inv scope:SCOPE_SE
	v_xor_b32_e32 v18, 0x7fffffff, v1
	v_xor_b32_e32 v17, -1, v0
	v_xor_b32_e32 v20, 0x7fffffff, v3
	v_xor_b32_e32 v19, -1, v2
	;; [unrolled: 2-line block ×4, first 2 shown]
.LBB148_52:
	ds_load_2addr_b64 v[0:3], v38 offset1:1
	ds_load_2addr_b64 v[4:7], v38 offset0:2 offset1:3
	; wave barrier
	s_wait_loadcnt_dscnt 0x0
	global_inv scope:SCOPE_SE
	ds_store_2addr_b64 v60, v[17:18], v[19:20] offset1:1
	ds_store_2addr_b64 v60, v[21:22], v[23:24] offset0:2 offset1:3
	; wave barrier
	s_wait_loadcnt_dscnt 0x0
	global_inv scope:SCOPE_SE
	ds_load_b64 v[14:15], v57 offset:256
	ds_load_b64 v[12:13], v58 offset:512
	;; [unrolled: 1-line block ×3, first 2 shown]
	v_mov_b32_e32 v34, 0
	s_delay_alu instid0(VALU_DEP_1) | instskip(NEXT) | instid1(VALU_DEP_1)
	v_lshlrev_b64_e32 v[10:11], 3, v[33:34]
	v_add_co_u32 v10, vcc_lo, s18, v10
	s_wait_alu 0xfffd
	s_delay_alu instid0(VALU_DEP_2)
	v_add_co_ci_u32_e64 v11, null, s19, v11, vcc_lo
	s_and_saveexec_b32 s4, s0
	s_cbranch_execnz .LBB148_63
; %bb.53:
	s_wait_alu 0xfffe
	s_or_b32 exec_lo, exec_lo, s4
	s_and_saveexec_b32 s4, s1
	s_cbranch_execnz .LBB148_64
.LBB148_54:
	s_wait_alu 0xfffe
	s_or_b32 exec_lo, exec_lo, s4
	s_and_saveexec_b32 s4, s2
	s_cbranch_execnz .LBB148_65
.LBB148_55:
	s_wait_alu 0xfffe
	s_or_b32 exec_lo, exec_lo, s4
	s_and_saveexec_b32 s4, s3
	s_cbranch_execz .LBB148_57
.LBB148_56:
	s_mul_i32 s6, s14, 0x60
	s_mov_b32 s7, 0
	s_wait_alu 0xfffe
	s_lshl_b64 s[6:7], s[6:7], 3
	s_wait_alu 0xfffe
	v_add_co_u32 v10, vcc_lo, v10, s6
	s_wait_alu 0xfffd
	v_add_co_ci_u32_e64 v11, null, s7, v11, vcc_lo
	s_wait_dscnt 0x0
	global_store_b64 v[10:11], v[8:9], off
.LBB148_57:
	s_wait_alu 0xfffe
	s_or_b32 exec_lo, exec_lo, s4
	s_wait_storecnt 0x0
	; wave barrier
	s_wait_loadcnt_dscnt 0x0
	global_inv scope:SCOPE_SE
	ds_store_2addr_b64 v60, v[0:1], v[2:3] offset1:1
	ds_store_2addr_b64 v60, v[4:5], v[6:7] offset0:2 offset1:3
	; wave barrier
	s_wait_loadcnt_dscnt 0x0
	global_inv scope:SCOPE_SE
	ds_load_b64 v[6:7], v57 offset:256
	ds_load_b64 v[4:5], v58 offset:512
	;; [unrolled: 1-line block ×3, first 2 shown]
	v_mov_b32_e32 v36, 0
	s_delay_alu instid0(VALU_DEP_1) | instskip(NEXT) | instid1(VALU_DEP_1)
	v_lshlrev_b64_e32 v[2:3], 3, v[35:36]
	v_add_co_u32 v2, vcc_lo, s12, v2
	s_wait_alu 0xfffd
	s_delay_alu instid0(VALU_DEP_2)
	v_add_co_ci_u32_e64 v3, null, s13, v3, vcc_lo
	s_and_saveexec_b32 s4, s0
	s_cbranch_execnz .LBB148_66
; %bb.58:
	s_wait_alu 0xfffe
	s_or_b32 exec_lo, exec_lo, s4
	s_and_saveexec_b32 s0, s1
	s_cbranch_execnz .LBB148_67
.LBB148_59:
	s_or_b32 exec_lo, exec_lo, s0
	s_and_saveexec_b32 s0, s2
	s_cbranch_execnz .LBB148_68
.LBB148_60:
	s_or_b32 exec_lo, exec_lo, s0
	s_and_saveexec_b32 s0, s3
	s_cbranch_execz .LBB148_62
.LBB148_61:
	s_mul_i32 s0, s16, 0x60
	s_mov_b32 s1, 0
	s_delay_alu instid0(SALU_CYCLE_1) | instskip(NEXT) | instid1(SALU_CYCLE_1)
	s_lshl_b64 s[0:1], s[0:1], 3
	v_add_co_u32 v2, vcc_lo, v2, s0
	s_wait_alu 0xfffd
	v_add_co_ci_u32_e64 v3, null, s1, v3, vcc_lo
	s_wait_dscnt 0x0
	global_store_b64 v[2:3], v[0:1], off
.LBB148_62:
	s_endpgm
.LBB148_63:
	ds_load_b64 v[16:17], v56
	s_wait_dscnt 0x0
	global_store_b64 v[10:11], v[16:17], off
	s_wait_alu 0xfffe
	s_or_b32 exec_lo, exec_lo, s4
	s_and_saveexec_b32 s4, s1
	s_cbranch_execz .LBB148_54
.LBB148_64:
	s_lshl_b32 s6, s14, 5
	s_mov_b32 s7, 0
	s_wait_alu 0xfffe
	s_lshl_b64 s[6:7], s[6:7], 3
	s_wait_alu 0xfffe
	v_add_co_u32 v16, vcc_lo, v10, s6
	s_wait_alu 0xfffd
	v_add_co_ci_u32_e64 v17, null, s7, v11, vcc_lo
	s_wait_dscnt 0x2
	global_store_b64 v[16:17], v[14:15], off
	s_or_b32 exec_lo, exec_lo, s4
	s_and_saveexec_b32 s4, s2
	s_cbranch_execz .LBB148_55
.LBB148_65:
	s_lshl_b32 s6, s14, 6
	s_mov_b32 s7, 0
	s_wait_alu 0xfffe
	s_lshl_b64 s[6:7], s[6:7], 3
	s_wait_dscnt 0x2
	s_wait_alu 0xfffe
	v_add_co_u32 v14, vcc_lo, v10, s6
	s_wait_alu 0xfffd
	v_add_co_ci_u32_e64 v15, null, s7, v11, vcc_lo
	s_wait_dscnt 0x1
	global_store_b64 v[14:15], v[12:13], off
	s_or_b32 exec_lo, exec_lo, s4
	s_and_saveexec_b32 s4, s3
	s_cbranch_execnz .LBB148_56
	s_branch .LBB148_57
.LBB148_66:
	ds_load_b64 v[8:9], v56
	s_wait_dscnt 0x0
	global_store_b64 v[2:3], v[8:9], off
	s_wait_alu 0xfffe
	s_or_b32 exec_lo, exec_lo, s4
	s_and_saveexec_b32 s0, s1
	s_cbranch_execz .LBB148_59
.LBB148_67:
	s_lshl_b32 s4, s16, 5
	s_mov_b32 s5, 0
	s_wait_alu 0xfffe
	s_lshl_b64 s[4:5], s[4:5], 3
	s_wait_alu 0xfffe
	v_add_co_u32 v8, vcc_lo, v2, s4
	s_wait_alu 0xfffd
	v_add_co_ci_u32_e64 v9, null, s5, v3, vcc_lo
	s_wait_dscnt 0x2
	global_store_b64 v[8:9], v[6:7], off
	s_or_b32 exec_lo, exec_lo, s0
	s_and_saveexec_b32 s0, s2
	s_cbranch_execz .LBB148_60
.LBB148_68:
	s_lshl_b32 s4, s16, 6
	s_mov_b32 s5, 0
	s_wait_alu 0xfffe
	s_lshl_b64 s[4:5], s[4:5], 3
	s_wait_dscnt 0x2
	s_wait_alu 0xfffe
	v_add_co_u32 v6, vcc_lo, v2, s4
	s_wait_alu 0xfffd
	v_add_co_ci_u32_e64 v7, null, s5, v3, vcc_lo
	s_wait_dscnt 0x1
	global_store_b64 v[6:7], v[4:5], off
	s_or_b32 exec_lo, exec_lo, s0
	s_and_saveexec_b32 s0, s3
	s_cbranch_execnz .LBB148_61
	s_branch .LBB148_62
	.section	.rodata,"a",@progbits
	.p2align	6, 0x0
	.amdhsa_kernel _ZN2at6native18radixSortKVInPlaceILi2ELin1ELi32ELi4ElljEEvNS_4cuda6detail10TensorInfoIT3_T5_EES6_S6_S6_NS4_IT4_S6_EES6_b
		.amdhsa_group_segment_fixed_size 1056
		.amdhsa_private_segment_fixed_size 0
		.amdhsa_kernarg_size 712
		.amdhsa_user_sgpr_count 2
		.amdhsa_user_sgpr_dispatch_ptr 0
		.amdhsa_user_sgpr_queue_ptr 0
		.amdhsa_user_sgpr_kernarg_segment_ptr 1
		.amdhsa_user_sgpr_dispatch_id 0
		.amdhsa_user_sgpr_private_segment_size 0
		.amdhsa_wavefront_size32 1
		.amdhsa_uses_dynamic_stack 0
		.amdhsa_enable_private_segment 0
		.amdhsa_system_sgpr_workgroup_id_x 1
		.amdhsa_system_sgpr_workgroup_id_y 1
		.amdhsa_system_sgpr_workgroup_id_z 1
		.amdhsa_system_sgpr_workgroup_info 0
		.amdhsa_system_vgpr_workitem_id 2
		.amdhsa_next_free_vgpr 72
		.amdhsa_next_free_sgpr 26
		.amdhsa_reserve_vcc 1
		.amdhsa_float_round_mode_32 0
		.amdhsa_float_round_mode_16_64 0
		.amdhsa_float_denorm_mode_32 3
		.amdhsa_float_denorm_mode_16_64 3
		.amdhsa_fp16_overflow 0
		.amdhsa_workgroup_processor_mode 1
		.amdhsa_memory_ordered 1
		.amdhsa_forward_progress 1
		.amdhsa_inst_pref_size 81
		.amdhsa_round_robin_scheduling 0
		.amdhsa_exception_fp_ieee_invalid_op 0
		.amdhsa_exception_fp_denorm_src 0
		.amdhsa_exception_fp_ieee_div_zero 0
		.amdhsa_exception_fp_ieee_overflow 0
		.amdhsa_exception_fp_ieee_underflow 0
		.amdhsa_exception_fp_ieee_inexact 0
		.amdhsa_exception_int_div_zero 0
	.end_amdhsa_kernel
	.section	.text._ZN2at6native18radixSortKVInPlaceILi2ELin1ELi32ELi4ElljEEvNS_4cuda6detail10TensorInfoIT3_T5_EES6_S6_S6_NS4_IT4_S6_EES6_b,"axG",@progbits,_ZN2at6native18radixSortKVInPlaceILi2ELin1ELi32ELi4ElljEEvNS_4cuda6detail10TensorInfoIT3_T5_EES6_S6_S6_NS4_IT4_S6_EES6_b,comdat
.Lfunc_end148:
	.size	_ZN2at6native18radixSortKVInPlaceILi2ELin1ELi32ELi4ElljEEvNS_4cuda6detail10TensorInfoIT3_T5_EES6_S6_S6_NS4_IT4_S6_EES6_b, .Lfunc_end148-_ZN2at6native18radixSortKVInPlaceILi2ELin1ELi32ELi4ElljEEvNS_4cuda6detail10TensorInfoIT3_T5_EES6_S6_S6_NS4_IT4_S6_EES6_b
                                        ; -- End function
	.set _ZN2at6native18radixSortKVInPlaceILi2ELin1ELi32ELi4ElljEEvNS_4cuda6detail10TensorInfoIT3_T5_EES6_S6_S6_NS4_IT4_S6_EES6_b.num_vgpr, 72
	.set _ZN2at6native18radixSortKVInPlaceILi2ELin1ELi32ELi4ElljEEvNS_4cuda6detail10TensorInfoIT3_T5_EES6_S6_S6_NS4_IT4_S6_EES6_b.num_agpr, 0
	.set _ZN2at6native18radixSortKVInPlaceILi2ELin1ELi32ELi4ElljEEvNS_4cuda6detail10TensorInfoIT3_T5_EES6_S6_S6_NS4_IT4_S6_EES6_b.numbered_sgpr, 26
	.set _ZN2at6native18radixSortKVInPlaceILi2ELin1ELi32ELi4ElljEEvNS_4cuda6detail10TensorInfoIT3_T5_EES6_S6_S6_NS4_IT4_S6_EES6_b.num_named_barrier, 0
	.set _ZN2at6native18radixSortKVInPlaceILi2ELin1ELi32ELi4ElljEEvNS_4cuda6detail10TensorInfoIT3_T5_EES6_S6_S6_NS4_IT4_S6_EES6_b.private_seg_size, 0
	.set _ZN2at6native18radixSortKVInPlaceILi2ELin1ELi32ELi4ElljEEvNS_4cuda6detail10TensorInfoIT3_T5_EES6_S6_S6_NS4_IT4_S6_EES6_b.uses_vcc, 1
	.set _ZN2at6native18radixSortKVInPlaceILi2ELin1ELi32ELi4ElljEEvNS_4cuda6detail10TensorInfoIT3_T5_EES6_S6_S6_NS4_IT4_S6_EES6_b.uses_flat_scratch, 0
	.set _ZN2at6native18radixSortKVInPlaceILi2ELin1ELi32ELi4ElljEEvNS_4cuda6detail10TensorInfoIT3_T5_EES6_S6_S6_NS4_IT4_S6_EES6_b.has_dyn_sized_stack, 0
	.set _ZN2at6native18radixSortKVInPlaceILi2ELin1ELi32ELi4ElljEEvNS_4cuda6detail10TensorInfoIT3_T5_EES6_S6_S6_NS4_IT4_S6_EES6_b.has_recursion, 0
	.set _ZN2at6native18radixSortKVInPlaceILi2ELin1ELi32ELi4ElljEEvNS_4cuda6detail10TensorInfoIT3_T5_EES6_S6_S6_NS4_IT4_S6_EES6_b.has_indirect_call, 0
	.section	.AMDGPU.csdata,"",@progbits
; Kernel info:
; codeLenInByte = 10308
; TotalNumSgprs: 28
; NumVgprs: 72
; ScratchSize: 0
; MemoryBound: 0
; FloatMode: 240
; IeeeMode: 1
; LDSByteSize: 1056 bytes/workgroup (compile time only)
; SGPRBlocks: 0
; VGPRBlocks: 8
; NumSGPRsForWavesPerEU: 28
; NumVGPRsForWavesPerEU: 72
; Occupancy: 16
; WaveLimiterHint : 1
; COMPUTE_PGM_RSRC2:SCRATCH_EN: 0
; COMPUTE_PGM_RSRC2:USER_SGPR: 2
; COMPUTE_PGM_RSRC2:TRAP_HANDLER: 0
; COMPUTE_PGM_RSRC2:TGID_X_EN: 1
; COMPUTE_PGM_RSRC2:TGID_Y_EN: 1
; COMPUTE_PGM_RSRC2:TGID_Z_EN: 1
; COMPUTE_PGM_RSRC2:TIDIG_COMP_CNT: 2
	.section	.text._ZN2at6native18radixSortKVInPlaceILi2ELin1ELi16ELi2ElljEEvNS_4cuda6detail10TensorInfoIT3_T5_EES6_S6_S6_NS4_IT4_S6_EES6_b,"axG",@progbits,_ZN2at6native18radixSortKVInPlaceILi2ELin1ELi16ELi2ElljEEvNS_4cuda6detail10TensorInfoIT3_T5_EES6_S6_S6_NS4_IT4_S6_EES6_b,comdat
	.protected	_ZN2at6native18radixSortKVInPlaceILi2ELin1ELi16ELi2ElljEEvNS_4cuda6detail10TensorInfoIT3_T5_EES6_S6_S6_NS4_IT4_S6_EES6_b ; -- Begin function _ZN2at6native18radixSortKVInPlaceILi2ELin1ELi16ELi2ElljEEvNS_4cuda6detail10TensorInfoIT3_T5_EES6_S6_S6_NS4_IT4_S6_EES6_b
	.globl	_ZN2at6native18radixSortKVInPlaceILi2ELin1ELi16ELi2ElljEEvNS_4cuda6detail10TensorInfoIT3_T5_EES6_S6_S6_NS4_IT4_S6_EES6_b
	.p2align	8
	.type	_ZN2at6native18radixSortKVInPlaceILi2ELin1ELi16ELi2ElljEEvNS_4cuda6detail10TensorInfoIT3_T5_EES6_S6_S6_NS4_IT4_S6_EES6_b,@function
_ZN2at6native18radixSortKVInPlaceILi2ELin1ELi16ELi2ElljEEvNS_4cuda6detail10TensorInfoIT3_T5_EES6_S6_S6_NS4_IT4_S6_EES6_b: ; @_ZN2at6native18radixSortKVInPlaceILi2ELin1ELi16ELi2ElljEEvNS_4cuda6detail10TensorInfoIT3_T5_EES6_S6_S6_NS4_IT4_S6_EES6_b
; %bb.0:
	s_clause 0x1
	s_load_b64 s[2:3], s[0:1], 0x1c8
	s_load_b96 s[16:18], s[0:1], 0xd8
	s_lshr_b32 s4, ttmp7, 16
	s_wait_kmcnt 0x0
	s_mul_i32 s3, s3, s4
	s_and_b32 s4, ttmp7, 0xffff
	s_delay_alu instid0(SALU_CYCLE_1) | instskip(NEXT) | instid1(SALU_CYCLE_1)
	s_add_co_i32 s3, s3, s4
	s_mul_i32 s2, s3, s2
	s_delay_alu instid0(SALU_CYCLE_1) | instskip(NEXT) | instid1(SALU_CYCLE_1)
	s_add_co_i32 s4, s2, ttmp9
	s_cmp_ge_u32 s4, s16
	s_cbranch_scc1 .LBB149_54
; %bb.1:
	s_clause 0x2
	s_load_b32 s14, s[0:1], 0xc
	s_load_b64 s[6:7], s[0:1], 0x6c
	s_load_b32 s12, s[0:1], 0x1b8
	s_mov_b32 s5, 0
	s_add_nc_u64 s[8:9], s[0:1], 0xe8
	s_mov_b32 s11, s5
	s_wait_kmcnt 0x0
	s_cvt_f32_u32 s2, s14
	s_sub_co_i32 s3, 0, s14
	s_delay_alu instid0(SALU_CYCLE_2) | instskip(NEXT) | instid1(TRANS32_DEP_1)
	v_rcp_iflag_f32_e32 v1, s2
	v_readfirstlane_b32 s2, v1
	s_mul_f32 s2, s2, 0x4f7ffffe
	s_wait_alu 0xfffe
	s_delay_alu instid0(SALU_CYCLE_2) | instskip(SKIP_1) | instid1(SALU_CYCLE_2)
	s_cvt_u32_f32 s2, s2
	s_wait_alu 0xfffe
	s_mul_i32 s3, s3, s2
	s_wait_alu 0xfffe
	s_mul_hi_u32 s3, s2, s3
	s_wait_alu 0xfffe
	s_add_co_i32 s10, s2, s3
	s_cmp_lt_i32 s12, 2
	s_mov_b32 s2, s4
	s_mov_b32 s3, s5
	s_cbranch_scc1 .LBB149_4
; %bb.2:
	s_add_co_i32 s2, s12, -1
	s_mov_b32 s3, 0
	s_add_co_i32 s15, s12, 1
	s_wait_alu 0xfffe
	s_lshl_b64 s[20:21], s[2:3], 2
	s_mov_b32 s2, s4
	s_add_nc_u64 s[20:21], s[8:9], s[20:21]
	s_delay_alu instid0(SALU_CYCLE_1)
	s_add_nc_u64 s[12:13], s[20:21], 8
.LBB149_3:                              ; =>This Inner Loop Header: Depth=1
	s_clause 0x1
	s_load_b32 s16, s[12:13], 0x0
	s_load_b32 s19, s[12:13], 0x64
	s_mov_b32 s22, s2
	s_add_nc_u64 s[12:13], s[12:13], -4
	s_wait_kmcnt 0x0
	s_cvt_f32_u32 s20, s16
	s_sub_co_i32 s21, 0, s16
	s_wait_alu 0xfffe
	s_delay_alu instid0(SALU_CYCLE_1) | instskip(NEXT) | instid1(TRANS32_DEP_1)
	v_rcp_iflag_f32_e32 v1, s20
	v_readfirstlane_b32 s20, v1
	s_mul_f32 s20, s20, 0x4f7ffffe
	s_wait_alu 0xfffe
	s_delay_alu instid0(SALU_CYCLE_2) | instskip(SKIP_1) | instid1(SALU_CYCLE_2)
	s_cvt_u32_f32 s20, s20
	s_wait_alu 0xfffe
	s_mul_i32 s21, s21, s20
	s_wait_alu 0xfffe
	s_mul_hi_u32 s21, s20, s21
	s_wait_alu 0xfffe
	s_add_co_i32 s20, s20, s21
	s_wait_alu 0xfffe
	s_mul_hi_u32 s2, s2, s20
	s_wait_alu 0xfffe
	s_mul_i32 s20, s2, s16
	s_add_co_i32 s21, s2, 1
	s_wait_alu 0xfffe
	s_sub_co_i32 s20, s22, s20
	s_wait_alu 0xfffe
	s_sub_co_i32 s23, s20, s16
	s_cmp_ge_u32 s20, s16
	s_cselect_b32 s2, s21, s2
	s_cselect_b32 s20, s23, s20
	s_wait_alu 0xfffe
	s_add_co_i32 s21, s2, 1
	s_cmp_ge_u32 s20, s16
	s_wait_alu 0xfffe
	s_cselect_b32 s2, s21, s2
	s_add_co_i32 s15, s15, -1
	s_wait_alu 0xfffe
	s_mul_i32 s16, s2, s16
	s_delay_alu instid0(SALU_CYCLE_1) | instskip(NEXT) | instid1(SALU_CYCLE_1)
	s_sub_co_i32 s16, s22, s16
	s_mul_i32 s16, s19, s16
	s_delay_alu instid0(SALU_CYCLE_1)
	s_add_co_i32 s3, s16, s3
	s_cmp_gt_u32 s15, 2
	s_cbranch_scc1 .LBB149_3
.LBB149_4:
	s_mul_u64 s[10:11], s[4:5], s[10:11]
	s_clause 0x1
	s_load_b64 s[12:13], s[0:1], 0x0
	s_load_b64 s[20:21], s[0:1], 0x1c0
	s_mul_i32 s5, s11, s14
	s_add_co_i32 s1, s11, 1
	s_sub_co_i32 s0, s4, s5
	v_mul_lo_u32 v20, s18, v0
	s_sub_co_i32 s5, s0, s14
	s_cmp_ge_u32 s0, s14
	s_cselect_b32 s1, s1, s11
	s_cselect_b32 s0, s5, s0
	s_add_co_i32 s5, s1, 1
	s_cmp_ge_u32 s0, s14
	s_cselect_b32 s0, s5, s1
	s_mov_b32 s1, 0
	s_mul_i32 s5, s0, s14
	s_mul_i32 s0, s0, s6
	s_sub_co_i32 s4, s4, s5
	s_brev_b32 s5, 1
	s_mul_i32 s4, s4, s7
	s_delay_alu instid0(SALU_CYCLE_1)
	s_add_co_i32 s0, s0, s4
	s_wait_kmcnt 0x0
	s_bitcmp1_b32 s21, 0
	s_cselect_b32 s10, -1, 0
	s_lshl_b64 s[14:15], s[0:1], 3
	s_and_b32 s0, s10, exec_lo
	s_cselect_b32 s4, 0, -1
	s_cselect_b32 s5, s5, 0x7fffffff
	s_mov_b32 s6, s4
	s_mov_b32 s7, s5
	v_dual_mov_b32 v1, s4 :: v_dual_mov_b32 v2, s5
	v_cmp_gt_u32_e64 s0, s17, v0
	v_dual_mov_b32 v3, s6 :: v_dual_mov_b32 v4, s7
	v_dual_mov_b32 v6, s5 :: v_dual_mov_b32 v5, s4
	s_add_nc_u64 s[22:23], s[12:13], s[14:15]
	s_and_saveexec_b32 s1, s0
	s_cbranch_execz .LBB149_6
; %bb.5:
	v_mov_b32_e32 v21, 0
	s_delay_alu instid0(VALU_DEP_1) | instskip(NEXT) | instid1(VALU_DEP_1)
	v_lshlrev_b64_e32 v[1:2], 3, v[20:21]
	v_add_co_u32 v1, vcc_lo, s22, v1
	s_delay_alu instid0(VALU_DEP_1)
	v_add_co_ci_u32_e64 v2, null, s23, v2, vcc_lo
	global_load_b64 v[5:6], v[1:2], off
	v_dual_mov_b32 v1, s4 :: v_dual_mov_b32 v4, s7
	v_dual_mov_b32 v3, s6 :: v_dual_mov_b32 v2, s5
.LBB149_6:
	s_or_b32 exec_lo, exec_lo, s1
	s_clause 0x1
	s_load_b32 s6, s[8:9], 0x6c
	s_load_b64 s[4:5], s[8:9], 0x0
	v_or_b32_e32 v7, 16, v0
	s_delay_alu instid0(VALU_DEP_1)
	v_cmp_gt_u32_e64 s1, s17, v7
	s_and_saveexec_b32 s7, s1
	s_cbranch_execz .LBB149_8
; %bb.7:
	v_mul_lo_u32 v1, s18, v7
	v_mov_b32_e32 v2, 0
	s_delay_alu instid0(VALU_DEP_1) | instskip(NEXT) | instid1(VALU_DEP_1)
	v_lshlrev_b64_e32 v[1:2], 3, v[1:2]
	v_add_co_u32 v1, vcc_lo, s22, v1
	s_wait_alu 0xfffd
	s_delay_alu instid0(VALU_DEP_2)
	v_add_co_ci_u32_e64 v2, null, s23, v2, vcc_lo
	global_load_b64 v[3:4], v[1:2], off
.LBB149_8:
	s_wait_alu 0xfffe
	s_or_b32 exec_lo, exec_lo, s7
	v_dual_mov_b32 v18, 0 :: v_dual_lshlrev_b32 v29, 3, v0
	v_lshlrev_b32_e32 v30, 4, v0
	s_wait_kmcnt 0x0
	s_mul_i32 s2, s6, s2
	v_mul_lo_u32 v17, s20, v0
	s_wait_loadcnt 0x0
	ds_store_2addr_b64 v29, v[5:6], v[3:4] offset1:16
	s_wait_dscnt 0x0
	; wave barrier
	global_inv scope:SCOPE_SE
	v_mov_b32_e32 v5, 0
	ds_load_2addr_b64 v[1:4], v30 offset1:1
	s_wait_alu 0xfffe
	s_add_co_i32 s2, s2, s3
	s_mov_b32 s3, 0
	v_dual_mov_b32 v6, 0 :: v_dual_mov_b32 v19, v18
	s_wait_alu 0xfffe
	s_lshl_b64 s[2:3], s[2:3], 3
	s_wait_loadcnt_dscnt 0x0
	s_wait_alu 0xfffe
	s_add_nc_u64 s[16:17], s[4:5], s[2:3]
	; wave barrier
	global_inv scope:SCOPE_SE
	s_and_saveexec_b32 s2, s0
	s_cbranch_execz .LBB149_10
; %bb.9:
	v_lshlrev_b64_e32 v[5:6], 3, v[17:18]
	v_mov_b32_e32 v19, v18
	s_wait_alu 0xfffe
	s_delay_alu instid0(VALU_DEP_2) | instskip(SKIP_1) | instid1(VALU_DEP_3)
	v_add_co_u32 v5, vcc_lo, s16, v5
	s_wait_alu 0xfffd
	v_add_co_ci_u32_e64 v6, null, s17, v6, vcc_lo
	global_load_b64 v[5:6], v[5:6], off
.LBB149_10:
	s_wait_alu 0xfffe
	s_or_b32 exec_lo, exec_lo, s2
	s_xor_b32 s8, s10, -1
	s_and_saveexec_b32 s2, s1
	s_cbranch_execz .LBB149_12
; %bb.11:
	v_mul_lo_u32 v7, s20, v7
	v_mov_b32_e32 v8, 0
	s_delay_alu instid0(VALU_DEP_1) | instskip(NEXT) | instid1(VALU_DEP_1)
	v_lshlrev_b64_e32 v[7:8], 3, v[7:8]
	v_add_co_u32 v7, vcc_lo, s16, v7
	s_wait_alu 0xfffd
	s_delay_alu instid0(VALU_DEP_2)
	v_add_co_ci_u32_e64 v8, null, s17, v8, vcc_lo
	global_load_b64 v[18:19], v[7:8], off
.LBB149_12:
	s_wait_alu 0xfffe
	s_or_b32 exec_lo, exec_lo, s2
	v_mbcnt_lo_u32_b32 v9, -1, 0
	s_getpc_b64 s[2:3]
	s_wait_alu 0xfffe
	s_sext_i32_i16 s3, s3
	s_add_co_u32 s2, s2, _ZN7rocprim17ROCPRIM_400000_NS16block_radix_sortIlLj16ELj2ElLj1ELj1ELj0ELNS0_26block_radix_rank_algorithmE1ELNS0_18block_padding_hintE2ELNS0_4arch9wavefront6targetE0EE19radix_bits_per_passE@rel32@lo+12
	s_wait_alu 0xfffe
	s_add_co_ci_u32 s3, s3, _ZN7rocprim17ROCPRIM_400000_NS16block_radix_sortIlLj16ELj2ElLj1ELj1ELj0ELNS0_26block_radix_rank_algorithmE1ELNS0_18block_padding_hintE2ELNS0_4arch9wavefront6targetE0EE19radix_bits_per_passE@rel32@hi+24
	s_wait_loadcnt 0x0
	ds_store_2addr_b64 v29, v[5:6], v[18:19] offset1:16
	s_wait_dscnt 0x0
	; wave barrier
	global_inv scope:SCOPE_SE
	ds_load_2addr_b64 v[5:8], v30 offset1:1
	v_sub_co_u32 v11, s15, v9, 1
	v_and_b32_e32 v12, 16, v9
	s_load_b32 s19, s[2:3], 0x0
	v_and_b32_e32 v10, 15, v9
	v_cmp_gt_u32_e64 s2, 0x80, v0
	v_cmp_eq_u32_e64 s7, 15, v0
	v_cmp_lt_i32_e32 vcc_lo, v11, v12
	v_lshlrev_b32_e32 v32, 5, v0
	v_cmp_eq_u32_e64 s3, 0, v10
	v_cmp_lt_u32_e64 s4, 1, v10
	v_cmp_lt_u32_e64 s5, 3, v10
	s_wait_alu 0xfffd
	v_cndmask_b32_e32 v9, v11, v9, vcc_lo
	v_cmp_lt_u32_e64 s6, 7, v10
	v_sub_nc_u32_e32 v31, v32, v30
	s_and_b32 vcc_lo, exec_lo, s8
	v_cmp_gt_u32_e64 s8, 0x70, v0
	v_lshlrev_b32_e32 v33, 2, v9
	v_cmp_gt_u32_e64 s9, 0x60, v0
	v_cmp_gt_u32_e64 s10, 0x50, v0
	;; [unrolled: 1-line block ×6, first 2 shown]
	s_mov_b32 s21, -1
	; wave barrier
	s_wait_loadcnt_dscnt 0x0
	global_inv scope:SCOPE_SE
                                        ; implicit-def: $vgpr15_vgpr16
                                        ; implicit-def: $vgpr11_vgpr12
	s_wait_alu 0xfffe
	s_cbranch_vccz .LBB149_29
; %bb.13:
	v_dual_mov_b32 v25, 0 :: v_dual_mov_b32 v14, v6
	v_dual_mov_b32 v35, 0 :: v_dual_mov_b32 v16, v8
	v_xor_b32_e32 v10, 0x80000000, v2
	v_dual_mov_b32 v9, v1 :: v_dual_lshlrev_b32 v34, 2, v0
	v_xor_b32_e32 v12, 0x80000000, v4
	v_dual_mov_b32 v11, v3 :: v_dual_mov_b32 v26, 0
	v_mov_b32_e32 v13, v5
	v_mov_b32_e32 v15, v7
	s_mov_b32 s21, 64
	s_branch .LBB149_15
.LBB149_14:                             ;   in Loop: Header=BB149_15 Depth=1
	s_wait_alu 0xfffe
	s_and_not1_b32 vcc_lo, exec_lo, s24
	s_wait_alu 0xfffe
	s_cbranch_vccz .LBB149_28
.LBB149_15:                             ; =>This Inner Loop Header: Depth=1
	v_dual_mov_b32 v24, v12 :: v_dual_mov_b32 v23, v11
	v_dual_mov_b32 v28, v10 :: v_dual_mov_b32 v27, v9
	;; [unrolled: 1-line block ×4, first 2 shown]
	s_and_saveexec_b32 s24, s2
	s_cbranch_execz .LBB149_24
; %bb.16:                               ;   in Loop: Header=BB149_15 Depth=1
	ds_store_b32 v34, v35
	s_and_b32 exec_lo, exec_lo, s8
	s_cbranch_execz .LBB149_24
; %bb.17:                               ;   in Loop: Header=BB149_15 Depth=1
	ds_store_b32 v34, v35 offset:64
	s_and_b32 exec_lo, exec_lo, s9
	s_cbranch_execz .LBB149_24
; %bb.18:                               ;   in Loop: Header=BB149_15 Depth=1
	ds_store_b32 v34, v35 offset:128
	;; [unrolled: 4-line block ×6, first 2 shown]
	s_and_b32 exec_lo, exec_lo, s14
; %bb.23:                               ;   in Loop: Header=BB149_15 Depth=1
	ds_store_b32 v34, v35 offset:448
.LBB149_24:                             ;   in Loop: Header=BB149_15 Depth=1
	s_wait_alu 0xfffe
	s_or_b32 exec_lo, exec_lo, s24
	s_wait_kmcnt 0x0
	s_min_u32 s24, s19, s21
	v_lshrrev_b64 v[9:10], v25, v[27:28]
	s_wait_alu 0xfffe
	s_lshl_b32 s24, -1, s24
	s_wait_alu 0xfffe
	s_not_b32 s24, s24
	s_wait_alu 0xfffe
	v_and_b32_e32 v9, s24, v9
	s_delay_alu instid0(VALU_DEP_1) | instskip(SKIP_1) | instid1(VALU_DEP_2)
	v_lshlrev_b32_e32 v10, 4, v9
	v_lshrrev_b32_e32 v9, 2, v9
	v_and_or_b32 v10, 0x70, v10, v0
	s_delay_alu instid0(VALU_DEP_2) | instskip(NEXT) | instid1(VALU_DEP_1)
	v_and_b32_e32 v9, 0x1ffffffe, v9
	v_lshl_add_u32 v36, v10, 2, v9
	v_lshrrev_b64 v[9:10], v25, v[23:24]
	ds_load_u16 v37, v36
	v_and_b32_e32 v9, s24, v9
	s_delay_alu instid0(VALU_DEP_1) | instskip(SKIP_1) | instid1(VALU_DEP_2)
	v_lshlrev_b32_e32 v10, 4, v9
	v_lshrrev_b32_e32 v9, 2, v9
	v_and_or_b32 v10, 0x70, v10, v0
	s_delay_alu instid0(VALU_DEP_2) | instskip(NEXT) | instid1(VALU_DEP_1)
	v_and_b32_e32 v9, 0x1ffffffe, v9
	v_lshl_add_u32 v38, v10, 2, v9
	s_wait_dscnt 0x0
	v_add_nc_u16 v11, v37, 1
	ds_store_b16 v36, v11
	ds_load_u16 v39, v38
	s_wait_dscnt 0x0
	v_add_nc_u16 v9, v39, 1
	ds_store_b16 v38, v9
	; wave barrier
	s_wait_loadcnt_dscnt 0x0
	global_inv scope:SCOPE_SE
	ds_load_b128 v[13:16], v32
	ds_load_b128 v[9:12], v32 offset:16
	s_wait_dscnt 0x1
	v_add_nc_u32_e32 v40, v14, v13
	s_delay_alu instid0(VALU_DEP_1) | instskip(SKIP_1) | instid1(VALU_DEP_1)
	v_add3_u32 v40, v40, v15, v16
	s_wait_dscnt 0x0
	v_add3_u32 v40, v40, v9, v10
	s_delay_alu instid0(VALU_DEP_1) | instskip(NEXT) | instid1(VALU_DEP_1)
	v_add3_u32 v12, v40, v11, v12
	v_mov_b32_dpp v40, v12 row_shr:1 row_mask:0xf bank_mask:0xf
	s_delay_alu instid0(VALU_DEP_1) | instskip(NEXT) | instid1(VALU_DEP_1)
	v_cndmask_b32_e64 v40, v40, 0, s3
	v_add_nc_u32_e32 v12, v40, v12
	s_delay_alu instid0(VALU_DEP_1) | instskip(NEXT) | instid1(VALU_DEP_1)
	v_mov_b32_dpp v40, v12 row_shr:2 row_mask:0xf bank_mask:0xf
	v_cndmask_b32_e64 v40, 0, v40, s4
	s_delay_alu instid0(VALU_DEP_1) | instskip(NEXT) | instid1(VALU_DEP_1)
	v_add_nc_u32_e32 v12, v12, v40
	v_mov_b32_dpp v40, v12 row_shr:4 row_mask:0xf bank_mask:0xf
	s_delay_alu instid0(VALU_DEP_1) | instskip(NEXT) | instid1(VALU_DEP_1)
	v_cndmask_b32_e64 v40, 0, v40, s5
	v_add_nc_u32_e32 v12, v12, v40
	s_delay_alu instid0(VALU_DEP_1) | instskip(NEXT) | instid1(VALU_DEP_1)
	v_mov_b32_dpp v40, v12 row_shr:8 row_mask:0xf bank_mask:0xf
	v_cndmask_b32_e64 v40, 0, v40, s6
	s_delay_alu instid0(VALU_DEP_1)
	v_add_nc_u32_e32 v12, v12, v40
	s_and_saveexec_b32 s24, s7
; %bb.25:                               ;   in Loop: Header=BB149_15 Depth=1
	ds_store_b32 v35, v12 offset:512
; %bb.26:                               ;   in Loop: Header=BB149_15 Depth=1
	s_wait_alu 0xfffe
	s_or_b32 exec_lo, exec_lo, s24
	ds_bpermute_b32 v12, v33, v12
	; wave barrier
	s_wait_loadcnt_dscnt 0x0
	global_inv scope:SCOPE_SE
	ds_load_b32 v40, v35 offset:512
	v_cmp_lt_u32_e32 vcc_lo, 59, v25
	s_mov_b32 s24, -1
	s_and_b32 vcc_lo, exec_lo, vcc_lo
	v_cndmask_b32_e64 v12, v12, 0, s15
	s_wait_dscnt 0x0
	s_delay_alu instid0(VALU_DEP_1) | instskip(NEXT) | instid1(VALU_DEP_1)
	v_lshl_add_u32 v12, v40, 16, v12
	v_add_nc_u32_e32 v13, v12, v13
	s_delay_alu instid0(VALU_DEP_1) | instskip(NEXT) | instid1(VALU_DEP_1)
	v_add_nc_u32_e32 v14, v13, v14
	v_add_nc_u32_e32 v15, v14, v15
	s_delay_alu instid0(VALU_DEP_1) | instskip(NEXT) | instid1(VALU_DEP_1)
	v_add_nc_u32_e32 v40, v15, v16
	v_add_nc_u32_e32 v41, v40, v9
	s_delay_alu instid0(VALU_DEP_1) | instskip(NEXT) | instid1(VALU_DEP_1)
	v_add_nc_u32_e32 v42, v41, v10
	v_add_nc_u32_e32 v43, v42, v11
	v_and_b32_e32 v11, 0xffff, v37
	ds_store_b128 v32, v[12:15]
	ds_store_b128 v32, v[40:43] offset:16
	; wave barrier
	s_wait_loadcnt_dscnt 0x0
	global_inv scope:SCOPE_SE
	ds_load_u16 v9, v36
	ds_load_u16 v10, v38
	v_and_b32_e32 v12, 0xffff, v39
                                        ; implicit-def: $vgpr15_vgpr16
	s_wait_dscnt 0x1
	v_add_nc_u32_e32 v37, v9, v11
	s_wait_dscnt 0x0
	s_delay_alu instid0(VALU_DEP_2)
	v_add_nc_u32_e32 v36, v10, v12
                                        ; implicit-def: $vgpr11_vgpr12
	s_wait_alu 0xfffe
	s_cbranch_vccnz .LBB149_14
; %bb.27:                               ;   in Loop: Header=BB149_15 Depth=1
	v_lshlrev_b32_e32 v13, 3, v37
	s_delay_alu instid0(VALU_DEP_2)
	v_lshlrev_b32_e32 v14, 3, v36
	s_wait_loadcnt 0x0
	; wave barrier
	global_inv scope:SCOPE_SE
	v_add_co_u32 v25, vcc_lo, v25, 4
	ds_store_b64 v13, v[27:28]
	ds_store_b64 v14, v[23:24]
	; wave barrier
	s_wait_loadcnt_dscnt 0x0
	global_inv scope:SCOPE_SE
	ds_load_b128 v[9:12], v31
	; wave barrier
	s_wait_loadcnt_dscnt 0x0
	global_inv scope:SCOPE_SE
	ds_store_b64 v13, v[21:22]
	ds_store_b64 v14, v[18:19]
	; wave barrier
	s_wait_loadcnt_dscnt 0x0
	global_inv scope:SCOPE_SE
	ds_load_b128 v[13:16], v31
	s_wait_alu 0xfffd
	v_add_co_ci_u32_e64 v26, null, 0, v26, vcc_lo
	s_add_co_i32 s21, s21, -4
	s_mov_b32 s24, 0
	; wave barrier
	s_wait_loadcnt_dscnt 0x0
	global_inv scope:SCOPE_SE
	s_branch .LBB149_14
.LBB149_28:
	v_lshlrev_b32_e32 v9, 3, v37
	v_lshlrev_b32_e32 v10, 3, v36
	s_wait_loadcnt 0x0
	; wave barrier
	global_inv scope:SCOPE_SE
	s_mov_b32 s21, 0
	ds_store_b64 v9, v[27:28]
	ds_store_b64 v10, v[23:24]
	; wave barrier
	s_wait_loadcnt_dscnt 0x0
	global_inv scope:SCOPE_SE
	ds_load_b128 v[13:16], v31
	; wave barrier
	s_wait_loadcnt_dscnt 0x0
	global_inv scope:SCOPE_SE
	ds_store_b64 v9, v[21:22]
	ds_store_b64 v10, v[18:19]
	; wave barrier
	s_wait_loadcnt_dscnt 0x0
	global_inv scope:SCOPE_SE
	ds_load_b128 v[9:12], v31
	v_xor_b32_e32 v14, 0x80000000, v14
	v_xor_b32_e32 v16, 0x80000000, v16
.LBB149_29:
	s_wait_alu 0xfffe
	s_and_b32 vcc_lo, exec_lo, s21
	s_wait_alu 0xfffe
	s_cbranch_vccz .LBB149_46
; %bb.30:
	s_wait_dscnt 0x0
	v_mul_i32_i24_e32 v9, -12, v0
	v_dual_mov_b32 v13, 0 :: v_dual_mov_b32 v22, 0
	v_xor_b32_e32 v2, 0x7fffffff, v2
	v_xor_b32_e32 v1, -1, v1
	v_xor_b32_e32 v4, 0x7fffffff, v4
	v_xor_b32_e32 v3, -1, v3
	v_cmp_gt_u32_e64 s8, 0x70, v0
	v_cmp_gt_u32_e64 s9, 0x60, v0
	;; [unrolled: 1-line block ×7, first 2 shown]
	v_dual_mov_b32 v14, 0 :: v_dual_add_nc_u32 v21, v31, v9
	s_mov_b32 s21, 64
	s_branch .LBB149_32
.LBB149_31:                             ;   in Loop: Header=BB149_32 Depth=1
	s_wait_alu 0xfffe
	s_and_not1_b32 vcc_lo, exec_lo, s24
	s_wait_alu 0xfffe
	s_cbranch_vccz .LBB149_45
.LBB149_32:                             ; =>This Inner Loop Header: Depth=1
	v_dual_mov_b32 v16, v4 :: v_dual_mov_b32 v15, v3
	v_dual_mov_b32 v19, v2 :: v_dual_mov_b32 v18, v1
	;; [unrolled: 1-line block ×4, first 2 shown]
	s_and_saveexec_b32 s24, s2
	s_cbranch_execz .LBB149_41
; %bb.33:                               ;   in Loop: Header=BB149_32 Depth=1
	ds_store_b32 v21, v22
	s_and_b32 exec_lo, exec_lo, s8
	s_cbranch_execz .LBB149_41
; %bb.34:                               ;   in Loop: Header=BB149_32 Depth=1
	ds_store_b32 v21, v22 offset:64
	s_and_b32 exec_lo, exec_lo, s9
	s_cbranch_execz .LBB149_41
; %bb.35:                               ;   in Loop: Header=BB149_32 Depth=1
	ds_store_b32 v21, v22 offset:128
	;; [unrolled: 4-line block ×6, first 2 shown]
	s_and_b32 exec_lo, exec_lo, s14
; %bb.40:                               ;   in Loop: Header=BB149_32 Depth=1
	ds_store_b32 v21, v22 offset:448
.LBB149_41:                             ;   in Loop: Header=BB149_32 Depth=1
	s_wait_alu 0xfffe
	s_or_b32 exec_lo, exec_lo, s24
	s_wait_kmcnt 0x0
	s_min_u32 s24, s19, s21
	v_lshrrev_b64 v[1:2], v13, v[18:19]
	s_wait_alu 0xfffe
	s_lshl_b32 s24, -1, s24
	s_wait_alu 0xfffe
	s_not_b32 s24, s24
	s_wait_alu 0xfffe
	v_and_b32_e32 v1, s24, v1
	s_delay_alu instid0(VALU_DEP_1) | instskip(SKIP_1) | instid1(VALU_DEP_2)
	v_lshlrev_b32_e32 v2, 4, v1
	v_lshrrev_b32_e32 v1, 2, v1
	v_and_or_b32 v2, 0x70, v2, v0
	s_delay_alu instid0(VALU_DEP_2) | instskip(NEXT) | instid1(VALU_DEP_1)
	v_and_b32_e32 v1, 0x1ffffffe, v1
	v_lshl_add_u32 v23, v2, 2, v1
	v_lshrrev_b64 v[1:2], v13, v[15:16]
	ds_load_u16 v24, v23
	v_and_b32_e32 v1, s24, v1
	s_delay_alu instid0(VALU_DEP_1) | instskip(SKIP_1) | instid1(VALU_DEP_2)
	v_lshlrev_b32_e32 v2, 4, v1
	v_lshrrev_b32_e32 v1, 2, v1
	v_and_or_b32 v2, 0x70, v2, v0
	s_delay_alu instid0(VALU_DEP_2) | instskip(NEXT) | instid1(VALU_DEP_1)
	v_and_b32_e32 v1, 0x1ffffffe, v1
	v_lshl_add_u32 v25, v2, 2, v1
	s_wait_dscnt 0x0
	v_add_nc_u16 v3, v24, 1
	ds_store_b16 v23, v3
	ds_load_u16 v26, v25
	s_wait_dscnt 0x0
	v_add_nc_u16 v1, v26, 1
	ds_store_b16 v25, v1
	; wave barrier
	s_wait_loadcnt_dscnt 0x0
	global_inv scope:SCOPE_SE
	ds_load_b128 v[5:8], v32
	ds_load_b128 v[1:4], v32 offset:16
	s_wait_dscnt 0x1
	v_add_nc_u32_e32 v27, v6, v5
	s_delay_alu instid0(VALU_DEP_1) | instskip(SKIP_1) | instid1(VALU_DEP_1)
	v_add3_u32 v27, v27, v7, v8
	s_wait_dscnt 0x0
	v_add3_u32 v27, v27, v1, v2
	s_delay_alu instid0(VALU_DEP_1) | instskip(NEXT) | instid1(VALU_DEP_1)
	v_add3_u32 v4, v27, v3, v4
	v_mov_b32_dpp v27, v4 row_shr:1 row_mask:0xf bank_mask:0xf
	s_delay_alu instid0(VALU_DEP_1) | instskip(NEXT) | instid1(VALU_DEP_1)
	v_cndmask_b32_e64 v27, v27, 0, s3
	v_add_nc_u32_e32 v4, v27, v4
	s_delay_alu instid0(VALU_DEP_1) | instskip(NEXT) | instid1(VALU_DEP_1)
	v_mov_b32_dpp v27, v4 row_shr:2 row_mask:0xf bank_mask:0xf
	v_cndmask_b32_e64 v27, 0, v27, s4
	s_delay_alu instid0(VALU_DEP_1) | instskip(NEXT) | instid1(VALU_DEP_1)
	v_add_nc_u32_e32 v4, v4, v27
	v_mov_b32_dpp v27, v4 row_shr:4 row_mask:0xf bank_mask:0xf
	s_delay_alu instid0(VALU_DEP_1) | instskip(NEXT) | instid1(VALU_DEP_1)
	v_cndmask_b32_e64 v27, 0, v27, s5
	v_add_nc_u32_e32 v4, v4, v27
	s_delay_alu instid0(VALU_DEP_1) | instskip(NEXT) | instid1(VALU_DEP_1)
	v_mov_b32_dpp v27, v4 row_shr:8 row_mask:0xf bank_mask:0xf
	v_cndmask_b32_e64 v27, 0, v27, s6
	s_delay_alu instid0(VALU_DEP_1)
	v_add_nc_u32_e32 v4, v4, v27
	s_and_saveexec_b32 s24, s7
; %bb.42:                               ;   in Loop: Header=BB149_32 Depth=1
	ds_store_b32 v22, v4 offset:512
; %bb.43:                               ;   in Loop: Header=BB149_32 Depth=1
	s_wait_alu 0xfffe
	s_or_b32 exec_lo, exec_lo, s24
	ds_bpermute_b32 v4, v33, v4
	; wave barrier
	s_wait_loadcnt_dscnt 0x0
	global_inv scope:SCOPE_SE
	ds_load_b32 v27, v22 offset:512
	v_cmp_lt_u32_e32 vcc_lo, 59, v13
	s_mov_b32 s24, -1
	s_and_b32 vcc_lo, exec_lo, vcc_lo
	v_cndmask_b32_e64 v4, v4, 0, s15
	s_wait_dscnt 0x0
	s_delay_alu instid0(VALU_DEP_1) | instskip(NEXT) | instid1(VALU_DEP_1)
	v_lshl_add_u32 v4, v27, 16, v4
	v_add_nc_u32_e32 v5, v4, v5
	s_delay_alu instid0(VALU_DEP_1) | instskip(NEXT) | instid1(VALU_DEP_1)
	v_add_nc_u32_e32 v6, v5, v6
	v_add_nc_u32_e32 v7, v6, v7
	s_delay_alu instid0(VALU_DEP_1) | instskip(NEXT) | instid1(VALU_DEP_1)
	v_add_nc_u32_e32 v34, v7, v8
	;; [unrolled: 3-line block ×3, first 2 shown]
	v_add_nc_u32_e32 v37, v36, v3
	v_and_b32_e32 v3, 0xffff, v24
	ds_store_b128 v32, v[4:7]
	ds_store_b128 v32, v[34:37] offset:16
	; wave barrier
	s_wait_loadcnt_dscnt 0x0
	global_inv scope:SCOPE_SE
	ds_load_u16 v1, v23
	ds_load_u16 v2, v25
	v_and_b32_e32 v4, 0xffff, v26
                                        ; implicit-def: $vgpr7_vgpr8
	s_wait_dscnt 0x1
	v_add_nc_u32_e32 v24, v1, v3
	s_wait_dscnt 0x0
	s_delay_alu instid0(VALU_DEP_2)
	v_add_nc_u32_e32 v23, v2, v4
                                        ; implicit-def: $vgpr3_vgpr4
	s_wait_alu 0xfffe
	s_cbranch_vccnz .LBB149_31
; %bb.44:                               ;   in Loop: Header=BB149_32 Depth=1
	v_lshlrev_b32_e32 v5, 3, v24
	s_delay_alu instid0(VALU_DEP_2)
	v_lshlrev_b32_e32 v6, 3, v23
	s_wait_loadcnt 0x0
	; wave barrier
	global_inv scope:SCOPE_SE
	v_add_co_u32 v13, vcc_lo, v13, 4
	ds_store_b64 v5, v[18:19]
	ds_store_b64 v6, v[15:16]
	; wave barrier
	s_wait_loadcnt_dscnt 0x0
	global_inv scope:SCOPE_SE
	ds_load_b128 v[1:4], v31
	; wave barrier
	s_wait_loadcnt_dscnt 0x0
	global_inv scope:SCOPE_SE
	ds_store_b64 v5, v[11:12]
	ds_store_b64 v6, v[9:10]
	; wave barrier
	s_wait_loadcnt_dscnt 0x0
	global_inv scope:SCOPE_SE
	ds_load_b128 v[5:8], v31
	s_wait_alu 0xfffd
	v_add_co_ci_u32_e64 v14, null, 0, v14, vcc_lo
	s_add_co_i32 s21, s21, -4
	s_mov_b32 s24, 0
	; wave barrier
	s_wait_loadcnt_dscnt 0x0
	global_inv scope:SCOPE_SE
	s_branch .LBB149_31
.LBB149_45:
	v_lshlrev_b32_e32 v4, 3, v24
	v_lshlrev_b32_e32 v5, 3, v23
	s_wait_loadcnt 0x0
	; wave barrier
	global_inv scope:SCOPE_SE
	ds_store_b64 v4, v[18:19]
	ds_store_b64 v5, v[15:16]
	; wave barrier
	s_wait_loadcnt_dscnt 0x0
	global_inv scope:SCOPE_SE
	ds_load_b128 v[0:3], v31
	; wave barrier
	s_wait_loadcnt_dscnt 0x0
	global_inv scope:SCOPE_SE
	ds_store_b64 v4, v[11:12]
	ds_store_b64 v5, v[9:10]
	; wave barrier
	s_wait_loadcnt_dscnt 0x0
	global_inv scope:SCOPE_SE
	ds_load_b128 v[9:12], v31
	v_xor_b32_e32 v14, 0x7fffffff, v1
	v_xor_b32_e32 v13, -1, v0
	v_xor_b32_e32 v16, 0x7fffffff, v3
	v_xor_b32_e32 v15, -1, v2
.LBB149_46:
	; wave barrier
	s_wait_loadcnt_dscnt 0x0
	global_inv scope:SCOPE_SE
	ds_store_2addr_b64 v30, v[13:14], v[15:16] offset1:1
	; wave barrier
	s_wait_loadcnt_dscnt 0x0
	global_inv scope:SCOPE_SE
	ds_load_b64 v[0:1], v29 offset:128
	v_mov_b32_e32 v21, 0
	s_delay_alu instid0(VALU_DEP_1) | instskip(NEXT) | instid1(VALU_DEP_1)
	v_lshlrev_b64_e32 v[2:3], 3, v[20:21]
	v_add_co_u32 v2, vcc_lo, s22, v2
	s_wait_alu 0xfffd
	s_delay_alu instid0(VALU_DEP_2)
	v_add_co_ci_u32_e64 v3, null, s23, v3, vcc_lo
	s_and_saveexec_b32 s2, s0
	s_cbranch_execz .LBB149_48
; %bb.47:
	ds_load_b64 v[4:5], v29
	s_wait_dscnt 0x0
	global_store_b64 v[2:3], v[4:5], off
.LBB149_48:
	s_wait_alu 0xfffe
	s_or_b32 exec_lo, exec_lo, s2
	s_and_saveexec_b32 s2, s1
	s_cbranch_execz .LBB149_50
; %bb.49:
	s_lshl_b32 s4, s18, 4
	s_mov_b32 s5, 0
	s_wait_alu 0xfffe
	s_lshl_b64 s[4:5], s[4:5], 3
	s_wait_alu 0xfffe
	v_add_co_u32 v2, vcc_lo, v2, s4
	s_wait_alu 0xfffd
	v_add_co_ci_u32_e64 v3, null, s5, v3, vcc_lo
	s_wait_dscnt 0x0
	global_store_b64 v[2:3], v[0:1], off
.LBB149_50:
	s_wait_alu 0xfffe
	s_or_b32 exec_lo, exec_lo, s2
	s_wait_storecnt 0x0
	; wave barrier
	s_wait_loadcnt_dscnt 0x0
	global_inv scope:SCOPE_SE
	ds_store_2addr_b64 v30, v[9:10], v[11:12] offset1:1
	; wave barrier
	s_wait_loadcnt_dscnt 0x0
	global_inv scope:SCOPE_SE
	ds_load_b64 v[0:1], v29 offset:128
	v_mov_b32_e32 v18, 0
	s_delay_alu instid0(VALU_DEP_1) | instskip(NEXT) | instid1(VALU_DEP_1)
	v_lshlrev_b64_e32 v[2:3], 3, v[17:18]
	v_add_co_u32 v2, vcc_lo, s16, v2
	s_wait_alu 0xfffd
	s_delay_alu instid0(VALU_DEP_2)
	v_add_co_ci_u32_e64 v3, null, s17, v3, vcc_lo
	s_and_saveexec_b32 s2, s0
	s_cbranch_execz .LBB149_52
; %bb.51:
	ds_load_b64 v[4:5], v29
	s_wait_dscnt 0x0
	global_store_b64 v[2:3], v[4:5], off
.LBB149_52:
	s_wait_alu 0xfffe
	s_or_b32 exec_lo, exec_lo, s2
	s_and_saveexec_b32 s0, s1
	s_cbranch_execz .LBB149_54
; %bb.53:
	s_lshl_b32 s0, s20, 4
	s_mov_b32 s1, 0
	s_delay_alu instid0(SALU_CYCLE_1) | instskip(NEXT) | instid1(SALU_CYCLE_1)
	s_lshl_b64 s[0:1], s[0:1], 3
	v_add_co_u32 v2, vcc_lo, v2, s0
	s_wait_alu 0xfffd
	v_add_co_ci_u32_e64 v3, null, s1, v3, vcc_lo
	s_wait_dscnt 0x0
	global_store_b64 v[2:3], v[0:1], off
.LBB149_54:
	s_endpgm
	.section	.rodata,"a",@progbits
	.p2align	6, 0x0
	.amdhsa_kernel _ZN2at6native18radixSortKVInPlaceILi2ELin1ELi16ELi2ElljEEvNS_4cuda6detail10TensorInfoIT3_T5_EES6_S6_S6_NS4_IT4_S6_EES6_b
		.amdhsa_group_segment_fixed_size 528
		.amdhsa_private_segment_fixed_size 0
		.amdhsa_kernarg_size 712
		.amdhsa_user_sgpr_count 2
		.amdhsa_user_sgpr_dispatch_ptr 0
		.amdhsa_user_sgpr_queue_ptr 0
		.amdhsa_user_sgpr_kernarg_segment_ptr 1
		.amdhsa_user_sgpr_dispatch_id 0
		.amdhsa_user_sgpr_private_segment_size 0
		.amdhsa_wavefront_size32 1
		.amdhsa_uses_dynamic_stack 0
		.amdhsa_enable_private_segment 0
		.amdhsa_system_sgpr_workgroup_id_x 1
		.amdhsa_system_sgpr_workgroup_id_y 1
		.amdhsa_system_sgpr_workgroup_id_z 1
		.amdhsa_system_sgpr_workgroup_info 0
		.amdhsa_system_vgpr_workitem_id 0
		.amdhsa_next_free_vgpr 44
		.amdhsa_next_free_sgpr 25
		.amdhsa_reserve_vcc 1
		.amdhsa_float_round_mode_32 0
		.amdhsa_float_round_mode_16_64 0
		.amdhsa_float_denorm_mode_32 3
		.amdhsa_float_denorm_mode_16_64 3
		.amdhsa_fp16_overflow 0
		.amdhsa_workgroup_processor_mode 1
		.amdhsa_memory_ordered 1
		.amdhsa_forward_progress 1
		.amdhsa_inst_pref_size 33
		.amdhsa_round_robin_scheduling 0
		.amdhsa_exception_fp_ieee_invalid_op 0
		.amdhsa_exception_fp_denorm_src 0
		.amdhsa_exception_fp_ieee_div_zero 0
		.amdhsa_exception_fp_ieee_overflow 0
		.amdhsa_exception_fp_ieee_underflow 0
		.amdhsa_exception_fp_ieee_inexact 0
		.amdhsa_exception_int_div_zero 0
	.end_amdhsa_kernel
	.section	.text._ZN2at6native18radixSortKVInPlaceILi2ELin1ELi16ELi2ElljEEvNS_4cuda6detail10TensorInfoIT3_T5_EES6_S6_S6_NS4_IT4_S6_EES6_b,"axG",@progbits,_ZN2at6native18radixSortKVInPlaceILi2ELin1ELi16ELi2ElljEEvNS_4cuda6detail10TensorInfoIT3_T5_EES6_S6_S6_NS4_IT4_S6_EES6_b,comdat
.Lfunc_end149:
	.size	_ZN2at6native18radixSortKVInPlaceILi2ELin1ELi16ELi2ElljEEvNS_4cuda6detail10TensorInfoIT3_T5_EES6_S6_S6_NS4_IT4_S6_EES6_b, .Lfunc_end149-_ZN2at6native18radixSortKVInPlaceILi2ELin1ELi16ELi2ElljEEvNS_4cuda6detail10TensorInfoIT3_T5_EES6_S6_S6_NS4_IT4_S6_EES6_b
                                        ; -- End function
	.set _ZN2at6native18radixSortKVInPlaceILi2ELin1ELi16ELi2ElljEEvNS_4cuda6detail10TensorInfoIT3_T5_EES6_S6_S6_NS4_IT4_S6_EES6_b.num_vgpr, 44
	.set _ZN2at6native18radixSortKVInPlaceILi2ELin1ELi16ELi2ElljEEvNS_4cuda6detail10TensorInfoIT3_T5_EES6_S6_S6_NS4_IT4_S6_EES6_b.num_agpr, 0
	.set _ZN2at6native18radixSortKVInPlaceILi2ELin1ELi16ELi2ElljEEvNS_4cuda6detail10TensorInfoIT3_T5_EES6_S6_S6_NS4_IT4_S6_EES6_b.numbered_sgpr, 25
	.set _ZN2at6native18radixSortKVInPlaceILi2ELin1ELi16ELi2ElljEEvNS_4cuda6detail10TensorInfoIT3_T5_EES6_S6_S6_NS4_IT4_S6_EES6_b.num_named_barrier, 0
	.set _ZN2at6native18radixSortKVInPlaceILi2ELin1ELi16ELi2ElljEEvNS_4cuda6detail10TensorInfoIT3_T5_EES6_S6_S6_NS4_IT4_S6_EES6_b.private_seg_size, 0
	.set _ZN2at6native18radixSortKVInPlaceILi2ELin1ELi16ELi2ElljEEvNS_4cuda6detail10TensorInfoIT3_T5_EES6_S6_S6_NS4_IT4_S6_EES6_b.uses_vcc, 1
	.set _ZN2at6native18radixSortKVInPlaceILi2ELin1ELi16ELi2ElljEEvNS_4cuda6detail10TensorInfoIT3_T5_EES6_S6_S6_NS4_IT4_S6_EES6_b.uses_flat_scratch, 0
	.set _ZN2at6native18radixSortKVInPlaceILi2ELin1ELi16ELi2ElljEEvNS_4cuda6detail10TensorInfoIT3_T5_EES6_S6_S6_NS4_IT4_S6_EES6_b.has_dyn_sized_stack, 0
	.set _ZN2at6native18radixSortKVInPlaceILi2ELin1ELi16ELi2ElljEEvNS_4cuda6detail10TensorInfoIT3_T5_EES6_S6_S6_NS4_IT4_S6_EES6_b.has_recursion, 0
	.set _ZN2at6native18radixSortKVInPlaceILi2ELin1ELi16ELi2ElljEEvNS_4cuda6detail10TensorInfoIT3_T5_EES6_S6_S6_NS4_IT4_S6_EES6_b.has_indirect_call, 0
	.section	.AMDGPU.csdata,"",@progbits
; Kernel info:
; codeLenInByte = 4108
; TotalNumSgprs: 27
; NumVgprs: 44
; ScratchSize: 0
; MemoryBound: 0
; FloatMode: 240
; IeeeMode: 1
; LDSByteSize: 528 bytes/workgroup (compile time only)
; SGPRBlocks: 0
; VGPRBlocks: 5
; NumSGPRsForWavesPerEU: 27
; NumVGPRsForWavesPerEU: 44
; Occupancy: 16
; WaveLimiterHint : 1
; COMPUTE_PGM_RSRC2:SCRATCH_EN: 0
; COMPUTE_PGM_RSRC2:USER_SGPR: 2
; COMPUTE_PGM_RSRC2:TRAP_HANDLER: 0
; COMPUTE_PGM_RSRC2:TGID_X_EN: 1
; COMPUTE_PGM_RSRC2:TGID_Y_EN: 1
; COMPUTE_PGM_RSRC2:TGID_Z_EN: 1
; COMPUTE_PGM_RSRC2:TIDIG_COMP_CNT: 0
	.section	.text._ZN2at6native18radixSortKVInPlaceILin1ELin1ELi512ELi8ElljEEvNS_4cuda6detail10TensorInfoIT3_T5_EES6_S6_S6_NS4_IT4_S6_EES6_b,"axG",@progbits,_ZN2at6native18radixSortKVInPlaceILin1ELin1ELi512ELi8ElljEEvNS_4cuda6detail10TensorInfoIT3_T5_EES6_S6_S6_NS4_IT4_S6_EES6_b,comdat
	.protected	_ZN2at6native18radixSortKVInPlaceILin1ELin1ELi512ELi8ElljEEvNS_4cuda6detail10TensorInfoIT3_T5_EES6_S6_S6_NS4_IT4_S6_EES6_b ; -- Begin function _ZN2at6native18radixSortKVInPlaceILin1ELin1ELi512ELi8ElljEEvNS_4cuda6detail10TensorInfoIT3_T5_EES6_S6_S6_NS4_IT4_S6_EES6_b
	.globl	_ZN2at6native18radixSortKVInPlaceILin1ELin1ELi512ELi8ElljEEvNS_4cuda6detail10TensorInfoIT3_T5_EES6_S6_S6_NS4_IT4_S6_EES6_b
	.p2align	8
	.type	_ZN2at6native18radixSortKVInPlaceILin1ELin1ELi512ELi8ElljEEvNS_4cuda6detail10TensorInfoIT3_T5_EES6_S6_S6_NS4_IT4_S6_EES6_b,@function
_ZN2at6native18radixSortKVInPlaceILin1ELin1ELi512ELi8ElljEEvNS_4cuda6detail10TensorInfoIT3_T5_EES6_S6_S6_NS4_IT4_S6_EES6_b: ; @_ZN2at6native18radixSortKVInPlaceILin1ELin1ELi512ELi8ElljEEvNS_4cuda6detail10TensorInfoIT3_T5_EES6_S6_S6_NS4_IT4_S6_EES6_b
; %bb.0:
	s_clause 0x1
	s_load_b64 s[2:3], s[0:1], 0x1c8
	s_load_b96 s[24:26], s[0:1], 0xd8
	s_lshr_b32 s4, ttmp7, 16
	s_wait_kmcnt 0x0
	s_mul_i32 s3, s3, s4
	s_and_b32 s4, ttmp7, 0xffff
	s_delay_alu instid0(SALU_CYCLE_1) | instskip(NEXT) | instid1(SALU_CYCLE_1)
	s_add_co_i32 s3, s3, s4
	s_mul_i32 s2, s3, s2
	s_delay_alu instid0(SALU_CYCLE_1) | instskip(NEXT) | instid1(SALU_CYCLE_1)
	s_add_co_i32 s22, s2, ttmp9
	s_cmp_ge_u32 s22, s24
	s_cbranch_scc1 .LBB150_113
; %bb.1:
	s_load_b32 s4, s[0:1], 0xd0
	s_mov_b32 s3, 0
	s_mov_b32 s2, s22
	s_wait_kmcnt 0x0
	s_cmp_lt_i32 s4, 2
	s_cbranch_scc1 .LBB150_4
; %bb.2:
	s_add_co_i32 s2, s4, -1
	s_delay_alu instid0(SALU_CYCLE_1)
	s_lshl_b64 s[6:7], s[2:3], 2
	s_mov_b32 s2, s22
	s_add_nc_u64 s[8:9], s[0:1], s[6:7]
	s_add_co_i32 s6, s4, 1
	s_add_nc_u64 s[4:5], s[8:9], 8
.LBB150_3:                              ; =>This Inner Loop Header: Depth=1
	s_clause 0x1
	s_load_b32 s7, s[4:5], 0x0
	s_load_b32 s8, s[4:5], 0x64
	s_mov_b32 s11, s2
	s_add_nc_u64 s[4:5], s[4:5], -4
	s_wait_kmcnt 0x0
	s_cvt_f32_u32 s9, s7
	s_sub_co_i32 s10, 0, s7
	s_wait_alu 0xfffe
	s_delay_alu instid0(SALU_CYCLE_1) | instskip(NEXT) | instid1(TRANS32_DEP_1)
	v_rcp_iflag_f32_e32 v1, s9
	v_readfirstlane_b32 s9, v1
	s_mul_f32 s9, s9, 0x4f7ffffe
	s_wait_alu 0xfffe
	s_delay_alu instid0(SALU_CYCLE_2) | instskip(SKIP_1) | instid1(SALU_CYCLE_2)
	s_cvt_u32_f32 s9, s9
	s_wait_alu 0xfffe
	s_mul_i32 s10, s10, s9
	s_delay_alu instid0(SALU_CYCLE_1) | instskip(NEXT) | instid1(SALU_CYCLE_1)
	s_mul_hi_u32 s10, s9, s10
	s_add_co_i32 s9, s9, s10
	s_wait_alu 0xfffe
	s_mul_hi_u32 s2, s2, s9
	s_delay_alu instid0(SALU_CYCLE_1)
	s_mul_i32 s9, s2, s7
	s_add_co_i32 s10, s2, 1
	s_wait_alu 0xfffe
	s_sub_co_i32 s9, s11, s9
	s_wait_alu 0xfffe
	s_sub_co_i32 s12, s9, s7
	s_cmp_ge_u32 s9, s7
	s_cselect_b32 s2, s10, s2
	s_cselect_b32 s9, s12, s9
	s_add_co_i32 s10, s2, 1
	s_wait_alu 0xfffe
	s_cmp_ge_u32 s9, s7
	s_cselect_b32 s2, s10, s2
	s_add_co_i32 s6, s6, -1
	s_mul_i32 s7, s2, s7
	s_delay_alu instid0(SALU_CYCLE_1) | instskip(NEXT) | instid1(SALU_CYCLE_1)
	s_sub_co_i32 s7, s11, s7
	s_mul_i32 s7, s8, s7
	s_delay_alu instid0(SALU_CYCLE_1)
	s_add_co_i32 s3, s7, s3
	s_cmp_gt_u32 s6, 2
	s_cbranch_scc1 .LBB150_3
.LBB150_4:
	s_load_b32 s4, s[0:1], 0x1b8
	s_add_nc_u64 s[34:35], s[0:1], 0x1c8
	s_mov_b32 s21, 0
	s_wait_kmcnt 0x0
	s_cmp_lt_i32 s4, 2
	s_cbranch_scc1 .LBB150_7
; %bb.5:
	s_add_co_i32 s20, s4, -1
	s_delay_alu instid0(SALU_CYCLE_1) | instskip(NEXT) | instid1(SALU_CYCLE_1)
	s_lshl_b64 s[6:7], s[20:21], 2
	s_add_nc_u64 s[8:9], s[0:1], s[6:7]
	s_add_co_i32 s6, s4, 1
	s_wait_alu 0xfffe
	s_add_nc_u64 s[4:5], s[8:9], 0xf0
.LBB150_6:                              ; =>This Inner Loop Header: Depth=1
	s_clause 0x1
	s_load_b32 s7, s[4:5], 0x0
	s_load_b32 s8, s[4:5], 0x64
	s_mov_b32 s11, s22
	s_add_nc_u64 s[4:5], s[4:5], -4
	s_wait_kmcnt 0x0
	s_cvt_f32_u32 s9, s7
	s_sub_co_i32 s10, 0, s7
	s_wait_alu 0xfffe
	s_delay_alu instid0(SALU_CYCLE_1) | instskip(NEXT) | instid1(TRANS32_DEP_1)
	v_rcp_iflag_f32_e32 v1, s9
	v_readfirstlane_b32 s9, v1
	s_mul_f32 s9, s9, 0x4f7ffffe
	s_wait_alu 0xfffe
	s_delay_alu instid0(SALU_CYCLE_2) | instskip(SKIP_1) | instid1(SALU_CYCLE_2)
	s_cvt_u32_f32 s9, s9
	s_wait_alu 0xfffe
	s_mul_i32 s10, s10, s9
	s_delay_alu instid0(SALU_CYCLE_1) | instskip(NEXT) | instid1(SALU_CYCLE_1)
	s_mul_hi_u32 s10, s9, s10
	s_add_co_i32 s9, s9, s10
	s_wait_alu 0xfffe
	s_mul_hi_u32 s9, s22, s9
	s_wait_alu 0xfffe
	s_mul_i32 s10, s9, s7
	s_add_co_i32 s12, s9, 1
	s_sub_co_i32 s10, s22, s10
	s_delay_alu instid0(SALU_CYCLE_1)
	s_sub_co_i32 s13, s10, s7
	s_cmp_ge_u32 s10, s7
	s_cselect_b32 s9, s12, s9
	s_cselect_b32 s10, s13, s10
	s_wait_alu 0xfffe
	s_add_co_i32 s12, s9, 1
	s_cmp_ge_u32 s10, s7
	s_cselect_b32 s22, s12, s9
	s_add_co_i32 s6, s6, -1
	s_mul_i32 s7, s22, s7
	s_delay_alu instid0(SALU_CYCLE_1) | instskip(NEXT) | instid1(SALU_CYCLE_1)
	s_sub_co_i32 s7, s11, s7
	s_mul_i32 s7, s8, s7
	s_delay_alu instid0(SALU_CYCLE_1)
	s_add_co_i32 s21, s7, s21
	s_cmp_gt_u32 s6, 2
	s_cbranch_scc1 .LBB150_6
.LBB150_7:
	s_clause 0x2
	s_load_b32 s4, s[0:1], 0x6c
	s_load_b64 s[28:29], s[0:1], 0x1c0
	s_load_b64 s[30:31], s[0:1], 0x0
	s_mov_b32 s5, 0
	s_brev_b32 s6, 1
	s_wait_kmcnt 0x0
	s_mul_i32 s2, s4, s2
	s_delay_alu instid0(SALU_CYCLE_1)
	s_add_co_i32 s4, s2, s3
	s_bitcmp1_b32 s29, 0
	s_cselect_b32 s20, -1, 0
	s_lshl_b64 s[36:37], s[4:5], 3
	s_and_b32 s2, s20, exec_lo
	s_cselect_b32 s4, 0, -1
	s_cselect_b32 s5, s6, 0x7fffffff
	s_mov_b32 s6, s4
	s_mov_b32 s7, s5
	;; [unrolled: 1-line block ×14, first 2 shown]
	v_dual_mov_b32 v1, s4 :: v_dual_and_b32 v74, 0x3ff, v0
	v_mov_b32_e32 v18, s5
	v_dual_mov_b32 v2, s5 :: v_dual_mov_b32 v3, s6
	s_delay_alu instid0(VALU_DEP_3)
	v_mul_lo_u32 v72, s26, v74
	v_cmp_gt_u32_e64 s2, s25, v74
	s_wait_alu 0xfffe
	v_dual_mov_b32 v4, s7 :: v_dual_mov_b32 v5, s8
	v_dual_mov_b32 v6, s9 :: v_dual_mov_b32 v7, s10
	;; [unrolled: 1-line block ×7, first 2 shown]
	s_add_nc_u64 s[30:31], s[30:31], s[36:37]
	s_and_saveexec_b32 s3, s2
	s_cbranch_execz .LBB150_9
; %bb.8:
	v_mov_b32_e32 v73, 0
	s_delay_alu instid0(VALU_DEP_1) | instskip(NEXT) | instid1(VALU_DEP_1)
	v_lshlrev_b64_e32 v[1:2], 3, v[72:73]
	v_add_co_u32 v1, vcc_lo, s30, v1
	s_delay_alu instid0(VALU_DEP_1)
	v_add_co_ci_u32_e64 v2, null, s31, v2, vcc_lo
	global_load_b64 v[17:18], v[1:2], off
	v_dual_mov_b32 v1, s4 :: v_dual_mov_b32 v4, s7
	v_dual_mov_b32 v3, s6 :: v_dual_mov_b32 v6, s9
	;; [unrolled: 1-line block ×8, first 2 shown]
.LBB150_9:
	s_or_b32 exec_lo, exec_lo, s3
	v_add_nc_u32_e32 v31, 0x200, v74
	s_delay_alu instid0(VALU_DEP_1)
	v_cmp_gt_u32_e64 s3, s25, v31
	s_and_saveexec_b32 s4, s3
	s_cbranch_execz .LBB150_11
; %bb.10:
	v_mul_lo_u32 v1, s26, v31
	v_mov_b32_e32 v2, 0
	s_delay_alu instid0(VALU_DEP_1) | instskip(NEXT) | instid1(VALU_DEP_1)
	v_lshlrev_b64_e32 v[1:2], 3, v[1:2]
	v_add_co_u32 v1, vcc_lo, s30, v1
	s_wait_alu 0xfffd
	s_delay_alu instid0(VALU_DEP_2)
	v_add_co_ci_u32_e64 v2, null, s31, v2, vcc_lo
	global_load_b64 v[3:4], v[1:2], off
.LBB150_11:
	s_wait_alu 0xfffe
	s_or_b32 exec_lo, exec_lo, s4
	v_or_b32_e32 v32, 0x400, v74
	s_delay_alu instid0(VALU_DEP_1)
	v_cmp_gt_u32_e64 s4, s25, v32
	s_and_saveexec_b32 s5, s4
	s_cbranch_execz .LBB150_13
; %bb.12:
	v_mul_lo_u32 v1, s26, v32
	v_mov_b32_e32 v2, 0
	s_delay_alu instid0(VALU_DEP_1) | instskip(NEXT) | instid1(VALU_DEP_1)
	v_lshlrev_b64_e32 v[1:2], 3, v[1:2]
	v_add_co_u32 v1, vcc_lo, s30, v1
	s_wait_alu 0xfffd
	s_delay_alu instid0(VALU_DEP_2)
	v_add_co_ci_u32_e64 v2, null, s31, v2, vcc_lo
	global_load_b64 v[5:6], v[1:2], off
.LBB150_13:
	s_wait_alu 0xfffe
	s_or_b32 exec_lo, exec_lo, s5
	v_add_nc_u32_e32 v34, 0x600, v74
	s_delay_alu instid0(VALU_DEP_1)
	v_cmp_gt_u32_e64 s5, s25, v34
	s_and_saveexec_b32 s6, s5
	s_cbranch_execz .LBB150_15
; %bb.14:
	v_mul_lo_u32 v1, s26, v34
	v_mov_b32_e32 v2, 0
	s_delay_alu instid0(VALU_DEP_1) | instskip(NEXT) | instid1(VALU_DEP_1)
	v_lshlrev_b64_e32 v[1:2], 3, v[1:2]
	v_add_co_u32 v1, vcc_lo, s30, v1
	s_wait_alu 0xfffd
	s_delay_alu instid0(VALU_DEP_2)
	v_add_co_ci_u32_e64 v2, null, s31, v2, vcc_lo
	global_load_b64 v[7:8], v[1:2], off
.LBB150_15:
	s_wait_alu 0xfffe
	s_or_b32 exec_lo, exec_lo, s6
	v_or_b32_e32 v35, 0x800, v74
	s_delay_alu instid0(VALU_DEP_1)
	v_cmp_gt_u32_e64 s6, s25, v35
	s_and_saveexec_b32 s7, s6
	s_cbranch_execz .LBB150_17
; %bb.16:
	v_mul_lo_u32 v1, s26, v35
	v_mov_b32_e32 v2, 0
	s_delay_alu instid0(VALU_DEP_1) | instskip(NEXT) | instid1(VALU_DEP_1)
	v_lshlrev_b64_e32 v[1:2], 3, v[1:2]
	v_add_co_u32 v1, vcc_lo, s30, v1
	s_wait_alu 0xfffd
	s_delay_alu instid0(VALU_DEP_2)
	v_add_co_ci_u32_e64 v2, null, s31, v2, vcc_lo
	global_load_b64 v[9:10], v[1:2], off
.LBB150_17:
	s_wait_alu 0xfffe
	;; [unrolled: 36-line block ×3, first 2 shown]
	s_or_b32 exec_lo, exec_lo, s9
	s_clause 0x1
	s_load_b32 s9, s[0:1], 0x154
	s_load_b64 s[10:11], s[0:1], 0xe8
	v_add_nc_u32_e32 v38, 0xe00, v74
	s_delay_alu instid0(VALU_DEP_1)
	v_cmp_gt_u32_e64 s0, s25, v38
	s_and_saveexec_b32 s1, s0
	s_cbranch_execz .LBB150_23
; %bb.22:
	v_mul_lo_u32 v1, s26, v38
	v_mov_b32_e32 v2, 0
	s_delay_alu instid0(VALU_DEP_1) | instskip(NEXT) | instid1(VALU_DEP_1)
	v_lshlrev_b64_e32 v[1:2], 3, v[1:2]
	v_add_co_u32 v1, vcc_lo, s30, v1
	s_wait_alu 0xfffd
	s_delay_alu instid0(VALU_DEP_2)
	v_add_co_ci_u32_e64 v2, null, s31, v2, vcc_lo
	global_load_b64 v[15:16], v[1:2], off
.LBB150_23:
	s_or_b32 exec_lo, exec_lo, s1
	v_lshrrev_b32_e32 v2, 2, v32
	v_dual_mov_b32 v70, 0 :: v_dual_lshlrev_b32 v73, 3, v74
	v_lshrrev_b32_e32 v1, 2, v31
	v_lshrrev_b32_e32 v19, 2, v34
	s_delay_alu instid0(VALU_DEP_4)
	v_and_b32_e32 v2, 0x1f8, v2
	v_lshrrev_b32_e32 v33, 5, v74
	v_mov_b32_e32 v71, v70
	v_and_b32_e32 v1, 0x1f8, v1
	v_and_b32_e32 v19, 0x3f8, v19
	v_add_nc_u32_e32 v109, v2, v73
	v_lshrrev_b32_e32 v2, 2, v36
	v_lshl_add_u32 v107, v33, 3, v73
	v_add_nc_u32_e32 v108, v1, v73
	v_lshrrev_b32_e32 v1, 2, v35
	v_add_nc_u32_e32 v110, v19, v73
	v_dual_mov_b32 v21, v70 :: v_dual_and_b32 v2, 0x3f8, v2
	v_lshrrev_b32_e32 v19, 2, v37
	s_delay_alu instid0(VALU_DEP_4) | instskip(NEXT) | instid1(VALU_DEP_3)
	v_dual_mov_b32 v22, v70 :: v_dual_and_b32 v1, 0x3f8, v1
	v_dual_mov_b32 v27, 0 :: v_dual_add_nc_u32 v112, v2, v73
	v_mov_b32_e32 v28, 0
	s_wait_loadcnt 0x0
	ds_store_b64 v107, v[17:18]
	ds_store_b64 v108, v[3:4] offset:4096
	ds_store_b64 v109, v[5:6] offset:8192
	;; [unrolled: 1-line block ×3, first 2 shown]
	v_dual_mov_b32 v26, v70 :: v_dual_lshlrev_b32 v5, 1, v74
	v_lshrrev_b32_e32 v20, 2, v38
	v_dual_mov_b32 v30, v70 :: v_dual_add_nc_u32 v111, v1, v73
	s_delay_alu instid0(VALU_DEP_3) | instskip(SKIP_1) | instid1(VALU_DEP_4)
	v_and_b32_e32 v1, 0x7f8, v5
	v_dual_mov_b32 v24, v70 :: v_dual_and_b32 v3, 0x3f8, v19
	v_dual_mov_b32 v23, v70 :: v_dual_and_b32 v4, 0x7f8, v20
	s_delay_alu instid0(VALU_DEP_3) | instskip(NEXT) | instid1(VALU_DEP_3)
	v_lshl_add_u32 v115, v74, 6, v1
	v_add_nc_u32_e32 v113, v3, v73
	s_delay_alu instid0(VALU_DEP_3)
	v_dual_mov_b32 v25, v70 :: v_dual_add_nc_u32 v114, v4, v73
	ds_store_b64 v111, v[9:10] offset:16384
	ds_store_b64 v112, v[11:12] offset:20480
	;; [unrolled: 1-line block ×4, first 2 shown]
	s_wait_dscnt 0x0
	s_barrier_signal -1
	s_barrier_wait -1
	global_inv scope:SCOPE_SE
	ds_load_2addr_b64 v[13:16], v115 offset1:1
	ds_load_2addr_b64 v[9:12], v115 offset0:2 offset1:3
	ds_load_2addr_b64 v[5:8], v115 offset0:4 offset1:5
	;; [unrolled: 1-line block ×3, first 2 shown]
	s_wait_kmcnt 0x0
	s_mul_i32 s1, s9, s22
	v_mul_lo_u32 v69, s28, v74
	s_mov_b32 s13, 0
	s_add_co_i32 s12, s1, s21
	v_dual_mov_b32 v17, v70 :: v_dual_mov_b32 v18, v70
	v_dual_mov_b32 v19, v70 :: v_dual_mov_b32 v20, v70
	v_mov_b32_e32 v29, v70
	s_wait_alu 0xfffe
	s_lshl_b64 s[12:13], s[12:13], 3
	s_wait_loadcnt_dscnt 0x0
	s_wait_alu 0xfffe
	s_add_nc_u64 s[24:25], s[10:11], s[12:13]
	s_barrier_signal -1
	s_barrier_wait -1
	global_inv scope:SCOPE_SE
	s_and_saveexec_b32 s1, s2
	s_cbranch_execnz .LBB150_59
; %bb.24:
	s_or_b32 exec_lo, exec_lo, s1
	s_and_saveexec_b32 s1, s3
	s_cbranch_execnz .LBB150_60
.LBB150_25:
	s_or_b32 exec_lo, exec_lo, s1
	s_and_saveexec_b32 s1, s4
	s_cbranch_execnz .LBB150_61
.LBB150_26:
	s_or_b32 exec_lo, exec_lo, s1
	s_and_saveexec_b32 s1, s5
	s_cbranch_execnz .LBB150_62
.LBB150_27:
	s_or_b32 exec_lo, exec_lo, s1
	s_and_saveexec_b32 s1, s6
	s_cbranch_execnz .LBB150_63
.LBB150_28:
	s_or_b32 exec_lo, exec_lo, s1
	s_and_saveexec_b32 s1, s7
	s_cbranch_execnz .LBB150_64
.LBB150_29:
	s_or_b32 exec_lo, exec_lo, s1
	s_and_saveexec_b32 s1, s8
	s_cbranch_execnz .LBB150_65
.LBB150_30:
	s_or_b32 exec_lo, exec_lo, s1
	s_xor_b32 s1, s20, -1
	s_and_saveexec_b32 s9, s0
	s_cbranch_execz .LBB150_32
.LBB150_31:
	v_mul_lo_u32 v29, s28, v38
	v_mov_b32_e32 v30, 0
	s_delay_alu instid0(VALU_DEP_1) | instskip(SKIP_1) | instid1(VALU_DEP_1)
	v_lshlrev_b64_e32 v[29:30], 3, v[29:30]
	s_wait_alu 0xfffe
	v_add_co_u32 v29, vcc_lo, s24, v29
	s_wait_alu 0xfffd
	s_delay_alu instid0(VALU_DEP_2)
	v_add_co_ci_u32_e64 v30, null, s25, v30, vcc_lo
	global_load_b64 v[29:30], v[29:30], off
.LBB150_32:
	s_wait_alu 0xfffe
	s_or_b32 exec_lo, exec_lo, s9
	s_wait_loadcnt 0x0
	ds_store_b64 v107, v[27:28]
	ds_store_b64 v108, v[70:71] offset:4096
	ds_store_b64 v109, v[17:18] offset:8192
	;; [unrolled: 1-line block ×7, first 2 shown]
	s_wait_dscnt 0x0
	s_barrier_signal -1
	s_barrier_wait -1
	global_inv scope:SCOPE_SE
	ds_load_2addr_b64 v[21:24], v115 offset1:1
	ds_load_2addr_b64 v[17:20], v115 offset0:2 offset1:3
	ds_load_2addr_b64 v[29:32], v115 offset0:4 offset1:5
	;; [unrolled: 1-line block ×3, first 2 shown]
	v_mbcnt_lo_u32_b32 v118, -1, 0
	v_and_b32_e32 v34, 0x3e0, v74
	v_and_b32_e32 v35, 0x1f00, v73
	s_and_b32 vcc_lo, exec_lo, s1
	v_bfe_u32 v123, v0, 10, 10
	v_bfe_u32 v124, v0, 20, 10
	v_or_b32_e32 v36, v118, v34
	v_or_b32_e32 v37, v118, v35
	v_lshlrev_b32_e32 v116, 2, v73
	v_and_b32_e32 v120, 15, v118
	v_and_b32_e32 v121, 16, v118
	v_lshlrev_b32_e32 v126, 6, v36
	v_lshlrev_b32_e32 v125, 3, v37
	v_min_u32_e32 v122, 0x1e0, v34
	v_cmp_gt_u32_e64 s1, 16, v74
	v_cmp_lt_u32_e64 s9, 31, v74
	v_cmp_eq_u32_e64 s10, 0, v74
	v_lshlrev_b32_e32 v117, 2, v33
	v_mul_i32_i24_e32 v119, 0xffffffe4, v74
	v_lshlrev_b32_e32 v0, 3, v35
	s_mov_b32 s20, 0
	s_mov_b32 s11, -1
	s_wait_loadcnt_dscnt 0x0
	s_barrier_signal -1
	s_barrier_wait -1
	global_inv scope:SCOPE_SE
                                        ; implicit-def: $vgpr63_vgpr64
                                        ; implicit-def: $vgpr59_vgpr60
                                        ; implicit-def: $vgpr55_vgpr56
                                        ; implicit-def: $vgpr51_vgpr52
                                        ; implicit-def: $vgpr35_vgpr36
                                        ; implicit-def: $vgpr39_vgpr40
                                        ; implicit-def: $vgpr43_vgpr44
                                        ; implicit-def: $vgpr47_vgpr48
	s_wait_alu 0xfffe
	s_cbranch_vccz .LBB150_67
; %bb.33:
	v_xor_b32_e32 v34, 0x80000000, v14
	v_xor_b32_e32 v36, 0x80000000, v16
	v_mov_b32_e32 v33, v13
	v_dual_mov_b32 v35, v15 :: v_dual_add_nc_u32 v128, -4, v117
	v_xor_b32_e32 v38, 0x80000000, v10
	v_xor_b32_e32 v40, 0x80000000, v12
	v_mov_b32_e32 v37, v9
	v_dual_mov_b32 v39, v11 :: v_dual_mov_b32 v70, 0
	v_xor_b32_e32 v42, 0x80000000, v6
	v_xor_b32_e32 v44, 0x80000000, v8
	s_mov_b32 s21, s20
	s_mov_b32 s22, s20
	;; [unrolled: 1-line block ×3, first 2 shown]
	v_mov_b32_e32 v41, v5
	v_mov_b32_e32 v43, v7
	v_xor_b32_e32 v46, 0x80000000, v2
	v_xor_b32_e32 v48, 0x80000000, v4
	v_mov_b32_e32 v45, v1
	v_mov_b32_e32 v47, v3
	ds_store_b128 v126, v[33:36]
	ds_store_b128 v126, v[37:40] offset:16
	ds_store_b128 v126, v[41:44] offset:32
	;; [unrolled: 1-line block ×3, first 2 shown]
	; wave barrier
	ds_load_2addr_b64 v[37:40], v125 offset1:32
	ds_load_2addr_b64 v[41:44], v125 offset0:64 offset1:96
	ds_load_2addr_b64 v[45:48], v125 offset0:128 offset1:160
	;; [unrolled: 1-line block ×3, first 2 shown]
	; wave barrier
	ds_store_b128 v126, v[21:24]
	ds_store_b128 v126, v[17:20] offset:16
	ds_store_b128 v126, v[29:32] offset:32
	;; [unrolled: 1-line block ×3, first 2 shown]
	; wave barrier
	ds_load_2addr_b64 v[49:52], v125 offset1:32
	ds_load_2addr_b64 v[53:56], v125 offset0:64 offset1:96
	ds_load_2addr_b64 v[57:60], v125 offset0:128 offset1:160
	;; [unrolled: 1-line block ×3, first 2 shown]
	s_wait_loadcnt_dscnt 0x0
	s_barrier_signal -1
	s_barrier_wait -1
	global_inv scope:SCOPE_SE
	s_load_b32 s11, s[34:35], 0xc
	s_getpc_b64 s[12:13]
	s_wait_alu 0xfffe
	s_sext_i32_i16 s13, s13
	s_add_co_u32 s12, s12, _ZN7rocprim17ROCPRIM_400000_NS16block_radix_sortIlLj512ELj8ElLj1ELj1ELj0ELNS0_26block_radix_rank_algorithmE1ELNS0_18block_padding_hintE2ELNS0_4arch9wavefront6targetE0EE19radix_bits_per_passE@rel32@lo+12
	s_wait_alu 0xfffe
	s_add_co_ci_u32 s13, s13, _ZN7rocprim17ROCPRIM_400000_NS16block_radix_sortIlLj512ELj8ElLj1ELj1ELj0ELNS0_26block_radix_rank_algorithmE1ELNS0_18block_padding_hintE2ELNS0_4arch9wavefront6targetE0EE19radix_bits_per_passE@rel32@hi+24
	v_or_b32_e32 v35, 31, v122
	s_load_b32 s19, s[12:13], 0x0
	v_cmp_eq_u32_e64 s12, 0, v120
	v_cmp_lt_u32_e64 s13, 1, v120
	v_cmp_lt_u32_e64 s15, 7, v120
	v_cmp_eq_u32_e64 s17, v74, v35
	v_cmp_eq_u32_e64 s16, 0, v121
	v_lshl_add_u32 v129, v118, 3, v0
	v_mov_b32_e32 v71, 0
	v_add_nc_u32_e32 v131, v116, v119
	s_wait_kmcnt 0x0
	s_lshr_b32 s14, s11, 16
	s_and_b32 s11, s11, 0xffff
	s_wait_alu 0xfffe
	v_mad_u32_u24 v33, v124, s14, v123
	v_cmp_lt_u32_e64 s14, 3, v120
	s_delay_alu instid0(VALU_DEP_2) | instskip(SKIP_1) | instid1(VALU_DEP_1)
	v_mad_co_u64_u32 v[33:34], null, v33, s11, v[74:75]
	v_sub_co_u32 v34, s11, v118, 1
	v_cmp_gt_i32_e32 vcc_lo, 0, v34
	s_delay_alu instid0(VALU_DEP_3) | instskip(SKIP_2) | instid1(VALU_DEP_2)
	v_lshrrev_b32_e32 v33, 3, v33
	s_wait_alu 0xfffd
	v_cndmask_b32_e32 v34, v34, v118, vcc_lo
	v_and_b32_e32 v130, 0x1ffffffc, v33
	s_delay_alu instid0(VALU_DEP_2)
	v_dual_mov_b32 v36, s23 :: v_dual_lshlrev_b32 v127, 2, v34
	v_dual_mov_b32 v35, s22 :: v_dual_mov_b32 v34, s21
	v_mov_b32_e32 v33, s20
	s_mov_b32 s20, 64
	s_branch .LBB150_35
.LBB150_34:                             ;   in Loop: Header=BB150_35 Depth=1
	s_wait_alu 0xfffe
	s_and_not1_b32 vcc_lo, exec_lo, s18
	s_wait_alu 0xfffe
	s_cbranch_vccz .LBB150_66
.LBB150_35:                             ; =>This Inner Loop Header: Depth=1
	v_dual_mov_b32 v76, v38 :: v_dual_mov_b32 v75, v37
	s_wait_alu 0xfffe
	s_min_u32 s18, s19, s20
	v_mov_b32_e32 v78, v68
	s_wait_alu 0xfffe
	s_lshl_b32 s18, -1, s18
	v_mov_b32_e32 v80, v66
	v_lshrrev_b64 v[37:38], v70, v[75:76]
	s_wait_alu 0xfffe
	s_not_b32 s21, s18
	v_mov_b32_e32 v79, v65
	ds_store_b128 v116, v[33:36] offset:64
	ds_store_b128 v116, v[33:36] offset:80
	s_wait_loadcnt_dscnt 0x0
	s_wait_alu 0xfffe
	v_dual_mov_b32 v77, v67 :: v_dual_and_b32 v38, s21, v37
	v_dual_mov_b32 v82, v48 :: v_dual_mov_b32 v81, v47
	s_barrier_signal -1
	s_delay_alu instid0(VALU_DEP_2) | instskip(SKIP_3) | instid1(VALU_DEP_3)
	v_dual_mov_b32 v100, v46 :: v_dual_lshlrev_b32 v47, 30, v38
	v_and_b32_e32 v37, 1, v38
	v_dual_mov_b32 v99, v45 :: v_dual_lshlrev_b32 v48, 29, v38
	v_dual_mov_b32 v102, v44 :: v_dual_lshlrev_b32 v65, 28, v38
	v_add_co_u32 v37, s18, v37, -1
	s_wait_alu 0xf1ff
	v_cndmask_b32_e64 v66, 0, 1, s18
	v_not_b32_e32 v84, v47
	v_cmp_gt_i32_e64 s18, 0, v47
	v_not_b32_e32 v47, v48
	v_dual_mov_b32 v104, v42 :: v_dual_lshlrev_b32 v67, 27, v38
	v_cmp_ne_u32_e32 vcc_lo, 0, v66
	v_ashrrev_i32_e32 v84, 31, v84
	s_delay_alu instid0(VALU_DEP_4)
	v_ashrrev_i32_e32 v47, 31, v47
	v_dual_mov_b32 v101, v43 :: v_dual_lshlrev_b32 v68, 26, v38
	s_wait_alu 0xfffd
	v_xor_b32_e32 v37, vcc_lo, v37
	v_cmp_gt_i32_e32 vcc_lo, 0, v48
	v_not_b32_e32 v48, v65
	s_wait_alu 0xf1ff
	v_xor_b32_e32 v84, s18, v84
	v_cmp_gt_i32_e64 s18, 0, v65
	v_and_b32_e32 v37, exec_lo, v37
	v_not_b32_e32 v65, v67
	v_ashrrev_i32_e32 v48, 31, v48
	s_wait_alu 0xfffd
	v_xor_b32_e32 v47, vcc_lo, v47
	v_dual_mov_b32 v106, v40 :: v_dual_lshlrev_b32 v83, 25, v38
	v_dual_mov_b32 v86, v62 :: v_dual_and_b32 v37, v37, v84
	v_cmp_gt_i32_e32 vcc_lo, 0, v67
	v_not_b32_e32 v67, v68
	v_ashrrev_i32_e32 v65, 31, v65
	s_wait_alu 0xf1ff
	v_xor_b32_e32 v48, s18, v48
	v_dual_mov_b32 v88, v60 :: v_dual_and_b32 v37, v37, v47
	v_dual_mov_b32 v103, v41 :: v_dual_lshlrev_b32 v66, 24, v38
	v_cmp_gt_i32_e64 s18, 0, v68
	v_not_b32_e32 v47, v83
	v_ashrrev_i32_e32 v67, 31, v67
	s_wait_alu 0xfffd
	v_xor_b32_e32 v65, vcc_lo, v65
	v_dual_mov_b32 v90, v58 :: v_dual_and_b32 v37, v37, v48
	v_cmp_gt_i32_e32 vcc_lo, 0, v83
	v_not_b32_e32 v48, v66
	v_ashrrev_i32_e32 v47, 31, v47
	s_wait_alu 0xf1ff
	v_xor_b32_e32 v67, s18, v67
	v_dual_mov_b32 v92, v56 :: v_dual_and_b32 v37, v37, v65
	v_cmp_gt_i32_e64 s18, 0, v66
	v_ashrrev_i32_e32 v45, 31, v48
	s_wait_alu 0xfffd
	v_xor_b32_e32 v46, vcc_lo, v47
	v_dual_mov_b32 v94, v54 :: v_dual_and_b32 v37, v37, v67
	v_dual_mov_b32 v105, v39 :: v_dual_mov_b32 v96, v52
	s_wait_alu 0xf1ff
	v_xor_b32_e32 v39, s18, v45
	s_delay_alu instid0(VALU_DEP_3) | instskip(SKIP_2) | instid1(VALU_DEP_3)
	v_dual_mov_b32 v98, v50 :: v_dual_and_b32 v37, v37, v46
	v_dual_mov_b32 v84, v64 :: v_dual_mov_b32 v83, v63
	v_lshlrev_b32_e32 v38, 6, v38
	v_and_b32_e32 v37, v37, v39
	v_mov_b32_e32 v85, v61
	v_mov_b32_e32 v87, v59
	;; [unrolled: 1-line block ×4, first 2 shown]
	v_mbcnt_lo_u32_b32 v45, v37, 0
	v_cmp_ne_u32_e64 s18, 0, v37
	v_mov_b32_e32 v93, v53
	v_mov_b32_e32 v95, v51
	v_mov_b32_e32 v97, v49
	v_cmp_eq_u32_e32 vcc_lo, 0, v45
	v_add_nc_u32_e32 v46, v130, v38
	s_barrier_wait -1
	global_inv scope:SCOPE_SE
	s_and_b32 s22, s18, vcc_lo
	; wave barrier
	s_wait_alu 0xfffe
	s_and_saveexec_b32 s18, s22
; %bb.36:                               ;   in Loop: Header=BB150_35 Depth=1
	v_bcnt_u32_b32 v37, v37, 0
	ds_store_b32 v46, v37 offset:64
; %bb.37:                               ;   in Loop: Header=BB150_35 Depth=1
	s_wait_alu 0xfffe
	s_or_b32 exec_lo, exec_lo, s18
	v_lshrrev_b64 v[37:38], v70, v[105:106]
	; wave barrier
	s_delay_alu instid0(VALU_DEP_1) | instskip(NEXT) | instid1(VALU_DEP_1)
	v_and_b32_e32 v37, s21, v37
	v_and_b32_e32 v38, 1, v37
	v_lshlrev_b32_e32 v39, 30, v37
	v_lshlrev_b32_e32 v40, 29, v37
	;; [unrolled: 1-line block ×4, first 2 shown]
	v_add_co_u32 v38, s18, v38, -1
	s_wait_alu 0xf1ff
	v_cndmask_b32_e64 v42, 0, 1, s18
	v_not_b32_e32 v48, v39
	v_cmp_gt_i32_e64 s18, 0, v39
	v_not_b32_e32 v39, v40
	v_lshlrev_b32_e32 v44, 26, v37
	v_cmp_ne_u32_e32 vcc_lo, 0, v42
	v_ashrrev_i32_e32 v48, 31, v48
	v_lshlrev_b32_e32 v47, 25, v37
	v_ashrrev_i32_e32 v39, 31, v39
	v_lshlrev_b32_e32 v42, 24, v37
	s_wait_alu 0xfffd
	v_xor_b32_e32 v38, vcc_lo, v38
	v_cmp_gt_i32_e32 vcc_lo, 0, v40
	v_not_b32_e32 v40, v41
	s_wait_alu 0xf1ff
	v_xor_b32_e32 v48, s18, v48
	v_cmp_gt_i32_e64 s18, 0, v41
	v_and_b32_e32 v38, exec_lo, v38
	v_not_b32_e32 v41, v43
	v_ashrrev_i32_e32 v40, 31, v40
	s_wait_alu 0xfffd
	v_xor_b32_e32 v39, vcc_lo, v39
	v_cmp_gt_i32_e32 vcc_lo, 0, v43
	v_and_b32_e32 v38, v38, v48
	v_not_b32_e32 v43, v44
	v_ashrrev_i32_e32 v41, 31, v41
	s_wait_alu 0xf1ff
	v_xor_b32_e32 v40, s18, v40
	v_cmp_gt_i32_e64 s18, 0, v44
	v_and_b32_e32 v38, v38, v39
	v_not_b32_e32 v39, v47
	v_ashrrev_i32_e32 v43, 31, v43
	s_wait_alu 0xfffd
	v_xor_b32_e32 v41, vcc_lo, v41
	v_cmp_gt_i32_e32 vcc_lo, 0, v47
	v_and_b32_e32 v38, v38, v40
	v_not_b32_e32 v40, v42
	v_ashrrev_i32_e32 v39, 31, v39
	s_wait_alu 0xf1ff
	v_xor_b32_e32 v43, s18, v43
	v_lshlrev_b32_e32 v37, 6, v37
	v_and_b32_e32 v38, v38, v41
	v_cmp_gt_i32_e64 s18, 0, v42
	v_ashrrev_i32_e32 v40, 31, v40
	s_wait_alu 0xfffd
	v_xor_b32_e32 v39, vcc_lo, v39
	v_add_nc_u32_e32 v49, v130, v37
	v_and_b32_e32 v38, v38, v43
	s_wait_alu 0xf1ff
	v_xor_b32_e32 v37, s18, v40
	ds_load_b32 v47, v49 offset:64
	v_and_b32_e32 v38, v38, v39
	; wave barrier
	s_delay_alu instid0(VALU_DEP_1) | instskip(NEXT) | instid1(VALU_DEP_1)
	v_and_b32_e32 v37, v38, v37
	v_mbcnt_lo_u32_b32 v48, v37, 0
	v_cmp_ne_u32_e64 s18, 0, v37
	s_delay_alu instid0(VALU_DEP_2)
	v_cmp_eq_u32_e32 vcc_lo, 0, v48
	s_and_b32 s22, s18, vcc_lo
	s_wait_alu 0xfffe
	s_and_saveexec_b32 s18, s22
	s_cbranch_execz .LBB150_39
; %bb.38:                               ;   in Loop: Header=BB150_35 Depth=1
	s_wait_dscnt 0x0
	v_bcnt_u32_b32 v37, v37, v47
	ds_store_b32 v49, v37 offset:64
.LBB150_39:                             ;   in Loop: Header=BB150_35 Depth=1
	s_wait_alu 0xfffe
	s_or_b32 exec_lo, exec_lo, s18
	v_lshrrev_b64 v[37:38], v70, v[103:104]
	; wave barrier
	s_delay_alu instid0(VALU_DEP_1) | instskip(NEXT) | instid1(VALU_DEP_1)
	v_and_b32_e32 v37, s21, v37
	v_and_b32_e32 v38, 1, v37
	v_lshlrev_b32_e32 v39, 30, v37
	v_lshlrev_b32_e32 v40, 29, v37
	;; [unrolled: 1-line block ×4, first 2 shown]
	v_add_co_u32 v38, s18, v38, -1
	s_wait_alu 0xf1ff
	v_cndmask_b32_e64 v42, 0, 1, s18
	v_not_b32_e32 v51, v39
	v_cmp_gt_i32_e64 s18, 0, v39
	v_not_b32_e32 v39, v40
	v_lshlrev_b32_e32 v44, 26, v37
	v_cmp_ne_u32_e32 vcc_lo, 0, v42
	v_ashrrev_i32_e32 v51, 31, v51
	v_lshlrev_b32_e32 v50, 25, v37
	v_ashrrev_i32_e32 v39, 31, v39
	v_lshlrev_b32_e32 v42, 24, v37
	s_wait_alu 0xfffd
	v_xor_b32_e32 v38, vcc_lo, v38
	v_cmp_gt_i32_e32 vcc_lo, 0, v40
	v_not_b32_e32 v40, v41
	s_wait_alu 0xf1ff
	v_xor_b32_e32 v51, s18, v51
	v_cmp_gt_i32_e64 s18, 0, v41
	v_and_b32_e32 v38, exec_lo, v38
	v_not_b32_e32 v41, v43
	v_ashrrev_i32_e32 v40, 31, v40
	s_wait_alu 0xfffd
	v_xor_b32_e32 v39, vcc_lo, v39
	v_cmp_gt_i32_e32 vcc_lo, 0, v43
	v_and_b32_e32 v38, v38, v51
	v_not_b32_e32 v43, v44
	v_ashrrev_i32_e32 v41, 31, v41
	s_wait_alu 0xf1ff
	v_xor_b32_e32 v40, s18, v40
	v_cmp_gt_i32_e64 s18, 0, v44
	v_and_b32_e32 v38, v38, v39
	v_not_b32_e32 v39, v50
	v_ashrrev_i32_e32 v43, 31, v43
	s_wait_alu 0xfffd
	v_xor_b32_e32 v41, vcc_lo, v41
	v_cmp_gt_i32_e32 vcc_lo, 0, v50
	v_and_b32_e32 v38, v38, v40
	v_not_b32_e32 v40, v42
	v_ashrrev_i32_e32 v39, 31, v39
	s_wait_alu 0xf1ff
	v_xor_b32_e32 v43, s18, v43
	v_lshlrev_b32_e32 v37, 6, v37
	v_and_b32_e32 v38, v38, v41
	v_cmp_gt_i32_e64 s18, 0, v42
	v_ashrrev_i32_e32 v40, 31, v40
	s_wait_alu 0xfffd
	v_xor_b32_e32 v39, vcc_lo, v39
	v_add_nc_u32_e32 v52, v130, v37
	v_and_b32_e32 v38, v38, v43
	s_wait_alu 0xf1ff
	v_xor_b32_e32 v37, s18, v40
	ds_load_b32 v50, v52 offset:64
	v_and_b32_e32 v38, v38, v39
	; wave barrier
	s_delay_alu instid0(VALU_DEP_1) | instskip(NEXT) | instid1(VALU_DEP_1)
	v_and_b32_e32 v37, v38, v37
	v_mbcnt_lo_u32_b32 v51, v37, 0
	v_cmp_ne_u32_e64 s18, 0, v37
	s_delay_alu instid0(VALU_DEP_2)
	v_cmp_eq_u32_e32 vcc_lo, 0, v51
	s_and_b32 s22, s18, vcc_lo
	s_wait_alu 0xfffe
	s_and_saveexec_b32 s18, s22
	s_cbranch_execz .LBB150_41
; %bb.40:                               ;   in Loop: Header=BB150_35 Depth=1
	s_wait_dscnt 0x0
	v_bcnt_u32_b32 v37, v37, v50
	ds_store_b32 v52, v37 offset:64
.LBB150_41:                             ;   in Loop: Header=BB150_35 Depth=1
	s_wait_alu 0xfffe
	s_or_b32 exec_lo, exec_lo, s18
	v_lshrrev_b64 v[37:38], v70, v[101:102]
	; wave barrier
	s_delay_alu instid0(VALU_DEP_1) | instskip(NEXT) | instid1(VALU_DEP_1)
	v_and_b32_e32 v37, s21, v37
	v_and_b32_e32 v38, 1, v37
	v_lshlrev_b32_e32 v39, 30, v37
	v_lshlrev_b32_e32 v40, 29, v37
	;; [unrolled: 1-line block ×4, first 2 shown]
	v_add_co_u32 v38, s18, v38, -1
	s_wait_alu 0xf1ff
	v_cndmask_b32_e64 v42, 0, 1, s18
	v_not_b32_e32 v54, v39
	v_cmp_gt_i32_e64 s18, 0, v39
	v_not_b32_e32 v39, v40
	v_lshlrev_b32_e32 v44, 26, v37
	v_cmp_ne_u32_e32 vcc_lo, 0, v42
	v_ashrrev_i32_e32 v54, 31, v54
	v_lshlrev_b32_e32 v53, 25, v37
	v_ashrrev_i32_e32 v39, 31, v39
	v_lshlrev_b32_e32 v42, 24, v37
	s_wait_alu 0xfffd
	v_xor_b32_e32 v38, vcc_lo, v38
	v_cmp_gt_i32_e32 vcc_lo, 0, v40
	v_not_b32_e32 v40, v41
	s_wait_alu 0xf1ff
	v_xor_b32_e32 v54, s18, v54
	v_cmp_gt_i32_e64 s18, 0, v41
	v_and_b32_e32 v38, exec_lo, v38
	v_not_b32_e32 v41, v43
	v_ashrrev_i32_e32 v40, 31, v40
	s_wait_alu 0xfffd
	v_xor_b32_e32 v39, vcc_lo, v39
	v_cmp_gt_i32_e32 vcc_lo, 0, v43
	v_and_b32_e32 v38, v38, v54
	v_not_b32_e32 v43, v44
	v_ashrrev_i32_e32 v41, 31, v41
	s_wait_alu 0xf1ff
	v_xor_b32_e32 v40, s18, v40
	v_cmp_gt_i32_e64 s18, 0, v44
	v_and_b32_e32 v38, v38, v39
	v_not_b32_e32 v39, v53
	v_ashrrev_i32_e32 v43, 31, v43
	s_wait_alu 0xfffd
	v_xor_b32_e32 v41, vcc_lo, v41
	v_cmp_gt_i32_e32 vcc_lo, 0, v53
	v_and_b32_e32 v38, v38, v40
	v_not_b32_e32 v40, v42
	v_ashrrev_i32_e32 v39, 31, v39
	s_wait_alu 0xf1ff
	v_xor_b32_e32 v43, s18, v43
	v_lshlrev_b32_e32 v37, 6, v37
	v_and_b32_e32 v38, v38, v41
	v_cmp_gt_i32_e64 s18, 0, v42
	v_ashrrev_i32_e32 v40, 31, v40
	s_wait_alu 0xfffd
	v_xor_b32_e32 v39, vcc_lo, v39
	v_add_nc_u32_e32 v55, v130, v37
	v_and_b32_e32 v38, v38, v43
	s_wait_alu 0xf1ff
	v_xor_b32_e32 v37, s18, v40
	ds_load_b32 v53, v55 offset:64
	v_and_b32_e32 v38, v38, v39
	; wave barrier
	s_delay_alu instid0(VALU_DEP_1) | instskip(NEXT) | instid1(VALU_DEP_1)
	v_and_b32_e32 v37, v38, v37
	v_mbcnt_lo_u32_b32 v54, v37, 0
	v_cmp_ne_u32_e64 s18, 0, v37
	s_delay_alu instid0(VALU_DEP_2)
	v_cmp_eq_u32_e32 vcc_lo, 0, v54
	s_and_b32 s22, s18, vcc_lo
	s_wait_alu 0xfffe
	s_and_saveexec_b32 s18, s22
	s_cbranch_execz .LBB150_43
; %bb.42:                               ;   in Loop: Header=BB150_35 Depth=1
	s_wait_dscnt 0x0
	v_bcnt_u32_b32 v37, v37, v53
	ds_store_b32 v55, v37 offset:64
.LBB150_43:                             ;   in Loop: Header=BB150_35 Depth=1
	s_wait_alu 0xfffe
	s_or_b32 exec_lo, exec_lo, s18
	v_lshrrev_b64 v[37:38], v70, v[99:100]
	; wave barrier
	s_delay_alu instid0(VALU_DEP_1) | instskip(NEXT) | instid1(VALU_DEP_1)
	v_and_b32_e32 v37, s21, v37
	v_and_b32_e32 v38, 1, v37
	v_lshlrev_b32_e32 v39, 30, v37
	v_lshlrev_b32_e32 v40, 29, v37
	;; [unrolled: 1-line block ×4, first 2 shown]
	v_add_co_u32 v38, s18, v38, -1
	s_wait_alu 0xf1ff
	v_cndmask_b32_e64 v42, 0, 1, s18
	v_not_b32_e32 v57, v39
	v_cmp_gt_i32_e64 s18, 0, v39
	v_not_b32_e32 v39, v40
	v_lshlrev_b32_e32 v44, 26, v37
	v_cmp_ne_u32_e32 vcc_lo, 0, v42
	v_ashrrev_i32_e32 v57, 31, v57
	v_lshlrev_b32_e32 v56, 25, v37
	v_ashrrev_i32_e32 v39, 31, v39
	v_lshlrev_b32_e32 v42, 24, v37
	s_wait_alu 0xfffd
	v_xor_b32_e32 v38, vcc_lo, v38
	v_cmp_gt_i32_e32 vcc_lo, 0, v40
	v_not_b32_e32 v40, v41
	s_wait_alu 0xf1ff
	v_xor_b32_e32 v57, s18, v57
	v_cmp_gt_i32_e64 s18, 0, v41
	v_and_b32_e32 v38, exec_lo, v38
	v_not_b32_e32 v41, v43
	v_ashrrev_i32_e32 v40, 31, v40
	s_wait_alu 0xfffd
	v_xor_b32_e32 v39, vcc_lo, v39
	v_cmp_gt_i32_e32 vcc_lo, 0, v43
	v_and_b32_e32 v38, v38, v57
	v_not_b32_e32 v43, v44
	v_ashrrev_i32_e32 v41, 31, v41
	s_wait_alu 0xf1ff
	v_xor_b32_e32 v40, s18, v40
	v_cmp_gt_i32_e64 s18, 0, v44
	v_and_b32_e32 v38, v38, v39
	v_not_b32_e32 v39, v56
	v_ashrrev_i32_e32 v43, 31, v43
	s_wait_alu 0xfffd
	v_xor_b32_e32 v41, vcc_lo, v41
	v_cmp_gt_i32_e32 vcc_lo, 0, v56
	v_and_b32_e32 v38, v38, v40
	v_not_b32_e32 v40, v42
	v_ashrrev_i32_e32 v39, 31, v39
	s_wait_alu 0xf1ff
	v_xor_b32_e32 v43, s18, v43
	v_lshlrev_b32_e32 v37, 6, v37
	v_and_b32_e32 v38, v38, v41
	v_cmp_gt_i32_e64 s18, 0, v42
	v_ashrrev_i32_e32 v40, 31, v40
	s_wait_alu 0xfffd
	v_xor_b32_e32 v39, vcc_lo, v39
	v_add_nc_u32_e32 v58, v130, v37
	v_and_b32_e32 v38, v38, v43
	s_wait_alu 0xf1ff
	v_xor_b32_e32 v37, s18, v40
	ds_load_b32 v56, v58 offset:64
	v_and_b32_e32 v38, v38, v39
	; wave barrier
	s_delay_alu instid0(VALU_DEP_1) | instskip(NEXT) | instid1(VALU_DEP_1)
	v_and_b32_e32 v37, v38, v37
	v_mbcnt_lo_u32_b32 v57, v37, 0
	v_cmp_ne_u32_e64 s18, 0, v37
	s_delay_alu instid0(VALU_DEP_2)
	v_cmp_eq_u32_e32 vcc_lo, 0, v57
	s_and_b32 s22, s18, vcc_lo
	s_wait_alu 0xfffe
	s_and_saveexec_b32 s18, s22
	s_cbranch_execz .LBB150_45
; %bb.44:                               ;   in Loop: Header=BB150_35 Depth=1
	s_wait_dscnt 0x0
	v_bcnt_u32_b32 v37, v37, v56
	ds_store_b32 v58, v37 offset:64
.LBB150_45:                             ;   in Loop: Header=BB150_35 Depth=1
	s_wait_alu 0xfffe
	s_or_b32 exec_lo, exec_lo, s18
	v_lshrrev_b64 v[37:38], v70, v[81:82]
	; wave barrier
	s_delay_alu instid0(VALU_DEP_1) | instskip(NEXT) | instid1(VALU_DEP_1)
	v_and_b32_e32 v37, s21, v37
	v_and_b32_e32 v38, 1, v37
	v_lshlrev_b32_e32 v39, 30, v37
	v_lshlrev_b32_e32 v40, 29, v37
	;; [unrolled: 1-line block ×4, first 2 shown]
	v_add_co_u32 v38, s18, v38, -1
	s_wait_alu 0xf1ff
	v_cndmask_b32_e64 v42, 0, 1, s18
	v_not_b32_e32 v60, v39
	v_cmp_gt_i32_e64 s18, 0, v39
	v_not_b32_e32 v39, v40
	v_lshlrev_b32_e32 v44, 26, v37
	v_cmp_ne_u32_e32 vcc_lo, 0, v42
	v_ashrrev_i32_e32 v60, 31, v60
	v_lshlrev_b32_e32 v59, 25, v37
	v_ashrrev_i32_e32 v39, 31, v39
	v_lshlrev_b32_e32 v42, 24, v37
	s_wait_alu 0xfffd
	v_xor_b32_e32 v38, vcc_lo, v38
	v_cmp_gt_i32_e32 vcc_lo, 0, v40
	v_not_b32_e32 v40, v41
	s_wait_alu 0xf1ff
	v_xor_b32_e32 v60, s18, v60
	v_cmp_gt_i32_e64 s18, 0, v41
	v_and_b32_e32 v38, exec_lo, v38
	v_not_b32_e32 v41, v43
	v_ashrrev_i32_e32 v40, 31, v40
	s_wait_alu 0xfffd
	v_xor_b32_e32 v39, vcc_lo, v39
	v_cmp_gt_i32_e32 vcc_lo, 0, v43
	v_and_b32_e32 v38, v38, v60
	v_not_b32_e32 v43, v44
	v_ashrrev_i32_e32 v41, 31, v41
	s_wait_alu 0xf1ff
	v_xor_b32_e32 v40, s18, v40
	v_cmp_gt_i32_e64 s18, 0, v44
	v_and_b32_e32 v38, v38, v39
	v_not_b32_e32 v39, v59
	v_ashrrev_i32_e32 v43, 31, v43
	s_wait_alu 0xfffd
	v_xor_b32_e32 v41, vcc_lo, v41
	v_cmp_gt_i32_e32 vcc_lo, 0, v59
	v_and_b32_e32 v38, v38, v40
	v_not_b32_e32 v40, v42
	v_ashrrev_i32_e32 v39, 31, v39
	s_wait_alu 0xf1ff
	v_xor_b32_e32 v43, s18, v43
	v_lshlrev_b32_e32 v37, 6, v37
	v_and_b32_e32 v38, v38, v41
	v_cmp_gt_i32_e64 s18, 0, v42
	v_ashrrev_i32_e32 v40, 31, v40
	s_wait_alu 0xfffd
	v_xor_b32_e32 v39, vcc_lo, v39
	v_add_nc_u32_e32 v61, v130, v37
	v_and_b32_e32 v38, v38, v43
	s_wait_alu 0xf1ff
	v_xor_b32_e32 v37, s18, v40
	ds_load_b32 v59, v61 offset:64
	v_and_b32_e32 v38, v38, v39
	; wave barrier
	s_delay_alu instid0(VALU_DEP_1) | instskip(NEXT) | instid1(VALU_DEP_1)
	v_and_b32_e32 v37, v38, v37
	v_mbcnt_lo_u32_b32 v60, v37, 0
	v_cmp_ne_u32_e64 s18, 0, v37
	s_delay_alu instid0(VALU_DEP_2)
	v_cmp_eq_u32_e32 vcc_lo, 0, v60
	s_and_b32 s22, s18, vcc_lo
	s_wait_alu 0xfffe
	s_and_saveexec_b32 s18, s22
	s_cbranch_execz .LBB150_47
; %bb.46:                               ;   in Loop: Header=BB150_35 Depth=1
	s_wait_dscnt 0x0
	v_bcnt_u32_b32 v37, v37, v59
	ds_store_b32 v61, v37 offset:64
.LBB150_47:                             ;   in Loop: Header=BB150_35 Depth=1
	s_wait_alu 0xfffe
	s_or_b32 exec_lo, exec_lo, s18
	v_lshrrev_b64 v[37:38], v70, v[79:80]
	; wave barrier
	s_delay_alu instid0(VALU_DEP_1) | instskip(NEXT) | instid1(VALU_DEP_1)
	v_and_b32_e32 v37, s21, v37
	v_and_b32_e32 v38, 1, v37
	v_lshlrev_b32_e32 v39, 30, v37
	v_lshlrev_b32_e32 v40, 29, v37
	;; [unrolled: 1-line block ×4, first 2 shown]
	v_add_co_u32 v38, s18, v38, -1
	s_wait_alu 0xf1ff
	v_cndmask_b32_e64 v42, 0, 1, s18
	v_not_b32_e32 v63, v39
	v_cmp_gt_i32_e64 s18, 0, v39
	v_not_b32_e32 v39, v40
	v_lshlrev_b32_e32 v44, 26, v37
	v_cmp_ne_u32_e32 vcc_lo, 0, v42
	v_ashrrev_i32_e32 v63, 31, v63
	v_lshlrev_b32_e32 v62, 25, v37
	v_ashrrev_i32_e32 v39, 31, v39
	v_lshlrev_b32_e32 v42, 24, v37
	s_wait_alu 0xfffd
	v_xor_b32_e32 v38, vcc_lo, v38
	v_cmp_gt_i32_e32 vcc_lo, 0, v40
	v_not_b32_e32 v40, v41
	s_wait_alu 0xf1ff
	v_xor_b32_e32 v63, s18, v63
	v_cmp_gt_i32_e64 s18, 0, v41
	v_and_b32_e32 v38, exec_lo, v38
	v_not_b32_e32 v41, v43
	v_ashrrev_i32_e32 v40, 31, v40
	s_wait_alu 0xfffd
	v_xor_b32_e32 v39, vcc_lo, v39
	v_cmp_gt_i32_e32 vcc_lo, 0, v43
	v_and_b32_e32 v38, v38, v63
	v_not_b32_e32 v43, v44
	v_ashrrev_i32_e32 v41, 31, v41
	s_wait_alu 0xf1ff
	v_xor_b32_e32 v40, s18, v40
	v_cmp_gt_i32_e64 s18, 0, v44
	v_and_b32_e32 v38, v38, v39
	v_not_b32_e32 v39, v62
	v_ashrrev_i32_e32 v43, 31, v43
	s_wait_alu 0xfffd
	v_xor_b32_e32 v41, vcc_lo, v41
	v_cmp_gt_i32_e32 vcc_lo, 0, v62
	v_and_b32_e32 v38, v38, v40
	v_not_b32_e32 v40, v42
	v_ashrrev_i32_e32 v39, 31, v39
	s_wait_alu 0xf1ff
	v_xor_b32_e32 v43, s18, v43
	v_lshlrev_b32_e32 v37, 6, v37
	v_and_b32_e32 v38, v38, v41
	v_cmp_gt_i32_e64 s18, 0, v42
	v_ashrrev_i32_e32 v40, 31, v40
	s_wait_alu 0xfffd
	v_xor_b32_e32 v39, vcc_lo, v39
	v_add_nc_u32_e32 v64, v130, v37
	v_and_b32_e32 v38, v38, v43
	s_wait_alu 0xf1ff
	v_xor_b32_e32 v37, s18, v40
	ds_load_b32 v62, v64 offset:64
	v_and_b32_e32 v38, v38, v39
	; wave barrier
	s_delay_alu instid0(VALU_DEP_1) | instskip(NEXT) | instid1(VALU_DEP_1)
	v_and_b32_e32 v37, v38, v37
	v_mbcnt_lo_u32_b32 v63, v37, 0
	v_cmp_ne_u32_e64 s18, 0, v37
	s_delay_alu instid0(VALU_DEP_2)
	v_cmp_eq_u32_e32 vcc_lo, 0, v63
	s_and_b32 s22, s18, vcc_lo
	s_wait_alu 0xfffe
	s_and_saveexec_b32 s18, s22
	s_cbranch_execz .LBB150_49
; %bb.48:                               ;   in Loop: Header=BB150_35 Depth=1
	s_wait_dscnt 0x0
	v_bcnt_u32_b32 v37, v37, v62
	ds_store_b32 v64, v37 offset:64
.LBB150_49:                             ;   in Loop: Header=BB150_35 Depth=1
	s_wait_alu 0xfffe
	s_or_b32 exec_lo, exec_lo, s18
	v_lshrrev_b64 v[37:38], v70, v[77:78]
	; wave barrier
	s_delay_alu instid0(VALU_DEP_1) | instskip(NEXT) | instid1(VALU_DEP_1)
	v_and_b32_e32 v37, s21, v37
	v_and_b32_e32 v38, 1, v37
	v_lshlrev_b32_e32 v39, 30, v37
	v_lshlrev_b32_e32 v40, 29, v37
	;; [unrolled: 1-line block ×4, first 2 shown]
	v_add_co_u32 v38, s18, v38, -1
	s_wait_alu 0xf1ff
	v_cndmask_b32_e64 v42, 0, 1, s18
	v_not_b32_e32 v66, v39
	v_cmp_gt_i32_e64 s18, 0, v39
	v_not_b32_e32 v39, v40
	v_lshlrev_b32_e32 v44, 26, v37
	v_cmp_ne_u32_e32 vcc_lo, 0, v42
	v_ashrrev_i32_e32 v66, 31, v66
	v_lshlrev_b32_e32 v65, 25, v37
	v_ashrrev_i32_e32 v39, 31, v39
	v_lshlrev_b32_e32 v42, 24, v37
	s_wait_alu 0xfffd
	v_xor_b32_e32 v38, vcc_lo, v38
	v_cmp_gt_i32_e32 vcc_lo, 0, v40
	v_not_b32_e32 v40, v41
	s_wait_alu 0xf1ff
	v_xor_b32_e32 v66, s18, v66
	v_cmp_gt_i32_e64 s18, 0, v41
	v_and_b32_e32 v38, exec_lo, v38
	v_not_b32_e32 v41, v43
	v_ashrrev_i32_e32 v40, 31, v40
	s_wait_alu 0xfffd
	v_xor_b32_e32 v39, vcc_lo, v39
	v_cmp_gt_i32_e32 vcc_lo, 0, v43
	v_and_b32_e32 v38, v38, v66
	v_not_b32_e32 v43, v44
	v_ashrrev_i32_e32 v41, 31, v41
	s_wait_alu 0xf1ff
	v_xor_b32_e32 v40, s18, v40
	v_cmp_gt_i32_e64 s18, 0, v44
	v_and_b32_e32 v38, v38, v39
	v_not_b32_e32 v39, v65
	v_ashrrev_i32_e32 v43, 31, v43
	s_wait_alu 0xfffd
	v_xor_b32_e32 v41, vcc_lo, v41
	v_cmp_gt_i32_e32 vcc_lo, 0, v65
	v_and_b32_e32 v38, v38, v40
	v_not_b32_e32 v40, v42
	v_ashrrev_i32_e32 v39, 31, v39
	s_wait_alu 0xf1ff
	v_xor_b32_e32 v43, s18, v43
	v_lshlrev_b32_e32 v37, 6, v37
	v_and_b32_e32 v38, v38, v41
	v_cmp_gt_i32_e64 s18, 0, v42
	v_ashrrev_i32_e32 v40, 31, v40
	s_wait_alu 0xfffd
	v_xor_b32_e32 v39, vcc_lo, v39
	v_add_nc_u32_e32 v67, v130, v37
	v_and_b32_e32 v38, v38, v43
	s_wait_alu 0xf1ff
	v_xor_b32_e32 v37, s18, v40
	ds_load_b32 v65, v67 offset:64
	v_and_b32_e32 v38, v38, v39
	; wave barrier
	s_delay_alu instid0(VALU_DEP_1) | instskip(NEXT) | instid1(VALU_DEP_1)
	v_and_b32_e32 v37, v38, v37
	v_mbcnt_lo_u32_b32 v66, v37, 0
	v_cmp_ne_u32_e64 s18, 0, v37
	s_delay_alu instid0(VALU_DEP_2)
	v_cmp_eq_u32_e32 vcc_lo, 0, v66
	s_and_b32 s21, s18, vcc_lo
	s_wait_alu 0xfffe
	s_and_saveexec_b32 s18, s21
	s_cbranch_execz .LBB150_51
; %bb.50:                               ;   in Loop: Header=BB150_35 Depth=1
	s_wait_dscnt 0x0
	v_bcnt_u32_b32 v37, v37, v65
	ds_store_b32 v67, v37 offset:64
.LBB150_51:                             ;   in Loop: Header=BB150_35 Depth=1
	s_wait_alu 0xfffe
	s_or_b32 exec_lo, exec_lo, s18
	; wave barrier
	s_wait_loadcnt_dscnt 0x0
	s_barrier_signal -1
	s_barrier_wait -1
	global_inv scope:SCOPE_SE
	ds_load_b128 v[41:44], v116 offset:64
	ds_load_b128 v[37:40], v116 offset:80
	s_wait_dscnt 0x1
	v_add_nc_u32_e32 v68, v42, v41
	s_delay_alu instid0(VALU_DEP_1) | instskip(SKIP_1) | instid1(VALU_DEP_1)
	v_add3_u32 v68, v68, v43, v44
	s_wait_dscnt 0x0
	v_add3_u32 v68, v68, v37, v38
	s_delay_alu instid0(VALU_DEP_1) | instskip(NEXT) | instid1(VALU_DEP_1)
	v_add3_u32 v40, v68, v39, v40
	v_mov_b32_dpp v68, v40 row_shr:1 row_mask:0xf bank_mask:0xf
	s_delay_alu instid0(VALU_DEP_1) | instskip(NEXT) | instid1(VALU_DEP_1)
	v_cndmask_b32_e64 v68, v68, 0, s12
	v_add_nc_u32_e32 v40, v68, v40
	s_delay_alu instid0(VALU_DEP_1) | instskip(NEXT) | instid1(VALU_DEP_1)
	v_mov_b32_dpp v68, v40 row_shr:2 row_mask:0xf bank_mask:0xf
	v_cndmask_b32_e64 v68, 0, v68, s13
	s_delay_alu instid0(VALU_DEP_1) | instskip(NEXT) | instid1(VALU_DEP_1)
	v_add_nc_u32_e32 v40, v40, v68
	v_mov_b32_dpp v68, v40 row_shr:4 row_mask:0xf bank_mask:0xf
	s_delay_alu instid0(VALU_DEP_1) | instskip(NEXT) | instid1(VALU_DEP_1)
	v_cndmask_b32_e64 v68, 0, v68, s14
	v_add_nc_u32_e32 v40, v40, v68
	s_delay_alu instid0(VALU_DEP_1) | instskip(NEXT) | instid1(VALU_DEP_1)
	v_mov_b32_dpp v68, v40 row_shr:8 row_mask:0xf bank_mask:0xf
	v_cndmask_b32_e64 v68, 0, v68, s15
	s_delay_alu instid0(VALU_DEP_1) | instskip(SKIP_3) | instid1(VALU_DEP_1)
	v_add_nc_u32_e32 v40, v40, v68
	ds_swizzle_b32 v68, v40 offset:swizzle(BROADCAST,32,15)
	s_wait_dscnt 0x0
	v_cndmask_b32_e64 v68, v68, 0, s16
	v_add_nc_u32_e32 v40, v40, v68
	s_and_saveexec_b32 s18, s17
; %bb.52:                               ;   in Loop: Header=BB150_35 Depth=1
	ds_store_b32 v117, v40
; %bb.53:                               ;   in Loop: Header=BB150_35 Depth=1
	s_wait_alu 0xfffe
	s_or_b32 exec_lo, exec_lo, s18
	s_wait_loadcnt_dscnt 0x0
	s_barrier_signal -1
	s_barrier_wait -1
	global_inv scope:SCOPE_SE
	s_and_saveexec_b32 s18, s1
	s_cbranch_execz .LBB150_55
; %bb.54:                               ;   in Loop: Header=BB150_35 Depth=1
	ds_load_b32 v68, v131
	s_wait_dscnt 0x0
	v_mov_b32_dpp v132, v68 row_shr:1 row_mask:0xf bank_mask:0xf
	s_delay_alu instid0(VALU_DEP_1) | instskip(NEXT) | instid1(VALU_DEP_1)
	v_cndmask_b32_e64 v132, v132, 0, s12
	v_add_nc_u32_e32 v68, v132, v68
	s_delay_alu instid0(VALU_DEP_1) | instskip(NEXT) | instid1(VALU_DEP_1)
	v_mov_b32_dpp v132, v68 row_shr:2 row_mask:0xf bank_mask:0xf
	v_cndmask_b32_e64 v132, 0, v132, s13
	s_delay_alu instid0(VALU_DEP_1) | instskip(NEXT) | instid1(VALU_DEP_1)
	v_add_nc_u32_e32 v68, v68, v132
	v_mov_b32_dpp v132, v68 row_shr:4 row_mask:0xf bank_mask:0xf
	s_delay_alu instid0(VALU_DEP_1) | instskip(NEXT) | instid1(VALU_DEP_1)
	v_cndmask_b32_e64 v132, 0, v132, s14
	v_add_nc_u32_e32 v68, v68, v132
	s_delay_alu instid0(VALU_DEP_1) | instskip(NEXT) | instid1(VALU_DEP_1)
	v_mov_b32_dpp v132, v68 row_shr:8 row_mask:0xf bank_mask:0xf
	v_cndmask_b32_e64 v132, 0, v132, s15
	s_delay_alu instid0(VALU_DEP_1)
	v_add_nc_u32_e32 v68, v68, v132
	ds_store_b32 v131, v68
.LBB150_55:                             ;   in Loop: Header=BB150_35 Depth=1
	s_wait_alu 0xfffe
	s_or_b32 exec_lo, exec_lo, s18
	v_mov_b32_e32 v68, 0
	s_wait_loadcnt_dscnt 0x0
	s_barrier_signal -1
	s_barrier_wait -1
	global_inv scope:SCOPE_SE
	s_and_saveexec_b32 s18, s9
; %bb.56:                               ;   in Loop: Header=BB150_35 Depth=1
	ds_load_b32 v68, v128
; %bb.57:                               ;   in Loop: Header=BB150_35 Depth=1
	s_wait_alu 0xfffe
	s_or_b32 exec_lo, exec_lo, s18
	s_wait_dscnt 0x0
	v_add_nc_u32_e32 v40, v68, v40
	v_cmp_lt_u32_e32 vcc_lo, 55, v70
	s_mov_b32 s18, -1
	ds_bpermute_b32 v40, v127, v40
	s_and_b32 vcc_lo, exec_lo, vcc_lo
	s_wait_dscnt 0x0
	v_cndmask_b32_e64 v40, v40, v68, s11
	s_delay_alu instid0(VALU_DEP_1) | instskip(NEXT) | instid1(VALU_DEP_1)
	v_cndmask_b32_e64 v40, v40, 0, s10
	v_add_nc_u32_e32 v41, v40, v41
	s_delay_alu instid0(VALU_DEP_1) | instskip(NEXT) | instid1(VALU_DEP_1)
	v_add_nc_u32_e32 v42, v41, v42
	v_add_nc_u32_e32 v43, v42, v43
	s_delay_alu instid0(VALU_DEP_1) | instskip(NEXT) | instid1(VALU_DEP_1)
	v_add_nc_u32_e32 v132, v43, v44
	;; [unrolled: 3-line block ×3, first 2 shown]
	v_add_nc_u32_e32 v135, v134, v39
	ds_store_b128 v116, v[40:43] offset:64
	ds_store_b128 v116, v[132:135] offset:80
	s_wait_loadcnt_dscnt 0x0
	s_barrier_signal -1
	s_barrier_wait -1
	global_inv scope:SCOPE_SE
	ds_load_b32 v37, v46 offset:64
	ds_load_b32 v38, v49 offset:64
	;; [unrolled: 1-line block ×8, first 2 shown]
	s_wait_dscnt 0x7
	v_add_nc_u32_e32 v139, v37, v45
	s_wait_dscnt 0x6
	v_add3_u32 v138, v48, v47, v38
	s_wait_dscnt 0x5
	v_add3_u32 v137, v51, v50, v39
	;; [unrolled: 2-line block ×7, first 2 shown]
                                        ; implicit-def: $vgpr67_vgpr68
                                        ; implicit-def: $vgpr47_vgpr48
                                        ; implicit-def: $vgpr43_vgpr44
                                        ; implicit-def: $vgpr39_vgpr40
                                        ; implicit-def: $vgpr63_vgpr64
                                        ; implicit-def: $vgpr59_vgpr60
                                        ; implicit-def: $vgpr55_vgpr56
                                        ; implicit-def: $vgpr51_vgpr52
	s_wait_alu 0xfffe
	s_cbranch_vccnz .LBB150_34
; %bb.58:                               ;   in Loop: Header=BB150_35 Depth=1
	v_lshlrev_b32_e32 v49, 3, v139
	v_lshlrev_b32_e32 v52, 3, v136
	;; [unrolled: 1-line block ×8, first 2 shown]
	s_wait_loadcnt 0x0
	s_barrier_signal -1
	s_barrier_wait -1
	global_inv scope:SCOPE_SE
	ds_store_b64 v49, v[75:76]
	ds_store_b64 v50, v[105:106]
	;; [unrolled: 1-line block ×8, first 2 shown]
	s_wait_loadcnt_dscnt 0x0
	s_barrier_signal -1
	s_barrier_wait -1
	global_inv scope:SCOPE_SE
	ds_load_2addr_b64 v[37:40], v129 offset1:32
	ds_load_2addr_b64 v[41:44], v129 offset0:64 offset1:96
	ds_load_2addr_b64 v[45:48], v129 offset0:128 offset1:160
	;; [unrolled: 1-line block ×3, first 2 shown]
	s_wait_loadcnt_dscnt 0x0
	s_barrier_signal -1
	s_barrier_wait -1
	global_inv scope:SCOPE_SE
	ds_store_b64 v49, v[97:98]
	ds_store_b64 v50, v[95:96]
	;; [unrolled: 1-line block ×8, first 2 shown]
	s_wait_loadcnt_dscnt 0x0
	s_barrier_signal -1
	s_barrier_wait -1
	global_inv scope:SCOPE_SE
	ds_load_2addr_b64 v[49:52], v129 offset1:32
	ds_load_2addr_b64 v[53:56], v129 offset0:64 offset1:96
	ds_load_2addr_b64 v[57:60], v129 offset0:128 offset1:160
	;; [unrolled: 1-line block ×3, first 2 shown]
	v_add_co_u32 v70, vcc_lo, v70, 8
	s_wait_alu 0xfffd
	v_add_co_ci_u32_e64 v71, null, 0, v71, vcc_lo
	s_add_co_i32 s20, s20, -8
	s_mov_b32 s18, 0
	s_wait_loadcnt_dscnt 0x0
	s_barrier_signal -1
	s_barrier_wait -1
	global_inv scope:SCOPE_SE
	s_branch .LBB150_34
.LBB150_59:
	v_lshlrev_b64_e32 v[17:18], 3, v[69:70]
	v_mov_b32_e32 v71, v70
	v_dual_mov_b32 v19, v70 :: v_dual_mov_b32 v22, v70
	v_dual_mov_b32 v21, v70 :: v_dual_mov_b32 v24, v70
	s_wait_alu 0xfffe
	s_delay_alu instid0(VALU_DEP_4)
	v_add_co_u32 v17, vcc_lo, s24, v17
	s_wait_alu 0xfffd
	v_add_co_ci_u32_e64 v18, null, s25, v18, vcc_lo
	v_dual_mov_b32 v23, v70 :: v_dual_mov_b32 v26, v70
	v_dual_mov_b32 v25, v70 :: v_dual_mov_b32 v30, v70
	global_load_b64 v[27:28], v[17:18], off
	v_dual_mov_b32 v17, v70 :: v_dual_mov_b32 v20, v70
	v_dual_mov_b32 v18, v70 :: v_dual_mov_b32 v29, v70
	s_or_b32 exec_lo, exec_lo, s1
	s_and_saveexec_b32 s1, s3
	s_cbranch_execz .LBB150_25
.LBB150_60:
	v_mul_lo_u32 v39, s28, v31
	v_mov_b32_e32 v40, 0
	s_delay_alu instid0(VALU_DEP_1) | instskip(SKIP_1) | instid1(VALU_DEP_1)
	v_lshlrev_b64_e32 v[39:40], 3, v[39:40]
	s_wait_alu 0xfffe
	v_add_co_u32 v39, vcc_lo, s24, v39
	s_wait_alu 0xfffd
	s_delay_alu instid0(VALU_DEP_2)
	v_add_co_ci_u32_e64 v40, null, s25, v40, vcc_lo
	global_load_b64 v[70:71], v[39:40], off
	s_or_b32 exec_lo, exec_lo, s1
	s_and_saveexec_b32 s1, s4
	s_cbranch_execz .LBB150_26
.LBB150_61:
	v_mul_lo_u32 v17, s28, v32
	v_mov_b32_e32 v18, 0
	s_delay_alu instid0(VALU_DEP_1) | instskip(SKIP_1) | instid1(VALU_DEP_1)
	v_lshlrev_b64_e32 v[17:18], 3, v[17:18]
	s_wait_alu 0xfffe
	v_add_co_u32 v17, vcc_lo, s24, v17
	s_wait_alu 0xfffd
	s_delay_alu instid0(VALU_DEP_2)
	v_add_co_ci_u32_e64 v18, null, s25, v18, vcc_lo
	global_load_b64 v[17:18], v[17:18], off
	s_or_b32 exec_lo, exec_lo, s1
	s_and_saveexec_b32 s1, s5
	s_cbranch_execz .LBB150_27
.LBB150_62:
	v_mul_lo_u32 v19, s28, v34
	v_mov_b32_e32 v20, 0
	s_delay_alu instid0(VALU_DEP_1) | instskip(SKIP_1) | instid1(VALU_DEP_1)
	v_lshlrev_b64_e32 v[19:20], 3, v[19:20]
	s_wait_alu 0xfffe
	v_add_co_u32 v19, vcc_lo, s24, v19
	s_wait_alu 0xfffd
	s_delay_alu instid0(VALU_DEP_2)
	v_add_co_ci_u32_e64 v20, null, s25, v20, vcc_lo
	global_load_b64 v[19:20], v[19:20], off
	s_or_b32 exec_lo, exec_lo, s1
	s_and_saveexec_b32 s1, s6
	s_cbranch_execz .LBB150_28
.LBB150_63:
	v_mul_lo_u32 v21, s28, v35
	v_mov_b32_e32 v22, 0
	s_delay_alu instid0(VALU_DEP_1) | instskip(SKIP_1) | instid1(VALU_DEP_1)
	v_lshlrev_b64_e32 v[21:22], 3, v[21:22]
	s_wait_alu 0xfffe
	v_add_co_u32 v21, vcc_lo, s24, v21
	s_wait_alu 0xfffd
	s_delay_alu instid0(VALU_DEP_2)
	v_add_co_ci_u32_e64 v22, null, s25, v22, vcc_lo
	global_load_b64 v[21:22], v[21:22], off
	s_or_b32 exec_lo, exec_lo, s1
	s_and_saveexec_b32 s1, s7
	s_cbranch_execz .LBB150_29
.LBB150_64:
	v_mul_lo_u32 v23, s28, v36
	v_mov_b32_e32 v24, 0
	s_delay_alu instid0(VALU_DEP_1) | instskip(SKIP_1) | instid1(VALU_DEP_1)
	v_lshlrev_b64_e32 v[23:24], 3, v[23:24]
	s_wait_alu 0xfffe
	v_add_co_u32 v23, vcc_lo, s24, v23
	s_wait_alu 0xfffd
	s_delay_alu instid0(VALU_DEP_2)
	v_add_co_ci_u32_e64 v24, null, s25, v24, vcc_lo
	global_load_b64 v[23:24], v[23:24], off
	s_or_b32 exec_lo, exec_lo, s1
	s_and_saveexec_b32 s1, s8
	s_cbranch_execz .LBB150_30
.LBB150_65:
	v_mul_lo_u32 v25, s28, v37
	v_mov_b32_e32 v26, 0
	s_delay_alu instid0(VALU_DEP_1) | instskip(SKIP_1) | instid1(VALU_DEP_1)
	v_lshlrev_b64_e32 v[25:26], 3, v[25:26]
	s_wait_alu 0xfffe
	v_add_co_u32 v25, vcc_lo, s24, v25
	s_wait_alu 0xfffd
	s_delay_alu instid0(VALU_DEP_2)
	v_add_co_ci_u32_e64 v26, null, s25, v26, vcc_lo
	global_load_b64 v[25:26], v[25:26], off
	s_or_b32 exec_lo, exec_lo, s1
	s_xor_b32 s1, s20, -1
	s_and_saveexec_b32 s9, s0
	s_cbranch_execnz .LBB150_31
	s_branch .LBB150_32
.LBB150_66:
	v_lshlrev_b32_e32 v33, 3, v139
	v_lshlrev_b32_e32 v36, 3, v136
	;; [unrolled: 1-line block ×9, first 2 shown]
	s_wait_loadcnt 0x0
	s_barrier_signal -1
	s_barrier_wait -1
	global_inv scope:SCOPE_SE
	ds_store_b64 v33, v[75:76]
	ds_store_b64 v34, v[105:106]
	;; [unrolled: 1-line block ×8, first 2 shown]
	s_wait_loadcnt_dscnt 0x0
	s_barrier_signal -1
	s_barrier_wait -1
	global_inv scope:SCOPE_SE
	ds_load_b128 v[49:52], v65
	ds_load_b128 v[53:56], v65 offset:16
	ds_load_b128 v[57:60], v65 offset:32
	;; [unrolled: 1-line block ×3, first 2 shown]
	s_wait_loadcnt_dscnt 0x0
	s_barrier_signal -1
	s_barrier_wait -1
	global_inv scope:SCOPE_SE
	ds_store_b64 v33, v[97:98]
	ds_store_b64 v34, v[95:96]
	;; [unrolled: 1-line block ×8, first 2 shown]
	s_wait_loadcnt_dscnt 0x0
	s_barrier_signal -1
	s_barrier_wait -1
	global_inv scope:SCOPE_SE
	ds_load_b128 v[45:48], v65
	ds_load_b128 v[41:44], v65 offset:16
	ds_load_b128 v[37:40], v65 offset:32
	;; [unrolled: 1-line block ×3, first 2 shown]
	s_mov_b32 s11, 0
	v_xor_b32_e32 v50, 0x80000000, v50
	v_xor_b32_e32 v52, 0x80000000, v52
	;; [unrolled: 1-line block ×8, first 2 shown]
.LBB150_67:
	s_wait_alu 0xfffe
	s_and_b32 vcc_lo, exec_lo, s11
	s_wait_alu 0xfffe
	s_cbranch_vccz .LBB150_95
; %bb.68:
	v_xor_b32_e32 v14, 0x7fffffff, v14
	v_xor_b32_e32 v13, -1, v13
	v_xor_b32_e32 v16, 0x7fffffff, v16
	v_xor_b32_e32 v15, -1, v15
	;; [unrolled: 2-line block ×8, first 2 shown]
	ds_store_b128 v126, v[13:16]
	ds_store_b128 v126, v[9:12] offset:16
	ds_store_b128 v126, v[5:8] offset:32
	;; [unrolled: 1-line block ×3, first 2 shown]
	; wave barrier
	ds_load_2addr_b64 v[4:7], v125 offset1:32
	ds_load_2addr_b64 v[8:11], v125 offset0:64 offset1:96
	ds_load_2addr_b64 v[12:15], v125 offset0:128 offset1:160
	s_wait_dscnt 0x7
	ds_load_2addr_b64 v[33:36], v125 offset0:192 offset1:224
	; wave barrier
	ds_store_b128 v126, v[21:24]
	ds_store_b128 v126, v[17:20] offset:16
	ds_store_b128 v126, v[29:32] offset:32
	;; [unrolled: 1-line block ×3, first 2 shown]
	; wave barrier
	ds_load_2addr_b64 v[16:19], v125 offset1:32
	ds_load_2addr_b64 v[20:23], v125 offset0:64 offset1:96
	ds_load_2addr_b64 v[24:27], v125 offset0:128 offset1:160
	;; [unrolled: 1-line block ×3, first 2 shown]
	s_wait_loadcnt_dscnt 0x0
	s_barrier_signal -1
	s_barrier_wait -1
	global_inv scope:SCOPE_SE
	s_load_b32 s1, s[34:35], 0xc
	s_getpc_b64 s[10:11]
	s_wait_alu 0xfffe
	s_sext_i32_i16 s11, s11
	s_add_co_u32 s10, s10, _ZN7rocprim17ROCPRIM_400000_NS16block_radix_sortIlLj512ELj8ElLj1ELj1ELj0ELNS0_26block_radix_rank_algorithmE1ELNS0_18block_padding_hintE2ELNS0_4arch9wavefront6targetE0EE19radix_bits_per_passE@rel32@lo+12
	s_wait_alu 0xfffe
	s_add_co_ci_u32 s11, s11, _ZN7rocprim17ROCPRIM_400000_NS16block_radix_sortIlLj512ELj8ElLj1ELj1ELj0ELNS0_26block_radix_rank_algorithmE1ELNS0_18block_padding_hintE2ELNS0_4arch9wavefront6targetE0EE19radix_bits_per_passE@rel32@hi+24
	v_or_b32_e32 v3, 31, v122
	s_load_b32 s19, s[10:11], 0x0
	s_mov_b32 s20, 0
	v_cmp_lt_u32_e64 s11, 3, v120
	s_wait_alu 0xfffe
	s_mov_b32 s21, s20
	s_mov_b32 s22, s20
	;; [unrolled: 1-line block ×3, first 2 shown]
	v_cmp_eq_u32_e64 s14, v74, v3
	v_cmp_lt_u32_e64 s12, 7, v120
	v_cmp_eq_u32_e64 s13, 0, v121
	v_mov_b32_e32 v37, 0
	v_cmp_gt_u32_e64 s15, 16, v74
	v_cmp_lt_u32_e64 s16, 31, v74
	v_cmp_eq_u32_e64 s17, 0, v74
	v_dual_mov_b32 v38, 0 :: v_dual_add_nc_u32 v77, v116, v119
	s_wait_kmcnt 0x0
	s_lshr_b32 s9, s1, 16
	s_and_b32 s1, s1, 0xffff
	s_wait_alu 0xfffe
	v_mad_u32_u24 v1, v124, s9, v123
	v_cmp_lt_u32_e64 s9, 1, v120
	s_delay_alu instid0(VALU_DEP_2) | instskip(SKIP_4) | instid1(VALU_DEP_4)
	v_mad_co_u64_u32 v[1:2], null, v1, s1, v[74:75]
	v_sub_co_u32 v2, s10, v118, 1
	v_lshl_add_u32 v75, v118, 3, v0
	v_cmp_eq_u32_e64 s1, 0, v120
	v_add_nc_u32_e32 v74, -4, v117
	v_cmp_gt_i32_e32 vcc_lo, 0, v2
	v_lshrrev_b32_e32 v1, 3, v1
	s_wait_alu 0xfffd
	v_cndmask_b32_e32 v2, v2, v118, vcc_lo
	s_delay_alu instid0(VALU_DEP_2) | instskip(NEXT) | instid1(VALU_DEP_2)
	v_and_b32_e32 v76, 0x1ffffffc, v1
	v_lshlrev_b32_e32 v32, 2, v2
	v_dual_mov_b32 v0, s20 :: v_dual_mov_b32 v1, s21
	v_dual_mov_b32 v2, s22 :: v_dual_mov_b32 v3, s23
	s_mov_b32 s20, 64
	s_branch .LBB150_70
.LBB150_69:                             ;   in Loop: Header=BB150_70 Depth=1
	s_wait_alu 0xfffe
	s_and_not1_b32 vcc_lo, exec_lo, s18
	s_wait_alu 0xfffe
	s_cbranch_vccz .LBB150_94
.LBB150_70:                             ; =>This Inner Loop Header: Depth=1
	v_dual_mov_b32 v40, v5 :: v_dual_mov_b32 v39, v4
	s_wait_alu 0xfffe
	s_min_u32 s18, s19, s20
	v_mov_b32_e32 v52, v27
	s_wait_alu 0xfffe
	s_lshl_b32 s18, -1, s18
	v_mov_b32_e32 v60, v19
	v_lshrrev_b64 v[4:5], v37, v[39:40]
	s_wait_alu 0xfffe
	s_not_b32 s21, s18
	v_mov_b32_e32 v50, v29
	v_mov_b32_e32 v54, v25
	;; [unrolled: 1-line block ×3, first 2 shown]
	s_wait_alu 0xfffe
	v_dual_mov_b32 v42, v36 :: v_dual_and_b32 v5, s21, v4
	v_dual_mov_b32 v41, v35 :: v_dual_mov_b32 v44, v34
	v_dual_mov_b32 v43, v33 :: v_dual_mov_b32 v46, v15
	s_delay_alu instid0(VALU_DEP_3) | instskip(SKIP_3) | instid1(VALU_DEP_4)
	v_dual_mov_b32 v45, v14 :: v_dual_and_b32 v4, 1, v5
	v_lshlrev_b32_e32 v14, 30, v5
	v_dual_mov_b32 v64, v13 :: v_dual_lshlrev_b32 v15, 29, v5
	v_mov_b32_e32 v63, v12
	v_add_co_u32 v4, s18, v4, -1
	s_wait_alu 0xf1ff
	v_cndmask_b32_e64 v34, 0, 1, s18
	v_not_b32_e32 v48, v14
	v_dual_mov_b32 v66, v11 :: v_dual_lshlrev_b32 v33, 28, v5
	v_cmp_gt_i32_e64 s18, 0, v14
	s_delay_alu instid0(VALU_DEP_4)
	v_cmp_ne_u32_e32 vcc_lo, 0, v34
	v_not_b32_e32 v14, v15
	v_ashrrev_i32_e32 v48, 31, v48
	v_dual_mov_b32 v68, v9 :: v_dual_lshlrev_b32 v35, 27, v5
	s_wait_alu 0xfffd
	v_xor_b32_e32 v4, vcc_lo, v4
	v_cmp_gt_i32_e32 vcc_lo, 0, v15
	v_not_b32_e32 v15, v33
	v_ashrrev_i32_e32 v14, 31, v14
	s_wait_alu 0xf1ff
	v_xor_b32_e32 v48, s18, v48
	v_dual_mov_b32 v71, v7 :: v_dual_and_b32 v4, exec_lo, v4
	v_dual_mov_b32 v65, v10 :: v_dual_lshlrev_b32 v36, 26, v5
	v_cmp_gt_i32_e64 s18, 0, v33
	v_not_b32_e32 v33, v35
	v_ashrrev_i32_e32 v15, 31, v15
	s_wait_alu 0xfffd
	v_xor_b32_e32 v14, vcc_lo, v14
	v_and_b32_e32 v4, v4, v48
	v_dual_mov_b32 v70, v6 :: v_dual_lshlrev_b32 v47, 25, v5
	v_cmp_gt_i32_e32 vcc_lo, 0, v35
	v_not_b32_e32 v35, v36
	v_ashrrev_i32_e32 v33, 31, v33
	s_wait_alu 0xf1ff
	v_xor_b32_e32 v15, s18, v15
	v_dual_mov_b32 v51, v26 :: v_dual_and_b32 v4, v4, v14
	v_dual_mov_b32 v67, v8 :: v_dual_lshlrev_b32 v34, 24, v5
	v_cmp_gt_i32_e64 s18, 0, v36
	v_not_b32_e32 v14, v47
	v_ashrrev_i32_e32 v35, 31, v35
	s_wait_alu 0xfffd
	v_xor_b32_e32 v33, vcc_lo, v33
	v_and_b32_e32 v4, v4, v15
	v_dual_mov_b32 v56, v23 :: v_dual_lshlrev_b32 v5, 6, v5
	v_cmp_gt_i32_e32 vcc_lo, 0, v47
	v_not_b32_e32 v15, v34
	v_ashrrev_i32_e32 v14, 31, v14
	s_wait_alu 0xf1ff
	v_xor_b32_e32 v35, s18, v35
	v_dual_mov_b32 v55, v22 :: v_dual_and_b32 v4, v4, v33
	v_mov_b32_e32 v59, v18
	v_cmp_gt_i32_e64 s18, 0, v34
	v_ashrrev_i32_e32 v12, 31, v15
	s_wait_alu 0xfffd
	v_xor_b32_e32 v13, vcc_lo, v14
	v_and_b32_e32 v4, v4, v35
	v_dual_mov_b32 v48, v31 :: v_dual_mov_b32 v49, v28
	s_wait_alu 0xf1ff
	v_xor_b32_e32 v6, s18, v12
	v_mov_b32_e32 v58, v21
	v_dual_mov_b32 v47, v30 :: v_dual_and_b32 v4, v4, v13
	v_mov_b32_e32 v53, v24
	v_mov_b32_e32 v57, v20
	;; [unrolled: 1-line block ×3, first 2 shown]
	s_delay_alu instid0(VALU_DEP_4)
	v_and_b32_e32 v4, v4, v6
	v_add_nc_u32_e32 v13, v76, v5
	ds_store_b128 v116, v[0:3] offset:64
	ds_store_b128 v116, v[0:3] offset:80
	s_wait_loadcnt_dscnt 0x0
	s_barrier_signal -1
	v_mbcnt_lo_u32_b32 v12, v4, 0
	v_cmp_ne_u32_e64 s18, 0, v4
	s_barrier_wait -1
	global_inv scope:SCOPE_SE
	v_cmp_eq_u32_e32 vcc_lo, 0, v12
	; wave barrier
	s_and_b32 s22, s18, vcc_lo
	s_wait_alu 0xfffe
	s_and_saveexec_b32 s18, s22
; %bb.71:                               ;   in Loop: Header=BB150_70 Depth=1
	v_bcnt_u32_b32 v4, v4, 0
	ds_store_b32 v13, v4 offset:64
; %bb.72:                               ;   in Loop: Header=BB150_70 Depth=1
	s_wait_alu 0xfffe
	s_or_b32 exec_lo, exec_lo, s18
	v_lshrrev_b64 v[4:5], v37, v[70:71]
	; wave barrier
	s_delay_alu instid0(VALU_DEP_1) | instskip(NEXT) | instid1(VALU_DEP_1)
	v_and_b32_e32 v4, s21, v4
	v_and_b32_e32 v5, 1, v4
	v_lshlrev_b32_e32 v6, 30, v4
	v_lshlrev_b32_e32 v7, 29, v4
	;; [unrolled: 1-line block ×4, first 2 shown]
	v_add_co_u32 v5, s18, v5, -1
	s_wait_alu 0xf1ff
	v_cndmask_b32_e64 v9, 0, 1, s18
	v_not_b32_e32 v15, v6
	v_cmp_gt_i32_e64 s18, 0, v6
	v_not_b32_e32 v6, v7
	v_lshlrev_b32_e32 v11, 26, v4
	v_cmp_ne_u32_e32 vcc_lo, 0, v9
	v_ashrrev_i32_e32 v15, 31, v15
	v_lshlrev_b32_e32 v14, 25, v4
	v_ashrrev_i32_e32 v6, 31, v6
	v_lshlrev_b32_e32 v9, 24, v4
	s_wait_alu 0xfffd
	v_xor_b32_e32 v5, vcc_lo, v5
	v_cmp_gt_i32_e32 vcc_lo, 0, v7
	v_not_b32_e32 v7, v8
	s_wait_alu 0xf1ff
	v_xor_b32_e32 v15, s18, v15
	v_cmp_gt_i32_e64 s18, 0, v8
	v_and_b32_e32 v5, exec_lo, v5
	v_not_b32_e32 v8, v10
	v_ashrrev_i32_e32 v7, 31, v7
	s_wait_alu 0xfffd
	v_xor_b32_e32 v6, vcc_lo, v6
	v_cmp_gt_i32_e32 vcc_lo, 0, v10
	v_and_b32_e32 v5, v5, v15
	v_not_b32_e32 v10, v11
	v_ashrrev_i32_e32 v8, 31, v8
	s_wait_alu 0xf1ff
	v_xor_b32_e32 v7, s18, v7
	v_cmp_gt_i32_e64 s18, 0, v11
	v_and_b32_e32 v5, v5, v6
	v_not_b32_e32 v6, v14
	v_ashrrev_i32_e32 v10, 31, v10
	s_wait_alu 0xfffd
	v_xor_b32_e32 v8, vcc_lo, v8
	v_cmp_gt_i32_e32 vcc_lo, 0, v14
	v_and_b32_e32 v5, v5, v7
	v_not_b32_e32 v7, v9
	v_ashrrev_i32_e32 v6, 31, v6
	s_wait_alu 0xf1ff
	v_xor_b32_e32 v10, s18, v10
	v_lshlrev_b32_e32 v4, 6, v4
	v_and_b32_e32 v5, v5, v8
	v_cmp_gt_i32_e64 s18, 0, v9
	v_ashrrev_i32_e32 v7, 31, v7
	s_wait_alu 0xfffd
	v_xor_b32_e32 v6, vcc_lo, v6
	v_add_nc_u32_e32 v16, v76, v4
	v_and_b32_e32 v5, v5, v10
	s_wait_alu 0xf1ff
	v_xor_b32_e32 v4, s18, v7
	ds_load_b32 v14, v16 offset:64
	v_and_b32_e32 v5, v5, v6
	; wave barrier
	s_delay_alu instid0(VALU_DEP_1) | instskip(NEXT) | instid1(VALU_DEP_1)
	v_and_b32_e32 v4, v5, v4
	v_mbcnt_lo_u32_b32 v15, v4, 0
	v_cmp_ne_u32_e64 s18, 0, v4
	s_delay_alu instid0(VALU_DEP_2)
	v_cmp_eq_u32_e32 vcc_lo, 0, v15
	s_and_b32 s22, s18, vcc_lo
	s_wait_alu 0xfffe
	s_and_saveexec_b32 s18, s22
	s_cbranch_execz .LBB150_74
; %bb.73:                               ;   in Loop: Header=BB150_70 Depth=1
	s_wait_dscnt 0x0
	v_bcnt_u32_b32 v4, v4, v14
	ds_store_b32 v16, v4 offset:64
.LBB150_74:                             ;   in Loop: Header=BB150_70 Depth=1
	s_wait_alu 0xfffe
	s_or_b32 exec_lo, exec_lo, s18
	v_lshrrev_b64 v[4:5], v37, v[67:68]
	; wave barrier
	s_delay_alu instid0(VALU_DEP_1) | instskip(NEXT) | instid1(VALU_DEP_1)
	v_and_b32_e32 v4, s21, v4
	v_and_b32_e32 v5, 1, v4
	v_lshlrev_b32_e32 v6, 30, v4
	v_lshlrev_b32_e32 v7, 29, v4
	;; [unrolled: 1-line block ×4, first 2 shown]
	v_add_co_u32 v5, s18, v5, -1
	s_wait_alu 0xf1ff
	v_cndmask_b32_e64 v9, 0, 1, s18
	v_not_b32_e32 v18, v6
	v_cmp_gt_i32_e64 s18, 0, v6
	v_not_b32_e32 v6, v7
	v_lshlrev_b32_e32 v11, 26, v4
	v_cmp_ne_u32_e32 vcc_lo, 0, v9
	v_ashrrev_i32_e32 v18, 31, v18
	v_lshlrev_b32_e32 v17, 25, v4
	v_ashrrev_i32_e32 v6, 31, v6
	v_lshlrev_b32_e32 v9, 24, v4
	s_wait_alu 0xfffd
	v_xor_b32_e32 v5, vcc_lo, v5
	v_cmp_gt_i32_e32 vcc_lo, 0, v7
	v_not_b32_e32 v7, v8
	s_wait_alu 0xf1ff
	v_xor_b32_e32 v18, s18, v18
	v_cmp_gt_i32_e64 s18, 0, v8
	v_and_b32_e32 v5, exec_lo, v5
	v_not_b32_e32 v8, v10
	v_ashrrev_i32_e32 v7, 31, v7
	s_wait_alu 0xfffd
	v_xor_b32_e32 v6, vcc_lo, v6
	v_cmp_gt_i32_e32 vcc_lo, 0, v10
	v_and_b32_e32 v5, v5, v18
	v_not_b32_e32 v10, v11
	v_ashrrev_i32_e32 v8, 31, v8
	s_wait_alu 0xf1ff
	v_xor_b32_e32 v7, s18, v7
	v_cmp_gt_i32_e64 s18, 0, v11
	v_and_b32_e32 v5, v5, v6
	v_not_b32_e32 v6, v17
	v_ashrrev_i32_e32 v10, 31, v10
	s_wait_alu 0xfffd
	v_xor_b32_e32 v8, vcc_lo, v8
	v_cmp_gt_i32_e32 vcc_lo, 0, v17
	v_and_b32_e32 v5, v5, v7
	v_not_b32_e32 v7, v9
	v_ashrrev_i32_e32 v6, 31, v6
	s_wait_alu 0xf1ff
	v_xor_b32_e32 v10, s18, v10
	v_lshlrev_b32_e32 v4, 6, v4
	v_and_b32_e32 v5, v5, v8
	v_cmp_gt_i32_e64 s18, 0, v9
	v_ashrrev_i32_e32 v7, 31, v7
	s_wait_alu 0xfffd
	v_xor_b32_e32 v6, vcc_lo, v6
	v_add_nc_u32_e32 v19, v76, v4
	v_and_b32_e32 v5, v5, v10
	s_wait_alu 0xf1ff
	v_xor_b32_e32 v4, s18, v7
	ds_load_b32 v17, v19 offset:64
	v_and_b32_e32 v5, v5, v6
	; wave barrier
	s_delay_alu instid0(VALU_DEP_1) | instskip(NEXT) | instid1(VALU_DEP_1)
	v_and_b32_e32 v4, v5, v4
	v_mbcnt_lo_u32_b32 v18, v4, 0
	v_cmp_ne_u32_e64 s18, 0, v4
	s_delay_alu instid0(VALU_DEP_2)
	v_cmp_eq_u32_e32 vcc_lo, 0, v18
	s_and_b32 s22, s18, vcc_lo
	s_wait_alu 0xfffe
	s_and_saveexec_b32 s18, s22
	s_cbranch_execz .LBB150_76
; %bb.75:                               ;   in Loop: Header=BB150_70 Depth=1
	s_wait_dscnt 0x0
	v_bcnt_u32_b32 v4, v4, v17
	ds_store_b32 v19, v4 offset:64
.LBB150_76:                             ;   in Loop: Header=BB150_70 Depth=1
	s_wait_alu 0xfffe
	s_or_b32 exec_lo, exec_lo, s18
	v_lshrrev_b64 v[4:5], v37, v[65:66]
	; wave barrier
	s_delay_alu instid0(VALU_DEP_1) | instskip(NEXT) | instid1(VALU_DEP_1)
	v_and_b32_e32 v4, s21, v4
	v_and_b32_e32 v5, 1, v4
	v_lshlrev_b32_e32 v6, 30, v4
	v_lshlrev_b32_e32 v7, 29, v4
	;; [unrolled: 1-line block ×4, first 2 shown]
	v_add_co_u32 v5, s18, v5, -1
	s_wait_alu 0xf1ff
	v_cndmask_b32_e64 v9, 0, 1, s18
	v_not_b32_e32 v21, v6
	v_cmp_gt_i32_e64 s18, 0, v6
	v_not_b32_e32 v6, v7
	v_lshlrev_b32_e32 v11, 26, v4
	v_cmp_ne_u32_e32 vcc_lo, 0, v9
	v_ashrrev_i32_e32 v21, 31, v21
	v_lshlrev_b32_e32 v20, 25, v4
	v_ashrrev_i32_e32 v6, 31, v6
	v_lshlrev_b32_e32 v9, 24, v4
	s_wait_alu 0xfffd
	v_xor_b32_e32 v5, vcc_lo, v5
	v_cmp_gt_i32_e32 vcc_lo, 0, v7
	v_not_b32_e32 v7, v8
	s_wait_alu 0xf1ff
	v_xor_b32_e32 v21, s18, v21
	v_cmp_gt_i32_e64 s18, 0, v8
	v_and_b32_e32 v5, exec_lo, v5
	v_not_b32_e32 v8, v10
	v_ashrrev_i32_e32 v7, 31, v7
	s_wait_alu 0xfffd
	v_xor_b32_e32 v6, vcc_lo, v6
	v_cmp_gt_i32_e32 vcc_lo, 0, v10
	v_and_b32_e32 v5, v5, v21
	v_not_b32_e32 v10, v11
	v_ashrrev_i32_e32 v8, 31, v8
	s_wait_alu 0xf1ff
	v_xor_b32_e32 v7, s18, v7
	v_cmp_gt_i32_e64 s18, 0, v11
	v_and_b32_e32 v5, v5, v6
	v_not_b32_e32 v6, v20
	v_ashrrev_i32_e32 v10, 31, v10
	s_wait_alu 0xfffd
	v_xor_b32_e32 v8, vcc_lo, v8
	v_cmp_gt_i32_e32 vcc_lo, 0, v20
	v_and_b32_e32 v5, v5, v7
	v_not_b32_e32 v7, v9
	v_ashrrev_i32_e32 v6, 31, v6
	s_wait_alu 0xf1ff
	v_xor_b32_e32 v10, s18, v10
	v_lshlrev_b32_e32 v4, 6, v4
	v_and_b32_e32 v5, v5, v8
	v_cmp_gt_i32_e64 s18, 0, v9
	v_ashrrev_i32_e32 v7, 31, v7
	s_wait_alu 0xfffd
	v_xor_b32_e32 v6, vcc_lo, v6
	v_add_nc_u32_e32 v22, v76, v4
	v_and_b32_e32 v5, v5, v10
	s_wait_alu 0xf1ff
	v_xor_b32_e32 v4, s18, v7
	ds_load_b32 v20, v22 offset:64
	v_and_b32_e32 v5, v5, v6
	; wave barrier
	s_delay_alu instid0(VALU_DEP_1) | instskip(NEXT) | instid1(VALU_DEP_1)
	v_and_b32_e32 v4, v5, v4
	v_mbcnt_lo_u32_b32 v21, v4, 0
	v_cmp_ne_u32_e64 s18, 0, v4
	s_delay_alu instid0(VALU_DEP_2)
	v_cmp_eq_u32_e32 vcc_lo, 0, v21
	s_and_b32 s22, s18, vcc_lo
	s_wait_alu 0xfffe
	s_and_saveexec_b32 s18, s22
	s_cbranch_execz .LBB150_78
; %bb.77:                               ;   in Loop: Header=BB150_70 Depth=1
	s_wait_dscnt 0x0
	v_bcnt_u32_b32 v4, v4, v20
	ds_store_b32 v22, v4 offset:64
.LBB150_78:                             ;   in Loop: Header=BB150_70 Depth=1
	s_wait_alu 0xfffe
	s_or_b32 exec_lo, exec_lo, s18
	v_lshrrev_b64 v[4:5], v37, v[63:64]
	; wave barrier
	s_delay_alu instid0(VALU_DEP_1) | instskip(NEXT) | instid1(VALU_DEP_1)
	v_and_b32_e32 v4, s21, v4
	v_and_b32_e32 v5, 1, v4
	v_lshlrev_b32_e32 v6, 30, v4
	v_lshlrev_b32_e32 v7, 29, v4
	;; [unrolled: 1-line block ×4, first 2 shown]
	v_add_co_u32 v5, s18, v5, -1
	s_wait_alu 0xf1ff
	v_cndmask_b32_e64 v9, 0, 1, s18
	v_not_b32_e32 v24, v6
	v_cmp_gt_i32_e64 s18, 0, v6
	v_not_b32_e32 v6, v7
	v_lshlrev_b32_e32 v11, 26, v4
	v_cmp_ne_u32_e32 vcc_lo, 0, v9
	v_ashrrev_i32_e32 v24, 31, v24
	v_lshlrev_b32_e32 v23, 25, v4
	v_ashrrev_i32_e32 v6, 31, v6
	v_lshlrev_b32_e32 v9, 24, v4
	s_wait_alu 0xfffd
	v_xor_b32_e32 v5, vcc_lo, v5
	v_cmp_gt_i32_e32 vcc_lo, 0, v7
	v_not_b32_e32 v7, v8
	s_wait_alu 0xf1ff
	v_xor_b32_e32 v24, s18, v24
	v_cmp_gt_i32_e64 s18, 0, v8
	v_and_b32_e32 v5, exec_lo, v5
	v_not_b32_e32 v8, v10
	v_ashrrev_i32_e32 v7, 31, v7
	s_wait_alu 0xfffd
	v_xor_b32_e32 v6, vcc_lo, v6
	v_cmp_gt_i32_e32 vcc_lo, 0, v10
	v_and_b32_e32 v5, v5, v24
	v_not_b32_e32 v10, v11
	v_ashrrev_i32_e32 v8, 31, v8
	s_wait_alu 0xf1ff
	v_xor_b32_e32 v7, s18, v7
	v_cmp_gt_i32_e64 s18, 0, v11
	v_and_b32_e32 v5, v5, v6
	v_not_b32_e32 v6, v23
	v_ashrrev_i32_e32 v10, 31, v10
	s_wait_alu 0xfffd
	v_xor_b32_e32 v8, vcc_lo, v8
	v_cmp_gt_i32_e32 vcc_lo, 0, v23
	v_and_b32_e32 v5, v5, v7
	v_not_b32_e32 v7, v9
	v_ashrrev_i32_e32 v6, 31, v6
	s_wait_alu 0xf1ff
	v_xor_b32_e32 v10, s18, v10
	v_lshlrev_b32_e32 v4, 6, v4
	v_and_b32_e32 v5, v5, v8
	v_cmp_gt_i32_e64 s18, 0, v9
	v_ashrrev_i32_e32 v7, 31, v7
	s_wait_alu 0xfffd
	v_xor_b32_e32 v6, vcc_lo, v6
	v_add_nc_u32_e32 v25, v76, v4
	v_and_b32_e32 v5, v5, v10
	s_wait_alu 0xf1ff
	v_xor_b32_e32 v4, s18, v7
	ds_load_b32 v23, v25 offset:64
	v_and_b32_e32 v5, v5, v6
	; wave barrier
	s_delay_alu instid0(VALU_DEP_1) | instskip(NEXT) | instid1(VALU_DEP_1)
	v_and_b32_e32 v4, v5, v4
	v_mbcnt_lo_u32_b32 v24, v4, 0
	v_cmp_ne_u32_e64 s18, 0, v4
	s_delay_alu instid0(VALU_DEP_2)
	v_cmp_eq_u32_e32 vcc_lo, 0, v24
	s_and_b32 s22, s18, vcc_lo
	s_wait_alu 0xfffe
	s_and_saveexec_b32 s18, s22
	s_cbranch_execz .LBB150_80
; %bb.79:                               ;   in Loop: Header=BB150_70 Depth=1
	s_wait_dscnt 0x0
	v_bcnt_u32_b32 v4, v4, v23
	ds_store_b32 v25, v4 offset:64
.LBB150_80:                             ;   in Loop: Header=BB150_70 Depth=1
	s_wait_alu 0xfffe
	s_or_b32 exec_lo, exec_lo, s18
	v_lshrrev_b64 v[4:5], v37, v[45:46]
	; wave barrier
	s_delay_alu instid0(VALU_DEP_1) | instskip(NEXT) | instid1(VALU_DEP_1)
	v_and_b32_e32 v4, s21, v4
	v_and_b32_e32 v5, 1, v4
	v_lshlrev_b32_e32 v6, 30, v4
	v_lshlrev_b32_e32 v7, 29, v4
	;; [unrolled: 1-line block ×4, first 2 shown]
	v_add_co_u32 v5, s18, v5, -1
	s_wait_alu 0xf1ff
	v_cndmask_b32_e64 v9, 0, 1, s18
	v_not_b32_e32 v27, v6
	v_cmp_gt_i32_e64 s18, 0, v6
	v_not_b32_e32 v6, v7
	v_lshlrev_b32_e32 v11, 26, v4
	v_cmp_ne_u32_e32 vcc_lo, 0, v9
	v_ashrrev_i32_e32 v27, 31, v27
	v_lshlrev_b32_e32 v26, 25, v4
	v_ashrrev_i32_e32 v6, 31, v6
	v_lshlrev_b32_e32 v9, 24, v4
	s_wait_alu 0xfffd
	v_xor_b32_e32 v5, vcc_lo, v5
	v_cmp_gt_i32_e32 vcc_lo, 0, v7
	v_not_b32_e32 v7, v8
	s_wait_alu 0xf1ff
	v_xor_b32_e32 v27, s18, v27
	v_cmp_gt_i32_e64 s18, 0, v8
	v_and_b32_e32 v5, exec_lo, v5
	v_not_b32_e32 v8, v10
	v_ashrrev_i32_e32 v7, 31, v7
	s_wait_alu 0xfffd
	v_xor_b32_e32 v6, vcc_lo, v6
	v_cmp_gt_i32_e32 vcc_lo, 0, v10
	v_and_b32_e32 v5, v5, v27
	v_not_b32_e32 v10, v11
	v_ashrrev_i32_e32 v8, 31, v8
	s_wait_alu 0xf1ff
	v_xor_b32_e32 v7, s18, v7
	v_cmp_gt_i32_e64 s18, 0, v11
	v_and_b32_e32 v5, v5, v6
	v_not_b32_e32 v6, v26
	v_ashrrev_i32_e32 v10, 31, v10
	s_wait_alu 0xfffd
	v_xor_b32_e32 v8, vcc_lo, v8
	v_cmp_gt_i32_e32 vcc_lo, 0, v26
	v_and_b32_e32 v5, v5, v7
	v_not_b32_e32 v7, v9
	v_ashrrev_i32_e32 v6, 31, v6
	s_wait_alu 0xf1ff
	v_xor_b32_e32 v10, s18, v10
	v_lshlrev_b32_e32 v4, 6, v4
	v_and_b32_e32 v5, v5, v8
	v_cmp_gt_i32_e64 s18, 0, v9
	v_ashrrev_i32_e32 v7, 31, v7
	s_wait_alu 0xfffd
	v_xor_b32_e32 v6, vcc_lo, v6
	v_add_nc_u32_e32 v28, v76, v4
	v_and_b32_e32 v5, v5, v10
	s_wait_alu 0xf1ff
	v_xor_b32_e32 v4, s18, v7
	ds_load_b32 v26, v28 offset:64
	v_and_b32_e32 v5, v5, v6
	; wave barrier
	s_delay_alu instid0(VALU_DEP_1) | instskip(NEXT) | instid1(VALU_DEP_1)
	v_and_b32_e32 v4, v5, v4
	v_mbcnt_lo_u32_b32 v27, v4, 0
	v_cmp_ne_u32_e64 s18, 0, v4
	s_delay_alu instid0(VALU_DEP_2)
	v_cmp_eq_u32_e32 vcc_lo, 0, v27
	s_and_b32 s22, s18, vcc_lo
	s_wait_alu 0xfffe
	s_and_saveexec_b32 s18, s22
	s_cbranch_execz .LBB150_82
; %bb.81:                               ;   in Loop: Header=BB150_70 Depth=1
	s_wait_dscnt 0x0
	v_bcnt_u32_b32 v4, v4, v26
	ds_store_b32 v28, v4 offset:64
.LBB150_82:                             ;   in Loop: Header=BB150_70 Depth=1
	s_wait_alu 0xfffe
	s_or_b32 exec_lo, exec_lo, s18
	v_lshrrev_b64 v[4:5], v37, v[43:44]
	; wave barrier
	s_delay_alu instid0(VALU_DEP_1) | instskip(NEXT) | instid1(VALU_DEP_1)
	v_and_b32_e32 v4, s21, v4
	v_and_b32_e32 v5, 1, v4
	v_lshlrev_b32_e32 v6, 30, v4
	v_lshlrev_b32_e32 v7, 29, v4
	;; [unrolled: 1-line block ×4, first 2 shown]
	v_add_co_u32 v5, s18, v5, -1
	s_wait_alu 0xf1ff
	v_cndmask_b32_e64 v9, 0, 1, s18
	v_not_b32_e32 v30, v6
	v_cmp_gt_i32_e64 s18, 0, v6
	v_not_b32_e32 v6, v7
	v_lshlrev_b32_e32 v11, 26, v4
	v_cmp_ne_u32_e32 vcc_lo, 0, v9
	v_ashrrev_i32_e32 v30, 31, v30
	v_lshlrev_b32_e32 v29, 25, v4
	v_ashrrev_i32_e32 v6, 31, v6
	v_lshlrev_b32_e32 v9, 24, v4
	s_wait_alu 0xfffd
	v_xor_b32_e32 v5, vcc_lo, v5
	v_cmp_gt_i32_e32 vcc_lo, 0, v7
	v_not_b32_e32 v7, v8
	s_wait_alu 0xf1ff
	v_xor_b32_e32 v30, s18, v30
	v_cmp_gt_i32_e64 s18, 0, v8
	v_and_b32_e32 v5, exec_lo, v5
	v_not_b32_e32 v8, v10
	v_ashrrev_i32_e32 v7, 31, v7
	s_wait_alu 0xfffd
	v_xor_b32_e32 v6, vcc_lo, v6
	v_cmp_gt_i32_e32 vcc_lo, 0, v10
	v_and_b32_e32 v5, v5, v30
	v_not_b32_e32 v10, v11
	v_ashrrev_i32_e32 v8, 31, v8
	s_wait_alu 0xf1ff
	v_xor_b32_e32 v7, s18, v7
	v_cmp_gt_i32_e64 s18, 0, v11
	v_and_b32_e32 v5, v5, v6
	v_not_b32_e32 v6, v29
	v_ashrrev_i32_e32 v10, 31, v10
	s_wait_alu 0xfffd
	v_xor_b32_e32 v8, vcc_lo, v8
	v_cmp_gt_i32_e32 vcc_lo, 0, v29
	v_and_b32_e32 v5, v5, v7
	v_not_b32_e32 v7, v9
	v_ashrrev_i32_e32 v6, 31, v6
	s_wait_alu 0xf1ff
	v_xor_b32_e32 v10, s18, v10
	v_lshlrev_b32_e32 v4, 6, v4
	v_and_b32_e32 v5, v5, v8
	v_cmp_gt_i32_e64 s18, 0, v9
	v_ashrrev_i32_e32 v7, 31, v7
	s_wait_alu 0xfffd
	v_xor_b32_e32 v6, vcc_lo, v6
	v_add_nc_u32_e32 v31, v76, v4
	v_and_b32_e32 v5, v5, v10
	s_wait_alu 0xf1ff
	v_xor_b32_e32 v4, s18, v7
	ds_load_b32 v29, v31 offset:64
	v_and_b32_e32 v5, v5, v6
	; wave barrier
	s_delay_alu instid0(VALU_DEP_1) | instskip(NEXT) | instid1(VALU_DEP_1)
	v_and_b32_e32 v4, v5, v4
	v_mbcnt_lo_u32_b32 v30, v4, 0
	v_cmp_ne_u32_e64 s18, 0, v4
	s_delay_alu instid0(VALU_DEP_2)
	v_cmp_eq_u32_e32 vcc_lo, 0, v30
	s_and_b32 s22, s18, vcc_lo
	s_wait_alu 0xfffe
	s_and_saveexec_b32 s18, s22
	s_cbranch_execz .LBB150_84
; %bb.83:                               ;   in Loop: Header=BB150_70 Depth=1
	s_wait_dscnt 0x0
	v_bcnt_u32_b32 v4, v4, v29
	ds_store_b32 v31, v4 offset:64
.LBB150_84:                             ;   in Loop: Header=BB150_70 Depth=1
	s_wait_alu 0xfffe
	s_or_b32 exec_lo, exec_lo, s18
	v_lshrrev_b64 v[4:5], v37, v[41:42]
	; wave barrier
	s_delay_alu instid0(VALU_DEP_1) | instskip(NEXT) | instid1(VALU_DEP_1)
	v_and_b32_e32 v4, s21, v4
	v_and_b32_e32 v5, 1, v4
	v_lshlrev_b32_e32 v6, 30, v4
	v_lshlrev_b32_e32 v7, 29, v4
	;; [unrolled: 1-line block ×4, first 2 shown]
	v_add_co_u32 v5, s18, v5, -1
	s_wait_alu 0xf1ff
	v_cndmask_b32_e64 v9, 0, 1, s18
	v_not_b32_e32 v34, v6
	v_cmp_gt_i32_e64 s18, 0, v6
	v_not_b32_e32 v6, v7
	v_lshlrev_b32_e32 v11, 26, v4
	v_cmp_ne_u32_e32 vcc_lo, 0, v9
	v_ashrrev_i32_e32 v34, 31, v34
	v_lshlrev_b32_e32 v33, 25, v4
	v_ashrrev_i32_e32 v6, 31, v6
	v_lshlrev_b32_e32 v9, 24, v4
	s_wait_alu 0xfffd
	v_xor_b32_e32 v5, vcc_lo, v5
	v_cmp_gt_i32_e32 vcc_lo, 0, v7
	v_not_b32_e32 v7, v8
	s_wait_alu 0xf1ff
	v_xor_b32_e32 v34, s18, v34
	v_cmp_gt_i32_e64 s18, 0, v8
	v_and_b32_e32 v5, exec_lo, v5
	v_not_b32_e32 v8, v10
	v_ashrrev_i32_e32 v7, 31, v7
	s_wait_alu 0xfffd
	v_xor_b32_e32 v6, vcc_lo, v6
	v_cmp_gt_i32_e32 vcc_lo, 0, v10
	v_and_b32_e32 v5, v5, v34
	v_not_b32_e32 v10, v11
	v_ashrrev_i32_e32 v8, 31, v8
	s_wait_alu 0xf1ff
	v_xor_b32_e32 v7, s18, v7
	v_cmp_gt_i32_e64 s18, 0, v11
	v_and_b32_e32 v5, v5, v6
	v_not_b32_e32 v6, v33
	v_ashrrev_i32_e32 v10, 31, v10
	s_wait_alu 0xfffd
	v_xor_b32_e32 v8, vcc_lo, v8
	v_cmp_gt_i32_e32 vcc_lo, 0, v33
	v_and_b32_e32 v5, v5, v7
	v_not_b32_e32 v7, v9
	v_ashrrev_i32_e32 v6, 31, v6
	s_wait_alu 0xf1ff
	v_xor_b32_e32 v10, s18, v10
	v_lshlrev_b32_e32 v4, 6, v4
	v_and_b32_e32 v5, v5, v8
	v_cmp_gt_i32_e64 s18, 0, v9
	v_ashrrev_i32_e32 v7, 31, v7
	s_wait_alu 0xfffd
	v_xor_b32_e32 v6, vcc_lo, v6
	v_add_nc_u32_e32 v35, v76, v4
	v_and_b32_e32 v5, v5, v10
	s_wait_alu 0xf1ff
	v_xor_b32_e32 v4, s18, v7
	ds_load_b32 v33, v35 offset:64
	v_and_b32_e32 v5, v5, v6
	; wave barrier
	s_delay_alu instid0(VALU_DEP_1) | instskip(NEXT) | instid1(VALU_DEP_1)
	v_and_b32_e32 v4, v5, v4
	v_mbcnt_lo_u32_b32 v34, v4, 0
	v_cmp_ne_u32_e64 s18, 0, v4
	s_delay_alu instid0(VALU_DEP_2)
	v_cmp_eq_u32_e32 vcc_lo, 0, v34
	s_and_b32 s21, s18, vcc_lo
	s_wait_alu 0xfffe
	s_and_saveexec_b32 s18, s21
	s_cbranch_execz .LBB150_86
; %bb.85:                               ;   in Loop: Header=BB150_70 Depth=1
	s_wait_dscnt 0x0
	v_bcnt_u32_b32 v4, v4, v33
	ds_store_b32 v35, v4 offset:64
.LBB150_86:                             ;   in Loop: Header=BB150_70 Depth=1
	s_wait_alu 0xfffe
	s_or_b32 exec_lo, exec_lo, s18
	; wave barrier
	s_wait_loadcnt_dscnt 0x0
	s_barrier_signal -1
	s_barrier_wait -1
	global_inv scope:SCOPE_SE
	ds_load_b128 v[8:11], v116 offset:64
	ds_load_b128 v[4:7], v116 offset:80
	s_wait_dscnt 0x1
	v_add_nc_u32_e32 v36, v9, v8
	s_delay_alu instid0(VALU_DEP_1) | instskip(SKIP_1) | instid1(VALU_DEP_1)
	v_add3_u32 v36, v36, v10, v11
	s_wait_dscnt 0x0
	v_add3_u32 v36, v36, v4, v5
	s_delay_alu instid0(VALU_DEP_1) | instskip(NEXT) | instid1(VALU_DEP_1)
	v_add3_u32 v7, v36, v6, v7
	v_mov_b32_dpp v36, v7 row_shr:1 row_mask:0xf bank_mask:0xf
	s_delay_alu instid0(VALU_DEP_1) | instskip(NEXT) | instid1(VALU_DEP_1)
	v_cndmask_b32_e64 v36, v36, 0, s1
	v_add_nc_u32_e32 v7, v36, v7
	s_delay_alu instid0(VALU_DEP_1) | instskip(NEXT) | instid1(VALU_DEP_1)
	v_mov_b32_dpp v36, v7 row_shr:2 row_mask:0xf bank_mask:0xf
	v_cndmask_b32_e64 v36, 0, v36, s9
	s_delay_alu instid0(VALU_DEP_1) | instskip(NEXT) | instid1(VALU_DEP_1)
	v_add_nc_u32_e32 v7, v7, v36
	v_mov_b32_dpp v36, v7 row_shr:4 row_mask:0xf bank_mask:0xf
	s_delay_alu instid0(VALU_DEP_1) | instskip(NEXT) | instid1(VALU_DEP_1)
	v_cndmask_b32_e64 v36, 0, v36, s11
	v_add_nc_u32_e32 v7, v7, v36
	s_delay_alu instid0(VALU_DEP_1) | instskip(NEXT) | instid1(VALU_DEP_1)
	v_mov_b32_dpp v36, v7 row_shr:8 row_mask:0xf bank_mask:0xf
	v_cndmask_b32_e64 v36, 0, v36, s12
	s_delay_alu instid0(VALU_DEP_1) | instskip(SKIP_3) | instid1(VALU_DEP_1)
	v_add_nc_u32_e32 v7, v7, v36
	ds_swizzle_b32 v36, v7 offset:swizzle(BROADCAST,32,15)
	s_wait_dscnt 0x0
	v_cndmask_b32_e64 v36, v36, 0, s13
	v_add_nc_u32_e32 v7, v7, v36
	s_and_saveexec_b32 s18, s14
; %bb.87:                               ;   in Loop: Header=BB150_70 Depth=1
	ds_store_b32 v117, v7
; %bb.88:                               ;   in Loop: Header=BB150_70 Depth=1
	s_wait_alu 0xfffe
	s_or_b32 exec_lo, exec_lo, s18
	s_wait_loadcnt_dscnt 0x0
	s_barrier_signal -1
	s_barrier_wait -1
	global_inv scope:SCOPE_SE
	s_and_saveexec_b32 s18, s15
	s_cbranch_execz .LBB150_90
; %bb.89:                               ;   in Loop: Header=BB150_70 Depth=1
	ds_load_b32 v36, v77
	s_wait_dscnt 0x0
	v_mov_b32_dpp v78, v36 row_shr:1 row_mask:0xf bank_mask:0xf
	s_delay_alu instid0(VALU_DEP_1) | instskip(NEXT) | instid1(VALU_DEP_1)
	v_cndmask_b32_e64 v78, v78, 0, s1
	v_add_nc_u32_e32 v36, v78, v36
	s_delay_alu instid0(VALU_DEP_1) | instskip(NEXT) | instid1(VALU_DEP_1)
	v_mov_b32_dpp v78, v36 row_shr:2 row_mask:0xf bank_mask:0xf
	v_cndmask_b32_e64 v78, 0, v78, s9
	s_delay_alu instid0(VALU_DEP_1) | instskip(NEXT) | instid1(VALU_DEP_1)
	v_add_nc_u32_e32 v36, v36, v78
	v_mov_b32_dpp v78, v36 row_shr:4 row_mask:0xf bank_mask:0xf
	s_delay_alu instid0(VALU_DEP_1) | instskip(NEXT) | instid1(VALU_DEP_1)
	v_cndmask_b32_e64 v78, 0, v78, s11
	v_add_nc_u32_e32 v36, v36, v78
	s_delay_alu instid0(VALU_DEP_1) | instskip(NEXT) | instid1(VALU_DEP_1)
	v_mov_b32_dpp v78, v36 row_shr:8 row_mask:0xf bank_mask:0xf
	v_cndmask_b32_e64 v78, 0, v78, s12
	s_delay_alu instid0(VALU_DEP_1)
	v_add_nc_u32_e32 v36, v36, v78
	ds_store_b32 v77, v36
.LBB150_90:                             ;   in Loop: Header=BB150_70 Depth=1
	s_wait_alu 0xfffe
	s_or_b32 exec_lo, exec_lo, s18
	v_mov_b32_e32 v36, 0
	s_wait_loadcnt_dscnt 0x0
	s_barrier_signal -1
	s_barrier_wait -1
	global_inv scope:SCOPE_SE
	s_and_saveexec_b32 s18, s16
; %bb.91:                               ;   in Loop: Header=BB150_70 Depth=1
	ds_load_b32 v36, v74
; %bb.92:                               ;   in Loop: Header=BB150_70 Depth=1
	s_wait_alu 0xfffe
	s_or_b32 exec_lo, exec_lo, s18
	s_wait_dscnt 0x0
	v_add_nc_u32_e32 v7, v36, v7
	v_cmp_lt_u32_e32 vcc_lo, 55, v37
	s_mov_b32 s18, -1
	ds_bpermute_b32 v7, v32, v7
	s_and_b32 vcc_lo, exec_lo, vcc_lo
	s_wait_dscnt 0x0
	v_cndmask_b32_e64 v7, v7, v36, s10
	s_delay_alu instid0(VALU_DEP_1) | instskip(NEXT) | instid1(VALU_DEP_1)
	v_cndmask_b32_e64 v7, v7, 0, s17
	v_add_nc_u32_e32 v8, v7, v8
	s_delay_alu instid0(VALU_DEP_1) | instskip(NEXT) | instid1(VALU_DEP_1)
	v_add_nc_u32_e32 v9, v8, v9
	v_add_nc_u32_e32 v10, v9, v10
	s_delay_alu instid0(VALU_DEP_1) | instskip(NEXT) | instid1(VALU_DEP_1)
	v_add_nc_u32_e32 v78, v10, v11
	;; [unrolled: 3-line block ×3, first 2 shown]
	v_add_nc_u32_e32 v81, v80, v6
	ds_store_b128 v116, v[7:10] offset:64
	ds_store_b128 v116, v[78:81] offset:80
	s_wait_loadcnt_dscnt 0x0
	s_barrier_signal -1
	s_barrier_wait -1
	global_inv scope:SCOPE_SE
	ds_load_b32 v4, v13 offset:64
	ds_load_b32 v5, v16 offset:64
	;; [unrolled: 1-line block ×8, first 2 shown]
	s_wait_dscnt 0x7
	v_add_nc_u32_e32 v85, v4, v12
	s_wait_dscnt 0x6
	v_add3_u32 v84, v15, v14, v5
	s_wait_dscnt 0x5
	v_add3_u32 v83, v18, v17, v6
	;; [unrolled: 2-line block ×7, first 2 shown]
                                        ; implicit-def: $vgpr35_vgpr36
                                        ; implicit-def: $vgpr14_vgpr15
                                        ; implicit-def: $vgpr10_vgpr11
                                        ; implicit-def: $vgpr6_vgpr7
                                        ; implicit-def: $vgpr30_vgpr31
                                        ; implicit-def: $vgpr26_vgpr27
                                        ; implicit-def: $vgpr22_vgpr23
                                        ; implicit-def: $vgpr18_vgpr19
	s_wait_alu 0xfffe
	s_cbranch_vccnz .LBB150_69
; %bb.93:                               ;   in Loop: Header=BB150_70 Depth=1
	v_lshlrev_b32_e32 v16, 3, v85
	v_lshlrev_b32_e32 v19, 3, v82
	;; [unrolled: 1-line block ×8, first 2 shown]
	s_wait_loadcnt 0x0
	s_barrier_signal -1
	s_barrier_wait -1
	global_inv scope:SCOPE_SE
	ds_store_b64 v16, v[39:40]
	ds_store_b64 v17, v[70:71]
	;; [unrolled: 1-line block ×8, first 2 shown]
	s_wait_loadcnt_dscnt 0x0
	s_barrier_signal -1
	s_barrier_wait -1
	global_inv scope:SCOPE_SE
	ds_load_2addr_b64 v[4:7], v75 offset1:32
	ds_load_2addr_b64 v[8:11], v75 offset0:64 offset1:96
	ds_load_2addr_b64 v[12:15], v75 offset0:128 offset1:160
	ds_load_2addr_b64 v[33:36], v75 offset0:192 offset1:224
	s_wait_loadcnt_dscnt 0x0
	s_barrier_signal -1
	s_barrier_wait -1
	global_inv scope:SCOPE_SE
	ds_store_b64 v16, v[61:62]
	ds_store_b64 v17, v[59:60]
	;; [unrolled: 1-line block ×8, first 2 shown]
	s_wait_loadcnt_dscnt 0x0
	s_barrier_signal -1
	s_barrier_wait -1
	global_inv scope:SCOPE_SE
	ds_load_2addr_b64 v[16:19], v75 offset1:32
	ds_load_2addr_b64 v[20:23], v75 offset0:64 offset1:96
	ds_load_2addr_b64 v[24:27], v75 offset0:128 offset1:160
	;; [unrolled: 1-line block ×3, first 2 shown]
	v_add_co_u32 v37, vcc_lo, v37, 8
	s_wait_alu 0xfffd
	v_add_co_ci_u32_e64 v38, null, 0, v38, vcc_lo
	s_add_co_i32 s20, s20, -8
	s_mov_b32 s18, 0
	s_wait_loadcnt_dscnt 0x0
	s_barrier_signal -1
	s_barrier_wait -1
	global_inv scope:SCOPE_SE
	s_branch .LBB150_69
.LBB150_94:
	v_lshlrev_b32_e32 v16, 3, v85
	v_lshlrev_b32_e32 v19, 3, v82
	;; [unrolled: 1-line block ×9, first 2 shown]
	s_wait_loadcnt 0x0
	s_barrier_signal -1
	s_barrier_wait -1
	global_inv scope:SCOPE_SE
	ds_store_b64 v16, v[39:40]
	ds_store_b64 v17, v[70:71]
	;; [unrolled: 1-line block ×8, first 2 shown]
	s_wait_loadcnt_dscnt 0x0
	s_barrier_signal -1
	s_barrier_wait -1
	global_inv scope:SCOPE_SE
	ds_load_b128 v[0:3], v24
	ds_load_b128 v[4:7], v24 offset:16
	ds_load_b128 v[8:11], v24 offset:32
	ds_load_b128 v[12:15], v24 offset:48
	s_wait_loadcnt_dscnt 0x0
	s_barrier_signal -1
	s_barrier_wait -1
	global_inv scope:SCOPE_SE
	ds_store_b64 v16, v[61:62]
	ds_store_b64 v17, v[59:60]
	;; [unrolled: 1-line block ×8, first 2 shown]
	s_wait_loadcnt_dscnt 0x0
	s_barrier_signal -1
	s_barrier_wait -1
	global_inv scope:SCOPE_SE
	ds_load_b128 v[45:48], v24
	ds_load_b128 v[41:44], v24 offset:16
	ds_load_b128 v[37:40], v24 offset:32
	;; [unrolled: 1-line block ×3, first 2 shown]
	v_xor_b32_e32 v50, 0x7fffffff, v1
	v_xor_b32_e32 v49, -1, v0
	v_xor_b32_e32 v52, 0x7fffffff, v3
	v_xor_b32_e32 v51, -1, v2
	;; [unrolled: 2-line block ×8, first 2 shown]
.LBB150_95:
	s_wait_loadcnt_dscnt 0x0
	s_barrier_signal -1
	s_barrier_wait -1
	global_inv scope:SCOPE_SE
	ds_store_2addr_b64 v115, v[49:50], v[51:52] offset1:1
	ds_store_2addr_b64 v115, v[53:54], v[55:56] offset0:2 offset1:3
	ds_store_2addr_b64 v115, v[57:58], v[59:60] offset0:4 offset1:5
	;; [unrolled: 1-line block ×3, first 2 shown]
	s_wait_loadcnt_dscnt 0x0
	s_barrier_signal -1
	s_barrier_wait -1
	global_inv scope:SCOPE_SE
	ds_load_b64 v[14:15], v108 offset:4096
	ds_load_b64 v[12:13], v109 offset:8192
	;; [unrolled: 1-line block ×7, first 2 shown]
	v_mov_b32_e32 v73, 0
	s_delay_alu instid0(VALU_DEP_1) | instskip(NEXT) | instid1(VALU_DEP_1)
	v_lshlrev_b64_e32 v[2:3], 3, v[72:73]
	v_add_co_u32 v2, vcc_lo, s30, v2
	s_wait_alu 0xfffd
	s_delay_alu instid0(VALU_DEP_2)
	v_add_co_ci_u32_e64 v3, null, s31, v3, vcc_lo
	s_and_saveexec_b32 s1, s2
	s_cbranch_execnz .LBB150_114
; %bb.96:
	s_wait_alu 0xfffe
	s_or_b32 exec_lo, exec_lo, s1
	s_and_saveexec_b32 s1, s3
	s_cbranch_execnz .LBB150_115
.LBB150_97:
	s_wait_alu 0xfffe
	s_or_b32 exec_lo, exec_lo, s1
	s_and_saveexec_b32 s1, s4
	s_cbranch_execnz .LBB150_116
.LBB150_98:
	s_wait_alu 0xfffe
	s_or_b32 exec_lo, exec_lo, s1
	s_and_saveexec_b32 s1, s5
	s_cbranch_execnz .LBB150_117
.LBB150_99:
	s_wait_alu 0xfffe
	s_or_b32 exec_lo, exec_lo, s1
	s_and_saveexec_b32 s1, s6
	s_cbranch_execnz .LBB150_118
.LBB150_100:
	s_wait_alu 0xfffe
	s_or_b32 exec_lo, exec_lo, s1
	s_and_saveexec_b32 s1, s7
	s_cbranch_execnz .LBB150_119
.LBB150_101:
	s_wait_alu 0xfffe
	s_or_b32 exec_lo, exec_lo, s1
	s_and_saveexec_b32 s1, s8
	s_cbranch_execnz .LBB150_120
.LBB150_102:
	s_wait_alu 0xfffe
	s_or_b32 exec_lo, exec_lo, s1
	s_and_saveexec_b32 s1, s0
	s_cbranch_execz .LBB150_104
.LBB150_103:
	s_mul_i32 s10, s26, 0xe00
	s_mov_b32 s11, 0
	s_wait_alu 0xfffe
	s_lshl_b64 s[10:11], s[10:11], 3
	s_wait_alu 0xfffe
	v_add_co_u32 v2, vcc_lo, v2, s10
	s_wait_alu 0xfffd
	v_add_co_ci_u32_e64 v3, null, s11, v3, vcc_lo
	s_wait_dscnt 0x0
	global_store_b64 v[2:3], v[0:1], off
.LBB150_104:
	s_wait_alu 0xfffe
	s_or_b32 exec_lo, exec_lo, s1
	s_wait_storecnt 0x0
	s_wait_loadcnt_dscnt 0x0
	s_barrier_signal -1
	s_barrier_wait -1
	global_inv scope:SCOPE_SE
	ds_store_2addr_b64 v115, v[45:46], v[47:48] offset1:1
	ds_store_2addr_b64 v115, v[41:42], v[43:44] offset0:2 offset1:3
	ds_store_2addr_b64 v115, v[37:38], v[39:40] offset0:4 offset1:5
	;; [unrolled: 1-line block ×3, first 2 shown]
	s_wait_loadcnt_dscnt 0x0
	s_barrier_signal -1
	s_barrier_wait -1
	global_inv scope:SCOPE_SE
	ds_load_b64 v[14:15], v108 offset:4096
	ds_load_b64 v[12:13], v109 offset:8192
	;; [unrolled: 1-line block ×7, first 2 shown]
	v_mov_b32_e32 v70, 0
	s_delay_alu instid0(VALU_DEP_1) | instskip(NEXT) | instid1(VALU_DEP_1)
	v_lshlrev_b64_e32 v[2:3], 3, v[69:70]
	v_add_co_u32 v2, vcc_lo, s24, v2
	s_wait_alu 0xfffd
	s_delay_alu instid0(VALU_DEP_2)
	v_add_co_ci_u32_e64 v3, null, s25, v3, vcc_lo
	s_and_saveexec_b32 s1, s2
	s_cbranch_execnz .LBB150_121
; %bb.105:
	s_wait_alu 0xfffe
	s_or_b32 exec_lo, exec_lo, s1
	s_and_saveexec_b32 s1, s3
	s_cbranch_execnz .LBB150_122
.LBB150_106:
	s_wait_alu 0xfffe
	s_or_b32 exec_lo, exec_lo, s1
	s_and_saveexec_b32 s1, s4
	s_cbranch_execnz .LBB150_123
.LBB150_107:
	s_wait_alu 0xfffe
	s_or_b32 exec_lo, exec_lo, s1
	s_and_saveexec_b32 s1, s5
	s_cbranch_execnz .LBB150_124
.LBB150_108:
	s_wait_alu 0xfffe
	s_or_b32 exec_lo, exec_lo, s1
	s_and_saveexec_b32 s1, s6
	s_cbranch_execnz .LBB150_125
.LBB150_109:
	s_wait_alu 0xfffe
	s_or_b32 exec_lo, exec_lo, s1
	s_and_saveexec_b32 s1, s7
	s_cbranch_execnz .LBB150_126
.LBB150_110:
	s_wait_alu 0xfffe
	s_or_b32 exec_lo, exec_lo, s1
	s_and_saveexec_b32 s1, s8
	s_cbranch_execnz .LBB150_127
.LBB150_111:
	s_wait_alu 0xfffe
	s_or_b32 exec_lo, exec_lo, s1
	s_and_saveexec_b32 s1, s0
	s_cbranch_execz .LBB150_113
.LBB150_112:
	s_mul_i32 s0, s28, 0xe00
	s_mov_b32 s1, 0
	s_wait_alu 0xfffe
	s_lshl_b64 s[0:1], s[0:1], 3
	s_wait_alu 0xfffe
	v_add_co_u32 v2, vcc_lo, v2, s0
	s_wait_alu 0xfffd
	v_add_co_ci_u32_e64 v3, null, s1, v3, vcc_lo
	s_wait_dscnt 0x0
	global_store_b64 v[2:3], v[0:1], off
.LBB150_113:
	s_nop 0
	s_sendmsg sendmsg(MSG_DEALLOC_VGPRS)
	s_endpgm
.LBB150_114:
	ds_load_b64 v[16:17], v107
	s_wait_dscnt 0x0
	global_store_b64 v[2:3], v[16:17], off
	s_wait_alu 0xfffe
	s_or_b32 exec_lo, exec_lo, s1
	s_and_saveexec_b32 s1, s3
	s_cbranch_execz .LBB150_97
.LBB150_115:
	s_lshl_b32 s10, s26, 9
	s_mov_b32 s11, 0
	s_wait_alu 0xfffe
	s_lshl_b64 s[10:11], s[10:11], 3
	s_wait_alu 0xfffe
	v_add_co_u32 v16, vcc_lo, v2, s10
	s_wait_alu 0xfffd
	v_add_co_ci_u32_e64 v17, null, s11, v3, vcc_lo
	s_wait_dscnt 0x6
	global_store_b64 v[16:17], v[14:15], off
	s_or_b32 exec_lo, exec_lo, s1
	s_and_saveexec_b32 s1, s4
	s_cbranch_execz .LBB150_98
.LBB150_116:
	s_lshl_b32 s10, s26, 10
	s_mov_b32 s11, 0
	s_wait_alu 0xfffe
	s_lshl_b64 s[10:11], s[10:11], 3
	s_wait_dscnt 0x6
	s_wait_alu 0xfffe
	v_add_co_u32 v14, vcc_lo, v2, s10
	s_wait_alu 0xfffd
	v_add_co_ci_u32_e64 v15, null, s11, v3, vcc_lo
	s_wait_dscnt 0x5
	global_store_b64 v[14:15], v[12:13], off
	s_or_b32 exec_lo, exec_lo, s1
	s_and_saveexec_b32 s1, s5
	s_cbranch_execz .LBB150_99
.LBB150_117:
	s_mul_i32 s10, s26, 0x600
	s_mov_b32 s11, 0
	s_wait_alu 0xfffe
	s_lshl_b64 s[10:11], s[10:11], 3
	s_wait_dscnt 0x5
	s_wait_alu 0xfffe
	v_add_co_u32 v12, vcc_lo, v2, s10
	s_wait_alu 0xfffd
	v_add_co_ci_u32_e64 v13, null, s11, v3, vcc_lo
	s_wait_dscnt 0x4
	global_store_b64 v[12:13], v[10:11], off
	s_or_b32 exec_lo, exec_lo, s1
	s_and_saveexec_b32 s1, s6
	s_cbranch_execz .LBB150_100
.LBB150_118:
	s_lshl_b32 s10, s26, 11
	s_mov_b32 s11, 0
	s_wait_alu 0xfffe
	s_lshl_b64 s[10:11], s[10:11], 3
	s_wait_dscnt 0x4
	s_wait_alu 0xfffe
	v_add_co_u32 v10, vcc_lo, v2, s10
	s_wait_alu 0xfffd
	v_add_co_ci_u32_e64 v11, null, s11, v3, vcc_lo
	s_wait_dscnt 0x3
	global_store_b64 v[10:11], v[8:9], off
	s_or_b32 exec_lo, exec_lo, s1
	s_and_saveexec_b32 s1, s7
	s_cbranch_execz .LBB150_101
.LBB150_119:
	s_mul_i32 s10, s26, 0xa00
	s_mov_b32 s11, 0
	s_wait_alu 0xfffe
	s_lshl_b64 s[10:11], s[10:11], 3
	s_wait_dscnt 0x3
	s_wait_alu 0xfffe
	v_add_co_u32 v8, vcc_lo, v2, s10
	s_wait_alu 0xfffd
	v_add_co_ci_u32_e64 v9, null, s11, v3, vcc_lo
	s_wait_dscnt 0x2
	global_store_b64 v[8:9], v[6:7], off
	s_or_b32 exec_lo, exec_lo, s1
	s_and_saveexec_b32 s1, s8
	s_cbranch_execz .LBB150_102
.LBB150_120:
	s_mul_i32 s10, s26, 0xc00
	s_mov_b32 s11, 0
	s_wait_alu 0xfffe
	s_lshl_b64 s[10:11], s[10:11], 3
	s_wait_dscnt 0x2
	s_wait_alu 0xfffe
	v_add_co_u32 v6, vcc_lo, v2, s10
	s_wait_alu 0xfffd
	v_add_co_ci_u32_e64 v7, null, s11, v3, vcc_lo
	s_wait_dscnt 0x1
	global_store_b64 v[6:7], v[4:5], off
	s_or_b32 exec_lo, exec_lo, s1
	s_and_saveexec_b32 s1, s0
	s_cbranch_execnz .LBB150_103
	s_branch .LBB150_104
.LBB150_121:
	ds_load_b64 v[16:17], v107
	s_wait_dscnt 0x0
	global_store_b64 v[2:3], v[16:17], off
	s_wait_alu 0xfffe
	s_or_b32 exec_lo, exec_lo, s1
	s_and_saveexec_b32 s1, s3
	s_cbranch_execz .LBB150_106
.LBB150_122:
	s_lshl_b32 s2, s28, 9
	s_mov_b32 s3, 0
	s_delay_alu instid0(SALU_CYCLE_1) | instskip(NEXT) | instid1(SALU_CYCLE_1)
	s_lshl_b64 s[2:3], s[2:3], 3
	v_add_co_u32 v16, vcc_lo, v2, s2
	s_wait_alu 0xfffd
	v_add_co_ci_u32_e64 v17, null, s3, v3, vcc_lo
	s_wait_dscnt 0x6
	global_store_b64 v[16:17], v[14:15], off
	s_wait_alu 0xfffe
	s_or_b32 exec_lo, exec_lo, s1
	s_and_saveexec_b32 s1, s4
	s_cbranch_execz .LBB150_107
.LBB150_123:
	s_lshl_b32 s2, s28, 10
	s_mov_b32 s3, 0
	s_wait_alu 0xfffe
	s_lshl_b64 s[2:3], s[2:3], 3
	s_wait_dscnt 0x6
	s_wait_alu 0xfffe
	v_add_co_u32 v14, vcc_lo, v2, s2
	s_wait_alu 0xfffd
	v_add_co_ci_u32_e64 v15, null, s3, v3, vcc_lo
	s_wait_dscnt 0x5
	global_store_b64 v[14:15], v[12:13], off
	s_or_b32 exec_lo, exec_lo, s1
	s_and_saveexec_b32 s1, s5
	s_cbranch_execz .LBB150_108
.LBB150_124:
	s_mul_i32 s2, s28, 0x600
	s_mov_b32 s3, 0
	s_wait_alu 0xfffe
	s_lshl_b64 s[2:3], s[2:3], 3
	s_wait_dscnt 0x5
	s_wait_alu 0xfffe
	v_add_co_u32 v12, vcc_lo, v2, s2
	s_wait_alu 0xfffd
	v_add_co_ci_u32_e64 v13, null, s3, v3, vcc_lo
	s_wait_dscnt 0x4
	global_store_b64 v[12:13], v[10:11], off
	s_or_b32 exec_lo, exec_lo, s1
	s_and_saveexec_b32 s1, s6
	s_cbranch_execz .LBB150_109
.LBB150_125:
	s_lshl_b32 s2, s28, 11
	s_mov_b32 s3, 0
	s_wait_alu 0xfffe
	s_lshl_b64 s[2:3], s[2:3], 3
	s_wait_dscnt 0x4
	s_wait_alu 0xfffe
	v_add_co_u32 v10, vcc_lo, v2, s2
	s_wait_alu 0xfffd
	v_add_co_ci_u32_e64 v11, null, s3, v3, vcc_lo
	s_wait_dscnt 0x3
	global_store_b64 v[10:11], v[8:9], off
	s_or_b32 exec_lo, exec_lo, s1
	s_and_saveexec_b32 s1, s7
	s_cbranch_execz .LBB150_110
.LBB150_126:
	s_mul_i32 s2, s28, 0xa00
	s_mov_b32 s3, 0
	s_wait_alu 0xfffe
	s_lshl_b64 s[2:3], s[2:3], 3
	s_wait_dscnt 0x3
	s_wait_alu 0xfffe
	v_add_co_u32 v8, vcc_lo, v2, s2
	s_wait_alu 0xfffd
	v_add_co_ci_u32_e64 v9, null, s3, v3, vcc_lo
	s_wait_dscnt 0x2
	global_store_b64 v[8:9], v[6:7], off
	s_or_b32 exec_lo, exec_lo, s1
	s_and_saveexec_b32 s1, s8
	s_cbranch_execz .LBB150_111
.LBB150_127:
	s_mul_i32 s2, s28, 0xc00
	s_mov_b32 s3, 0
	s_wait_alu 0xfffe
	s_lshl_b64 s[2:3], s[2:3], 3
	s_wait_dscnt 0x2
	s_wait_alu 0xfffe
	v_add_co_u32 v6, vcc_lo, v2, s2
	s_wait_alu 0xfffd
	v_add_co_ci_u32_e64 v7, null, s3, v3, vcc_lo
	s_wait_dscnt 0x1
	global_store_b64 v[6:7], v[4:5], off
	s_or_b32 exec_lo, exec_lo, s1
	s_and_saveexec_b32 s1, s0
	s_cbranch_execnz .LBB150_112
	s_branch .LBB150_113
	.section	.rodata,"a",@progbits
	.p2align	6, 0x0
	.amdhsa_kernel _ZN2at6native18radixSortKVInPlaceILin1ELin1ELi512ELi8ElljEEvNS_4cuda6detail10TensorInfoIT3_T5_EES6_S6_S6_NS4_IT4_S6_EES6_b
		.amdhsa_group_segment_fixed_size 33792
		.amdhsa_private_segment_fixed_size 0
		.amdhsa_kernarg_size 712
		.amdhsa_user_sgpr_count 2
		.amdhsa_user_sgpr_dispatch_ptr 0
		.amdhsa_user_sgpr_queue_ptr 0
		.amdhsa_user_sgpr_kernarg_segment_ptr 1
		.amdhsa_user_sgpr_dispatch_id 0
		.amdhsa_user_sgpr_private_segment_size 0
		.amdhsa_wavefront_size32 1
		.amdhsa_uses_dynamic_stack 0
		.amdhsa_enable_private_segment 0
		.amdhsa_system_sgpr_workgroup_id_x 1
		.amdhsa_system_sgpr_workgroup_id_y 1
		.amdhsa_system_sgpr_workgroup_id_z 1
		.amdhsa_system_sgpr_workgroup_info 0
		.amdhsa_system_vgpr_workitem_id 2
		.amdhsa_next_free_vgpr 140
		.amdhsa_next_free_sgpr 38
		.amdhsa_reserve_vcc 1
		.amdhsa_float_round_mode_32 0
		.amdhsa_float_round_mode_16_64 0
		.amdhsa_float_denorm_mode_32 3
		.amdhsa_float_denorm_mode_16_64 3
		.amdhsa_fp16_overflow 0
		.amdhsa_workgroup_processor_mode 1
		.amdhsa_memory_ordered 1
		.amdhsa_forward_progress 1
		.amdhsa_inst_pref_size 117
		.amdhsa_round_robin_scheduling 0
		.amdhsa_exception_fp_ieee_invalid_op 0
		.amdhsa_exception_fp_denorm_src 0
		.amdhsa_exception_fp_ieee_div_zero 0
		.amdhsa_exception_fp_ieee_overflow 0
		.amdhsa_exception_fp_ieee_underflow 0
		.amdhsa_exception_fp_ieee_inexact 0
		.amdhsa_exception_int_div_zero 0
	.end_amdhsa_kernel
	.section	.text._ZN2at6native18radixSortKVInPlaceILin1ELin1ELi512ELi8ElljEEvNS_4cuda6detail10TensorInfoIT3_T5_EES6_S6_S6_NS4_IT4_S6_EES6_b,"axG",@progbits,_ZN2at6native18radixSortKVInPlaceILin1ELin1ELi512ELi8ElljEEvNS_4cuda6detail10TensorInfoIT3_T5_EES6_S6_S6_NS4_IT4_S6_EES6_b,comdat
.Lfunc_end150:
	.size	_ZN2at6native18radixSortKVInPlaceILin1ELin1ELi512ELi8ElljEEvNS_4cuda6detail10TensorInfoIT3_T5_EES6_S6_S6_NS4_IT4_S6_EES6_b, .Lfunc_end150-_ZN2at6native18radixSortKVInPlaceILin1ELin1ELi512ELi8ElljEEvNS_4cuda6detail10TensorInfoIT3_T5_EES6_S6_S6_NS4_IT4_S6_EES6_b
                                        ; -- End function
	.set _ZN2at6native18radixSortKVInPlaceILin1ELin1ELi512ELi8ElljEEvNS_4cuda6detail10TensorInfoIT3_T5_EES6_S6_S6_NS4_IT4_S6_EES6_b.num_vgpr, 140
	.set _ZN2at6native18radixSortKVInPlaceILin1ELin1ELi512ELi8ElljEEvNS_4cuda6detail10TensorInfoIT3_T5_EES6_S6_S6_NS4_IT4_S6_EES6_b.num_agpr, 0
	.set _ZN2at6native18radixSortKVInPlaceILin1ELin1ELi512ELi8ElljEEvNS_4cuda6detail10TensorInfoIT3_T5_EES6_S6_S6_NS4_IT4_S6_EES6_b.numbered_sgpr, 38
	.set _ZN2at6native18radixSortKVInPlaceILin1ELin1ELi512ELi8ElljEEvNS_4cuda6detail10TensorInfoIT3_T5_EES6_S6_S6_NS4_IT4_S6_EES6_b.num_named_barrier, 0
	.set _ZN2at6native18radixSortKVInPlaceILin1ELin1ELi512ELi8ElljEEvNS_4cuda6detail10TensorInfoIT3_T5_EES6_S6_S6_NS4_IT4_S6_EES6_b.private_seg_size, 0
	.set _ZN2at6native18radixSortKVInPlaceILin1ELin1ELi512ELi8ElljEEvNS_4cuda6detail10TensorInfoIT3_T5_EES6_S6_S6_NS4_IT4_S6_EES6_b.uses_vcc, 1
	.set _ZN2at6native18radixSortKVInPlaceILin1ELin1ELi512ELi8ElljEEvNS_4cuda6detail10TensorInfoIT3_T5_EES6_S6_S6_NS4_IT4_S6_EES6_b.uses_flat_scratch, 0
	.set _ZN2at6native18radixSortKVInPlaceILin1ELin1ELi512ELi8ElljEEvNS_4cuda6detail10TensorInfoIT3_T5_EES6_S6_S6_NS4_IT4_S6_EES6_b.has_dyn_sized_stack, 0
	.set _ZN2at6native18radixSortKVInPlaceILin1ELin1ELi512ELi8ElljEEvNS_4cuda6detail10TensorInfoIT3_T5_EES6_S6_S6_NS4_IT4_S6_EES6_b.has_recursion, 0
	.set _ZN2at6native18radixSortKVInPlaceILin1ELin1ELi512ELi8ElljEEvNS_4cuda6detail10TensorInfoIT3_T5_EES6_S6_S6_NS4_IT4_S6_EES6_b.has_indirect_call, 0
	.section	.AMDGPU.csdata,"",@progbits
; Kernel info:
; codeLenInByte = 14876
; TotalNumSgprs: 40
; NumVgprs: 140
; ScratchSize: 0
; MemoryBound: 0
; FloatMode: 240
; IeeeMode: 1
; LDSByteSize: 33792 bytes/workgroup (compile time only)
; SGPRBlocks: 0
; VGPRBlocks: 17
; NumSGPRsForWavesPerEU: 40
; NumVGPRsForWavesPerEU: 140
; Occupancy: 10
; WaveLimiterHint : 1
; COMPUTE_PGM_RSRC2:SCRATCH_EN: 0
; COMPUTE_PGM_RSRC2:USER_SGPR: 2
; COMPUTE_PGM_RSRC2:TRAP_HANDLER: 0
; COMPUTE_PGM_RSRC2:TGID_X_EN: 1
; COMPUTE_PGM_RSRC2:TGID_Y_EN: 1
; COMPUTE_PGM_RSRC2:TGID_Z_EN: 1
; COMPUTE_PGM_RSRC2:TIDIG_COMP_CNT: 2
	.section	.text._ZN2at6native18radixSortKVInPlaceILin1ELin1ELi256ELi8ElljEEvNS_4cuda6detail10TensorInfoIT3_T5_EES6_S6_S6_NS4_IT4_S6_EES6_b,"axG",@progbits,_ZN2at6native18radixSortKVInPlaceILin1ELin1ELi256ELi8ElljEEvNS_4cuda6detail10TensorInfoIT3_T5_EES6_S6_S6_NS4_IT4_S6_EES6_b,comdat
	.protected	_ZN2at6native18radixSortKVInPlaceILin1ELin1ELi256ELi8ElljEEvNS_4cuda6detail10TensorInfoIT3_T5_EES6_S6_S6_NS4_IT4_S6_EES6_b ; -- Begin function _ZN2at6native18radixSortKVInPlaceILin1ELin1ELi256ELi8ElljEEvNS_4cuda6detail10TensorInfoIT3_T5_EES6_S6_S6_NS4_IT4_S6_EES6_b
	.globl	_ZN2at6native18radixSortKVInPlaceILin1ELin1ELi256ELi8ElljEEvNS_4cuda6detail10TensorInfoIT3_T5_EES6_S6_S6_NS4_IT4_S6_EES6_b
	.p2align	8
	.type	_ZN2at6native18radixSortKVInPlaceILin1ELin1ELi256ELi8ElljEEvNS_4cuda6detail10TensorInfoIT3_T5_EES6_S6_S6_NS4_IT4_S6_EES6_b,@function
_ZN2at6native18radixSortKVInPlaceILin1ELin1ELi256ELi8ElljEEvNS_4cuda6detail10TensorInfoIT3_T5_EES6_S6_S6_NS4_IT4_S6_EES6_b: ; @_ZN2at6native18radixSortKVInPlaceILin1ELin1ELi256ELi8ElljEEvNS_4cuda6detail10TensorInfoIT3_T5_EES6_S6_S6_NS4_IT4_S6_EES6_b
; %bb.0:
	s_clause 0x1
	s_load_b64 s[2:3], s[0:1], 0x1c8
	s_load_b96 s[20:22], s[0:1], 0xd8
	s_lshr_b32 s4, ttmp7, 16
	s_wait_kmcnt 0x0
	s_mul_i32 s3, s3, s4
	s_and_b32 s4, ttmp7, 0xffff
	s_delay_alu instid0(SALU_CYCLE_1) | instskip(NEXT) | instid1(SALU_CYCLE_1)
	s_add_co_i32 s3, s3, s4
	s_mul_i32 s2, s3, s2
	s_delay_alu instid0(SALU_CYCLE_1) | instskip(NEXT) | instid1(SALU_CYCLE_1)
	s_add_co_i32 s23, s2, ttmp9
	s_cmp_ge_u32 s23, s20
	s_cbranch_scc1 .LBB151_113
; %bb.1:
	s_load_b32 s4, s[0:1], 0xd0
	s_mov_b32 s3, 0
	s_mov_b32 s2, s23
	s_wait_kmcnt 0x0
	s_cmp_lt_i32 s4, 2
	s_cbranch_scc1 .LBB151_4
; %bb.2:
	s_add_co_i32 s2, s4, -1
	s_delay_alu instid0(SALU_CYCLE_1)
	s_lshl_b64 s[6:7], s[2:3], 2
	s_mov_b32 s2, s23
	s_add_nc_u64 s[8:9], s[0:1], s[6:7]
	s_add_co_i32 s6, s4, 1
	s_add_nc_u64 s[4:5], s[8:9], 8
.LBB151_3:                              ; =>This Inner Loop Header: Depth=1
	s_clause 0x1
	s_load_b32 s7, s[4:5], 0x0
	s_load_b32 s8, s[4:5], 0x64
	s_mov_b32 s11, s2
	s_add_nc_u64 s[4:5], s[4:5], -4
	s_wait_kmcnt 0x0
	s_cvt_f32_u32 s9, s7
	s_sub_co_i32 s10, 0, s7
	s_wait_alu 0xfffe
	s_delay_alu instid0(SALU_CYCLE_1) | instskip(NEXT) | instid1(TRANS32_DEP_1)
	v_rcp_iflag_f32_e32 v1, s9
	v_readfirstlane_b32 s9, v1
	s_mul_f32 s9, s9, 0x4f7ffffe
	s_wait_alu 0xfffe
	s_delay_alu instid0(SALU_CYCLE_2) | instskip(SKIP_1) | instid1(SALU_CYCLE_2)
	s_cvt_u32_f32 s9, s9
	s_wait_alu 0xfffe
	s_mul_i32 s10, s10, s9
	s_delay_alu instid0(SALU_CYCLE_1) | instskip(NEXT) | instid1(SALU_CYCLE_1)
	s_mul_hi_u32 s10, s9, s10
	s_add_co_i32 s9, s9, s10
	s_wait_alu 0xfffe
	s_mul_hi_u32 s2, s2, s9
	s_delay_alu instid0(SALU_CYCLE_1)
	s_mul_i32 s9, s2, s7
	s_add_co_i32 s10, s2, 1
	s_wait_alu 0xfffe
	s_sub_co_i32 s9, s11, s9
	s_wait_alu 0xfffe
	s_sub_co_i32 s12, s9, s7
	s_cmp_ge_u32 s9, s7
	s_cselect_b32 s2, s10, s2
	s_cselect_b32 s9, s12, s9
	s_add_co_i32 s10, s2, 1
	s_wait_alu 0xfffe
	s_cmp_ge_u32 s9, s7
	s_cselect_b32 s2, s10, s2
	s_add_co_i32 s6, s6, -1
	s_mul_i32 s7, s2, s7
	s_delay_alu instid0(SALU_CYCLE_1) | instskip(NEXT) | instid1(SALU_CYCLE_1)
	s_sub_co_i32 s7, s11, s7
	s_mul_i32 s7, s8, s7
	s_delay_alu instid0(SALU_CYCLE_1)
	s_add_co_i32 s3, s7, s3
	s_cmp_gt_u32 s6, 2
	s_cbranch_scc1 .LBB151_3
.LBB151_4:
	s_load_b32 s4, s[0:1], 0x1b8
	s_add_nc_u64 s[36:37], s[0:1], 0x1c8
	s_mov_b32 s25, 0
	s_wait_kmcnt 0x0
	s_cmp_lt_i32 s4, 2
	s_cbranch_scc1 .LBB151_7
; %bb.5:
	s_add_co_i32 s24, s4, -1
	s_delay_alu instid0(SALU_CYCLE_1) | instskip(NEXT) | instid1(SALU_CYCLE_1)
	s_lshl_b64 s[6:7], s[24:25], 2
	s_add_nc_u64 s[8:9], s[0:1], s[6:7]
	s_add_co_i32 s6, s4, 1
	s_wait_alu 0xfffe
	s_add_nc_u64 s[4:5], s[8:9], 0xf0
.LBB151_6:                              ; =>This Inner Loop Header: Depth=1
	s_clause 0x1
	s_load_b32 s7, s[4:5], 0x0
	s_load_b32 s8, s[4:5], 0x64
	s_mov_b32 s11, s23
	s_add_nc_u64 s[4:5], s[4:5], -4
	s_wait_kmcnt 0x0
	s_cvt_f32_u32 s9, s7
	s_sub_co_i32 s10, 0, s7
	s_wait_alu 0xfffe
	s_delay_alu instid0(SALU_CYCLE_1) | instskip(NEXT) | instid1(TRANS32_DEP_1)
	v_rcp_iflag_f32_e32 v1, s9
	v_readfirstlane_b32 s9, v1
	s_mul_f32 s9, s9, 0x4f7ffffe
	s_wait_alu 0xfffe
	s_delay_alu instid0(SALU_CYCLE_2) | instskip(SKIP_1) | instid1(SALU_CYCLE_2)
	s_cvt_u32_f32 s9, s9
	s_wait_alu 0xfffe
	s_mul_i32 s10, s10, s9
	s_delay_alu instid0(SALU_CYCLE_1) | instskip(NEXT) | instid1(SALU_CYCLE_1)
	s_mul_hi_u32 s10, s9, s10
	s_add_co_i32 s9, s9, s10
	s_wait_alu 0xfffe
	s_mul_hi_u32 s9, s23, s9
	s_wait_alu 0xfffe
	s_mul_i32 s10, s9, s7
	s_add_co_i32 s12, s9, 1
	s_sub_co_i32 s10, s23, s10
	s_delay_alu instid0(SALU_CYCLE_1)
	s_sub_co_i32 s13, s10, s7
	s_cmp_ge_u32 s10, s7
	s_cselect_b32 s9, s12, s9
	s_cselect_b32 s10, s13, s10
	s_wait_alu 0xfffe
	s_add_co_i32 s12, s9, 1
	s_cmp_ge_u32 s10, s7
	s_cselect_b32 s23, s12, s9
	s_add_co_i32 s6, s6, -1
	s_mul_i32 s7, s23, s7
	s_delay_alu instid0(SALU_CYCLE_1) | instskip(NEXT) | instid1(SALU_CYCLE_1)
	s_sub_co_i32 s7, s11, s7
	s_mul_i32 s7, s8, s7
	s_delay_alu instid0(SALU_CYCLE_1)
	s_add_co_i32 s25, s7, s25
	s_cmp_gt_u32 s6, 2
	s_cbranch_scc1 .LBB151_6
.LBB151_7:
	s_clause 0x2
	s_load_b32 s4, s[0:1], 0x6c
	s_load_b64 s[28:29], s[0:1], 0x1c0
	s_load_b64 s[26:27], s[0:1], 0x0
	s_mov_b32 s5, 0
	s_brev_b32 s6, 1
	s_wait_kmcnt 0x0
	s_mul_i32 s2, s4, s2
	s_delay_alu instid0(SALU_CYCLE_1)
	s_add_co_i32 s4, s2, s3
	s_bitcmp1_b32 s29, 0
	s_cselect_b32 s20, -1, 0
	s_lshl_b64 s[30:31], s[4:5], 3
	s_and_b32 s2, s20, exec_lo
	s_cselect_b32 s4, 0, -1
	s_cselect_b32 s5, s6, 0x7fffffff
	s_mov_b32 s6, s4
	s_mov_b32 s7, s5
	;; [unrolled: 1-line block ×14, first 2 shown]
	v_dual_mov_b32 v1, s4 :: v_dual_and_b32 v74, 0x3ff, v0
	v_mov_b32_e32 v18, s5
	v_dual_mov_b32 v2, s5 :: v_dual_mov_b32 v3, s6
	s_delay_alu instid0(VALU_DEP_3)
	v_mul_lo_u32 v72, s22, v74
	v_cmp_gt_u32_e64 s2, s21, v74
	s_wait_alu 0xfffe
	v_dual_mov_b32 v4, s7 :: v_dual_mov_b32 v5, s8
	v_dual_mov_b32 v6, s9 :: v_dual_mov_b32 v7, s10
	;; [unrolled: 1-line block ×7, first 2 shown]
	s_add_nc_u64 s[30:31], s[26:27], s[30:31]
	s_and_saveexec_b32 s3, s2
	s_cbranch_execz .LBB151_9
; %bb.8:
	v_mov_b32_e32 v73, 0
	s_delay_alu instid0(VALU_DEP_1) | instskip(NEXT) | instid1(VALU_DEP_1)
	v_lshlrev_b64_e32 v[1:2], 3, v[72:73]
	v_add_co_u32 v1, vcc_lo, s30, v1
	s_delay_alu instid0(VALU_DEP_1)
	v_add_co_ci_u32_e64 v2, null, s31, v2, vcc_lo
	global_load_b64 v[17:18], v[1:2], off
	v_dual_mov_b32 v1, s4 :: v_dual_mov_b32 v4, s7
	v_dual_mov_b32 v3, s6 :: v_dual_mov_b32 v6, s9
	;; [unrolled: 1-line block ×8, first 2 shown]
.LBB151_9:
	s_or_b32 exec_lo, exec_lo, s3
	v_add_nc_u32_e32 v31, 0x100, v74
	s_delay_alu instid0(VALU_DEP_1)
	v_cmp_gt_u32_e64 s3, s21, v31
	s_and_saveexec_b32 s4, s3
	s_cbranch_execz .LBB151_11
; %bb.10:
	v_mul_lo_u32 v1, s22, v31
	v_mov_b32_e32 v2, 0
	s_delay_alu instid0(VALU_DEP_1) | instskip(NEXT) | instid1(VALU_DEP_1)
	v_lshlrev_b64_e32 v[1:2], 3, v[1:2]
	v_add_co_u32 v1, vcc_lo, s30, v1
	s_wait_alu 0xfffd
	s_delay_alu instid0(VALU_DEP_2)
	v_add_co_ci_u32_e64 v2, null, s31, v2, vcc_lo
	global_load_b64 v[3:4], v[1:2], off
.LBB151_11:
	s_wait_alu 0xfffe
	s_or_b32 exec_lo, exec_lo, s4
	v_add_nc_u32_e32 v32, 0x200, v74
	s_delay_alu instid0(VALU_DEP_1)
	v_cmp_gt_u32_e64 s4, s21, v32
	s_and_saveexec_b32 s5, s4
	s_cbranch_execz .LBB151_13
; %bb.12:
	v_mul_lo_u32 v1, s22, v32
	v_mov_b32_e32 v2, 0
	s_delay_alu instid0(VALU_DEP_1) | instskip(NEXT) | instid1(VALU_DEP_1)
	v_lshlrev_b64_e32 v[1:2], 3, v[1:2]
	v_add_co_u32 v1, vcc_lo, s30, v1
	s_wait_alu 0xfffd
	s_delay_alu instid0(VALU_DEP_2)
	v_add_co_ci_u32_e64 v2, null, s31, v2, vcc_lo
	global_load_b64 v[5:6], v[1:2], off
.LBB151_13:
	s_wait_alu 0xfffe
	;; [unrolled: 18-line block ×3, first 2 shown]
	s_or_b32 exec_lo, exec_lo, s6
	v_or_b32_e32 v35, 0x400, v74
	s_delay_alu instid0(VALU_DEP_1)
	v_cmp_gt_u32_e64 s6, s21, v35
	s_and_saveexec_b32 s7, s6
	s_cbranch_execz .LBB151_17
; %bb.16:
	v_mul_lo_u32 v1, s22, v35
	v_mov_b32_e32 v2, 0
	s_delay_alu instid0(VALU_DEP_1) | instskip(NEXT) | instid1(VALU_DEP_1)
	v_lshlrev_b64_e32 v[1:2], 3, v[1:2]
	v_add_co_u32 v1, vcc_lo, s30, v1
	s_wait_alu 0xfffd
	s_delay_alu instid0(VALU_DEP_2)
	v_add_co_ci_u32_e64 v2, null, s31, v2, vcc_lo
	global_load_b64 v[9:10], v[1:2], off
.LBB151_17:
	s_wait_alu 0xfffe
	s_or_b32 exec_lo, exec_lo, s7
	v_add_nc_u32_e32 v36, 0x500, v74
	s_delay_alu instid0(VALU_DEP_1)
	v_cmp_gt_u32_e64 s7, s21, v36
	s_and_saveexec_b32 s8, s7
	s_cbranch_execz .LBB151_19
; %bb.18:
	v_mul_lo_u32 v1, s22, v36
	v_mov_b32_e32 v2, 0
	s_delay_alu instid0(VALU_DEP_1) | instskip(NEXT) | instid1(VALU_DEP_1)
	v_lshlrev_b64_e32 v[1:2], 3, v[1:2]
	v_add_co_u32 v1, vcc_lo, s30, v1
	s_wait_alu 0xfffd
	s_delay_alu instid0(VALU_DEP_2)
	v_add_co_ci_u32_e64 v2, null, s31, v2, vcc_lo
	global_load_b64 v[11:12], v[1:2], off
.LBB151_19:
	s_wait_alu 0xfffe
	s_or_b32 exec_lo, exec_lo, s8
	v_add_nc_u32_e32 v37, 0x600, v74
	s_delay_alu instid0(VALU_DEP_1)
	v_cmp_gt_u32_e64 s8, s21, v37
	s_and_saveexec_b32 s9, s8
	s_cbranch_execz .LBB151_21
; %bb.20:
	v_mul_lo_u32 v1, s22, v37
	v_mov_b32_e32 v2, 0
	s_delay_alu instid0(VALU_DEP_1) | instskip(NEXT) | instid1(VALU_DEP_1)
	v_lshlrev_b64_e32 v[1:2], 3, v[1:2]
	v_add_co_u32 v1, vcc_lo, s30, v1
	s_wait_alu 0xfffd
	s_delay_alu instid0(VALU_DEP_2)
	v_add_co_ci_u32_e64 v2, null, s31, v2, vcc_lo
	global_load_b64 v[13:14], v[1:2], off
.LBB151_21:
	s_wait_alu 0xfffe
	s_or_b32 exec_lo, exec_lo, s9
	s_clause 0x1
	s_load_b32 s9, s[0:1], 0x154
	s_load_b64 s[10:11], s[0:1], 0xe8
	v_add_nc_u32_e32 v38, 0x700, v74
	s_delay_alu instid0(VALU_DEP_1)
	v_cmp_gt_u32_e64 s0, s21, v38
	s_and_saveexec_b32 s1, s0
	s_cbranch_execz .LBB151_23
; %bb.22:
	v_mul_lo_u32 v1, s22, v38
	v_mov_b32_e32 v2, 0
	s_delay_alu instid0(VALU_DEP_1) | instskip(NEXT) | instid1(VALU_DEP_1)
	v_lshlrev_b64_e32 v[1:2], 3, v[1:2]
	v_add_co_u32 v1, vcc_lo, s30, v1
	s_wait_alu 0xfffd
	s_delay_alu instid0(VALU_DEP_2)
	v_add_co_ci_u32_e64 v2, null, s31, v2, vcc_lo
	global_load_b64 v[15:16], v[1:2], off
.LBB151_23:
	s_or_b32 exec_lo, exec_lo, s1
	v_lshrrev_b32_e32 v2, 2, v32
	v_dual_mov_b32 v70, 0 :: v_dual_lshlrev_b32 v73, 3, v74
	v_lshrrev_b32_e32 v1, 2, v31
	v_lshrrev_b32_e32 v19, 2, v34
	s_delay_alu instid0(VALU_DEP_4)
	v_and_b32_e32 v2, 0x1f8, v2
	v_lshrrev_b32_e32 v33, 5, v74
	v_mov_b32_e32 v71, v70
	v_and_b32_e32 v1, 0x1f8, v1
	v_and_b32_e32 v19, 0x1f8, v19
	v_add_nc_u32_e32 v109, v2, v73
	v_lshrrev_b32_e32 v2, 2, v36
	v_lshl_add_u32 v107, v33, 3, v73
	v_add_nc_u32_e32 v108, v1, v73
	v_lshrrev_b32_e32 v1, 2, v35
	v_add_nc_u32_e32 v110, v19, v73
	v_dual_mov_b32 v21, v70 :: v_dual_and_b32 v2, 0x3f8, v2
	v_lshrrev_b32_e32 v19, 2, v37
	s_delay_alu instid0(VALU_DEP_4) | instskip(NEXT) | instid1(VALU_DEP_3)
	v_dual_mov_b32 v22, v70 :: v_dual_and_b32 v1, 0x1f8, v1
	v_dual_mov_b32 v27, 0 :: v_dual_add_nc_u32 v112, v2, v73
	v_mov_b32_e32 v28, 0
	s_wait_loadcnt 0x0
	ds_store_b64 v107, v[17:18]
	ds_store_b64 v108, v[3:4] offset:2048
	ds_store_b64 v109, v[5:6] offset:4096
	;; [unrolled: 1-line block ×3, first 2 shown]
	v_dual_mov_b32 v26, v70 :: v_dual_lshlrev_b32 v5, 1, v74
	v_lshrrev_b32_e32 v20, 2, v38
	v_dual_mov_b32 v30, v70 :: v_dual_add_nc_u32 v111, v1, v73
	s_delay_alu instid0(VALU_DEP_3) | instskip(SKIP_1) | instid1(VALU_DEP_4)
	v_and_b32_e32 v1, 0x7f8, v5
	v_dual_mov_b32 v24, v70 :: v_dual_and_b32 v3, 0x3f8, v19
	v_dual_mov_b32 v23, v70 :: v_dual_and_b32 v4, 0x3f8, v20
	s_delay_alu instid0(VALU_DEP_3) | instskip(NEXT) | instid1(VALU_DEP_3)
	v_lshl_add_u32 v115, v74, 6, v1
	v_add_nc_u32_e32 v113, v3, v73
	s_delay_alu instid0(VALU_DEP_3)
	v_dual_mov_b32 v25, v70 :: v_dual_add_nc_u32 v114, v4, v73
	ds_store_b64 v111, v[9:10] offset:8192
	ds_store_b64 v112, v[11:12] offset:10240
	;; [unrolled: 1-line block ×4, first 2 shown]
	s_wait_dscnt 0x0
	s_barrier_signal -1
	s_barrier_wait -1
	global_inv scope:SCOPE_SE
	ds_load_2addr_b64 v[13:16], v115 offset1:1
	ds_load_2addr_b64 v[9:12], v115 offset0:2 offset1:3
	ds_load_2addr_b64 v[5:8], v115 offset0:4 offset1:5
	;; [unrolled: 1-line block ×3, first 2 shown]
	s_wait_kmcnt 0x0
	s_mul_i32 s1, s9, s23
	v_mul_lo_u32 v69, s28, v74
	s_mov_b32 s13, 0
	s_add_co_i32 s12, s1, s25
	v_dual_mov_b32 v17, v70 :: v_dual_mov_b32 v18, v70
	v_dual_mov_b32 v19, v70 :: v_dual_mov_b32 v20, v70
	v_mov_b32_e32 v29, v70
	s_wait_alu 0xfffe
	s_lshl_b64 s[12:13], s[12:13], 3
	s_wait_loadcnt_dscnt 0x0
	s_wait_alu 0xfffe
	s_add_nc_u64 s[34:35], s[10:11], s[12:13]
	s_barrier_signal -1
	s_barrier_wait -1
	global_inv scope:SCOPE_SE
	s_and_saveexec_b32 s1, s2
	s_cbranch_execnz .LBB151_59
; %bb.24:
	s_or_b32 exec_lo, exec_lo, s1
	s_and_saveexec_b32 s1, s3
	s_cbranch_execnz .LBB151_60
.LBB151_25:
	s_or_b32 exec_lo, exec_lo, s1
	s_and_saveexec_b32 s1, s4
	s_cbranch_execnz .LBB151_61
.LBB151_26:
	s_or_b32 exec_lo, exec_lo, s1
	s_and_saveexec_b32 s1, s5
	s_cbranch_execnz .LBB151_62
.LBB151_27:
	s_or_b32 exec_lo, exec_lo, s1
	s_and_saveexec_b32 s1, s6
	s_cbranch_execnz .LBB151_63
.LBB151_28:
	s_or_b32 exec_lo, exec_lo, s1
	s_and_saveexec_b32 s1, s7
	s_cbranch_execnz .LBB151_64
.LBB151_29:
	s_or_b32 exec_lo, exec_lo, s1
	s_and_saveexec_b32 s1, s8
	s_cbranch_execnz .LBB151_65
.LBB151_30:
	s_or_b32 exec_lo, exec_lo, s1
	s_xor_b32 s1, s20, -1
	s_and_saveexec_b32 s9, s0
	s_cbranch_execz .LBB151_32
.LBB151_31:
	v_mul_lo_u32 v29, s28, v38
	v_mov_b32_e32 v30, 0
	s_delay_alu instid0(VALU_DEP_1) | instskip(NEXT) | instid1(VALU_DEP_1)
	v_lshlrev_b64_e32 v[29:30], 3, v[29:30]
	v_add_co_u32 v29, vcc_lo, s34, v29
	s_wait_alu 0xfffd
	s_delay_alu instid0(VALU_DEP_2)
	v_add_co_ci_u32_e64 v30, null, s35, v30, vcc_lo
	global_load_b64 v[29:30], v[29:30], off
.LBB151_32:
	s_wait_alu 0xfffe
	s_or_b32 exec_lo, exec_lo, s9
	s_wait_loadcnt 0x0
	ds_store_b64 v107, v[27:28]
	ds_store_b64 v108, v[70:71] offset:2048
	ds_store_b64 v109, v[17:18] offset:4096
	;; [unrolled: 1-line block ×7, first 2 shown]
	s_wait_dscnt 0x0
	s_barrier_signal -1
	s_barrier_wait -1
	global_inv scope:SCOPE_SE
	ds_load_2addr_b64 v[21:24], v115 offset1:1
	ds_load_2addr_b64 v[17:20], v115 offset0:2 offset1:3
	ds_load_2addr_b64 v[29:32], v115 offset0:4 offset1:5
	ds_load_2addr_b64 v[25:28], v115 offset0:6 offset1:7
	v_mbcnt_lo_u32_b32 v118, -1, 0
	v_and_b32_e32 v34, 0x3e0, v74
	v_and_b32_e32 v35, 0x1f00, v73
	s_and_b32 vcc_lo, exec_lo, s1
	v_bfe_u32 v124, v0, 10, 10
	v_bfe_u32 v125, v0, 20, 10
	v_or_b32_e32 v36, v118, v34
	v_or_b32_e32 v37, v118, v35
	v_lshlrev_b32_e32 v116, 2, v73
	v_and_b32_e32 v122, 15, v118
	v_and_b32_e32 v121, 16, v118
	v_lshlrev_b32_e32 v127, 6, v36
	v_lshlrev_b32_e32 v126, 3, v37
	v_min_u32_e32 v123, 0xe0, v34
	v_cmp_gt_u32_e64 s1, 8, v74
	v_cmp_lt_u32_e64 s9, 31, v74
	v_cmp_eq_u32_e64 s10, 0, v74
	v_lshlrev_b32_e32 v117, 2, v33
	v_mul_i32_i24_e32 v119, 0xffffffe4, v74
	v_and_b32_e32 v120, 7, v118
	v_lshlrev_b32_e32 v0, 3, v35
	s_mov_b32 s24, 0
	s_mov_b32 s11, -1
	s_wait_loadcnt_dscnt 0x0
	s_barrier_signal -1
	s_barrier_wait -1
	global_inv scope:SCOPE_SE
                                        ; implicit-def: $vgpr63_vgpr64
                                        ; implicit-def: $vgpr59_vgpr60
                                        ; implicit-def: $vgpr55_vgpr56
                                        ; implicit-def: $vgpr51_vgpr52
                                        ; implicit-def: $vgpr35_vgpr36
                                        ; implicit-def: $vgpr39_vgpr40
                                        ; implicit-def: $vgpr43_vgpr44
                                        ; implicit-def: $vgpr47_vgpr48
	s_wait_alu 0xfffe
	s_cbranch_vccz .LBB151_67
; %bb.33:
	v_xor_b32_e32 v34, 0x80000000, v14
	v_xor_b32_e32 v36, 0x80000000, v16
	v_mov_b32_e32 v33, v13
	v_dual_mov_b32 v35, v15 :: v_dual_mov_b32 v70, 0
	v_xor_b32_e32 v38, 0x80000000, v10
	v_xor_b32_e32 v40, 0x80000000, v12
	s_mov_b32 s25, s24
	s_mov_b32 s26, s24
	;; [unrolled: 1-line block ×3, first 2 shown]
	v_mov_b32_e32 v37, v9
	v_mov_b32_e32 v39, v11
	v_xor_b32_e32 v42, 0x80000000, v6
	v_xor_b32_e32 v44, 0x80000000, v8
	v_dual_mov_b32 v41, v5 :: v_dual_add_nc_u32 v132, v116, v119
	v_mov_b32_e32 v43, v7
	v_xor_b32_e32 v46, 0x80000000, v2
	v_xor_b32_e32 v48, 0x80000000, v4
	v_mov_b32_e32 v45, v1
	v_mov_b32_e32 v47, v3
	ds_store_b128 v127, v[33:36]
	ds_store_b128 v127, v[37:40] offset:16
	ds_store_b128 v127, v[41:44] offset:32
	;; [unrolled: 1-line block ×3, first 2 shown]
	; wave barrier
	ds_load_2addr_b64 v[37:40], v126 offset1:32
	ds_load_2addr_b64 v[41:44], v126 offset0:64 offset1:96
	ds_load_2addr_b64 v[45:48], v126 offset0:128 offset1:160
	;; [unrolled: 1-line block ×3, first 2 shown]
	; wave barrier
	ds_store_b128 v127, v[21:24]
	ds_store_b128 v127, v[17:20] offset:16
	ds_store_b128 v127, v[29:32] offset:32
	;; [unrolled: 1-line block ×3, first 2 shown]
	; wave barrier
	ds_load_2addr_b64 v[49:52], v126 offset1:32
	ds_load_2addr_b64 v[53:56], v126 offset0:64 offset1:96
	ds_load_2addr_b64 v[57:60], v126 offset0:128 offset1:160
	;; [unrolled: 1-line block ×3, first 2 shown]
	s_wait_loadcnt_dscnt 0x0
	s_barrier_signal -1
	s_barrier_wait -1
	global_inv scope:SCOPE_SE
	s_load_b32 s11, s[36:37], 0xc
	s_getpc_b64 s[12:13]
	s_wait_alu 0xfffe
	s_sext_i32_i16 s13, s13
	s_add_co_u32 s12, s12, _ZN7rocprim17ROCPRIM_400000_NS16block_radix_sortIlLj256ELj8ElLj1ELj1ELj0ELNS0_26block_radix_rank_algorithmE1ELNS0_18block_padding_hintE2ELNS0_4arch9wavefront6targetE0EE19radix_bits_per_passE@rel32@lo+12
	s_wait_alu 0xfffe
	s_add_co_ci_u32 s13, s13, _ZN7rocprim17ROCPRIM_400000_NS16block_radix_sortIlLj256ELj8ElLj1ELj1ELj0ELNS0_26block_radix_rank_algorithmE1ELNS0_18block_padding_hintE2ELNS0_4arch9wavefront6targetE0EE19radix_bits_per_passE@rel32@hi+24
	v_cmp_lt_u32_e64 s15, 7, v122
	s_load_b32 s23, s[12:13], 0x0
	v_cmp_lt_u32_e64 s13, 1, v122
	v_cmp_eq_u32_e64 s16, 0, v121
	v_cmp_eq_u32_e64 s18, 0, v120
	v_cmp_lt_u32_e64 s19, 1, v120
	v_cmp_lt_u32_e64 s20, 3, v120
	v_add_nc_u32_e32 v129, -4, v117
	v_lshl_add_u32 v130, v118, 3, v0
	v_mov_b32_e32 v71, 0
	s_wait_kmcnt 0x0
	s_lshr_b32 s14, s11, 16
	s_and_b32 s12, s11, 0xffff
	s_wait_alu 0xfffe
	v_mad_u32_u24 v33, v125, s14, v124
	v_sub_co_u32 v35, s11, v118, 1
	v_cmp_lt_u32_e64 s14, 3, v122
	s_delay_alu instid0(VALU_DEP_3) | instskip(NEXT) | instid1(VALU_DEP_3)
	v_mad_co_u64_u32 v[33:34], null, v33, s12, v[74:75]
	v_cmp_gt_i32_e32 vcc_lo, 0, v35
	v_or_b32_e32 v34, 31, v123
	v_cmp_eq_u32_e64 s12, 0, v122
	s_wait_alu 0xfffd
	v_cndmask_b32_e32 v35, v35, v118, vcc_lo
	v_lshrrev_b32_e32 v33, 3, v33
	v_cmp_eq_u32_e64 s17, v74, v34
	s_delay_alu instid0(VALU_DEP_3) | instskip(NEXT) | instid1(VALU_DEP_3)
	v_lshlrev_b32_e32 v128, 2, v35
	v_dual_mov_b32 v36, s27 :: v_dual_and_b32 v131, 0x1ffffffc, v33
	v_dual_mov_b32 v35, s26 :: v_dual_mov_b32 v34, s25
	v_mov_b32_e32 v33, s24
	s_mov_b32 s24, 64
	s_branch .LBB151_35
.LBB151_34:                             ;   in Loop: Header=BB151_35 Depth=1
	s_wait_alu 0xfffe
	s_and_not1_b32 vcc_lo, exec_lo, s21
	s_wait_alu 0xfffe
	s_cbranch_vccz .LBB151_66
.LBB151_35:                             ; =>This Inner Loop Header: Depth=1
	v_dual_mov_b32 v76, v38 :: v_dual_mov_b32 v75, v37
	s_wait_alu 0xfffe
	s_min_u32 s21, s23, s24
	v_mov_b32_e32 v78, v68
	s_wait_alu 0xfffe
	s_lshl_b32 s21, -1, s21
	v_mov_b32_e32 v80, v66
	v_lshrrev_b64 v[37:38], v70, v[75:76]
	s_wait_alu 0xfffe
	s_not_b32 s25, s21
	v_mov_b32_e32 v79, v65
	ds_store_b128 v116, v[33:36] offset:32
	ds_store_b128 v116, v[33:36] offset:48
	s_wait_loadcnt_dscnt 0x0
	s_wait_alu 0xfffe
	v_dual_mov_b32 v77, v67 :: v_dual_and_b32 v38, s25, v37
	v_dual_mov_b32 v82, v48 :: v_dual_mov_b32 v81, v47
	s_barrier_signal -1
	s_delay_alu instid0(VALU_DEP_2) | instskip(SKIP_3) | instid1(VALU_DEP_3)
	v_dual_mov_b32 v100, v46 :: v_dual_lshlrev_b32 v47, 30, v38
	v_and_b32_e32 v37, 1, v38
	v_dual_mov_b32 v99, v45 :: v_dual_lshlrev_b32 v48, 29, v38
	v_dual_mov_b32 v102, v44 :: v_dual_lshlrev_b32 v65, 28, v38
	v_add_co_u32 v37, s21, v37, -1
	s_wait_alu 0xf1ff
	v_cndmask_b32_e64 v66, 0, 1, s21
	v_not_b32_e32 v84, v47
	v_cmp_gt_i32_e64 s21, 0, v47
	v_not_b32_e32 v47, v48
	v_dual_mov_b32 v104, v42 :: v_dual_lshlrev_b32 v67, 27, v38
	v_cmp_ne_u32_e32 vcc_lo, 0, v66
	v_ashrrev_i32_e32 v84, 31, v84
	s_delay_alu instid0(VALU_DEP_4)
	v_ashrrev_i32_e32 v47, 31, v47
	v_dual_mov_b32 v101, v43 :: v_dual_lshlrev_b32 v68, 26, v38
	s_wait_alu 0xfffd
	v_xor_b32_e32 v37, vcc_lo, v37
	v_cmp_gt_i32_e32 vcc_lo, 0, v48
	v_not_b32_e32 v48, v65
	s_wait_alu 0xf1ff
	v_xor_b32_e32 v84, s21, v84
	v_cmp_gt_i32_e64 s21, 0, v65
	v_and_b32_e32 v37, exec_lo, v37
	v_not_b32_e32 v65, v67
	v_ashrrev_i32_e32 v48, 31, v48
	s_wait_alu 0xfffd
	v_xor_b32_e32 v47, vcc_lo, v47
	v_dual_mov_b32 v106, v40 :: v_dual_lshlrev_b32 v83, 25, v38
	v_dual_mov_b32 v86, v62 :: v_dual_and_b32 v37, v37, v84
	v_cmp_gt_i32_e32 vcc_lo, 0, v67
	v_not_b32_e32 v67, v68
	v_ashrrev_i32_e32 v65, 31, v65
	s_wait_alu 0xf1ff
	v_xor_b32_e32 v48, s21, v48
	v_dual_mov_b32 v88, v60 :: v_dual_and_b32 v37, v37, v47
	v_dual_mov_b32 v103, v41 :: v_dual_lshlrev_b32 v66, 24, v38
	v_cmp_gt_i32_e64 s21, 0, v68
	v_not_b32_e32 v47, v83
	v_ashrrev_i32_e32 v67, 31, v67
	s_wait_alu 0xfffd
	v_xor_b32_e32 v65, vcc_lo, v65
	v_dual_mov_b32 v90, v58 :: v_dual_and_b32 v37, v37, v48
	v_cmp_gt_i32_e32 vcc_lo, 0, v83
	v_not_b32_e32 v48, v66
	v_ashrrev_i32_e32 v47, 31, v47
	s_wait_alu 0xf1ff
	v_xor_b32_e32 v67, s21, v67
	v_dual_mov_b32 v92, v56 :: v_dual_and_b32 v37, v37, v65
	v_cmp_gt_i32_e64 s21, 0, v66
	v_ashrrev_i32_e32 v45, 31, v48
	s_wait_alu 0xfffd
	v_xor_b32_e32 v46, vcc_lo, v47
	v_dual_mov_b32 v94, v54 :: v_dual_and_b32 v37, v37, v67
	v_dual_mov_b32 v105, v39 :: v_dual_mov_b32 v96, v52
	s_wait_alu 0xf1ff
	v_xor_b32_e32 v39, s21, v45
	s_delay_alu instid0(VALU_DEP_3) | instskip(SKIP_2) | instid1(VALU_DEP_3)
	v_dual_mov_b32 v98, v50 :: v_dual_and_b32 v37, v37, v46
	v_dual_mov_b32 v84, v64 :: v_dual_mov_b32 v83, v63
	v_lshlrev_b32_e32 v38, 5, v38
	v_and_b32_e32 v37, v37, v39
	v_mov_b32_e32 v85, v61
	v_mov_b32_e32 v87, v59
	;; [unrolled: 1-line block ×4, first 2 shown]
	v_mbcnt_lo_u32_b32 v45, v37, 0
	v_cmp_ne_u32_e64 s21, 0, v37
	v_mov_b32_e32 v93, v53
	v_mov_b32_e32 v95, v51
	;; [unrolled: 1-line block ×3, first 2 shown]
	v_cmp_eq_u32_e32 vcc_lo, 0, v45
	v_add_nc_u32_e32 v46, v131, v38
	s_barrier_wait -1
	global_inv scope:SCOPE_SE
	s_and_b32 s26, s21, vcc_lo
	; wave barrier
	s_wait_alu 0xfffe
	s_and_saveexec_b32 s21, s26
; %bb.36:                               ;   in Loop: Header=BB151_35 Depth=1
	v_bcnt_u32_b32 v37, v37, 0
	ds_store_b32 v46, v37 offset:32
; %bb.37:                               ;   in Loop: Header=BB151_35 Depth=1
	s_wait_alu 0xfffe
	s_or_b32 exec_lo, exec_lo, s21
	v_lshrrev_b64 v[37:38], v70, v[105:106]
	; wave barrier
	s_delay_alu instid0(VALU_DEP_1) | instskip(NEXT) | instid1(VALU_DEP_1)
	v_and_b32_e32 v37, s25, v37
	v_and_b32_e32 v38, 1, v37
	v_lshlrev_b32_e32 v39, 30, v37
	v_lshlrev_b32_e32 v40, 29, v37
	;; [unrolled: 1-line block ×4, first 2 shown]
	v_add_co_u32 v38, s21, v38, -1
	s_wait_alu 0xf1ff
	v_cndmask_b32_e64 v42, 0, 1, s21
	v_not_b32_e32 v48, v39
	v_cmp_gt_i32_e64 s21, 0, v39
	v_not_b32_e32 v39, v40
	v_lshlrev_b32_e32 v44, 26, v37
	v_cmp_ne_u32_e32 vcc_lo, 0, v42
	v_ashrrev_i32_e32 v48, 31, v48
	v_lshlrev_b32_e32 v47, 25, v37
	v_ashrrev_i32_e32 v39, 31, v39
	v_lshlrev_b32_e32 v42, 24, v37
	s_wait_alu 0xfffd
	v_xor_b32_e32 v38, vcc_lo, v38
	v_cmp_gt_i32_e32 vcc_lo, 0, v40
	v_not_b32_e32 v40, v41
	s_wait_alu 0xf1ff
	v_xor_b32_e32 v48, s21, v48
	v_cmp_gt_i32_e64 s21, 0, v41
	v_and_b32_e32 v38, exec_lo, v38
	v_not_b32_e32 v41, v43
	v_ashrrev_i32_e32 v40, 31, v40
	s_wait_alu 0xfffd
	v_xor_b32_e32 v39, vcc_lo, v39
	v_cmp_gt_i32_e32 vcc_lo, 0, v43
	v_and_b32_e32 v38, v38, v48
	v_not_b32_e32 v43, v44
	v_ashrrev_i32_e32 v41, 31, v41
	s_wait_alu 0xf1ff
	v_xor_b32_e32 v40, s21, v40
	v_cmp_gt_i32_e64 s21, 0, v44
	v_and_b32_e32 v38, v38, v39
	v_not_b32_e32 v39, v47
	v_ashrrev_i32_e32 v43, 31, v43
	s_wait_alu 0xfffd
	v_xor_b32_e32 v41, vcc_lo, v41
	v_cmp_gt_i32_e32 vcc_lo, 0, v47
	v_and_b32_e32 v38, v38, v40
	v_not_b32_e32 v40, v42
	v_ashrrev_i32_e32 v39, 31, v39
	s_wait_alu 0xf1ff
	v_xor_b32_e32 v43, s21, v43
	v_lshlrev_b32_e32 v37, 5, v37
	v_and_b32_e32 v38, v38, v41
	v_cmp_gt_i32_e64 s21, 0, v42
	v_ashrrev_i32_e32 v40, 31, v40
	s_wait_alu 0xfffd
	v_xor_b32_e32 v39, vcc_lo, v39
	v_add_nc_u32_e32 v49, v131, v37
	v_and_b32_e32 v38, v38, v43
	s_wait_alu 0xf1ff
	v_xor_b32_e32 v37, s21, v40
	ds_load_b32 v47, v49 offset:32
	v_and_b32_e32 v38, v38, v39
	; wave barrier
	s_delay_alu instid0(VALU_DEP_1) | instskip(NEXT) | instid1(VALU_DEP_1)
	v_and_b32_e32 v37, v38, v37
	v_mbcnt_lo_u32_b32 v48, v37, 0
	v_cmp_ne_u32_e64 s21, 0, v37
	s_delay_alu instid0(VALU_DEP_2)
	v_cmp_eq_u32_e32 vcc_lo, 0, v48
	s_and_b32 s26, s21, vcc_lo
	s_wait_alu 0xfffe
	s_and_saveexec_b32 s21, s26
	s_cbranch_execz .LBB151_39
; %bb.38:                               ;   in Loop: Header=BB151_35 Depth=1
	s_wait_dscnt 0x0
	v_bcnt_u32_b32 v37, v37, v47
	ds_store_b32 v49, v37 offset:32
.LBB151_39:                             ;   in Loop: Header=BB151_35 Depth=1
	s_wait_alu 0xfffe
	s_or_b32 exec_lo, exec_lo, s21
	v_lshrrev_b64 v[37:38], v70, v[103:104]
	; wave barrier
	s_delay_alu instid0(VALU_DEP_1) | instskip(NEXT) | instid1(VALU_DEP_1)
	v_and_b32_e32 v37, s25, v37
	v_and_b32_e32 v38, 1, v37
	v_lshlrev_b32_e32 v39, 30, v37
	v_lshlrev_b32_e32 v40, 29, v37
	;; [unrolled: 1-line block ×4, first 2 shown]
	v_add_co_u32 v38, s21, v38, -1
	s_wait_alu 0xf1ff
	v_cndmask_b32_e64 v42, 0, 1, s21
	v_not_b32_e32 v51, v39
	v_cmp_gt_i32_e64 s21, 0, v39
	v_not_b32_e32 v39, v40
	v_lshlrev_b32_e32 v44, 26, v37
	v_cmp_ne_u32_e32 vcc_lo, 0, v42
	v_ashrrev_i32_e32 v51, 31, v51
	v_lshlrev_b32_e32 v50, 25, v37
	v_ashrrev_i32_e32 v39, 31, v39
	v_lshlrev_b32_e32 v42, 24, v37
	s_wait_alu 0xfffd
	v_xor_b32_e32 v38, vcc_lo, v38
	v_cmp_gt_i32_e32 vcc_lo, 0, v40
	v_not_b32_e32 v40, v41
	s_wait_alu 0xf1ff
	v_xor_b32_e32 v51, s21, v51
	v_cmp_gt_i32_e64 s21, 0, v41
	v_and_b32_e32 v38, exec_lo, v38
	v_not_b32_e32 v41, v43
	v_ashrrev_i32_e32 v40, 31, v40
	s_wait_alu 0xfffd
	v_xor_b32_e32 v39, vcc_lo, v39
	v_cmp_gt_i32_e32 vcc_lo, 0, v43
	v_and_b32_e32 v38, v38, v51
	v_not_b32_e32 v43, v44
	v_ashrrev_i32_e32 v41, 31, v41
	s_wait_alu 0xf1ff
	v_xor_b32_e32 v40, s21, v40
	v_cmp_gt_i32_e64 s21, 0, v44
	v_and_b32_e32 v38, v38, v39
	v_not_b32_e32 v39, v50
	v_ashrrev_i32_e32 v43, 31, v43
	s_wait_alu 0xfffd
	v_xor_b32_e32 v41, vcc_lo, v41
	v_cmp_gt_i32_e32 vcc_lo, 0, v50
	v_and_b32_e32 v38, v38, v40
	v_not_b32_e32 v40, v42
	v_ashrrev_i32_e32 v39, 31, v39
	s_wait_alu 0xf1ff
	v_xor_b32_e32 v43, s21, v43
	v_lshlrev_b32_e32 v37, 5, v37
	v_and_b32_e32 v38, v38, v41
	v_cmp_gt_i32_e64 s21, 0, v42
	v_ashrrev_i32_e32 v40, 31, v40
	s_wait_alu 0xfffd
	v_xor_b32_e32 v39, vcc_lo, v39
	v_add_nc_u32_e32 v52, v131, v37
	v_and_b32_e32 v38, v38, v43
	s_wait_alu 0xf1ff
	v_xor_b32_e32 v37, s21, v40
	ds_load_b32 v50, v52 offset:32
	v_and_b32_e32 v38, v38, v39
	; wave barrier
	s_delay_alu instid0(VALU_DEP_1) | instskip(NEXT) | instid1(VALU_DEP_1)
	v_and_b32_e32 v37, v38, v37
	v_mbcnt_lo_u32_b32 v51, v37, 0
	v_cmp_ne_u32_e64 s21, 0, v37
	s_delay_alu instid0(VALU_DEP_2)
	v_cmp_eq_u32_e32 vcc_lo, 0, v51
	s_and_b32 s26, s21, vcc_lo
	s_wait_alu 0xfffe
	s_and_saveexec_b32 s21, s26
	s_cbranch_execz .LBB151_41
; %bb.40:                               ;   in Loop: Header=BB151_35 Depth=1
	s_wait_dscnt 0x0
	v_bcnt_u32_b32 v37, v37, v50
	ds_store_b32 v52, v37 offset:32
.LBB151_41:                             ;   in Loop: Header=BB151_35 Depth=1
	s_wait_alu 0xfffe
	s_or_b32 exec_lo, exec_lo, s21
	v_lshrrev_b64 v[37:38], v70, v[101:102]
	; wave barrier
	s_delay_alu instid0(VALU_DEP_1) | instskip(NEXT) | instid1(VALU_DEP_1)
	v_and_b32_e32 v37, s25, v37
	v_and_b32_e32 v38, 1, v37
	v_lshlrev_b32_e32 v39, 30, v37
	v_lshlrev_b32_e32 v40, 29, v37
	;; [unrolled: 1-line block ×4, first 2 shown]
	v_add_co_u32 v38, s21, v38, -1
	s_wait_alu 0xf1ff
	v_cndmask_b32_e64 v42, 0, 1, s21
	v_not_b32_e32 v54, v39
	v_cmp_gt_i32_e64 s21, 0, v39
	v_not_b32_e32 v39, v40
	v_lshlrev_b32_e32 v44, 26, v37
	v_cmp_ne_u32_e32 vcc_lo, 0, v42
	v_ashrrev_i32_e32 v54, 31, v54
	v_lshlrev_b32_e32 v53, 25, v37
	v_ashrrev_i32_e32 v39, 31, v39
	v_lshlrev_b32_e32 v42, 24, v37
	s_wait_alu 0xfffd
	v_xor_b32_e32 v38, vcc_lo, v38
	v_cmp_gt_i32_e32 vcc_lo, 0, v40
	v_not_b32_e32 v40, v41
	s_wait_alu 0xf1ff
	v_xor_b32_e32 v54, s21, v54
	v_cmp_gt_i32_e64 s21, 0, v41
	v_and_b32_e32 v38, exec_lo, v38
	v_not_b32_e32 v41, v43
	v_ashrrev_i32_e32 v40, 31, v40
	s_wait_alu 0xfffd
	v_xor_b32_e32 v39, vcc_lo, v39
	v_cmp_gt_i32_e32 vcc_lo, 0, v43
	v_and_b32_e32 v38, v38, v54
	v_not_b32_e32 v43, v44
	v_ashrrev_i32_e32 v41, 31, v41
	s_wait_alu 0xf1ff
	v_xor_b32_e32 v40, s21, v40
	v_cmp_gt_i32_e64 s21, 0, v44
	v_and_b32_e32 v38, v38, v39
	v_not_b32_e32 v39, v53
	v_ashrrev_i32_e32 v43, 31, v43
	s_wait_alu 0xfffd
	v_xor_b32_e32 v41, vcc_lo, v41
	v_cmp_gt_i32_e32 vcc_lo, 0, v53
	v_and_b32_e32 v38, v38, v40
	v_not_b32_e32 v40, v42
	v_ashrrev_i32_e32 v39, 31, v39
	s_wait_alu 0xf1ff
	v_xor_b32_e32 v43, s21, v43
	v_lshlrev_b32_e32 v37, 5, v37
	v_and_b32_e32 v38, v38, v41
	v_cmp_gt_i32_e64 s21, 0, v42
	v_ashrrev_i32_e32 v40, 31, v40
	s_wait_alu 0xfffd
	v_xor_b32_e32 v39, vcc_lo, v39
	v_add_nc_u32_e32 v55, v131, v37
	v_and_b32_e32 v38, v38, v43
	s_wait_alu 0xf1ff
	v_xor_b32_e32 v37, s21, v40
	ds_load_b32 v53, v55 offset:32
	v_and_b32_e32 v38, v38, v39
	; wave barrier
	s_delay_alu instid0(VALU_DEP_1) | instskip(NEXT) | instid1(VALU_DEP_1)
	v_and_b32_e32 v37, v38, v37
	v_mbcnt_lo_u32_b32 v54, v37, 0
	v_cmp_ne_u32_e64 s21, 0, v37
	s_delay_alu instid0(VALU_DEP_2)
	v_cmp_eq_u32_e32 vcc_lo, 0, v54
	s_and_b32 s26, s21, vcc_lo
	s_wait_alu 0xfffe
	s_and_saveexec_b32 s21, s26
	s_cbranch_execz .LBB151_43
; %bb.42:                               ;   in Loop: Header=BB151_35 Depth=1
	s_wait_dscnt 0x0
	v_bcnt_u32_b32 v37, v37, v53
	ds_store_b32 v55, v37 offset:32
.LBB151_43:                             ;   in Loop: Header=BB151_35 Depth=1
	s_wait_alu 0xfffe
	s_or_b32 exec_lo, exec_lo, s21
	v_lshrrev_b64 v[37:38], v70, v[99:100]
	; wave barrier
	s_delay_alu instid0(VALU_DEP_1) | instskip(NEXT) | instid1(VALU_DEP_1)
	v_and_b32_e32 v37, s25, v37
	v_and_b32_e32 v38, 1, v37
	v_lshlrev_b32_e32 v39, 30, v37
	v_lshlrev_b32_e32 v40, 29, v37
	;; [unrolled: 1-line block ×4, first 2 shown]
	v_add_co_u32 v38, s21, v38, -1
	s_wait_alu 0xf1ff
	v_cndmask_b32_e64 v42, 0, 1, s21
	v_not_b32_e32 v57, v39
	v_cmp_gt_i32_e64 s21, 0, v39
	v_not_b32_e32 v39, v40
	v_lshlrev_b32_e32 v44, 26, v37
	v_cmp_ne_u32_e32 vcc_lo, 0, v42
	v_ashrrev_i32_e32 v57, 31, v57
	v_lshlrev_b32_e32 v56, 25, v37
	v_ashrrev_i32_e32 v39, 31, v39
	v_lshlrev_b32_e32 v42, 24, v37
	s_wait_alu 0xfffd
	v_xor_b32_e32 v38, vcc_lo, v38
	v_cmp_gt_i32_e32 vcc_lo, 0, v40
	v_not_b32_e32 v40, v41
	s_wait_alu 0xf1ff
	v_xor_b32_e32 v57, s21, v57
	v_cmp_gt_i32_e64 s21, 0, v41
	v_and_b32_e32 v38, exec_lo, v38
	v_not_b32_e32 v41, v43
	v_ashrrev_i32_e32 v40, 31, v40
	s_wait_alu 0xfffd
	v_xor_b32_e32 v39, vcc_lo, v39
	v_cmp_gt_i32_e32 vcc_lo, 0, v43
	v_and_b32_e32 v38, v38, v57
	v_not_b32_e32 v43, v44
	v_ashrrev_i32_e32 v41, 31, v41
	s_wait_alu 0xf1ff
	v_xor_b32_e32 v40, s21, v40
	v_cmp_gt_i32_e64 s21, 0, v44
	v_and_b32_e32 v38, v38, v39
	v_not_b32_e32 v39, v56
	v_ashrrev_i32_e32 v43, 31, v43
	s_wait_alu 0xfffd
	v_xor_b32_e32 v41, vcc_lo, v41
	v_cmp_gt_i32_e32 vcc_lo, 0, v56
	v_and_b32_e32 v38, v38, v40
	v_not_b32_e32 v40, v42
	v_ashrrev_i32_e32 v39, 31, v39
	s_wait_alu 0xf1ff
	v_xor_b32_e32 v43, s21, v43
	v_lshlrev_b32_e32 v37, 5, v37
	v_and_b32_e32 v38, v38, v41
	v_cmp_gt_i32_e64 s21, 0, v42
	v_ashrrev_i32_e32 v40, 31, v40
	s_wait_alu 0xfffd
	v_xor_b32_e32 v39, vcc_lo, v39
	v_add_nc_u32_e32 v58, v131, v37
	v_and_b32_e32 v38, v38, v43
	s_wait_alu 0xf1ff
	v_xor_b32_e32 v37, s21, v40
	ds_load_b32 v56, v58 offset:32
	v_and_b32_e32 v38, v38, v39
	; wave barrier
	s_delay_alu instid0(VALU_DEP_1) | instskip(NEXT) | instid1(VALU_DEP_1)
	v_and_b32_e32 v37, v38, v37
	v_mbcnt_lo_u32_b32 v57, v37, 0
	v_cmp_ne_u32_e64 s21, 0, v37
	s_delay_alu instid0(VALU_DEP_2)
	v_cmp_eq_u32_e32 vcc_lo, 0, v57
	s_and_b32 s26, s21, vcc_lo
	s_wait_alu 0xfffe
	s_and_saveexec_b32 s21, s26
	s_cbranch_execz .LBB151_45
; %bb.44:                               ;   in Loop: Header=BB151_35 Depth=1
	s_wait_dscnt 0x0
	v_bcnt_u32_b32 v37, v37, v56
	ds_store_b32 v58, v37 offset:32
.LBB151_45:                             ;   in Loop: Header=BB151_35 Depth=1
	s_wait_alu 0xfffe
	s_or_b32 exec_lo, exec_lo, s21
	v_lshrrev_b64 v[37:38], v70, v[81:82]
	; wave barrier
	s_delay_alu instid0(VALU_DEP_1) | instskip(NEXT) | instid1(VALU_DEP_1)
	v_and_b32_e32 v37, s25, v37
	v_and_b32_e32 v38, 1, v37
	v_lshlrev_b32_e32 v39, 30, v37
	v_lshlrev_b32_e32 v40, 29, v37
	;; [unrolled: 1-line block ×4, first 2 shown]
	v_add_co_u32 v38, s21, v38, -1
	s_wait_alu 0xf1ff
	v_cndmask_b32_e64 v42, 0, 1, s21
	v_not_b32_e32 v60, v39
	v_cmp_gt_i32_e64 s21, 0, v39
	v_not_b32_e32 v39, v40
	v_lshlrev_b32_e32 v44, 26, v37
	v_cmp_ne_u32_e32 vcc_lo, 0, v42
	v_ashrrev_i32_e32 v60, 31, v60
	v_lshlrev_b32_e32 v59, 25, v37
	v_ashrrev_i32_e32 v39, 31, v39
	v_lshlrev_b32_e32 v42, 24, v37
	s_wait_alu 0xfffd
	v_xor_b32_e32 v38, vcc_lo, v38
	v_cmp_gt_i32_e32 vcc_lo, 0, v40
	v_not_b32_e32 v40, v41
	s_wait_alu 0xf1ff
	v_xor_b32_e32 v60, s21, v60
	v_cmp_gt_i32_e64 s21, 0, v41
	v_and_b32_e32 v38, exec_lo, v38
	v_not_b32_e32 v41, v43
	v_ashrrev_i32_e32 v40, 31, v40
	s_wait_alu 0xfffd
	v_xor_b32_e32 v39, vcc_lo, v39
	v_cmp_gt_i32_e32 vcc_lo, 0, v43
	v_and_b32_e32 v38, v38, v60
	v_not_b32_e32 v43, v44
	v_ashrrev_i32_e32 v41, 31, v41
	s_wait_alu 0xf1ff
	v_xor_b32_e32 v40, s21, v40
	v_cmp_gt_i32_e64 s21, 0, v44
	v_and_b32_e32 v38, v38, v39
	v_not_b32_e32 v39, v59
	v_ashrrev_i32_e32 v43, 31, v43
	s_wait_alu 0xfffd
	v_xor_b32_e32 v41, vcc_lo, v41
	v_cmp_gt_i32_e32 vcc_lo, 0, v59
	v_and_b32_e32 v38, v38, v40
	v_not_b32_e32 v40, v42
	v_ashrrev_i32_e32 v39, 31, v39
	s_wait_alu 0xf1ff
	v_xor_b32_e32 v43, s21, v43
	v_lshlrev_b32_e32 v37, 5, v37
	v_and_b32_e32 v38, v38, v41
	v_cmp_gt_i32_e64 s21, 0, v42
	v_ashrrev_i32_e32 v40, 31, v40
	s_wait_alu 0xfffd
	v_xor_b32_e32 v39, vcc_lo, v39
	v_add_nc_u32_e32 v61, v131, v37
	v_and_b32_e32 v38, v38, v43
	s_wait_alu 0xf1ff
	v_xor_b32_e32 v37, s21, v40
	ds_load_b32 v59, v61 offset:32
	v_and_b32_e32 v38, v38, v39
	; wave barrier
	s_delay_alu instid0(VALU_DEP_1) | instskip(NEXT) | instid1(VALU_DEP_1)
	v_and_b32_e32 v37, v38, v37
	v_mbcnt_lo_u32_b32 v60, v37, 0
	v_cmp_ne_u32_e64 s21, 0, v37
	s_delay_alu instid0(VALU_DEP_2)
	v_cmp_eq_u32_e32 vcc_lo, 0, v60
	s_and_b32 s26, s21, vcc_lo
	s_wait_alu 0xfffe
	s_and_saveexec_b32 s21, s26
	s_cbranch_execz .LBB151_47
; %bb.46:                               ;   in Loop: Header=BB151_35 Depth=1
	s_wait_dscnt 0x0
	v_bcnt_u32_b32 v37, v37, v59
	ds_store_b32 v61, v37 offset:32
.LBB151_47:                             ;   in Loop: Header=BB151_35 Depth=1
	s_wait_alu 0xfffe
	s_or_b32 exec_lo, exec_lo, s21
	v_lshrrev_b64 v[37:38], v70, v[79:80]
	; wave barrier
	s_delay_alu instid0(VALU_DEP_1) | instskip(NEXT) | instid1(VALU_DEP_1)
	v_and_b32_e32 v37, s25, v37
	v_and_b32_e32 v38, 1, v37
	v_lshlrev_b32_e32 v39, 30, v37
	v_lshlrev_b32_e32 v40, 29, v37
	;; [unrolled: 1-line block ×4, first 2 shown]
	v_add_co_u32 v38, s21, v38, -1
	s_wait_alu 0xf1ff
	v_cndmask_b32_e64 v42, 0, 1, s21
	v_not_b32_e32 v63, v39
	v_cmp_gt_i32_e64 s21, 0, v39
	v_not_b32_e32 v39, v40
	v_lshlrev_b32_e32 v44, 26, v37
	v_cmp_ne_u32_e32 vcc_lo, 0, v42
	v_ashrrev_i32_e32 v63, 31, v63
	v_lshlrev_b32_e32 v62, 25, v37
	v_ashrrev_i32_e32 v39, 31, v39
	v_lshlrev_b32_e32 v42, 24, v37
	s_wait_alu 0xfffd
	v_xor_b32_e32 v38, vcc_lo, v38
	v_cmp_gt_i32_e32 vcc_lo, 0, v40
	v_not_b32_e32 v40, v41
	s_wait_alu 0xf1ff
	v_xor_b32_e32 v63, s21, v63
	v_cmp_gt_i32_e64 s21, 0, v41
	v_and_b32_e32 v38, exec_lo, v38
	v_not_b32_e32 v41, v43
	v_ashrrev_i32_e32 v40, 31, v40
	s_wait_alu 0xfffd
	v_xor_b32_e32 v39, vcc_lo, v39
	v_cmp_gt_i32_e32 vcc_lo, 0, v43
	v_and_b32_e32 v38, v38, v63
	v_not_b32_e32 v43, v44
	v_ashrrev_i32_e32 v41, 31, v41
	s_wait_alu 0xf1ff
	v_xor_b32_e32 v40, s21, v40
	v_cmp_gt_i32_e64 s21, 0, v44
	v_and_b32_e32 v38, v38, v39
	v_not_b32_e32 v39, v62
	v_ashrrev_i32_e32 v43, 31, v43
	s_wait_alu 0xfffd
	v_xor_b32_e32 v41, vcc_lo, v41
	v_cmp_gt_i32_e32 vcc_lo, 0, v62
	v_and_b32_e32 v38, v38, v40
	v_not_b32_e32 v40, v42
	v_ashrrev_i32_e32 v39, 31, v39
	s_wait_alu 0xf1ff
	v_xor_b32_e32 v43, s21, v43
	v_lshlrev_b32_e32 v37, 5, v37
	v_and_b32_e32 v38, v38, v41
	v_cmp_gt_i32_e64 s21, 0, v42
	v_ashrrev_i32_e32 v40, 31, v40
	s_wait_alu 0xfffd
	v_xor_b32_e32 v39, vcc_lo, v39
	v_add_nc_u32_e32 v64, v131, v37
	v_and_b32_e32 v38, v38, v43
	s_wait_alu 0xf1ff
	v_xor_b32_e32 v37, s21, v40
	ds_load_b32 v62, v64 offset:32
	v_and_b32_e32 v38, v38, v39
	; wave barrier
	s_delay_alu instid0(VALU_DEP_1) | instskip(NEXT) | instid1(VALU_DEP_1)
	v_and_b32_e32 v37, v38, v37
	v_mbcnt_lo_u32_b32 v63, v37, 0
	v_cmp_ne_u32_e64 s21, 0, v37
	s_delay_alu instid0(VALU_DEP_2)
	v_cmp_eq_u32_e32 vcc_lo, 0, v63
	s_and_b32 s26, s21, vcc_lo
	s_wait_alu 0xfffe
	s_and_saveexec_b32 s21, s26
	s_cbranch_execz .LBB151_49
; %bb.48:                               ;   in Loop: Header=BB151_35 Depth=1
	s_wait_dscnt 0x0
	v_bcnt_u32_b32 v37, v37, v62
	ds_store_b32 v64, v37 offset:32
.LBB151_49:                             ;   in Loop: Header=BB151_35 Depth=1
	s_wait_alu 0xfffe
	s_or_b32 exec_lo, exec_lo, s21
	v_lshrrev_b64 v[37:38], v70, v[77:78]
	; wave barrier
	s_delay_alu instid0(VALU_DEP_1) | instskip(NEXT) | instid1(VALU_DEP_1)
	v_and_b32_e32 v37, s25, v37
	v_and_b32_e32 v38, 1, v37
	v_lshlrev_b32_e32 v39, 30, v37
	v_lshlrev_b32_e32 v40, 29, v37
	;; [unrolled: 1-line block ×4, first 2 shown]
	v_add_co_u32 v38, s21, v38, -1
	s_wait_alu 0xf1ff
	v_cndmask_b32_e64 v42, 0, 1, s21
	v_not_b32_e32 v66, v39
	v_cmp_gt_i32_e64 s21, 0, v39
	v_not_b32_e32 v39, v40
	v_lshlrev_b32_e32 v44, 26, v37
	v_cmp_ne_u32_e32 vcc_lo, 0, v42
	v_ashrrev_i32_e32 v66, 31, v66
	v_lshlrev_b32_e32 v65, 25, v37
	v_ashrrev_i32_e32 v39, 31, v39
	v_lshlrev_b32_e32 v42, 24, v37
	s_wait_alu 0xfffd
	v_xor_b32_e32 v38, vcc_lo, v38
	v_cmp_gt_i32_e32 vcc_lo, 0, v40
	v_not_b32_e32 v40, v41
	s_wait_alu 0xf1ff
	v_xor_b32_e32 v66, s21, v66
	v_cmp_gt_i32_e64 s21, 0, v41
	v_and_b32_e32 v38, exec_lo, v38
	v_not_b32_e32 v41, v43
	v_ashrrev_i32_e32 v40, 31, v40
	s_wait_alu 0xfffd
	v_xor_b32_e32 v39, vcc_lo, v39
	v_cmp_gt_i32_e32 vcc_lo, 0, v43
	v_and_b32_e32 v38, v38, v66
	v_not_b32_e32 v43, v44
	v_ashrrev_i32_e32 v41, 31, v41
	s_wait_alu 0xf1ff
	v_xor_b32_e32 v40, s21, v40
	v_cmp_gt_i32_e64 s21, 0, v44
	v_and_b32_e32 v38, v38, v39
	v_not_b32_e32 v39, v65
	v_ashrrev_i32_e32 v43, 31, v43
	s_wait_alu 0xfffd
	v_xor_b32_e32 v41, vcc_lo, v41
	v_cmp_gt_i32_e32 vcc_lo, 0, v65
	v_and_b32_e32 v38, v38, v40
	v_not_b32_e32 v40, v42
	v_ashrrev_i32_e32 v39, 31, v39
	s_wait_alu 0xf1ff
	v_xor_b32_e32 v43, s21, v43
	v_lshlrev_b32_e32 v37, 5, v37
	v_and_b32_e32 v38, v38, v41
	v_cmp_gt_i32_e64 s21, 0, v42
	v_ashrrev_i32_e32 v40, 31, v40
	s_wait_alu 0xfffd
	v_xor_b32_e32 v39, vcc_lo, v39
	v_add_nc_u32_e32 v67, v131, v37
	v_and_b32_e32 v38, v38, v43
	s_wait_alu 0xf1ff
	v_xor_b32_e32 v37, s21, v40
	ds_load_b32 v65, v67 offset:32
	v_and_b32_e32 v38, v38, v39
	; wave barrier
	s_delay_alu instid0(VALU_DEP_1) | instskip(NEXT) | instid1(VALU_DEP_1)
	v_and_b32_e32 v37, v38, v37
	v_mbcnt_lo_u32_b32 v66, v37, 0
	v_cmp_ne_u32_e64 s21, 0, v37
	s_delay_alu instid0(VALU_DEP_2)
	v_cmp_eq_u32_e32 vcc_lo, 0, v66
	s_and_b32 s25, s21, vcc_lo
	s_wait_alu 0xfffe
	s_and_saveexec_b32 s21, s25
	s_cbranch_execz .LBB151_51
; %bb.50:                               ;   in Loop: Header=BB151_35 Depth=1
	s_wait_dscnt 0x0
	v_bcnt_u32_b32 v37, v37, v65
	ds_store_b32 v67, v37 offset:32
.LBB151_51:                             ;   in Loop: Header=BB151_35 Depth=1
	s_wait_alu 0xfffe
	s_or_b32 exec_lo, exec_lo, s21
	; wave barrier
	s_wait_loadcnt_dscnt 0x0
	s_barrier_signal -1
	s_barrier_wait -1
	global_inv scope:SCOPE_SE
	ds_load_b128 v[41:44], v116 offset:32
	ds_load_b128 v[37:40], v116 offset:48
	s_wait_dscnt 0x1
	v_add_nc_u32_e32 v68, v42, v41
	s_delay_alu instid0(VALU_DEP_1) | instskip(SKIP_1) | instid1(VALU_DEP_1)
	v_add3_u32 v68, v68, v43, v44
	s_wait_dscnt 0x0
	v_add3_u32 v68, v68, v37, v38
	s_delay_alu instid0(VALU_DEP_1) | instskip(NEXT) | instid1(VALU_DEP_1)
	v_add3_u32 v40, v68, v39, v40
	v_mov_b32_dpp v68, v40 row_shr:1 row_mask:0xf bank_mask:0xf
	s_delay_alu instid0(VALU_DEP_1) | instskip(NEXT) | instid1(VALU_DEP_1)
	v_cndmask_b32_e64 v68, v68, 0, s12
	v_add_nc_u32_e32 v40, v68, v40
	s_delay_alu instid0(VALU_DEP_1) | instskip(NEXT) | instid1(VALU_DEP_1)
	v_mov_b32_dpp v68, v40 row_shr:2 row_mask:0xf bank_mask:0xf
	v_cndmask_b32_e64 v68, 0, v68, s13
	s_delay_alu instid0(VALU_DEP_1) | instskip(NEXT) | instid1(VALU_DEP_1)
	v_add_nc_u32_e32 v40, v40, v68
	v_mov_b32_dpp v68, v40 row_shr:4 row_mask:0xf bank_mask:0xf
	s_delay_alu instid0(VALU_DEP_1) | instskip(NEXT) | instid1(VALU_DEP_1)
	v_cndmask_b32_e64 v68, 0, v68, s14
	v_add_nc_u32_e32 v40, v40, v68
	s_delay_alu instid0(VALU_DEP_1) | instskip(NEXT) | instid1(VALU_DEP_1)
	v_mov_b32_dpp v68, v40 row_shr:8 row_mask:0xf bank_mask:0xf
	v_cndmask_b32_e64 v68, 0, v68, s15
	s_delay_alu instid0(VALU_DEP_1) | instskip(SKIP_3) | instid1(VALU_DEP_1)
	v_add_nc_u32_e32 v40, v40, v68
	ds_swizzle_b32 v68, v40 offset:swizzle(BROADCAST,32,15)
	s_wait_dscnt 0x0
	v_cndmask_b32_e64 v68, v68, 0, s16
	v_add_nc_u32_e32 v40, v40, v68
	s_and_saveexec_b32 s21, s17
; %bb.52:                               ;   in Loop: Header=BB151_35 Depth=1
	ds_store_b32 v117, v40
; %bb.53:                               ;   in Loop: Header=BB151_35 Depth=1
	s_wait_alu 0xfffe
	s_or_b32 exec_lo, exec_lo, s21
	s_wait_loadcnt_dscnt 0x0
	s_barrier_signal -1
	s_barrier_wait -1
	global_inv scope:SCOPE_SE
	s_and_saveexec_b32 s21, s1
	s_cbranch_execz .LBB151_55
; %bb.54:                               ;   in Loop: Header=BB151_35 Depth=1
	ds_load_b32 v68, v132
	s_wait_dscnt 0x0
	v_mov_b32_dpp v133, v68 row_shr:1 row_mask:0xf bank_mask:0xf
	s_delay_alu instid0(VALU_DEP_1) | instskip(NEXT) | instid1(VALU_DEP_1)
	v_cndmask_b32_e64 v133, v133, 0, s18
	v_add_nc_u32_e32 v68, v133, v68
	s_delay_alu instid0(VALU_DEP_1) | instskip(NEXT) | instid1(VALU_DEP_1)
	v_mov_b32_dpp v133, v68 row_shr:2 row_mask:0xf bank_mask:0xf
	v_cndmask_b32_e64 v133, 0, v133, s19
	s_delay_alu instid0(VALU_DEP_1) | instskip(NEXT) | instid1(VALU_DEP_1)
	v_add_nc_u32_e32 v68, v68, v133
	v_mov_b32_dpp v133, v68 row_shr:4 row_mask:0xf bank_mask:0xf
	s_delay_alu instid0(VALU_DEP_1) | instskip(NEXT) | instid1(VALU_DEP_1)
	v_cndmask_b32_e64 v133, 0, v133, s20
	v_add_nc_u32_e32 v68, v68, v133
	ds_store_b32 v132, v68
.LBB151_55:                             ;   in Loop: Header=BB151_35 Depth=1
	s_wait_alu 0xfffe
	s_or_b32 exec_lo, exec_lo, s21
	v_mov_b32_e32 v68, 0
	s_wait_loadcnt_dscnt 0x0
	s_barrier_signal -1
	s_barrier_wait -1
	global_inv scope:SCOPE_SE
	s_and_saveexec_b32 s21, s9
; %bb.56:                               ;   in Loop: Header=BB151_35 Depth=1
	ds_load_b32 v68, v129
; %bb.57:                               ;   in Loop: Header=BB151_35 Depth=1
	s_wait_alu 0xfffe
	s_or_b32 exec_lo, exec_lo, s21
	s_wait_dscnt 0x0
	v_add_nc_u32_e32 v40, v68, v40
	v_cmp_lt_u32_e32 vcc_lo, 55, v70
	s_mov_b32 s21, -1
	ds_bpermute_b32 v40, v128, v40
	s_and_b32 vcc_lo, exec_lo, vcc_lo
	s_wait_dscnt 0x0
	v_cndmask_b32_e64 v40, v40, v68, s11
	s_delay_alu instid0(VALU_DEP_1) | instskip(NEXT) | instid1(VALU_DEP_1)
	v_cndmask_b32_e64 v40, v40, 0, s10
	v_add_nc_u32_e32 v41, v40, v41
	s_delay_alu instid0(VALU_DEP_1) | instskip(NEXT) | instid1(VALU_DEP_1)
	v_add_nc_u32_e32 v42, v41, v42
	v_add_nc_u32_e32 v43, v42, v43
	s_delay_alu instid0(VALU_DEP_1) | instskip(NEXT) | instid1(VALU_DEP_1)
	v_add_nc_u32_e32 v133, v43, v44
	;; [unrolled: 3-line block ×3, first 2 shown]
	v_add_nc_u32_e32 v136, v135, v39
	ds_store_b128 v116, v[40:43] offset:32
	ds_store_b128 v116, v[133:136] offset:48
	s_wait_loadcnt_dscnt 0x0
	s_barrier_signal -1
	s_barrier_wait -1
	global_inv scope:SCOPE_SE
	ds_load_b32 v37, v46 offset:32
	ds_load_b32 v38, v49 offset:32
	;; [unrolled: 1-line block ×8, first 2 shown]
	s_wait_dscnt 0x7
	v_add_nc_u32_e32 v140, v37, v45
	s_wait_dscnt 0x6
	v_add3_u32 v139, v48, v47, v38
	s_wait_dscnt 0x5
	v_add3_u32 v138, v51, v50, v39
	;; [unrolled: 2-line block ×7, first 2 shown]
                                        ; implicit-def: $vgpr67_vgpr68
                                        ; implicit-def: $vgpr47_vgpr48
                                        ; implicit-def: $vgpr43_vgpr44
                                        ; implicit-def: $vgpr39_vgpr40
                                        ; implicit-def: $vgpr63_vgpr64
                                        ; implicit-def: $vgpr59_vgpr60
                                        ; implicit-def: $vgpr55_vgpr56
                                        ; implicit-def: $vgpr51_vgpr52
	s_wait_alu 0xfffe
	s_cbranch_vccnz .LBB151_34
; %bb.58:                               ;   in Loop: Header=BB151_35 Depth=1
	v_lshlrev_b32_e32 v49, 3, v140
	v_lshlrev_b32_e32 v52, 3, v137
	v_lshlrev_b32_e32 v50, 3, v139
	v_lshlrev_b32_e32 v53, 3, v136
	v_lshlrev_b32_e32 v51, 3, v138
	v_lshlrev_b32_e32 v54, 3, v135
	v_lshlrev_b32_e32 v55, 3, v134
	v_lshlrev_b32_e32 v56, 3, v133
	s_wait_loadcnt 0x0
	s_barrier_signal -1
	s_barrier_wait -1
	global_inv scope:SCOPE_SE
	ds_store_b64 v49, v[75:76]
	ds_store_b64 v50, v[105:106]
	;; [unrolled: 1-line block ×8, first 2 shown]
	s_wait_loadcnt_dscnt 0x0
	s_barrier_signal -1
	s_barrier_wait -1
	global_inv scope:SCOPE_SE
	ds_load_2addr_b64 v[37:40], v130 offset1:32
	ds_load_2addr_b64 v[41:44], v130 offset0:64 offset1:96
	ds_load_2addr_b64 v[45:48], v130 offset0:128 offset1:160
	;; [unrolled: 1-line block ×3, first 2 shown]
	s_wait_loadcnt_dscnt 0x0
	s_barrier_signal -1
	s_barrier_wait -1
	global_inv scope:SCOPE_SE
	ds_store_b64 v49, v[97:98]
	ds_store_b64 v50, v[95:96]
	;; [unrolled: 1-line block ×8, first 2 shown]
	s_wait_loadcnt_dscnt 0x0
	s_barrier_signal -1
	s_barrier_wait -1
	global_inv scope:SCOPE_SE
	ds_load_2addr_b64 v[49:52], v130 offset1:32
	ds_load_2addr_b64 v[53:56], v130 offset0:64 offset1:96
	ds_load_2addr_b64 v[57:60], v130 offset0:128 offset1:160
	;; [unrolled: 1-line block ×3, first 2 shown]
	v_add_co_u32 v70, vcc_lo, v70, 8
	s_wait_alu 0xfffd
	v_add_co_ci_u32_e64 v71, null, 0, v71, vcc_lo
	s_add_co_i32 s24, s24, -8
	s_mov_b32 s21, 0
	s_wait_loadcnt_dscnt 0x0
	s_barrier_signal -1
	s_barrier_wait -1
	global_inv scope:SCOPE_SE
	s_branch .LBB151_34
.LBB151_59:
	v_lshlrev_b64_e32 v[17:18], 3, v[69:70]
	v_mov_b32_e32 v71, v70
	v_dual_mov_b32 v19, v70 :: v_dual_mov_b32 v22, v70
	v_dual_mov_b32 v21, v70 :: v_dual_mov_b32 v24, v70
	s_delay_alu instid0(VALU_DEP_4)
	v_add_co_u32 v17, vcc_lo, s34, v17
	s_wait_alu 0xfffd
	v_add_co_ci_u32_e64 v18, null, s35, v18, vcc_lo
	v_dual_mov_b32 v23, v70 :: v_dual_mov_b32 v26, v70
	v_dual_mov_b32 v25, v70 :: v_dual_mov_b32 v30, v70
	global_load_b64 v[27:28], v[17:18], off
	v_dual_mov_b32 v17, v70 :: v_dual_mov_b32 v20, v70
	v_dual_mov_b32 v18, v70 :: v_dual_mov_b32 v29, v70
	s_or_b32 exec_lo, exec_lo, s1
	s_and_saveexec_b32 s1, s3
	s_cbranch_execz .LBB151_25
.LBB151_60:
	v_mul_lo_u32 v39, s28, v31
	v_mov_b32_e32 v40, 0
	s_delay_alu instid0(VALU_DEP_1) | instskip(NEXT) | instid1(VALU_DEP_1)
	v_lshlrev_b64_e32 v[39:40], 3, v[39:40]
	v_add_co_u32 v39, vcc_lo, s34, v39
	s_wait_alu 0xfffd
	s_delay_alu instid0(VALU_DEP_2)
	v_add_co_ci_u32_e64 v40, null, s35, v40, vcc_lo
	global_load_b64 v[70:71], v[39:40], off
	s_or_b32 exec_lo, exec_lo, s1
	s_and_saveexec_b32 s1, s4
	s_cbranch_execz .LBB151_26
.LBB151_61:
	v_mul_lo_u32 v17, s28, v32
	v_mov_b32_e32 v18, 0
	s_delay_alu instid0(VALU_DEP_1) | instskip(NEXT) | instid1(VALU_DEP_1)
	v_lshlrev_b64_e32 v[17:18], 3, v[17:18]
	v_add_co_u32 v17, vcc_lo, s34, v17
	s_wait_alu 0xfffd
	s_delay_alu instid0(VALU_DEP_2)
	v_add_co_ci_u32_e64 v18, null, s35, v18, vcc_lo
	global_load_b64 v[17:18], v[17:18], off
	s_or_b32 exec_lo, exec_lo, s1
	s_and_saveexec_b32 s1, s5
	s_cbranch_execz .LBB151_27
.LBB151_62:
	v_mul_lo_u32 v19, s28, v34
	v_mov_b32_e32 v20, 0
	s_delay_alu instid0(VALU_DEP_1) | instskip(NEXT) | instid1(VALU_DEP_1)
	v_lshlrev_b64_e32 v[19:20], 3, v[19:20]
	v_add_co_u32 v19, vcc_lo, s34, v19
	s_wait_alu 0xfffd
	s_delay_alu instid0(VALU_DEP_2)
	v_add_co_ci_u32_e64 v20, null, s35, v20, vcc_lo
	global_load_b64 v[19:20], v[19:20], off
	s_or_b32 exec_lo, exec_lo, s1
	s_and_saveexec_b32 s1, s6
	s_cbranch_execz .LBB151_28
.LBB151_63:
	v_mul_lo_u32 v21, s28, v35
	v_mov_b32_e32 v22, 0
	s_delay_alu instid0(VALU_DEP_1) | instskip(NEXT) | instid1(VALU_DEP_1)
	v_lshlrev_b64_e32 v[21:22], 3, v[21:22]
	v_add_co_u32 v21, vcc_lo, s34, v21
	s_wait_alu 0xfffd
	s_delay_alu instid0(VALU_DEP_2)
	v_add_co_ci_u32_e64 v22, null, s35, v22, vcc_lo
	global_load_b64 v[21:22], v[21:22], off
	s_or_b32 exec_lo, exec_lo, s1
	s_and_saveexec_b32 s1, s7
	s_cbranch_execz .LBB151_29
.LBB151_64:
	v_mul_lo_u32 v23, s28, v36
	v_mov_b32_e32 v24, 0
	s_delay_alu instid0(VALU_DEP_1) | instskip(NEXT) | instid1(VALU_DEP_1)
	v_lshlrev_b64_e32 v[23:24], 3, v[23:24]
	v_add_co_u32 v23, vcc_lo, s34, v23
	s_wait_alu 0xfffd
	s_delay_alu instid0(VALU_DEP_2)
	v_add_co_ci_u32_e64 v24, null, s35, v24, vcc_lo
	global_load_b64 v[23:24], v[23:24], off
	s_or_b32 exec_lo, exec_lo, s1
	s_and_saveexec_b32 s1, s8
	s_cbranch_execz .LBB151_30
.LBB151_65:
	v_mul_lo_u32 v25, s28, v37
	v_mov_b32_e32 v26, 0
	s_delay_alu instid0(VALU_DEP_1) | instskip(NEXT) | instid1(VALU_DEP_1)
	v_lshlrev_b64_e32 v[25:26], 3, v[25:26]
	v_add_co_u32 v25, vcc_lo, s34, v25
	s_wait_alu 0xfffd
	s_delay_alu instid0(VALU_DEP_2)
	v_add_co_ci_u32_e64 v26, null, s35, v26, vcc_lo
	global_load_b64 v[25:26], v[25:26], off
	s_or_b32 exec_lo, exec_lo, s1
	s_xor_b32 s1, s20, -1
	s_and_saveexec_b32 s9, s0
	s_cbranch_execnz .LBB151_31
	s_branch .LBB151_32
.LBB151_66:
	v_lshlrev_b32_e32 v33, 3, v140
	v_lshlrev_b32_e32 v36, 3, v137
	;; [unrolled: 1-line block ×9, first 2 shown]
	s_wait_loadcnt 0x0
	s_barrier_signal -1
	s_barrier_wait -1
	global_inv scope:SCOPE_SE
	ds_store_b64 v33, v[75:76]
	ds_store_b64 v34, v[105:106]
	;; [unrolled: 1-line block ×8, first 2 shown]
	s_wait_loadcnt_dscnt 0x0
	s_barrier_signal -1
	s_barrier_wait -1
	global_inv scope:SCOPE_SE
	ds_load_b128 v[49:52], v65
	ds_load_b128 v[53:56], v65 offset:16
	ds_load_b128 v[57:60], v65 offset:32
	;; [unrolled: 1-line block ×3, first 2 shown]
	s_wait_loadcnt_dscnt 0x0
	s_barrier_signal -1
	s_barrier_wait -1
	global_inv scope:SCOPE_SE
	ds_store_b64 v33, v[97:98]
	ds_store_b64 v34, v[95:96]
	ds_store_b64 v35, v[93:94]
	ds_store_b64 v36, v[91:92]
	ds_store_b64 v37, v[89:90]
	ds_store_b64 v38, v[87:88]
	ds_store_b64 v39, v[85:86]
	ds_store_b64 v40, v[83:84]
	s_wait_loadcnt_dscnt 0x0
	s_barrier_signal -1
	s_barrier_wait -1
	global_inv scope:SCOPE_SE
	ds_load_b128 v[45:48], v65
	ds_load_b128 v[41:44], v65 offset:16
	ds_load_b128 v[37:40], v65 offset:32
	;; [unrolled: 1-line block ×3, first 2 shown]
	s_mov_b32 s11, 0
	v_xor_b32_e32 v50, 0x80000000, v50
	v_xor_b32_e32 v52, 0x80000000, v52
	;; [unrolled: 1-line block ×8, first 2 shown]
.LBB151_67:
	s_wait_alu 0xfffe
	s_and_b32 vcc_lo, exec_lo, s11
	s_wait_alu 0xfffe
	s_cbranch_vccz .LBB151_95
; %bb.68:
	v_xor_b32_e32 v14, 0x7fffffff, v14
	v_xor_b32_e32 v13, -1, v13
	v_xor_b32_e32 v16, 0x7fffffff, v16
	v_xor_b32_e32 v15, -1, v15
	;; [unrolled: 2-line block ×8, first 2 shown]
	ds_store_b128 v127, v[13:16]
	ds_store_b128 v127, v[9:12] offset:16
	ds_store_b128 v127, v[5:8] offset:32
	;; [unrolled: 1-line block ×3, first 2 shown]
	; wave barrier
	ds_load_2addr_b64 v[4:7], v126 offset1:32
	ds_load_2addr_b64 v[8:11], v126 offset0:64 offset1:96
	ds_load_2addr_b64 v[12:15], v126 offset0:128 offset1:160
	s_wait_dscnt 0x7
	ds_load_2addr_b64 v[33:36], v126 offset0:192 offset1:224
	; wave barrier
	ds_store_b128 v127, v[21:24]
	ds_store_b128 v127, v[17:20] offset:16
	ds_store_b128 v127, v[29:32] offset:32
	;; [unrolled: 1-line block ×3, first 2 shown]
	; wave barrier
	ds_load_2addr_b64 v[16:19], v126 offset1:32
	ds_load_2addr_b64 v[20:23], v126 offset0:64 offset1:96
	ds_load_2addr_b64 v[24:27], v126 offset0:128 offset1:160
	;; [unrolled: 1-line block ×3, first 2 shown]
	s_wait_loadcnt_dscnt 0x0
	s_barrier_signal -1
	s_barrier_wait -1
	global_inv scope:SCOPE_SE
	s_load_b32 s1, s[36:37], 0xc
	s_getpc_b64 s[10:11]
	s_wait_alu 0xfffe
	s_sext_i32_i16 s11, s11
	s_add_co_u32 s10, s10, _ZN7rocprim17ROCPRIM_400000_NS16block_radix_sortIlLj256ELj8ElLj1ELj1ELj0ELNS0_26block_radix_rank_algorithmE1ELNS0_18block_padding_hintE2ELNS0_4arch9wavefront6targetE0EE19radix_bits_per_passE@rel32@lo+12
	s_wait_alu 0xfffe
	s_add_co_ci_u32 s11, s11, _ZN7rocprim17ROCPRIM_400000_NS16block_radix_sortIlLj256ELj8ElLj1ELj1ELj0ELNS0_26block_radix_rank_algorithmE1ELNS0_18block_padding_hintE2ELNS0_4arch9wavefront6targetE0EE19radix_bits_per_passE@rel32@hi+24
	v_or_b32_e32 v3, 31, v123
	s_load_b32 s23, s[10:11], 0x0
	s_mov_b32 s24, 0
	v_cmp_lt_u32_e64 s10, 1, v122
	s_wait_alu 0xfffe
	s_mov_b32 s25, s24
	s_mov_b32 s26, s24
	;; [unrolled: 1-line block ×3, first 2 shown]
	v_cmp_eq_u32_e64 s14, v74, v3
	v_cmp_lt_u32_e64 s11, 3, v122
	v_cmp_lt_u32_e64 s12, 7, v122
	v_mov_b32_e32 v37, 0
	v_cmp_eq_u32_e64 s13, 0, v121
	v_cmp_gt_u32_e64 s15, 8, v74
	v_cmp_lt_u32_e64 s16, 31, v74
	v_cmp_eq_u32_e64 s17, 0, v74
	v_cmp_eq_u32_e64 s18, 0, v120
	v_cmp_lt_u32_e64 s19, 1, v120
	v_cmp_lt_u32_e64 s20, 3, v120
	s_wait_kmcnt 0x0
	s_lshr_b32 s9, s1, 16
	s_and_b32 s1, s1, 0xffff
	s_wait_alu 0xfffe
	v_mad_u32_u24 v1, v125, s9, v124
	v_dual_mov_b32 v38, 0 :: v_dual_add_nc_u32 v77, v116, v119
	s_delay_alu instid0(VALU_DEP_2) | instskip(SKIP_4) | instid1(VALU_DEP_4)
	v_mad_co_u64_u32 v[1:2], null, v1, s1, v[74:75]
	v_sub_co_u32 v2, s9, v118, 1
	v_lshl_add_u32 v75, v118, 3, v0
	v_cmp_eq_u32_e64 s1, 0, v122
	v_add_nc_u32_e32 v74, -4, v117
	v_cmp_gt_i32_e32 vcc_lo, 0, v2
	v_lshrrev_b32_e32 v1, 3, v1
	s_wait_alu 0xfffd
	v_cndmask_b32_e32 v2, v2, v118, vcc_lo
	s_delay_alu instid0(VALU_DEP_2) | instskip(NEXT) | instid1(VALU_DEP_2)
	v_and_b32_e32 v76, 0x1ffffffc, v1
	v_lshlrev_b32_e32 v32, 2, v2
	v_dual_mov_b32 v0, s24 :: v_dual_mov_b32 v1, s25
	v_dual_mov_b32 v2, s26 :: v_dual_mov_b32 v3, s27
	s_mov_b32 s24, 64
	s_branch .LBB151_70
.LBB151_69:                             ;   in Loop: Header=BB151_70 Depth=1
	s_wait_alu 0xfffe
	s_and_not1_b32 vcc_lo, exec_lo, s21
	s_wait_alu 0xfffe
	s_cbranch_vccz .LBB151_94
.LBB151_70:                             ; =>This Inner Loop Header: Depth=1
	v_dual_mov_b32 v40, v5 :: v_dual_mov_b32 v39, v4
	s_wait_alu 0xfffe
	s_min_u32 s21, s23, s24
	v_mov_b32_e32 v52, v27
	s_wait_alu 0xfffe
	s_lshl_b32 s21, -1, s21
	v_mov_b32_e32 v60, v19
	v_lshrrev_b64 v[4:5], v37, v[39:40]
	s_wait_alu 0xfffe
	s_not_b32 s25, s21
	v_mov_b32_e32 v50, v29
	v_mov_b32_e32 v54, v25
	;; [unrolled: 1-line block ×3, first 2 shown]
	s_wait_alu 0xfffe
	v_dual_mov_b32 v42, v36 :: v_dual_and_b32 v5, s25, v4
	v_dual_mov_b32 v41, v35 :: v_dual_mov_b32 v44, v34
	v_dual_mov_b32 v43, v33 :: v_dual_mov_b32 v46, v15
	s_delay_alu instid0(VALU_DEP_3) | instskip(SKIP_3) | instid1(VALU_DEP_4)
	v_dual_mov_b32 v45, v14 :: v_dual_and_b32 v4, 1, v5
	v_lshlrev_b32_e32 v14, 30, v5
	v_dual_mov_b32 v64, v13 :: v_dual_lshlrev_b32 v15, 29, v5
	v_mov_b32_e32 v63, v12
	v_add_co_u32 v4, s21, v4, -1
	s_wait_alu 0xf1ff
	v_cndmask_b32_e64 v34, 0, 1, s21
	v_not_b32_e32 v48, v14
	v_dual_mov_b32 v66, v11 :: v_dual_lshlrev_b32 v33, 28, v5
	v_cmp_gt_i32_e64 s21, 0, v14
	s_delay_alu instid0(VALU_DEP_4)
	v_cmp_ne_u32_e32 vcc_lo, 0, v34
	v_not_b32_e32 v14, v15
	v_ashrrev_i32_e32 v48, 31, v48
	v_dual_mov_b32 v68, v9 :: v_dual_lshlrev_b32 v35, 27, v5
	s_wait_alu 0xfffd
	v_xor_b32_e32 v4, vcc_lo, v4
	v_cmp_gt_i32_e32 vcc_lo, 0, v15
	v_not_b32_e32 v15, v33
	v_ashrrev_i32_e32 v14, 31, v14
	s_wait_alu 0xf1ff
	v_xor_b32_e32 v48, s21, v48
	v_dual_mov_b32 v71, v7 :: v_dual_and_b32 v4, exec_lo, v4
	v_dual_mov_b32 v65, v10 :: v_dual_lshlrev_b32 v36, 26, v5
	v_cmp_gt_i32_e64 s21, 0, v33
	v_not_b32_e32 v33, v35
	v_ashrrev_i32_e32 v15, 31, v15
	s_wait_alu 0xfffd
	v_xor_b32_e32 v14, vcc_lo, v14
	v_and_b32_e32 v4, v4, v48
	v_dual_mov_b32 v70, v6 :: v_dual_lshlrev_b32 v47, 25, v5
	v_cmp_gt_i32_e32 vcc_lo, 0, v35
	v_not_b32_e32 v35, v36
	v_ashrrev_i32_e32 v33, 31, v33
	s_wait_alu 0xf1ff
	v_xor_b32_e32 v15, s21, v15
	v_dual_mov_b32 v51, v26 :: v_dual_and_b32 v4, v4, v14
	v_dual_mov_b32 v67, v8 :: v_dual_lshlrev_b32 v34, 24, v5
	v_cmp_gt_i32_e64 s21, 0, v36
	v_not_b32_e32 v14, v47
	v_ashrrev_i32_e32 v35, 31, v35
	s_wait_alu 0xfffd
	v_xor_b32_e32 v33, vcc_lo, v33
	v_and_b32_e32 v4, v4, v15
	v_dual_mov_b32 v56, v23 :: v_dual_lshlrev_b32 v5, 5, v5
	v_cmp_gt_i32_e32 vcc_lo, 0, v47
	v_not_b32_e32 v15, v34
	v_ashrrev_i32_e32 v14, 31, v14
	s_wait_alu 0xf1ff
	v_xor_b32_e32 v35, s21, v35
	v_dual_mov_b32 v55, v22 :: v_dual_and_b32 v4, v4, v33
	v_mov_b32_e32 v59, v18
	v_cmp_gt_i32_e64 s21, 0, v34
	v_ashrrev_i32_e32 v12, 31, v15
	s_wait_alu 0xfffd
	v_xor_b32_e32 v13, vcc_lo, v14
	v_and_b32_e32 v4, v4, v35
	v_dual_mov_b32 v48, v31 :: v_dual_mov_b32 v49, v28
	s_wait_alu 0xf1ff
	v_xor_b32_e32 v6, s21, v12
	v_mov_b32_e32 v58, v21
	v_dual_mov_b32 v47, v30 :: v_dual_and_b32 v4, v4, v13
	v_mov_b32_e32 v53, v24
	v_mov_b32_e32 v57, v20
	;; [unrolled: 1-line block ×3, first 2 shown]
	s_delay_alu instid0(VALU_DEP_4)
	v_and_b32_e32 v4, v4, v6
	v_add_nc_u32_e32 v13, v76, v5
	ds_store_b128 v116, v[0:3] offset:32
	ds_store_b128 v116, v[0:3] offset:48
	s_wait_loadcnt_dscnt 0x0
	s_barrier_signal -1
	v_mbcnt_lo_u32_b32 v12, v4, 0
	v_cmp_ne_u32_e64 s21, 0, v4
	s_barrier_wait -1
	global_inv scope:SCOPE_SE
	v_cmp_eq_u32_e32 vcc_lo, 0, v12
	; wave barrier
	s_and_b32 s26, s21, vcc_lo
	s_wait_alu 0xfffe
	s_and_saveexec_b32 s21, s26
; %bb.71:                               ;   in Loop: Header=BB151_70 Depth=1
	v_bcnt_u32_b32 v4, v4, 0
	ds_store_b32 v13, v4 offset:32
; %bb.72:                               ;   in Loop: Header=BB151_70 Depth=1
	s_wait_alu 0xfffe
	s_or_b32 exec_lo, exec_lo, s21
	v_lshrrev_b64 v[4:5], v37, v[70:71]
	; wave barrier
	s_delay_alu instid0(VALU_DEP_1) | instskip(NEXT) | instid1(VALU_DEP_1)
	v_and_b32_e32 v4, s25, v4
	v_and_b32_e32 v5, 1, v4
	v_lshlrev_b32_e32 v6, 30, v4
	v_lshlrev_b32_e32 v7, 29, v4
	;; [unrolled: 1-line block ×4, first 2 shown]
	v_add_co_u32 v5, s21, v5, -1
	s_wait_alu 0xf1ff
	v_cndmask_b32_e64 v9, 0, 1, s21
	v_not_b32_e32 v15, v6
	v_cmp_gt_i32_e64 s21, 0, v6
	v_not_b32_e32 v6, v7
	v_lshlrev_b32_e32 v11, 26, v4
	v_cmp_ne_u32_e32 vcc_lo, 0, v9
	v_ashrrev_i32_e32 v15, 31, v15
	v_lshlrev_b32_e32 v14, 25, v4
	v_ashrrev_i32_e32 v6, 31, v6
	v_lshlrev_b32_e32 v9, 24, v4
	s_wait_alu 0xfffd
	v_xor_b32_e32 v5, vcc_lo, v5
	v_cmp_gt_i32_e32 vcc_lo, 0, v7
	v_not_b32_e32 v7, v8
	s_wait_alu 0xf1ff
	v_xor_b32_e32 v15, s21, v15
	v_cmp_gt_i32_e64 s21, 0, v8
	v_and_b32_e32 v5, exec_lo, v5
	v_not_b32_e32 v8, v10
	v_ashrrev_i32_e32 v7, 31, v7
	s_wait_alu 0xfffd
	v_xor_b32_e32 v6, vcc_lo, v6
	v_cmp_gt_i32_e32 vcc_lo, 0, v10
	v_and_b32_e32 v5, v5, v15
	v_not_b32_e32 v10, v11
	v_ashrrev_i32_e32 v8, 31, v8
	s_wait_alu 0xf1ff
	v_xor_b32_e32 v7, s21, v7
	v_cmp_gt_i32_e64 s21, 0, v11
	v_and_b32_e32 v5, v5, v6
	v_not_b32_e32 v6, v14
	v_ashrrev_i32_e32 v10, 31, v10
	s_wait_alu 0xfffd
	v_xor_b32_e32 v8, vcc_lo, v8
	v_cmp_gt_i32_e32 vcc_lo, 0, v14
	v_and_b32_e32 v5, v5, v7
	v_not_b32_e32 v7, v9
	v_ashrrev_i32_e32 v6, 31, v6
	s_wait_alu 0xf1ff
	v_xor_b32_e32 v10, s21, v10
	v_lshlrev_b32_e32 v4, 5, v4
	v_and_b32_e32 v5, v5, v8
	v_cmp_gt_i32_e64 s21, 0, v9
	v_ashrrev_i32_e32 v7, 31, v7
	s_wait_alu 0xfffd
	v_xor_b32_e32 v6, vcc_lo, v6
	v_add_nc_u32_e32 v16, v76, v4
	v_and_b32_e32 v5, v5, v10
	s_wait_alu 0xf1ff
	v_xor_b32_e32 v4, s21, v7
	ds_load_b32 v14, v16 offset:32
	v_and_b32_e32 v5, v5, v6
	; wave barrier
	s_delay_alu instid0(VALU_DEP_1) | instskip(NEXT) | instid1(VALU_DEP_1)
	v_and_b32_e32 v4, v5, v4
	v_mbcnt_lo_u32_b32 v15, v4, 0
	v_cmp_ne_u32_e64 s21, 0, v4
	s_delay_alu instid0(VALU_DEP_2)
	v_cmp_eq_u32_e32 vcc_lo, 0, v15
	s_and_b32 s26, s21, vcc_lo
	s_wait_alu 0xfffe
	s_and_saveexec_b32 s21, s26
	s_cbranch_execz .LBB151_74
; %bb.73:                               ;   in Loop: Header=BB151_70 Depth=1
	s_wait_dscnt 0x0
	v_bcnt_u32_b32 v4, v4, v14
	ds_store_b32 v16, v4 offset:32
.LBB151_74:                             ;   in Loop: Header=BB151_70 Depth=1
	s_wait_alu 0xfffe
	s_or_b32 exec_lo, exec_lo, s21
	v_lshrrev_b64 v[4:5], v37, v[67:68]
	; wave barrier
	s_delay_alu instid0(VALU_DEP_1) | instskip(NEXT) | instid1(VALU_DEP_1)
	v_and_b32_e32 v4, s25, v4
	v_and_b32_e32 v5, 1, v4
	v_lshlrev_b32_e32 v6, 30, v4
	v_lshlrev_b32_e32 v7, 29, v4
	;; [unrolled: 1-line block ×4, first 2 shown]
	v_add_co_u32 v5, s21, v5, -1
	s_wait_alu 0xf1ff
	v_cndmask_b32_e64 v9, 0, 1, s21
	v_not_b32_e32 v18, v6
	v_cmp_gt_i32_e64 s21, 0, v6
	v_not_b32_e32 v6, v7
	v_lshlrev_b32_e32 v11, 26, v4
	v_cmp_ne_u32_e32 vcc_lo, 0, v9
	v_ashrrev_i32_e32 v18, 31, v18
	v_lshlrev_b32_e32 v17, 25, v4
	v_ashrrev_i32_e32 v6, 31, v6
	v_lshlrev_b32_e32 v9, 24, v4
	s_wait_alu 0xfffd
	v_xor_b32_e32 v5, vcc_lo, v5
	v_cmp_gt_i32_e32 vcc_lo, 0, v7
	v_not_b32_e32 v7, v8
	s_wait_alu 0xf1ff
	v_xor_b32_e32 v18, s21, v18
	v_cmp_gt_i32_e64 s21, 0, v8
	v_and_b32_e32 v5, exec_lo, v5
	v_not_b32_e32 v8, v10
	v_ashrrev_i32_e32 v7, 31, v7
	s_wait_alu 0xfffd
	v_xor_b32_e32 v6, vcc_lo, v6
	v_cmp_gt_i32_e32 vcc_lo, 0, v10
	v_and_b32_e32 v5, v5, v18
	v_not_b32_e32 v10, v11
	v_ashrrev_i32_e32 v8, 31, v8
	s_wait_alu 0xf1ff
	v_xor_b32_e32 v7, s21, v7
	v_cmp_gt_i32_e64 s21, 0, v11
	v_and_b32_e32 v5, v5, v6
	v_not_b32_e32 v6, v17
	v_ashrrev_i32_e32 v10, 31, v10
	s_wait_alu 0xfffd
	v_xor_b32_e32 v8, vcc_lo, v8
	v_cmp_gt_i32_e32 vcc_lo, 0, v17
	v_and_b32_e32 v5, v5, v7
	v_not_b32_e32 v7, v9
	v_ashrrev_i32_e32 v6, 31, v6
	s_wait_alu 0xf1ff
	v_xor_b32_e32 v10, s21, v10
	v_lshlrev_b32_e32 v4, 5, v4
	v_and_b32_e32 v5, v5, v8
	v_cmp_gt_i32_e64 s21, 0, v9
	v_ashrrev_i32_e32 v7, 31, v7
	s_wait_alu 0xfffd
	v_xor_b32_e32 v6, vcc_lo, v6
	v_add_nc_u32_e32 v19, v76, v4
	v_and_b32_e32 v5, v5, v10
	s_wait_alu 0xf1ff
	v_xor_b32_e32 v4, s21, v7
	ds_load_b32 v17, v19 offset:32
	v_and_b32_e32 v5, v5, v6
	; wave barrier
	s_delay_alu instid0(VALU_DEP_1) | instskip(NEXT) | instid1(VALU_DEP_1)
	v_and_b32_e32 v4, v5, v4
	v_mbcnt_lo_u32_b32 v18, v4, 0
	v_cmp_ne_u32_e64 s21, 0, v4
	s_delay_alu instid0(VALU_DEP_2)
	v_cmp_eq_u32_e32 vcc_lo, 0, v18
	s_and_b32 s26, s21, vcc_lo
	s_wait_alu 0xfffe
	s_and_saveexec_b32 s21, s26
	s_cbranch_execz .LBB151_76
; %bb.75:                               ;   in Loop: Header=BB151_70 Depth=1
	s_wait_dscnt 0x0
	v_bcnt_u32_b32 v4, v4, v17
	ds_store_b32 v19, v4 offset:32
.LBB151_76:                             ;   in Loop: Header=BB151_70 Depth=1
	s_wait_alu 0xfffe
	s_or_b32 exec_lo, exec_lo, s21
	v_lshrrev_b64 v[4:5], v37, v[65:66]
	; wave barrier
	s_delay_alu instid0(VALU_DEP_1) | instskip(NEXT) | instid1(VALU_DEP_1)
	v_and_b32_e32 v4, s25, v4
	v_and_b32_e32 v5, 1, v4
	v_lshlrev_b32_e32 v6, 30, v4
	v_lshlrev_b32_e32 v7, 29, v4
	;; [unrolled: 1-line block ×4, first 2 shown]
	v_add_co_u32 v5, s21, v5, -1
	s_wait_alu 0xf1ff
	v_cndmask_b32_e64 v9, 0, 1, s21
	v_not_b32_e32 v21, v6
	v_cmp_gt_i32_e64 s21, 0, v6
	v_not_b32_e32 v6, v7
	v_lshlrev_b32_e32 v11, 26, v4
	v_cmp_ne_u32_e32 vcc_lo, 0, v9
	v_ashrrev_i32_e32 v21, 31, v21
	v_lshlrev_b32_e32 v20, 25, v4
	v_ashrrev_i32_e32 v6, 31, v6
	v_lshlrev_b32_e32 v9, 24, v4
	s_wait_alu 0xfffd
	v_xor_b32_e32 v5, vcc_lo, v5
	v_cmp_gt_i32_e32 vcc_lo, 0, v7
	v_not_b32_e32 v7, v8
	s_wait_alu 0xf1ff
	v_xor_b32_e32 v21, s21, v21
	v_cmp_gt_i32_e64 s21, 0, v8
	v_and_b32_e32 v5, exec_lo, v5
	v_not_b32_e32 v8, v10
	v_ashrrev_i32_e32 v7, 31, v7
	s_wait_alu 0xfffd
	v_xor_b32_e32 v6, vcc_lo, v6
	v_cmp_gt_i32_e32 vcc_lo, 0, v10
	v_and_b32_e32 v5, v5, v21
	v_not_b32_e32 v10, v11
	v_ashrrev_i32_e32 v8, 31, v8
	s_wait_alu 0xf1ff
	v_xor_b32_e32 v7, s21, v7
	v_cmp_gt_i32_e64 s21, 0, v11
	v_and_b32_e32 v5, v5, v6
	v_not_b32_e32 v6, v20
	v_ashrrev_i32_e32 v10, 31, v10
	s_wait_alu 0xfffd
	v_xor_b32_e32 v8, vcc_lo, v8
	v_cmp_gt_i32_e32 vcc_lo, 0, v20
	v_and_b32_e32 v5, v5, v7
	v_not_b32_e32 v7, v9
	v_ashrrev_i32_e32 v6, 31, v6
	s_wait_alu 0xf1ff
	v_xor_b32_e32 v10, s21, v10
	v_lshlrev_b32_e32 v4, 5, v4
	v_and_b32_e32 v5, v5, v8
	v_cmp_gt_i32_e64 s21, 0, v9
	v_ashrrev_i32_e32 v7, 31, v7
	s_wait_alu 0xfffd
	v_xor_b32_e32 v6, vcc_lo, v6
	v_add_nc_u32_e32 v22, v76, v4
	v_and_b32_e32 v5, v5, v10
	s_wait_alu 0xf1ff
	v_xor_b32_e32 v4, s21, v7
	ds_load_b32 v20, v22 offset:32
	v_and_b32_e32 v5, v5, v6
	; wave barrier
	s_delay_alu instid0(VALU_DEP_1) | instskip(NEXT) | instid1(VALU_DEP_1)
	v_and_b32_e32 v4, v5, v4
	v_mbcnt_lo_u32_b32 v21, v4, 0
	v_cmp_ne_u32_e64 s21, 0, v4
	s_delay_alu instid0(VALU_DEP_2)
	v_cmp_eq_u32_e32 vcc_lo, 0, v21
	s_and_b32 s26, s21, vcc_lo
	s_wait_alu 0xfffe
	s_and_saveexec_b32 s21, s26
	s_cbranch_execz .LBB151_78
; %bb.77:                               ;   in Loop: Header=BB151_70 Depth=1
	s_wait_dscnt 0x0
	v_bcnt_u32_b32 v4, v4, v20
	ds_store_b32 v22, v4 offset:32
.LBB151_78:                             ;   in Loop: Header=BB151_70 Depth=1
	s_wait_alu 0xfffe
	s_or_b32 exec_lo, exec_lo, s21
	v_lshrrev_b64 v[4:5], v37, v[63:64]
	; wave barrier
	s_delay_alu instid0(VALU_DEP_1) | instskip(NEXT) | instid1(VALU_DEP_1)
	v_and_b32_e32 v4, s25, v4
	v_and_b32_e32 v5, 1, v4
	v_lshlrev_b32_e32 v6, 30, v4
	v_lshlrev_b32_e32 v7, 29, v4
	;; [unrolled: 1-line block ×4, first 2 shown]
	v_add_co_u32 v5, s21, v5, -1
	s_wait_alu 0xf1ff
	v_cndmask_b32_e64 v9, 0, 1, s21
	v_not_b32_e32 v24, v6
	v_cmp_gt_i32_e64 s21, 0, v6
	v_not_b32_e32 v6, v7
	v_lshlrev_b32_e32 v11, 26, v4
	v_cmp_ne_u32_e32 vcc_lo, 0, v9
	v_ashrrev_i32_e32 v24, 31, v24
	v_lshlrev_b32_e32 v23, 25, v4
	v_ashrrev_i32_e32 v6, 31, v6
	v_lshlrev_b32_e32 v9, 24, v4
	s_wait_alu 0xfffd
	v_xor_b32_e32 v5, vcc_lo, v5
	v_cmp_gt_i32_e32 vcc_lo, 0, v7
	v_not_b32_e32 v7, v8
	s_wait_alu 0xf1ff
	v_xor_b32_e32 v24, s21, v24
	v_cmp_gt_i32_e64 s21, 0, v8
	v_and_b32_e32 v5, exec_lo, v5
	v_not_b32_e32 v8, v10
	v_ashrrev_i32_e32 v7, 31, v7
	s_wait_alu 0xfffd
	v_xor_b32_e32 v6, vcc_lo, v6
	v_cmp_gt_i32_e32 vcc_lo, 0, v10
	v_and_b32_e32 v5, v5, v24
	v_not_b32_e32 v10, v11
	v_ashrrev_i32_e32 v8, 31, v8
	s_wait_alu 0xf1ff
	v_xor_b32_e32 v7, s21, v7
	v_cmp_gt_i32_e64 s21, 0, v11
	v_and_b32_e32 v5, v5, v6
	v_not_b32_e32 v6, v23
	v_ashrrev_i32_e32 v10, 31, v10
	s_wait_alu 0xfffd
	v_xor_b32_e32 v8, vcc_lo, v8
	v_cmp_gt_i32_e32 vcc_lo, 0, v23
	v_and_b32_e32 v5, v5, v7
	v_not_b32_e32 v7, v9
	v_ashrrev_i32_e32 v6, 31, v6
	s_wait_alu 0xf1ff
	v_xor_b32_e32 v10, s21, v10
	v_lshlrev_b32_e32 v4, 5, v4
	v_and_b32_e32 v5, v5, v8
	v_cmp_gt_i32_e64 s21, 0, v9
	v_ashrrev_i32_e32 v7, 31, v7
	s_wait_alu 0xfffd
	v_xor_b32_e32 v6, vcc_lo, v6
	v_add_nc_u32_e32 v25, v76, v4
	v_and_b32_e32 v5, v5, v10
	s_wait_alu 0xf1ff
	v_xor_b32_e32 v4, s21, v7
	ds_load_b32 v23, v25 offset:32
	v_and_b32_e32 v5, v5, v6
	; wave barrier
	s_delay_alu instid0(VALU_DEP_1) | instskip(NEXT) | instid1(VALU_DEP_1)
	v_and_b32_e32 v4, v5, v4
	v_mbcnt_lo_u32_b32 v24, v4, 0
	v_cmp_ne_u32_e64 s21, 0, v4
	s_delay_alu instid0(VALU_DEP_2)
	v_cmp_eq_u32_e32 vcc_lo, 0, v24
	s_and_b32 s26, s21, vcc_lo
	s_wait_alu 0xfffe
	s_and_saveexec_b32 s21, s26
	s_cbranch_execz .LBB151_80
; %bb.79:                               ;   in Loop: Header=BB151_70 Depth=1
	s_wait_dscnt 0x0
	v_bcnt_u32_b32 v4, v4, v23
	ds_store_b32 v25, v4 offset:32
.LBB151_80:                             ;   in Loop: Header=BB151_70 Depth=1
	s_wait_alu 0xfffe
	s_or_b32 exec_lo, exec_lo, s21
	v_lshrrev_b64 v[4:5], v37, v[45:46]
	; wave barrier
	s_delay_alu instid0(VALU_DEP_1) | instskip(NEXT) | instid1(VALU_DEP_1)
	v_and_b32_e32 v4, s25, v4
	v_and_b32_e32 v5, 1, v4
	v_lshlrev_b32_e32 v6, 30, v4
	v_lshlrev_b32_e32 v7, 29, v4
	;; [unrolled: 1-line block ×4, first 2 shown]
	v_add_co_u32 v5, s21, v5, -1
	s_wait_alu 0xf1ff
	v_cndmask_b32_e64 v9, 0, 1, s21
	v_not_b32_e32 v27, v6
	v_cmp_gt_i32_e64 s21, 0, v6
	v_not_b32_e32 v6, v7
	v_lshlrev_b32_e32 v11, 26, v4
	v_cmp_ne_u32_e32 vcc_lo, 0, v9
	v_ashrrev_i32_e32 v27, 31, v27
	v_lshlrev_b32_e32 v26, 25, v4
	v_ashrrev_i32_e32 v6, 31, v6
	v_lshlrev_b32_e32 v9, 24, v4
	s_wait_alu 0xfffd
	v_xor_b32_e32 v5, vcc_lo, v5
	v_cmp_gt_i32_e32 vcc_lo, 0, v7
	v_not_b32_e32 v7, v8
	s_wait_alu 0xf1ff
	v_xor_b32_e32 v27, s21, v27
	v_cmp_gt_i32_e64 s21, 0, v8
	v_and_b32_e32 v5, exec_lo, v5
	v_not_b32_e32 v8, v10
	v_ashrrev_i32_e32 v7, 31, v7
	s_wait_alu 0xfffd
	v_xor_b32_e32 v6, vcc_lo, v6
	v_cmp_gt_i32_e32 vcc_lo, 0, v10
	v_and_b32_e32 v5, v5, v27
	v_not_b32_e32 v10, v11
	v_ashrrev_i32_e32 v8, 31, v8
	s_wait_alu 0xf1ff
	v_xor_b32_e32 v7, s21, v7
	v_cmp_gt_i32_e64 s21, 0, v11
	v_and_b32_e32 v5, v5, v6
	v_not_b32_e32 v6, v26
	v_ashrrev_i32_e32 v10, 31, v10
	s_wait_alu 0xfffd
	v_xor_b32_e32 v8, vcc_lo, v8
	v_cmp_gt_i32_e32 vcc_lo, 0, v26
	v_and_b32_e32 v5, v5, v7
	v_not_b32_e32 v7, v9
	v_ashrrev_i32_e32 v6, 31, v6
	s_wait_alu 0xf1ff
	v_xor_b32_e32 v10, s21, v10
	v_lshlrev_b32_e32 v4, 5, v4
	v_and_b32_e32 v5, v5, v8
	v_cmp_gt_i32_e64 s21, 0, v9
	v_ashrrev_i32_e32 v7, 31, v7
	s_wait_alu 0xfffd
	v_xor_b32_e32 v6, vcc_lo, v6
	v_add_nc_u32_e32 v28, v76, v4
	v_and_b32_e32 v5, v5, v10
	s_wait_alu 0xf1ff
	v_xor_b32_e32 v4, s21, v7
	ds_load_b32 v26, v28 offset:32
	v_and_b32_e32 v5, v5, v6
	; wave barrier
	s_delay_alu instid0(VALU_DEP_1) | instskip(NEXT) | instid1(VALU_DEP_1)
	v_and_b32_e32 v4, v5, v4
	v_mbcnt_lo_u32_b32 v27, v4, 0
	v_cmp_ne_u32_e64 s21, 0, v4
	s_delay_alu instid0(VALU_DEP_2)
	v_cmp_eq_u32_e32 vcc_lo, 0, v27
	s_and_b32 s26, s21, vcc_lo
	s_wait_alu 0xfffe
	s_and_saveexec_b32 s21, s26
	s_cbranch_execz .LBB151_82
; %bb.81:                               ;   in Loop: Header=BB151_70 Depth=1
	s_wait_dscnt 0x0
	v_bcnt_u32_b32 v4, v4, v26
	ds_store_b32 v28, v4 offset:32
.LBB151_82:                             ;   in Loop: Header=BB151_70 Depth=1
	s_wait_alu 0xfffe
	s_or_b32 exec_lo, exec_lo, s21
	v_lshrrev_b64 v[4:5], v37, v[43:44]
	; wave barrier
	s_delay_alu instid0(VALU_DEP_1) | instskip(NEXT) | instid1(VALU_DEP_1)
	v_and_b32_e32 v4, s25, v4
	v_and_b32_e32 v5, 1, v4
	v_lshlrev_b32_e32 v6, 30, v4
	v_lshlrev_b32_e32 v7, 29, v4
	;; [unrolled: 1-line block ×4, first 2 shown]
	v_add_co_u32 v5, s21, v5, -1
	s_wait_alu 0xf1ff
	v_cndmask_b32_e64 v9, 0, 1, s21
	v_not_b32_e32 v30, v6
	v_cmp_gt_i32_e64 s21, 0, v6
	v_not_b32_e32 v6, v7
	v_lshlrev_b32_e32 v11, 26, v4
	v_cmp_ne_u32_e32 vcc_lo, 0, v9
	v_ashrrev_i32_e32 v30, 31, v30
	v_lshlrev_b32_e32 v29, 25, v4
	v_ashrrev_i32_e32 v6, 31, v6
	v_lshlrev_b32_e32 v9, 24, v4
	s_wait_alu 0xfffd
	v_xor_b32_e32 v5, vcc_lo, v5
	v_cmp_gt_i32_e32 vcc_lo, 0, v7
	v_not_b32_e32 v7, v8
	s_wait_alu 0xf1ff
	v_xor_b32_e32 v30, s21, v30
	v_cmp_gt_i32_e64 s21, 0, v8
	v_and_b32_e32 v5, exec_lo, v5
	v_not_b32_e32 v8, v10
	v_ashrrev_i32_e32 v7, 31, v7
	s_wait_alu 0xfffd
	v_xor_b32_e32 v6, vcc_lo, v6
	v_cmp_gt_i32_e32 vcc_lo, 0, v10
	v_and_b32_e32 v5, v5, v30
	v_not_b32_e32 v10, v11
	v_ashrrev_i32_e32 v8, 31, v8
	s_wait_alu 0xf1ff
	v_xor_b32_e32 v7, s21, v7
	v_cmp_gt_i32_e64 s21, 0, v11
	v_and_b32_e32 v5, v5, v6
	v_not_b32_e32 v6, v29
	v_ashrrev_i32_e32 v10, 31, v10
	s_wait_alu 0xfffd
	v_xor_b32_e32 v8, vcc_lo, v8
	v_cmp_gt_i32_e32 vcc_lo, 0, v29
	v_and_b32_e32 v5, v5, v7
	v_not_b32_e32 v7, v9
	v_ashrrev_i32_e32 v6, 31, v6
	s_wait_alu 0xf1ff
	v_xor_b32_e32 v10, s21, v10
	v_lshlrev_b32_e32 v4, 5, v4
	v_and_b32_e32 v5, v5, v8
	v_cmp_gt_i32_e64 s21, 0, v9
	v_ashrrev_i32_e32 v7, 31, v7
	s_wait_alu 0xfffd
	v_xor_b32_e32 v6, vcc_lo, v6
	v_add_nc_u32_e32 v31, v76, v4
	v_and_b32_e32 v5, v5, v10
	s_wait_alu 0xf1ff
	v_xor_b32_e32 v4, s21, v7
	ds_load_b32 v29, v31 offset:32
	v_and_b32_e32 v5, v5, v6
	; wave barrier
	s_delay_alu instid0(VALU_DEP_1) | instskip(NEXT) | instid1(VALU_DEP_1)
	v_and_b32_e32 v4, v5, v4
	v_mbcnt_lo_u32_b32 v30, v4, 0
	v_cmp_ne_u32_e64 s21, 0, v4
	s_delay_alu instid0(VALU_DEP_2)
	v_cmp_eq_u32_e32 vcc_lo, 0, v30
	s_and_b32 s26, s21, vcc_lo
	s_wait_alu 0xfffe
	s_and_saveexec_b32 s21, s26
	s_cbranch_execz .LBB151_84
; %bb.83:                               ;   in Loop: Header=BB151_70 Depth=1
	s_wait_dscnt 0x0
	v_bcnt_u32_b32 v4, v4, v29
	ds_store_b32 v31, v4 offset:32
.LBB151_84:                             ;   in Loop: Header=BB151_70 Depth=1
	s_wait_alu 0xfffe
	s_or_b32 exec_lo, exec_lo, s21
	v_lshrrev_b64 v[4:5], v37, v[41:42]
	; wave barrier
	s_delay_alu instid0(VALU_DEP_1) | instskip(NEXT) | instid1(VALU_DEP_1)
	v_and_b32_e32 v4, s25, v4
	v_and_b32_e32 v5, 1, v4
	v_lshlrev_b32_e32 v6, 30, v4
	v_lshlrev_b32_e32 v7, 29, v4
	;; [unrolled: 1-line block ×4, first 2 shown]
	v_add_co_u32 v5, s21, v5, -1
	s_wait_alu 0xf1ff
	v_cndmask_b32_e64 v9, 0, 1, s21
	v_not_b32_e32 v34, v6
	v_cmp_gt_i32_e64 s21, 0, v6
	v_not_b32_e32 v6, v7
	v_lshlrev_b32_e32 v11, 26, v4
	v_cmp_ne_u32_e32 vcc_lo, 0, v9
	v_ashrrev_i32_e32 v34, 31, v34
	v_lshlrev_b32_e32 v33, 25, v4
	v_ashrrev_i32_e32 v6, 31, v6
	v_lshlrev_b32_e32 v9, 24, v4
	s_wait_alu 0xfffd
	v_xor_b32_e32 v5, vcc_lo, v5
	v_cmp_gt_i32_e32 vcc_lo, 0, v7
	v_not_b32_e32 v7, v8
	s_wait_alu 0xf1ff
	v_xor_b32_e32 v34, s21, v34
	v_cmp_gt_i32_e64 s21, 0, v8
	v_and_b32_e32 v5, exec_lo, v5
	v_not_b32_e32 v8, v10
	v_ashrrev_i32_e32 v7, 31, v7
	s_wait_alu 0xfffd
	v_xor_b32_e32 v6, vcc_lo, v6
	v_cmp_gt_i32_e32 vcc_lo, 0, v10
	v_and_b32_e32 v5, v5, v34
	v_not_b32_e32 v10, v11
	v_ashrrev_i32_e32 v8, 31, v8
	s_wait_alu 0xf1ff
	v_xor_b32_e32 v7, s21, v7
	v_cmp_gt_i32_e64 s21, 0, v11
	v_and_b32_e32 v5, v5, v6
	v_not_b32_e32 v6, v33
	v_ashrrev_i32_e32 v10, 31, v10
	s_wait_alu 0xfffd
	v_xor_b32_e32 v8, vcc_lo, v8
	v_cmp_gt_i32_e32 vcc_lo, 0, v33
	v_and_b32_e32 v5, v5, v7
	v_not_b32_e32 v7, v9
	v_ashrrev_i32_e32 v6, 31, v6
	s_wait_alu 0xf1ff
	v_xor_b32_e32 v10, s21, v10
	v_lshlrev_b32_e32 v4, 5, v4
	v_and_b32_e32 v5, v5, v8
	v_cmp_gt_i32_e64 s21, 0, v9
	v_ashrrev_i32_e32 v7, 31, v7
	s_wait_alu 0xfffd
	v_xor_b32_e32 v6, vcc_lo, v6
	v_add_nc_u32_e32 v35, v76, v4
	v_and_b32_e32 v5, v5, v10
	s_wait_alu 0xf1ff
	v_xor_b32_e32 v4, s21, v7
	ds_load_b32 v33, v35 offset:32
	v_and_b32_e32 v5, v5, v6
	; wave barrier
	s_delay_alu instid0(VALU_DEP_1) | instskip(NEXT) | instid1(VALU_DEP_1)
	v_and_b32_e32 v4, v5, v4
	v_mbcnt_lo_u32_b32 v34, v4, 0
	v_cmp_ne_u32_e64 s21, 0, v4
	s_delay_alu instid0(VALU_DEP_2)
	v_cmp_eq_u32_e32 vcc_lo, 0, v34
	s_and_b32 s25, s21, vcc_lo
	s_wait_alu 0xfffe
	s_and_saveexec_b32 s21, s25
	s_cbranch_execz .LBB151_86
; %bb.85:                               ;   in Loop: Header=BB151_70 Depth=1
	s_wait_dscnt 0x0
	v_bcnt_u32_b32 v4, v4, v33
	ds_store_b32 v35, v4 offset:32
.LBB151_86:                             ;   in Loop: Header=BB151_70 Depth=1
	s_wait_alu 0xfffe
	s_or_b32 exec_lo, exec_lo, s21
	; wave barrier
	s_wait_loadcnt_dscnt 0x0
	s_barrier_signal -1
	s_barrier_wait -1
	global_inv scope:SCOPE_SE
	ds_load_b128 v[8:11], v116 offset:32
	ds_load_b128 v[4:7], v116 offset:48
	s_wait_dscnt 0x1
	v_add_nc_u32_e32 v36, v9, v8
	s_delay_alu instid0(VALU_DEP_1) | instskip(SKIP_1) | instid1(VALU_DEP_1)
	v_add3_u32 v36, v36, v10, v11
	s_wait_dscnt 0x0
	v_add3_u32 v36, v36, v4, v5
	s_delay_alu instid0(VALU_DEP_1) | instskip(NEXT) | instid1(VALU_DEP_1)
	v_add3_u32 v7, v36, v6, v7
	v_mov_b32_dpp v36, v7 row_shr:1 row_mask:0xf bank_mask:0xf
	s_delay_alu instid0(VALU_DEP_1) | instskip(NEXT) | instid1(VALU_DEP_1)
	v_cndmask_b32_e64 v36, v36, 0, s1
	v_add_nc_u32_e32 v7, v36, v7
	s_delay_alu instid0(VALU_DEP_1) | instskip(NEXT) | instid1(VALU_DEP_1)
	v_mov_b32_dpp v36, v7 row_shr:2 row_mask:0xf bank_mask:0xf
	v_cndmask_b32_e64 v36, 0, v36, s10
	s_delay_alu instid0(VALU_DEP_1) | instskip(NEXT) | instid1(VALU_DEP_1)
	v_add_nc_u32_e32 v7, v7, v36
	v_mov_b32_dpp v36, v7 row_shr:4 row_mask:0xf bank_mask:0xf
	s_delay_alu instid0(VALU_DEP_1) | instskip(NEXT) | instid1(VALU_DEP_1)
	v_cndmask_b32_e64 v36, 0, v36, s11
	v_add_nc_u32_e32 v7, v7, v36
	s_delay_alu instid0(VALU_DEP_1) | instskip(NEXT) | instid1(VALU_DEP_1)
	v_mov_b32_dpp v36, v7 row_shr:8 row_mask:0xf bank_mask:0xf
	v_cndmask_b32_e64 v36, 0, v36, s12
	s_delay_alu instid0(VALU_DEP_1) | instskip(SKIP_3) | instid1(VALU_DEP_1)
	v_add_nc_u32_e32 v7, v7, v36
	ds_swizzle_b32 v36, v7 offset:swizzle(BROADCAST,32,15)
	s_wait_dscnt 0x0
	v_cndmask_b32_e64 v36, v36, 0, s13
	v_add_nc_u32_e32 v7, v7, v36
	s_and_saveexec_b32 s21, s14
; %bb.87:                               ;   in Loop: Header=BB151_70 Depth=1
	ds_store_b32 v117, v7
; %bb.88:                               ;   in Loop: Header=BB151_70 Depth=1
	s_wait_alu 0xfffe
	s_or_b32 exec_lo, exec_lo, s21
	s_wait_loadcnt_dscnt 0x0
	s_barrier_signal -1
	s_barrier_wait -1
	global_inv scope:SCOPE_SE
	s_and_saveexec_b32 s21, s15
	s_cbranch_execz .LBB151_90
; %bb.89:                               ;   in Loop: Header=BB151_70 Depth=1
	ds_load_b32 v36, v77
	s_wait_dscnt 0x0
	v_mov_b32_dpp v78, v36 row_shr:1 row_mask:0xf bank_mask:0xf
	s_delay_alu instid0(VALU_DEP_1) | instskip(NEXT) | instid1(VALU_DEP_1)
	v_cndmask_b32_e64 v78, v78, 0, s18
	v_add_nc_u32_e32 v36, v78, v36
	s_delay_alu instid0(VALU_DEP_1) | instskip(NEXT) | instid1(VALU_DEP_1)
	v_mov_b32_dpp v78, v36 row_shr:2 row_mask:0xf bank_mask:0xf
	v_cndmask_b32_e64 v78, 0, v78, s19
	s_delay_alu instid0(VALU_DEP_1) | instskip(NEXT) | instid1(VALU_DEP_1)
	v_add_nc_u32_e32 v36, v36, v78
	v_mov_b32_dpp v78, v36 row_shr:4 row_mask:0xf bank_mask:0xf
	s_delay_alu instid0(VALU_DEP_1) | instskip(NEXT) | instid1(VALU_DEP_1)
	v_cndmask_b32_e64 v78, 0, v78, s20
	v_add_nc_u32_e32 v36, v36, v78
	ds_store_b32 v77, v36
.LBB151_90:                             ;   in Loop: Header=BB151_70 Depth=1
	s_wait_alu 0xfffe
	s_or_b32 exec_lo, exec_lo, s21
	v_mov_b32_e32 v36, 0
	s_wait_loadcnt_dscnt 0x0
	s_barrier_signal -1
	s_barrier_wait -1
	global_inv scope:SCOPE_SE
	s_and_saveexec_b32 s21, s16
; %bb.91:                               ;   in Loop: Header=BB151_70 Depth=1
	ds_load_b32 v36, v74
; %bb.92:                               ;   in Loop: Header=BB151_70 Depth=1
	s_wait_alu 0xfffe
	s_or_b32 exec_lo, exec_lo, s21
	s_wait_dscnt 0x0
	v_add_nc_u32_e32 v7, v36, v7
	v_cmp_lt_u32_e32 vcc_lo, 55, v37
	s_mov_b32 s21, -1
	ds_bpermute_b32 v7, v32, v7
	s_and_b32 vcc_lo, exec_lo, vcc_lo
	s_wait_dscnt 0x0
	v_cndmask_b32_e64 v7, v7, v36, s9
	s_delay_alu instid0(VALU_DEP_1) | instskip(NEXT) | instid1(VALU_DEP_1)
	v_cndmask_b32_e64 v7, v7, 0, s17
	v_add_nc_u32_e32 v8, v7, v8
	s_delay_alu instid0(VALU_DEP_1) | instskip(NEXT) | instid1(VALU_DEP_1)
	v_add_nc_u32_e32 v9, v8, v9
	v_add_nc_u32_e32 v10, v9, v10
	s_delay_alu instid0(VALU_DEP_1) | instskip(NEXT) | instid1(VALU_DEP_1)
	v_add_nc_u32_e32 v78, v10, v11
	;; [unrolled: 3-line block ×3, first 2 shown]
	v_add_nc_u32_e32 v81, v80, v6
	ds_store_b128 v116, v[7:10] offset:32
	ds_store_b128 v116, v[78:81] offset:48
	s_wait_loadcnt_dscnt 0x0
	s_barrier_signal -1
	s_barrier_wait -1
	global_inv scope:SCOPE_SE
	ds_load_b32 v4, v13 offset:32
	ds_load_b32 v5, v16 offset:32
	;; [unrolled: 1-line block ×8, first 2 shown]
	s_wait_dscnt 0x7
	v_add_nc_u32_e32 v85, v4, v12
	s_wait_dscnt 0x6
	v_add3_u32 v84, v15, v14, v5
	s_wait_dscnt 0x5
	v_add3_u32 v83, v18, v17, v6
	;; [unrolled: 2-line block ×7, first 2 shown]
                                        ; implicit-def: $vgpr35_vgpr36
                                        ; implicit-def: $vgpr14_vgpr15
                                        ; implicit-def: $vgpr10_vgpr11
                                        ; implicit-def: $vgpr6_vgpr7
                                        ; implicit-def: $vgpr30_vgpr31
                                        ; implicit-def: $vgpr26_vgpr27
                                        ; implicit-def: $vgpr22_vgpr23
                                        ; implicit-def: $vgpr18_vgpr19
	s_wait_alu 0xfffe
	s_cbranch_vccnz .LBB151_69
; %bb.93:                               ;   in Loop: Header=BB151_70 Depth=1
	v_lshlrev_b32_e32 v16, 3, v85
	v_lshlrev_b32_e32 v19, 3, v82
	;; [unrolled: 1-line block ×8, first 2 shown]
	s_wait_loadcnt 0x0
	s_barrier_signal -1
	s_barrier_wait -1
	global_inv scope:SCOPE_SE
	ds_store_b64 v16, v[39:40]
	ds_store_b64 v17, v[70:71]
	;; [unrolled: 1-line block ×8, first 2 shown]
	s_wait_loadcnt_dscnt 0x0
	s_barrier_signal -1
	s_barrier_wait -1
	global_inv scope:SCOPE_SE
	ds_load_2addr_b64 v[4:7], v75 offset1:32
	ds_load_2addr_b64 v[8:11], v75 offset0:64 offset1:96
	ds_load_2addr_b64 v[12:15], v75 offset0:128 offset1:160
	;; [unrolled: 1-line block ×3, first 2 shown]
	s_wait_loadcnt_dscnt 0x0
	s_barrier_signal -1
	s_barrier_wait -1
	global_inv scope:SCOPE_SE
	ds_store_b64 v16, v[61:62]
	ds_store_b64 v17, v[59:60]
	;; [unrolled: 1-line block ×8, first 2 shown]
	s_wait_loadcnt_dscnt 0x0
	s_barrier_signal -1
	s_barrier_wait -1
	global_inv scope:SCOPE_SE
	ds_load_2addr_b64 v[16:19], v75 offset1:32
	ds_load_2addr_b64 v[20:23], v75 offset0:64 offset1:96
	ds_load_2addr_b64 v[24:27], v75 offset0:128 offset1:160
	;; [unrolled: 1-line block ×3, first 2 shown]
	v_add_co_u32 v37, vcc_lo, v37, 8
	s_wait_alu 0xfffd
	v_add_co_ci_u32_e64 v38, null, 0, v38, vcc_lo
	s_add_co_i32 s24, s24, -8
	s_mov_b32 s21, 0
	s_wait_loadcnt_dscnt 0x0
	s_barrier_signal -1
	s_barrier_wait -1
	global_inv scope:SCOPE_SE
	s_branch .LBB151_69
.LBB151_94:
	v_lshlrev_b32_e32 v16, 3, v85
	v_lshlrev_b32_e32 v19, 3, v82
	;; [unrolled: 1-line block ×9, first 2 shown]
	s_wait_loadcnt 0x0
	s_barrier_signal -1
	s_barrier_wait -1
	global_inv scope:SCOPE_SE
	ds_store_b64 v16, v[39:40]
	ds_store_b64 v17, v[70:71]
	;; [unrolled: 1-line block ×8, first 2 shown]
	s_wait_loadcnt_dscnt 0x0
	s_barrier_signal -1
	s_barrier_wait -1
	global_inv scope:SCOPE_SE
	ds_load_b128 v[0:3], v24
	ds_load_b128 v[4:7], v24 offset:16
	ds_load_b128 v[8:11], v24 offset:32
	;; [unrolled: 1-line block ×3, first 2 shown]
	s_wait_loadcnt_dscnt 0x0
	s_barrier_signal -1
	s_barrier_wait -1
	global_inv scope:SCOPE_SE
	ds_store_b64 v16, v[61:62]
	ds_store_b64 v17, v[59:60]
	;; [unrolled: 1-line block ×8, first 2 shown]
	s_wait_loadcnt_dscnt 0x0
	s_barrier_signal -1
	s_barrier_wait -1
	global_inv scope:SCOPE_SE
	ds_load_b128 v[45:48], v24
	ds_load_b128 v[41:44], v24 offset:16
	ds_load_b128 v[37:40], v24 offset:32
	;; [unrolled: 1-line block ×3, first 2 shown]
	v_xor_b32_e32 v50, 0x7fffffff, v1
	v_xor_b32_e32 v49, -1, v0
	v_xor_b32_e32 v52, 0x7fffffff, v3
	v_xor_b32_e32 v51, -1, v2
	v_xor_b32_e32 v54, 0x7fffffff, v5
	v_xor_b32_e32 v53, -1, v4
	v_xor_b32_e32 v56, 0x7fffffff, v7
	v_xor_b32_e32 v55, -1, v6
	v_xor_b32_e32 v58, 0x7fffffff, v9
	v_xor_b32_e32 v57, -1, v8
	v_xor_b32_e32 v60, 0x7fffffff, v11
	v_xor_b32_e32 v59, -1, v10
	v_xor_b32_e32 v62, 0x7fffffff, v13
	v_xor_b32_e32 v61, -1, v12
	v_xor_b32_e32 v64, 0x7fffffff, v15
	v_xor_b32_e32 v63, -1, v14
.LBB151_95:
	s_wait_loadcnt_dscnt 0x0
	s_barrier_signal -1
	s_barrier_wait -1
	global_inv scope:SCOPE_SE
	ds_store_2addr_b64 v115, v[49:50], v[51:52] offset1:1
	ds_store_2addr_b64 v115, v[53:54], v[55:56] offset0:2 offset1:3
	ds_store_2addr_b64 v115, v[57:58], v[59:60] offset0:4 offset1:5
	;; [unrolled: 1-line block ×3, first 2 shown]
	s_wait_loadcnt_dscnt 0x0
	s_barrier_signal -1
	s_barrier_wait -1
	global_inv scope:SCOPE_SE
	ds_load_b64 v[14:15], v108 offset:2048
	ds_load_b64 v[12:13], v109 offset:4096
	;; [unrolled: 1-line block ×7, first 2 shown]
	v_mov_b32_e32 v73, 0
	s_delay_alu instid0(VALU_DEP_1) | instskip(NEXT) | instid1(VALU_DEP_1)
	v_lshlrev_b64_e32 v[2:3], 3, v[72:73]
	v_add_co_u32 v2, vcc_lo, s30, v2
	s_wait_alu 0xfffd
	s_delay_alu instid0(VALU_DEP_2)
	v_add_co_ci_u32_e64 v3, null, s31, v3, vcc_lo
	s_and_saveexec_b32 s1, s2
	s_cbranch_execnz .LBB151_114
; %bb.96:
	s_wait_alu 0xfffe
	s_or_b32 exec_lo, exec_lo, s1
	s_and_saveexec_b32 s1, s3
	s_cbranch_execnz .LBB151_115
.LBB151_97:
	s_wait_alu 0xfffe
	s_or_b32 exec_lo, exec_lo, s1
	s_and_saveexec_b32 s1, s4
	s_cbranch_execnz .LBB151_116
.LBB151_98:
	s_wait_alu 0xfffe
	s_or_b32 exec_lo, exec_lo, s1
	s_and_saveexec_b32 s1, s5
	s_cbranch_execnz .LBB151_117
.LBB151_99:
	s_wait_alu 0xfffe
	s_or_b32 exec_lo, exec_lo, s1
	s_and_saveexec_b32 s1, s6
	s_cbranch_execnz .LBB151_118
.LBB151_100:
	s_wait_alu 0xfffe
	s_or_b32 exec_lo, exec_lo, s1
	s_and_saveexec_b32 s1, s7
	s_cbranch_execnz .LBB151_119
.LBB151_101:
	s_wait_alu 0xfffe
	s_or_b32 exec_lo, exec_lo, s1
	s_and_saveexec_b32 s1, s8
	s_cbranch_execnz .LBB151_120
.LBB151_102:
	s_wait_alu 0xfffe
	s_or_b32 exec_lo, exec_lo, s1
	s_and_saveexec_b32 s1, s0
	s_cbranch_execz .LBB151_104
.LBB151_103:
	s_mul_i32 s10, s22, 0x700
	s_mov_b32 s11, 0
	s_wait_alu 0xfffe
	s_lshl_b64 s[10:11], s[10:11], 3
	s_wait_alu 0xfffe
	v_add_co_u32 v2, vcc_lo, v2, s10
	s_wait_alu 0xfffd
	v_add_co_ci_u32_e64 v3, null, s11, v3, vcc_lo
	s_wait_dscnt 0x0
	global_store_b64 v[2:3], v[0:1], off
.LBB151_104:
	s_wait_alu 0xfffe
	s_or_b32 exec_lo, exec_lo, s1
	s_wait_storecnt 0x0
	s_wait_loadcnt_dscnt 0x0
	s_barrier_signal -1
	s_barrier_wait -1
	global_inv scope:SCOPE_SE
	ds_store_2addr_b64 v115, v[45:46], v[47:48] offset1:1
	ds_store_2addr_b64 v115, v[41:42], v[43:44] offset0:2 offset1:3
	ds_store_2addr_b64 v115, v[37:38], v[39:40] offset0:4 offset1:5
	;; [unrolled: 1-line block ×3, first 2 shown]
	s_wait_loadcnt_dscnt 0x0
	s_barrier_signal -1
	s_barrier_wait -1
	global_inv scope:SCOPE_SE
	ds_load_b64 v[14:15], v108 offset:2048
	ds_load_b64 v[12:13], v109 offset:4096
	;; [unrolled: 1-line block ×7, first 2 shown]
	v_mov_b32_e32 v70, 0
	s_delay_alu instid0(VALU_DEP_1) | instskip(NEXT) | instid1(VALU_DEP_1)
	v_lshlrev_b64_e32 v[2:3], 3, v[69:70]
	v_add_co_u32 v2, vcc_lo, s34, v2
	s_wait_alu 0xfffd
	s_delay_alu instid0(VALU_DEP_2)
	v_add_co_ci_u32_e64 v3, null, s35, v3, vcc_lo
	s_and_saveexec_b32 s1, s2
	s_cbranch_execnz .LBB151_121
; %bb.105:
	s_wait_alu 0xfffe
	s_or_b32 exec_lo, exec_lo, s1
	s_and_saveexec_b32 s1, s3
	s_cbranch_execnz .LBB151_122
.LBB151_106:
	s_wait_alu 0xfffe
	s_or_b32 exec_lo, exec_lo, s1
	s_and_saveexec_b32 s1, s4
	s_cbranch_execnz .LBB151_123
.LBB151_107:
	s_wait_alu 0xfffe
	s_or_b32 exec_lo, exec_lo, s1
	s_and_saveexec_b32 s1, s5
	s_cbranch_execnz .LBB151_124
.LBB151_108:
	s_wait_alu 0xfffe
	s_or_b32 exec_lo, exec_lo, s1
	s_and_saveexec_b32 s1, s6
	s_cbranch_execnz .LBB151_125
.LBB151_109:
	s_wait_alu 0xfffe
	s_or_b32 exec_lo, exec_lo, s1
	s_and_saveexec_b32 s1, s7
	s_cbranch_execnz .LBB151_126
.LBB151_110:
	s_wait_alu 0xfffe
	s_or_b32 exec_lo, exec_lo, s1
	s_and_saveexec_b32 s1, s8
	s_cbranch_execnz .LBB151_127
.LBB151_111:
	s_wait_alu 0xfffe
	s_or_b32 exec_lo, exec_lo, s1
	s_and_saveexec_b32 s1, s0
	s_cbranch_execz .LBB151_113
.LBB151_112:
	s_mul_i32 s0, s28, 0x700
	s_mov_b32 s1, 0
	s_wait_alu 0xfffe
	s_lshl_b64 s[0:1], s[0:1], 3
	s_wait_alu 0xfffe
	v_add_co_u32 v2, vcc_lo, v2, s0
	s_wait_alu 0xfffd
	v_add_co_ci_u32_e64 v3, null, s1, v3, vcc_lo
	s_wait_dscnt 0x0
	global_store_b64 v[2:3], v[0:1], off
.LBB151_113:
	s_nop 0
	s_sendmsg sendmsg(MSG_DEALLOC_VGPRS)
	s_endpgm
.LBB151_114:
	ds_load_b64 v[16:17], v107
	s_wait_dscnt 0x0
	global_store_b64 v[2:3], v[16:17], off
	s_wait_alu 0xfffe
	s_or_b32 exec_lo, exec_lo, s1
	s_and_saveexec_b32 s1, s3
	s_cbranch_execz .LBB151_97
.LBB151_115:
	s_lshl_b32 s10, s22, 8
	s_mov_b32 s11, 0
	s_wait_alu 0xfffe
	s_lshl_b64 s[10:11], s[10:11], 3
	s_wait_alu 0xfffe
	v_add_co_u32 v16, vcc_lo, v2, s10
	s_wait_alu 0xfffd
	v_add_co_ci_u32_e64 v17, null, s11, v3, vcc_lo
	s_wait_dscnt 0x6
	global_store_b64 v[16:17], v[14:15], off
	s_or_b32 exec_lo, exec_lo, s1
	s_and_saveexec_b32 s1, s4
	s_cbranch_execz .LBB151_98
.LBB151_116:
	s_lshl_b32 s10, s22, 9
	s_mov_b32 s11, 0
	s_wait_alu 0xfffe
	s_lshl_b64 s[10:11], s[10:11], 3
	s_wait_dscnt 0x6
	s_wait_alu 0xfffe
	v_add_co_u32 v14, vcc_lo, v2, s10
	s_wait_alu 0xfffd
	v_add_co_ci_u32_e64 v15, null, s11, v3, vcc_lo
	s_wait_dscnt 0x5
	global_store_b64 v[14:15], v[12:13], off
	s_or_b32 exec_lo, exec_lo, s1
	s_and_saveexec_b32 s1, s5
	s_cbranch_execz .LBB151_99
.LBB151_117:
	s_mul_i32 s10, s22, 0x300
	s_mov_b32 s11, 0
	s_wait_alu 0xfffe
	s_lshl_b64 s[10:11], s[10:11], 3
	s_wait_dscnt 0x5
	s_wait_alu 0xfffe
	v_add_co_u32 v12, vcc_lo, v2, s10
	s_wait_alu 0xfffd
	v_add_co_ci_u32_e64 v13, null, s11, v3, vcc_lo
	s_wait_dscnt 0x4
	global_store_b64 v[12:13], v[10:11], off
	s_or_b32 exec_lo, exec_lo, s1
	s_and_saveexec_b32 s1, s6
	s_cbranch_execz .LBB151_100
.LBB151_118:
	s_lshl_b32 s10, s22, 10
	s_mov_b32 s11, 0
	s_wait_alu 0xfffe
	s_lshl_b64 s[10:11], s[10:11], 3
	s_wait_dscnt 0x4
	s_wait_alu 0xfffe
	v_add_co_u32 v10, vcc_lo, v2, s10
	s_wait_alu 0xfffd
	v_add_co_ci_u32_e64 v11, null, s11, v3, vcc_lo
	s_wait_dscnt 0x3
	global_store_b64 v[10:11], v[8:9], off
	s_or_b32 exec_lo, exec_lo, s1
	s_and_saveexec_b32 s1, s7
	s_cbranch_execz .LBB151_101
.LBB151_119:
	s_mul_i32 s10, s22, 0x500
	s_mov_b32 s11, 0
	s_wait_alu 0xfffe
	s_lshl_b64 s[10:11], s[10:11], 3
	s_wait_dscnt 0x3
	s_wait_alu 0xfffe
	v_add_co_u32 v8, vcc_lo, v2, s10
	s_wait_alu 0xfffd
	v_add_co_ci_u32_e64 v9, null, s11, v3, vcc_lo
	s_wait_dscnt 0x2
	global_store_b64 v[8:9], v[6:7], off
	s_or_b32 exec_lo, exec_lo, s1
	s_and_saveexec_b32 s1, s8
	s_cbranch_execz .LBB151_102
.LBB151_120:
	s_mul_i32 s10, s22, 0x600
	s_mov_b32 s11, 0
	s_wait_alu 0xfffe
	s_lshl_b64 s[10:11], s[10:11], 3
	s_wait_dscnt 0x2
	s_wait_alu 0xfffe
	v_add_co_u32 v6, vcc_lo, v2, s10
	s_wait_alu 0xfffd
	v_add_co_ci_u32_e64 v7, null, s11, v3, vcc_lo
	s_wait_dscnt 0x1
	global_store_b64 v[6:7], v[4:5], off
	s_or_b32 exec_lo, exec_lo, s1
	s_and_saveexec_b32 s1, s0
	s_cbranch_execnz .LBB151_103
	s_branch .LBB151_104
.LBB151_121:
	ds_load_b64 v[16:17], v107
	s_wait_dscnt 0x0
	global_store_b64 v[2:3], v[16:17], off
	s_wait_alu 0xfffe
	s_or_b32 exec_lo, exec_lo, s1
	s_and_saveexec_b32 s1, s3
	s_cbranch_execz .LBB151_106
.LBB151_122:
	s_lshl_b32 s2, s28, 8
	s_mov_b32 s3, 0
	s_delay_alu instid0(SALU_CYCLE_1) | instskip(NEXT) | instid1(SALU_CYCLE_1)
	s_lshl_b64 s[2:3], s[2:3], 3
	v_add_co_u32 v16, vcc_lo, v2, s2
	s_wait_alu 0xfffd
	v_add_co_ci_u32_e64 v17, null, s3, v3, vcc_lo
	s_wait_dscnt 0x6
	global_store_b64 v[16:17], v[14:15], off
	s_wait_alu 0xfffe
	s_or_b32 exec_lo, exec_lo, s1
	s_and_saveexec_b32 s1, s4
	s_cbranch_execz .LBB151_107
.LBB151_123:
	s_lshl_b32 s2, s28, 9
	s_mov_b32 s3, 0
	s_wait_alu 0xfffe
	s_lshl_b64 s[2:3], s[2:3], 3
	s_wait_dscnt 0x6
	s_wait_alu 0xfffe
	v_add_co_u32 v14, vcc_lo, v2, s2
	s_wait_alu 0xfffd
	v_add_co_ci_u32_e64 v15, null, s3, v3, vcc_lo
	s_wait_dscnt 0x5
	global_store_b64 v[14:15], v[12:13], off
	s_or_b32 exec_lo, exec_lo, s1
	s_and_saveexec_b32 s1, s5
	s_cbranch_execz .LBB151_108
.LBB151_124:
	s_mul_i32 s2, s28, 0x300
	s_mov_b32 s3, 0
	s_wait_alu 0xfffe
	s_lshl_b64 s[2:3], s[2:3], 3
	s_wait_dscnt 0x5
	s_wait_alu 0xfffe
	v_add_co_u32 v12, vcc_lo, v2, s2
	s_wait_alu 0xfffd
	v_add_co_ci_u32_e64 v13, null, s3, v3, vcc_lo
	s_wait_dscnt 0x4
	global_store_b64 v[12:13], v[10:11], off
	s_or_b32 exec_lo, exec_lo, s1
	s_and_saveexec_b32 s1, s6
	s_cbranch_execz .LBB151_109
.LBB151_125:
	s_lshl_b32 s2, s28, 10
	s_mov_b32 s3, 0
	s_wait_alu 0xfffe
	s_lshl_b64 s[2:3], s[2:3], 3
	s_wait_dscnt 0x4
	s_wait_alu 0xfffe
	v_add_co_u32 v10, vcc_lo, v2, s2
	s_wait_alu 0xfffd
	v_add_co_ci_u32_e64 v11, null, s3, v3, vcc_lo
	s_wait_dscnt 0x3
	global_store_b64 v[10:11], v[8:9], off
	s_or_b32 exec_lo, exec_lo, s1
	s_and_saveexec_b32 s1, s7
	s_cbranch_execz .LBB151_110
.LBB151_126:
	s_mul_i32 s2, s28, 0x500
	s_mov_b32 s3, 0
	s_wait_alu 0xfffe
	s_lshl_b64 s[2:3], s[2:3], 3
	s_wait_dscnt 0x3
	s_wait_alu 0xfffe
	v_add_co_u32 v8, vcc_lo, v2, s2
	s_wait_alu 0xfffd
	v_add_co_ci_u32_e64 v9, null, s3, v3, vcc_lo
	s_wait_dscnt 0x2
	global_store_b64 v[8:9], v[6:7], off
	s_or_b32 exec_lo, exec_lo, s1
	s_and_saveexec_b32 s1, s8
	s_cbranch_execz .LBB151_111
.LBB151_127:
	s_mul_i32 s2, s28, 0x600
	s_mov_b32 s3, 0
	s_wait_alu 0xfffe
	s_lshl_b64 s[2:3], s[2:3], 3
	s_wait_dscnt 0x2
	s_wait_alu 0xfffe
	v_add_co_u32 v6, vcc_lo, v2, s2
	s_wait_alu 0xfffd
	v_add_co_ci_u32_e64 v7, null, s3, v3, vcc_lo
	s_wait_dscnt 0x1
	global_store_b64 v[6:7], v[4:5], off
	s_or_b32 exec_lo, exec_lo, s1
	s_and_saveexec_b32 s1, s0
	s_cbranch_execnz .LBB151_112
	s_branch .LBB151_113
	.section	.rodata,"a",@progbits
	.p2align	6, 0x0
	.amdhsa_kernel _ZN2at6native18radixSortKVInPlaceILin1ELin1ELi256ELi8ElljEEvNS_4cuda6detail10TensorInfoIT3_T5_EES6_S6_S6_NS4_IT4_S6_EES6_b
		.amdhsa_group_segment_fixed_size 16896
		.amdhsa_private_segment_fixed_size 0
		.amdhsa_kernarg_size 712
		.amdhsa_user_sgpr_count 2
		.amdhsa_user_sgpr_dispatch_ptr 0
		.amdhsa_user_sgpr_queue_ptr 0
		.amdhsa_user_sgpr_kernarg_segment_ptr 1
		.amdhsa_user_sgpr_dispatch_id 0
		.amdhsa_user_sgpr_private_segment_size 0
		.amdhsa_wavefront_size32 1
		.amdhsa_uses_dynamic_stack 0
		.amdhsa_enable_private_segment 0
		.amdhsa_system_sgpr_workgroup_id_x 1
		.amdhsa_system_sgpr_workgroup_id_y 1
		.amdhsa_system_sgpr_workgroup_id_z 1
		.amdhsa_system_sgpr_workgroup_info 0
		.amdhsa_system_vgpr_workitem_id 2
		.amdhsa_next_free_vgpr 141
		.amdhsa_next_free_sgpr 38
		.amdhsa_reserve_vcc 1
		.amdhsa_float_round_mode_32 0
		.amdhsa_float_round_mode_16_64 0
		.amdhsa_float_denorm_mode_32 3
		.amdhsa_float_denorm_mode_16_64 3
		.amdhsa_fp16_overflow 0
		.amdhsa_workgroup_processor_mode 1
		.amdhsa_memory_ordered 1
		.amdhsa_forward_progress 1
		.amdhsa_inst_pref_size 116
		.amdhsa_round_robin_scheduling 0
		.amdhsa_exception_fp_ieee_invalid_op 0
		.amdhsa_exception_fp_denorm_src 0
		.amdhsa_exception_fp_ieee_div_zero 0
		.amdhsa_exception_fp_ieee_overflow 0
		.amdhsa_exception_fp_ieee_underflow 0
		.amdhsa_exception_fp_ieee_inexact 0
		.amdhsa_exception_int_div_zero 0
	.end_amdhsa_kernel
	.section	.text._ZN2at6native18radixSortKVInPlaceILin1ELin1ELi256ELi8ElljEEvNS_4cuda6detail10TensorInfoIT3_T5_EES6_S6_S6_NS4_IT4_S6_EES6_b,"axG",@progbits,_ZN2at6native18radixSortKVInPlaceILin1ELin1ELi256ELi8ElljEEvNS_4cuda6detail10TensorInfoIT3_T5_EES6_S6_S6_NS4_IT4_S6_EES6_b,comdat
.Lfunc_end151:
	.size	_ZN2at6native18radixSortKVInPlaceILin1ELin1ELi256ELi8ElljEEvNS_4cuda6detail10TensorInfoIT3_T5_EES6_S6_S6_NS4_IT4_S6_EES6_b, .Lfunc_end151-_ZN2at6native18radixSortKVInPlaceILin1ELin1ELi256ELi8ElljEEvNS_4cuda6detail10TensorInfoIT3_T5_EES6_S6_S6_NS4_IT4_S6_EES6_b
                                        ; -- End function
	.set _ZN2at6native18radixSortKVInPlaceILin1ELin1ELi256ELi8ElljEEvNS_4cuda6detail10TensorInfoIT3_T5_EES6_S6_S6_NS4_IT4_S6_EES6_b.num_vgpr, 141
	.set _ZN2at6native18radixSortKVInPlaceILin1ELin1ELi256ELi8ElljEEvNS_4cuda6detail10TensorInfoIT3_T5_EES6_S6_S6_NS4_IT4_S6_EES6_b.num_agpr, 0
	.set _ZN2at6native18radixSortKVInPlaceILin1ELin1ELi256ELi8ElljEEvNS_4cuda6detail10TensorInfoIT3_T5_EES6_S6_S6_NS4_IT4_S6_EES6_b.numbered_sgpr, 38
	.set _ZN2at6native18radixSortKVInPlaceILin1ELin1ELi256ELi8ElljEEvNS_4cuda6detail10TensorInfoIT3_T5_EES6_S6_S6_NS4_IT4_S6_EES6_b.num_named_barrier, 0
	.set _ZN2at6native18radixSortKVInPlaceILin1ELin1ELi256ELi8ElljEEvNS_4cuda6detail10TensorInfoIT3_T5_EES6_S6_S6_NS4_IT4_S6_EES6_b.private_seg_size, 0
	.set _ZN2at6native18radixSortKVInPlaceILin1ELin1ELi256ELi8ElljEEvNS_4cuda6detail10TensorInfoIT3_T5_EES6_S6_S6_NS4_IT4_S6_EES6_b.uses_vcc, 1
	.set _ZN2at6native18radixSortKVInPlaceILin1ELin1ELi256ELi8ElljEEvNS_4cuda6detail10TensorInfoIT3_T5_EES6_S6_S6_NS4_IT4_S6_EES6_b.uses_flat_scratch, 0
	.set _ZN2at6native18radixSortKVInPlaceILin1ELin1ELi256ELi8ElljEEvNS_4cuda6detail10TensorInfoIT3_T5_EES6_S6_S6_NS4_IT4_S6_EES6_b.has_dyn_sized_stack, 0
	.set _ZN2at6native18radixSortKVInPlaceILin1ELin1ELi256ELi8ElljEEvNS_4cuda6detail10TensorInfoIT3_T5_EES6_S6_S6_NS4_IT4_S6_EES6_b.has_recursion, 0
	.set _ZN2at6native18radixSortKVInPlaceILin1ELin1ELi256ELi8ElljEEvNS_4cuda6detail10TensorInfoIT3_T5_EES6_S6_S6_NS4_IT4_S6_EES6_b.has_indirect_call, 0
	.section	.AMDGPU.csdata,"",@progbits
; Kernel info:
; codeLenInByte = 14836
; TotalNumSgprs: 40
; NumVgprs: 141
; ScratchSize: 0
; MemoryBound: 0
; FloatMode: 240
; IeeeMode: 1
; LDSByteSize: 16896 bytes/workgroup (compile time only)
; SGPRBlocks: 0
; VGPRBlocks: 17
; NumSGPRsForWavesPerEU: 40
; NumVGPRsForWavesPerEU: 141
; Occupancy: 10
; WaveLimiterHint : 1
; COMPUTE_PGM_RSRC2:SCRATCH_EN: 0
; COMPUTE_PGM_RSRC2:USER_SGPR: 2
; COMPUTE_PGM_RSRC2:TRAP_HANDLER: 0
; COMPUTE_PGM_RSRC2:TGID_X_EN: 1
; COMPUTE_PGM_RSRC2:TGID_Y_EN: 1
; COMPUTE_PGM_RSRC2:TGID_Z_EN: 1
; COMPUTE_PGM_RSRC2:TIDIG_COMP_CNT: 2
	.section	.text._ZN2at6native18radixSortKVInPlaceILin1ELin1ELi128ELi8ElljEEvNS_4cuda6detail10TensorInfoIT3_T5_EES6_S6_S6_NS4_IT4_S6_EES6_b,"axG",@progbits,_ZN2at6native18radixSortKVInPlaceILin1ELin1ELi128ELi8ElljEEvNS_4cuda6detail10TensorInfoIT3_T5_EES6_S6_S6_NS4_IT4_S6_EES6_b,comdat
	.protected	_ZN2at6native18radixSortKVInPlaceILin1ELin1ELi128ELi8ElljEEvNS_4cuda6detail10TensorInfoIT3_T5_EES6_S6_S6_NS4_IT4_S6_EES6_b ; -- Begin function _ZN2at6native18radixSortKVInPlaceILin1ELin1ELi128ELi8ElljEEvNS_4cuda6detail10TensorInfoIT3_T5_EES6_S6_S6_NS4_IT4_S6_EES6_b
	.globl	_ZN2at6native18radixSortKVInPlaceILin1ELin1ELi128ELi8ElljEEvNS_4cuda6detail10TensorInfoIT3_T5_EES6_S6_S6_NS4_IT4_S6_EES6_b
	.p2align	8
	.type	_ZN2at6native18radixSortKVInPlaceILin1ELin1ELi128ELi8ElljEEvNS_4cuda6detail10TensorInfoIT3_T5_EES6_S6_S6_NS4_IT4_S6_EES6_b,@function
_ZN2at6native18radixSortKVInPlaceILin1ELin1ELi128ELi8ElljEEvNS_4cuda6detail10TensorInfoIT3_T5_EES6_S6_S6_NS4_IT4_S6_EES6_b: ; @_ZN2at6native18radixSortKVInPlaceILin1ELin1ELi128ELi8ElljEEvNS_4cuda6detail10TensorInfoIT3_T5_EES6_S6_S6_NS4_IT4_S6_EES6_b
; %bb.0:
	s_clause 0x1
	s_load_b64 s[2:3], s[0:1], 0x1c8
	s_load_b96 s[24:26], s[0:1], 0xd8
	s_lshr_b32 s4, ttmp7, 16
	s_wait_kmcnt 0x0
	s_mul_i32 s3, s3, s4
	s_and_b32 s4, ttmp7, 0xffff
	s_delay_alu instid0(SALU_CYCLE_1) | instskip(NEXT) | instid1(SALU_CYCLE_1)
	s_add_co_i32 s3, s3, s4
	s_mul_i32 s2, s3, s2
	s_delay_alu instid0(SALU_CYCLE_1) | instskip(NEXT) | instid1(SALU_CYCLE_1)
	s_add_co_i32 s22, s2, ttmp9
	s_cmp_ge_u32 s22, s24
	s_cbranch_scc1 .LBB152_113
; %bb.1:
	s_load_b32 s4, s[0:1], 0xd0
	s_mov_b32 s3, 0
	s_mov_b32 s2, s22
	s_wait_kmcnt 0x0
	s_cmp_lt_i32 s4, 2
	s_cbranch_scc1 .LBB152_4
; %bb.2:
	s_add_co_i32 s2, s4, -1
	s_delay_alu instid0(SALU_CYCLE_1)
	s_lshl_b64 s[6:7], s[2:3], 2
	s_mov_b32 s2, s22
	s_add_nc_u64 s[8:9], s[0:1], s[6:7]
	s_add_co_i32 s6, s4, 1
	s_add_nc_u64 s[4:5], s[8:9], 8
.LBB152_3:                              ; =>This Inner Loop Header: Depth=1
	s_clause 0x1
	s_load_b32 s7, s[4:5], 0x0
	s_load_b32 s8, s[4:5], 0x64
	s_mov_b32 s11, s2
	s_add_nc_u64 s[4:5], s[4:5], -4
	s_wait_kmcnt 0x0
	s_cvt_f32_u32 s9, s7
	s_sub_co_i32 s10, 0, s7
	s_wait_alu 0xfffe
	s_delay_alu instid0(SALU_CYCLE_1) | instskip(NEXT) | instid1(TRANS32_DEP_1)
	v_rcp_iflag_f32_e32 v1, s9
	v_readfirstlane_b32 s9, v1
	s_mul_f32 s9, s9, 0x4f7ffffe
	s_wait_alu 0xfffe
	s_delay_alu instid0(SALU_CYCLE_2) | instskip(SKIP_1) | instid1(SALU_CYCLE_2)
	s_cvt_u32_f32 s9, s9
	s_wait_alu 0xfffe
	s_mul_i32 s10, s10, s9
	s_delay_alu instid0(SALU_CYCLE_1) | instskip(NEXT) | instid1(SALU_CYCLE_1)
	s_mul_hi_u32 s10, s9, s10
	s_add_co_i32 s9, s9, s10
	s_wait_alu 0xfffe
	s_mul_hi_u32 s2, s2, s9
	s_delay_alu instid0(SALU_CYCLE_1)
	s_mul_i32 s9, s2, s7
	s_add_co_i32 s10, s2, 1
	s_wait_alu 0xfffe
	s_sub_co_i32 s9, s11, s9
	s_wait_alu 0xfffe
	s_sub_co_i32 s12, s9, s7
	s_cmp_ge_u32 s9, s7
	s_cselect_b32 s2, s10, s2
	s_cselect_b32 s9, s12, s9
	s_add_co_i32 s10, s2, 1
	s_wait_alu 0xfffe
	s_cmp_ge_u32 s9, s7
	s_cselect_b32 s2, s10, s2
	s_add_co_i32 s6, s6, -1
	s_mul_i32 s7, s2, s7
	s_delay_alu instid0(SALU_CYCLE_1) | instskip(NEXT) | instid1(SALU_CYCLE_1)
	s_sub_co_i32 s7, s11, s7
	s_mul_i32 s7, s8, s7
	s_delay_alu instid0(SALU_CYCLE_1)
	s_add_co_i32 s3, s7, s3
	s_cmp_gt_u32 s6, 2
	s_cbranch_scc1 .LBB152_3
.LBB152_4:
	s_load_b32 s4, s[0:1], 0x1b8
	s_add_nc_u64 s[34:35], s[0:1], 0x1c8
	s_mov_b32 s21, 0
	s_wait_kmcnt 0x0
	s_cmp_lt_i32 s4, 2
	s_cbranch_scc1 .LBB152_7
; %bb.5:
	s_add_co_i32 s20, s4, -1
	s_delay_alu instid0(SALU_CYCLE_1) | instskip(NEXT) | instid1(SALU_CYCLE_1)
	s_lshl_b64 s[6:7], s[20:21], 2
	s_add_nc_u64 s[8:9], s[0:1], s[6:7]
	s_add_co_i32 s6, s4, 1
	s_wait_alu 0xfffe
	s_add_nc_u64 s[4:5], s[8:9], 0xf0
.LBB152_6:                              ; =>This Inner Loop Header: Depth=1
	s_clause 0x1
	s_load_b32 s7, s[4:5], 0x0
	s_load_b32 s8, s[4:5], 0x64
	s_mov_b32 s11, s22
	s_add_nc_u64 s[4:5], s[4:5], -4
	s_wait_kmcnt 0x0
	s_cvt_f32_u32 s9, s7
	s_sub_co_i32 s10, 0, s7
	s_wait_alu 0xfffe
	s_delay_alu instid0(SALU_CYCLE_1) | instskip(NEXT) | instid1(TRANS32_DEP_1)
	v_rcp_iflag_f32_e32 v1, s9
	v_readfirstlane_b32 s9, v1
	s_mul_f32 s9, s9, 0x4f7ffffe
	s_wait_alu 0xfffe
	s_delay_alu instid0(SALU_CYCLE_2) | instskip(SKIP_1) | instid1(SALU_CYCLE_2)
	s_cvt_u32_f32 s9, s9
	s_wait_alu 0xfffe
	s_mul_i32 s10, s10, s9
	s_delay_alu instid0(SALU_CYCLE_1) | instskip(NEXT) | instid1(SALU_CYCLE_1)
	s_mul_hi_u32 s10, s9, s10
	s_add_co_i32 s9, s9, s10
	s_wait_alu 0xfffe
	s_mul_hi_u32 s9, s22, s9
	s_wait_alu 0xfffe
	s_mul_i32 s10, s9, s7
	s_add_co_i32 s12, s9, 1
	s_sub_co_i32 s10, s22, s10
	s_delay_alu instid0(SALU_CYCLE_1)
	s_sub_co_i32 s13, s10, s7
	s_cmp_ge_u32 s10, s7
	s_cselect_b32 s9, s12, s9
	s_cselect_b32 s10, s13, s10
	s_wait_alu 0xfffe
	s_add_co_i32 s12, s9, 1
	s_cmp_ge_u32 s10, s7
	s_cselect_b32 s22, s12, s9
	s_add_co_i32 s6, s6, -1
	s_mul_i32 s7, s22, s7
	s_delay_alu instid0(SALU_CYCLE_1) | instskip(NEXT) | instid1(SALU_CYCLE_1)
	s_sub_co_i32 s7, s11, s7
	s_mul_i32 s7, s8, s7
	s_delay_alu instid0(SALU_CYCLE_1)
	s_add_co_i32 s21, s7, s21
	s_cmp_gt_u32 s6, 2
	s_cbranch_scc1 .LBB152_6
.LBB152_7:
	s_clause 0x2
	s_load_b32 s4, s[0:1], 0x6c
	s_load_b64 s[28:29], s[0:1], 0x1c0
	s_load_b64 s[30:31], s[0:1], 0x0
	s_mov_b32 s5, 0
	s_brev_b32 s6, 1
	s_wait_kmcnt 0x0
	s_mul_i32 s2, s4, s2
	s_delay_alu instid0(SALU_CYCLE_1)
	s_add_co_i32 s4, s2, s3
	s_bitcmp1_b32 s29, 0
	s_cselect_b32 s20, -1, 0
	s_lshl_b64 s[36:37], s[4:5], 3
	s_and_b32 s2, s20, exec_lo
	s_cselect_b32 s4, 0, -1
	s_cselect_b32 s5, s6, 0x7fffffff
	s_mov_b32 s6, s4
	s_mov_b32 s7, s5
	;; [unrolled: 1-line block ×14, first 2 shown]
	v_dual_mov_b32 v1, s4 :: v_dual_and_b32 v74, 0x3ff, v0
	v_mov_b32_e32 v18, s5
	v_dual_mov_b32 v2, s5 :: v_dual_mov_b32 v3, s6
	s_delay_alu instid0(VALU_DEP_3)
	v_mul_lo_u32 v72, s26, v74
	v_cmp_gt_u32_e64 s2, s25, v74
	s_wait_alu 0xfffe
	v_dual_mov_b32 v4, s7 :: v_dual_mov_b32 v5, s8
	v_dual_mov_b32 v6, s9 :: v_dual_mov_b32 v7, s10
	;; [unrolled: 1-line block ×7, first 2 shown]
	s_add_nc_u64 s[30:31], s[30:31], s[36:37]
	s_and_saveexec_b32 s3, s2
	s_cbranch_execz .LBB152_9
; %bb.8:
	v_mov_b32_e32 v73, 0
	s_delay_alu instid0(VALU_DEP_1) | instskip(NEXT) | instid1(VALU_DEP_1)
	v_lshlrev_b64_e32 v[1:2], 3, v[72:73]
	v_add_co_u32 v1, vcc_lo, s30, v1
	s_delay_alu instid0(VALU_DEP_1)
	v_add_co_ci_u32_e64 v2, null, s31, v2, vcc_lo
	global_load_b64 v[17:18], v[1:2], off
	v_dual_mov_b32 v1, s4 :: v_dual_mov_b32 v4, s7
	v_dual_mov_b32 v3, s6 :: v_dual_mov_b32 v6, s9
	;; [unrolled: 1-line block ×8, first 2 shown]
.LBB152_9:
	s_or_b32 exec_lo, exec_lo, s3
	v_add_nc_u32_e32 v31, 0x80, v74
	s_delay_alu instid0(VALU_DEP_1)
	v_cmp_gt_u32_e64 s3, s25, v31
	s_and_saveexec_b32 s4, s3
	s_cbranch_execz .LBB152_11
; %bb.10:
	v_mul_lo_u32 v1, s26, v31
	v_mov_b32_e32 v2, 0
	s_delay_alu instid0(VALU_DEP_1) | instskip(NEXT) | instid1(VALU_DEP_1)
	v_lshlrev_b64_e32 v[1:2], 3, v[1:2]
	v_add_co_u32 v1, vcc_lo, s30, v1
	s_wait_alu 0xfffd
	s_delay_alu instid0(VALU_DEP_2)
	v_add_co_ci_u32_e64 v2, null, s31, v2, vcc_lo
	global_load_b64 v[3:4], v[1:2], off
.LBB152_11:
	s_wait_alu 0xfffe
	s_or_b32 exec_lo, exec_lo, s4
	v_add_nc_u32_e32 v32, 0x100, v74
	s_delay_alu instid0(VALU_DEP_1)
	v_cmp_gt_u32_e64 s4, s25, v32
	s_and_saveexec_b32 s5, s4
	s_cbranch_execz .LBB152_13
; %bb.12:
	v_mul_lo_u32 v1, s26, v32
	v_mov_b32_e32 v2, 0
	s_delay_alu instid0(VALU_DEP_1) | instskip(NEXT) | instid1(VALU_DEP_1)
	v_lshlrev_b64_e32 v[1:2], 3, v[1:2]
	v_add_co_u32 v1, vcc_lo, s30, v1
	s_wait_alu 0xfffd
	s_delay_alu instid0(VALU_DEP_2)
	v_add_co_ci_u32_e64 v2, null, s31, v2, vcc_lo
	global_load_b64 v[5:6], v[1:2], off
.LBB152_13:
	s_wait_alu 0xfffe
	;; [unrolled: 18-line block ×6, first 2 shown]
	s_or_b32 exec_lo, exec_lo, s9
	s_clause 0x1
	s_load_b32 s9, s[0:1], 0x154
	s_load_b64 s[10:11], s[0:1], 0xe8
	v_add_nc_u32_e32 v38, 0x380, v74
	s_delay_alu instid0(VALU_DEP_1)
	v_cmp_gt_u32_e64 s0, s25, v38
	s_and_saveexec_b32 s1, s0
	s_cbranch_execz .LBB152_23
; %bb.22:
	v_mul_lo_u32 v1, s26, v38
	v_mov_b32_e32 v2, 0
	s_delay_alu instid0(VALU_DEP_1) | instskip(NEXT) | instid1(VALU_DEP_1)
	v_lshlrev_b64_e32 v[1:2], 3, v[1:2]
	v_add_co_u32 v1, vcc_lo, s30, v1
	s_wait_alu 0xfffd
	s_delay_alu instid0(VALU_DEP_2)
	v_add_co_ci_u32_e64 v2, null, s31, v2, vcc_lo
	global_load_b64 v[15:16], v[1:2], off
.LBB152_23:
	s_or_b32 exec_lo, exec_lo, s1
	v_lshrrev_b32_e32 v2, 2, v32
	v_dual_mov_b32 v70, 0 :: v_dual_lshlrev_b32 v73, 3, v74
	v_lshrrev_b32_e32 v1, 2, v31
	v_lshrrev_b32_e32 v19, 2, v34
	s_delay_alu instid0(VALU_DEP_4)
	v_and_b32_e32 v2, 0x1f8, v2
	v_lshrrev_b32_e32 v33, 5, v74
	v_mov_b32_e32 v71, v70
	v_and_b32_e32 v1, 0x1f8, v1
	v_and_b32_e32 v19, 0x1f8, v19
	v_add_nc_u32_e32 v109, v2, v73
	v_lshrrev_b32_e32 v2, 2, v36
	v_lshl_add_u32 v107, v33, 3, v73
	v_add_nc_u32_e32 v108, v1, v73
	v_lshrrev_b32_e32 v1, 2, v35
	v_add_nc_u32_e32 v110, v19, v73
	v_dual_mov_b32 v21, v70 :: v_dual_and_b32 v2, 0x1f8, v2
	v_lshrrev_b32_e32 v19, 2, v37
	s_delay_alu instid0(VALU_DEP_4) | instskip(NEXT) | instid1(VALU_DEP_3)
	v_dual_mov_b32 v22, v70 :: v_dual_and_b32 v1, 0x1f8, v1
	v_dual_mov_b32 v27, 0 :: v_dual_add_nc_u32 v112, v2, v73
	v_mov_b32_e32 v28, 0
	s_wait_loadcnt 0x0
	ds_store_b64 v107, v[17:18]
	ds_store_b64 v108, v[3:4] offset:1024
	ds_store_b64 v109, v[5:6] offset:2048
	;; [unrolled: 1-line block ×3, first 2 shown]
	v_dual_mov_b32 v26, v70 :: v_dual_lshlrev_b32 v5, 1, v74
	v_lshrrev_b32_e32 v20, 2, v38
	v_dual_mov_b32 v30, v70 :: v_dual_add_nc_u32 v111, v1, v73
	s_delay_alu instid0(VALU_DEP_3) | instskip(SKIP_1) | instid1(VALU_DEP_4)
	v_and_b32_e32 v1, 0x7f8, v5
	v_dual_mov_b32 v24, v70 :: v_dual_and_b32 v3, 0x1f8, v19
	v_dual_mov_b32 v23, v70 :: v_dual_and_b32 v4, 0x1f8, v20
	s_delay_alu instid0(VALU_DEP_3) | instskip(NEXT) | instid1(VALU_DEP_3)
	v_lshl_add_u32 v115, v74, 6, v1
	v_add_nc_u32_e32 v113, v3, v73
	s_delay_alu instid0(VALU_DEP_3)
	v_dual_mov_b32 v25, v70 :: v_dual_add_nc_u32 v114, v4, v73
	ds_store_b64 v111, v[9:10] offset:4096
	ds_store_b64 v112, v[11:12] offset:5120
	;; [unrolled: 1-line block ×4, first 2 shown]
	s_wait_dscnt 0x0
	s_barrier_signal -1
	s_barrier_wait -1
	global_inv scope:SCOPE_SE
	ds_load_2addr_b64 v[13:16], v115 offset1:1
	ds_load_2addr_b64 v[9:12], v115 offset0:2 offset1:3
	ds_load_2addr_b64 v[5:8], v115 offset0:4 offset1:5
	;; [unrolled: 1-line block ×3, first 2 shown]
	s_wait_kmcnt 0x0
	s_mul_i32 s1, s9, s22
	v_mul_lo_u32 v69, s28, v74
	s_mov_b32 s13, 0
	s_add_co_i32 s12, s1, s21
	v_dual_mov_b32 v17, v70 :: v_dual_mov_b32 v18, v70
	v_dual_mov_b32 v19, v70 :: v_dual_mov_b32 v20, v70
	v_mov_b32_e32 v29, v70
	s_wait_alu 0xfffe
	s_lshl_b64 s[12:13], s[12:13], 3
	s_wait_loadcnt_dscnt 0x0
	s_wait_alu 0xfffe
	s_add_nc_u64 s[24:25], s[10:11], s[12:13]
	s_barrier_signal -1
	s_barrier_wait -1
	global_inv scope:SCOPE_SE
	s_and_saveexec_b32 s1, s2
	s_cbranch_execnz .LBB152_59
; %bb.24:
	s_or_b32 exec_lo, exec_lo, s1
	s_and_saveexec_b32 s1, s3
	s_cbranch_execnz .LBB152_60
.LBB152_25:
	s_or_b32 exec_lo, exec_lo, s1
	s_and_saveexec_b32 s1, s4
	s_cbranch_execnz .LBB152_61
.LBB152_26:
	s_or_b32 exec_lo, exec_lo, s1
	s_and_saveexec_b32 s1, s5
	s_cbranch_execnz .LBB152_62
.LBB152_27:
	s_or_b32 exec_lo, exec_lo, s1
	s_and_saveexec_b32 s1, s6
	s_cbranch_execnz .LBB152_63
.LBB152_28:
	s_or_b32 exec_lo, exec_lo, s1
	s_and_saveexec_b32 s1, s7
	s_cbranch_execnz .LBB152_64
.LBB152_29:
	s_or_b32 exec_lo, exec_lo, s1
	s_and_saveexec_b32 s1, s8
	s_cbranch_execnz .LBB152_65
.LBB152_30:
	s_or_b32 exec_lo, exec_lo, s1
	s_xor_b32 s1, s20, -1
	s_and_saveexec_b32 s9, s0
	s_cbranch_execz .LBB152_32
.LBB152_31:
	v_mul_lo_u32 v29, s28, v38
	v_mov_b32_e32 v30, 0
	s_delay_alu instid0(VALU_DEP_1) | instskip(SKIP_1) | instid1(VALU_DEP_1)
	v_lshlrev_b64_e32 v[29:30], 3, v[29:30]
	s_wait_alu 0xfffe
	v_add_co_u32 v29, vcc_lo, s24, v29
	s_wait_alu 0xfffd
	s_delay_alu instid0(VALU_DEP_2)
	v_add_co_ci_u32_e64 v30, null, s25, v30, vcc_lo
	global_load_b64 v[29:30], v[29:30], off
.LBB152_32:
	s_wait_alu 0xfffe
	s_or_b32 exec_lo, exec_lo, s9
	s_wait_loadcnt 0x0
	ds_store_b64 v107, v[27:28]
	ds_store_b64 v108, v[70:71] offset:1024
	ds_store_b64 v109, v[17:18] offset:2048
	;; [unrolled: 1-line block ×7, first 2 shown]
	s_wait_dscnt 0x0
	s_barrier_signal -1
	s_barrier_wait -1
	global_inv scope:SCOPE_SE
	ds_load_2addr_b64 v[21:24], v115 offset1:1
	ds_load_2addr_b64 v[17:20], v115 offset0:2 offset1:3
	ds_load_2addr_b64 v[29:32], v115 offset0:4 offset1:5
	;; [unrolled: 1-line block ×3, first 2 shown]
	v_mbcnt_lo_u32_b32 v118, -1, 0
	v_and_b32_e32 v34, 0x3e0, v74
	v_and_b32_e32 v35, 0x1f00, v73
	s_and_b32 vcc_lo, exec_lo, s1
	v_bfe_u32 v124, v0, 10, 10
	v_bfe_u32 v125, v0, 20, 10
	v_or_b32_e32 v36, v118, v34
	v_or_b32_e32 v37, v118, v35
	v_lshlrev_b32_e32 v116, 2, v73
	v_and_b32_e32 v122, 15, v118
	v_and_b32_e32 v121, 16, v118
	v_lshlrev_b32_e32 v127, 6, v36
	v_lshlrev_b32_e32 v126, 3, v37
	v_min_u32_e32 v123, 0x60, v34
	v_cmp_gt_u32_e64 s1, 4, v74
	v_cmp_lt_u32_e64 s9, 31, v74
	v_cmp_eq_u32_e64 s10, 0, v74
	v_lshlrev_b32_e32 v117, 2, v33
	v_mul_i32_i24_e32 v119, 0xffffffe4, v74
	v_and_b32_e32 v120, 3, v118
	v_lshlrev_b32_e32 v0, 3, v35
	s_mov_b32 s20, 0
	s_mov_b32 s11, -1
	s_wait_loadcnt_dscnt 0x0
	s_barrier_signal -1
	s_barrier_wait -1
	global_inv scope:SCOPE_SE
                                        ; implicit-def: $vgpr63_vgpr64
                                        ; implicit-def: $vgpr59_vgpr60
                                        ; implicit-def: $vgpr55_vgpr56
                                        ; implicit-def: $vgpr51_vgpr52
                                        ; implicit-def: $vgpr35_vgpr36
                                        ; implicit-def: $vgpr39_vgpr40
                                        ; implicit-def: $vgpr43_vgpr44
                                        ; implicit-def: $vgpr47_vgpr48
	s_wait_alu 0xfffe
	s_cbranch_vccz .LBB152_67
; %bb.33:
	v_xor_b32_e32 v34, 0x80000000, v14
	v_xor_b32_e32 v36, 0x80000000, v16
	v_mov_b32_e32 v33, v13
	v_dual_mov_b32 v35, v15 :: v_dual_mov_b32 v70, 0
	v_xor_b32_e32 v38, 0x80000000, v10
	v_xor_b32_e32 v40, 0x80000000, v12
	s_mov_b32 s21, s20
	s_mov_b32 s22, s20
	;; [unrolled: 1-line block ×3, first 2 shown]
	v_mov_b32_e32 v37, v9
	v_mov_b32_e32 v39, v11
	v_xor_b32_e32 v42, 0x80000000, v6
	v_xor_b32_e32 v44, 0x80000000, v8
	v_dual_mov_b32 v41, v5 :: v_dual_add_nc_u32 v132, v116, v119
	v_mov_b32_e32 v43, v7
	v_xor_b32_e32 v46, 0x80000000, v2
	v_xor_b32_e32 v48, 0x80000000, v4
	v_mov_b32_e32 v45, v1
	v_mov_b32_e32 v47, v3
	ds_store_b128 v127, v[33:36]
	ds_store_b128 v127, v[37:40] offset:16
	ds_store_b128 v127, v[41:44] offset:32
	;; [unrolled: 1-line block ×3, first 2 shown]
	; wave barrier
	ds_load_2addr_b64 v[37:40], v126 offset1:32
	ds_load_2addr_b64 v[41:44], v126 offset0:64 offset1:96
	ds_load_2addr_b64 v[45:48], v126 offset0:128 offset1:160
	;; [unrolled: 1-line block ×3, first 2 shown]
	; wave barrier
	ds_store_b128 v127, v[21:24]
	ds_store_b128 v127, v[17:20] offset:16
	ds_store_b128 v127, v[29:32] offset:32
	;; [unrolled: 1-line block ×3, first 2 shown]
	; wave barrier
	ds_load_2addr_b64 v[49:52], v126 offset1:32
	ds_load_2addr_b64 v[53:56], v126 offset0:64 offset1:96
	ds_load_2addr_b64 v[57:60], v126 offset0:128 offset1:160
	;; [unrolled: 1-line block ×3, first 2 shown]
	s_wait_loadcnt_dscnt 0x0
	s_barrier_signal -1
	s_barrier_wait -1
	global_inv scope:SCOPE_SE
	s_load_b32 s11, s[34:35], 0xc
	s_getpc_b64 s[12:13]
	s_wait_alu 0xfffe
	s_sext_i32_i16 s13, s13
	s_add_co_u32 s12, s12, _ZN7rocprim17ROCPRIM_400000_NS16block_radix_sortIlLj128ELj8ElLj1ELj1ELj0ELNS0_26block_radix_rank_algorithmE1ELNS0_18block_padding_hintE2ELNS0_4arch9wavefront6targetE0EE19radix_bits_per_passE@rel32@lo+12
	s_wait_alu 0xfffe
	s_add_co_ci_u32 s13, s13, _ZN7rocprim17ROCPRIM_400000_NS16block_radix_sortIlLj128ELj8ElLj1ELj1ELj0ELNS0_26block_radix_rank_algorithmE1ELNS0_18block_padding_hintE2ELNS0_4arch9wavefront6targetE0EE19radix_bits_per_passE@rel32@hi+24
	v_cmp_lt_u32_e64 s15, 7, v122
	s_load_b32 s27, s[12:13], 0x0
	v_cmp_lt_u32_e64 s13, 1, v122
	v_cmp_eq_u32_e64 s16, 0, v121
	v_cmp_eq_u32_e64 s18, 0, v120
	v_cmp_lt_u32_e64 s19, 1, v120
	v_add_nc_u32_e32 v129, -4, v117
	v_lshl_add_u32 v130, v118, 3, v0
	v_mov_b32_e32 v71, 0
	s_wait_kmcnt 0x0
	s_lshr_b32 s14, s11, 16
	s_and_b32 s12, s11, 0xffff
	s_wait_alu 0xfffe
	v_mad_u32_u24 v33, v125, s14, v124
	v_sub_co_u32 v35, s11, v118, 1
	v_cmp_lt_u32_e64 s14, 3, v122
	s_delay_alu instid0(VALU_DEP_3) | instskip(NEXT) | instid1(VALU_DEP_3)
	v_mad_co_u64_u32 v[33:34], null, v33, s12, v[74:75]
	v_cmp_gt_i32_e32 vcc_lo, 0, v35
	v_or_b32_e32 v34, 31, v123
	v_cmp_eq_u32_e64 s12, 0, v122
	s_wait_alu 0xfffd
	v_cndmask_b32_e32 v35, v35, v118, vcc_lo
	v_lshrrev_b32_e32 v33, 3, v33
	v_cmp_eq_u32_e64 s17, v74, v34
	s_delay_alu instid0(VALU_DEP_3) | instskip(NEXT) | instid1(VALU_DEP_3)
	v_lshlrev_b32_e32 v128, 2, v35
	v_dual_mov_b32 v36, s23 :: v_dual_and_b32 v131, 0x1ffffffc, v33
	v_dual_mov_b32 v35, s22 :: v_dual_mov_b32 v34, s21
	v_mov_b32_e32 v33, s20
	s_mov_b32 s21, 64
	s_branch .LBB152_35
.LBB152_34:                             ;   in Loop: Header=BB152_35 Depth=1
	s_wait_alu 0xfffe
	s_and_not1_b32 vcc_lo, exec_lo, s20
	s_wait_alu 0xfffe
	s_cbranch_vccz .LBB152_66
.LBB152_35:                             ; =>This Inner Loop Header: Depth=1
	v_dual_mov_b32 v76, v38 :: v_dual_mov_b32 v75, v37
	s_wait_alu 0xfffe
	s_min_u32 s20, s27, s21
	v_mov_b32_e32 v78, v68
	s_wait_alu 0xfffe
	s_lshl_b32 s20, -1, s20
	v_mov_b32_e32 v80, v66
	v_lshrrev_b64 v[37:38], v70, v[75:76]
	s_wait_alu 0xfffe
	s_not_b32 s22, s20
	v_mov_b32_e32 v79, v65
	ds_store_b128 v116, v[33:36] offset:16
	ds_store_b128 v116, v[33:36] offset:32
	s_wait_loadcnt_dscnt 0x0
	s_wait_alu 0xfffe
	v_dual_mov_b32 v77, v67 :: v_dual_and_b32 v38, s22, v37
	v_dual_mov_b32 v82, v48 :: v_dual_mov_b32 v81, v47
	s_barrier_signal -1
	s_delay_alu instid0(VALU_DEP_2) | instskip(SKIP_3) | instid1(VALU_DEP_3)
	v_dual_mov_b32 v100, v46 :: v_dual_lshlrev_b32 v47, 30, v38
	v_and_b32_e32 v37, 1, v38
	v_dual_mov_b32 v99, v45 :: v_dual_lshlrev_b32 v48, 29, v38
	v_dual_mov_b32 v102, v44 :: v_dual_lshlrev_b32 v65, 28, v38
	v_add_co_u32 v37, s20, v37, -1
	s_wait_alu 0xf1ff
	v_cndmask_b32_e64 v66, 0, 1, s20
	v_not_b32_e32 v84, v47
	v_cmp_gt_i32_e64 s20, 0, v47
	v_not_b32_e32 v47, v48
	v_dual_mov_b32 v104, v42 :: v_dual_lshlrev_b32 v67, 27, v38
	v_cmp_ne_u32_e32 vcc_lo, 0, v66
	v_ashrrev_i32_e32 v84, 31, v84
	s_delay_alu instid0(VALU_DEP_4)
	v_ashrrev_i32_e32 v47, 31, v47
	v_dual_mov_b32 v101, v43 :: v_dual_lshlrev_b32 v68, 26, v38
	s_wait_alu 0xfffd
	v_xor_b32_e32 v37, vcc_lo, v37
	v_cmp_gt_i32_e32 vcc_lo, 0, v48
	v_not_b32_e32 v48, v65
	s_wait_alu 0xf1ff
	v_xor_b32_e32 v84, s20, v84
	v_cmp_gt_i32_e64 s20, 0, v65
	v_and_b32_e32 v37, exec_lo, v37
	v_not_b32_e32 v65, v67
	v_ashrrev_i32_e32 v48, 31, v48
	s_wait_alu 0xfffd
	v_xor_b32_e32 v47, vcc_lo, v47
	v_dual_mov_b32 v106, v40 :: v_dual_lshlrev_b32 v83, 25, v38
	v_dual_mov_b32 v86, v62 :: v_dual_and_b32 v37, v37, v84
	v_cmp_gt_i32_e32 vcc_lo, 0, v67
	v_not_b32_e32 v67, v68
	v_ashrrev_i32_e32 v65, 31, v65
	s_wait_alu 0xf1ff
	v_xor_b32_e32 v48, s20, v48
	v_dual_mov_b32 v88, v60 :: v_dual_and_b32 v37, v37, v47
	v_dual_mov_b32 v103, v41 :: v_dual_lshlrev_b32 v66, 24, v38
	v_cmp_gt_i32_e64 s20, 0, v68
	v_not_b32_e32 v47, v83
	v_ashrrev_i32_e32 v67, 31, v67
	s_wait_alu 0xfffd
	v_xor_b32_e32 v65, vcc_lo, v65
	v_dual_mov_b32 v90, v58 :: v_dual_and_b32 v37, v37, v48
	v_cmp_gt_i32_e32 vcc_lo, 0, v83
	v_not_b32_e32 v48, v66
	v_ashrrev_i32_e32 v47, 31, v47
	s_wait_alu 0xf1ff
	v_xor_b32_e32 v67, s20, v67
	v_dual_mov_b32 v92, v56 :: v_dual_and_b32 v37, v37, v65
	v_cmp_gt_i32_e64 s20, 0, v66
	v_ashrrev_i32_e32 v45, 31, v48
	s_wait_alu 0xfffd
	v_xor_b32_e32 v46, vcc_lo, v47
	v_dual_mov_b32 v94, v54 :: v_dual_and_b32 v37, v37, v67
	v_dual_mov_b32 v105, v39 :: v_dual_mov_b32 v96, v52
	s_wait_alu 0xf1ff
	v_xor_b32_e32 v39, s20, v45
	s_delay_alu instid0(VALU_DEP_3) | instskip(SKIP_2) | instid1(VALU_DEP_3)
	v_dual_mov_b32 v98, v50 :: v_dual_and_b32 v37, v37, v46
	v_dual_mov_b32 v84, v64 :: v_dual_mov_b32 v83, v63
	v_lshlrev_b32_e32 v38, 4, v38
	v_and_b32_e32 v37, v37, v39
	v_mov_b32_e32 v85, v61
	v_mov_b32_e32 v87, v59
	;; [unrolled: 1-line block ×4, first 2 shown]
	v_mbcnt_lo_u32_b32 v45, v37, 0
	v_cmp_ne_u32_e64 s20, 0, v37
	v_mov_b32_e32 v93, v53
	v_mov_b32_e32 v95, v51
	;; [unrolled: 1-line block ×3, first 2 shown]
	v_cmp_eq_u32_e32 vcc_lo, 0, v45
	v_add_nc_u32_e32 v46, v131, v38
	s_barrier_wait -1
	global_inv scope:SCOPE_SE
	s_and_b32 s23, s20, vcc_lo
	; wave barrier
	s_wait_alu 0xfffe
	s_and_saveexec_b32 s20, s23
; %bb.36:                               ;   in Loop: Header=BB152_35 Depth=1
	v_bcnt_u32_b32 v37, v37, 0
	ds_store_b32 v46, v37 offset:16
; %bb.37:                               ;   in Loop: Header=BB152_35 Depth=1
	s_wait_alu 0xfffe
	s_or_b32 exec_lo, exec_lo, s20
	v_lshrrev_b64 v[37:38], v70, v[105:106]
	; wave barrier
	s_delay_alu instid0(VALU_DEP_1) | instskip(NEXT) | instid1(VALU_DEP_1)
	v_and_b32_e32 v37, s22, v37
	v_and_b32_e32 v38, 1, v37
	v_lshlrev_b32_e32 v39, 30, v37
	v_lshlrev_b32_e32 v40, 29, v37
	;; [unrolled: 1-line block ×4, first 2 shown]
	v_add_co_u32 v38, s20, v38, -1
	s_wait_alu 0xf1ff
	v_cndmask_b32_e64 v42, 0, 1, s20
	v_not_b32_e32 v48, v39
	v_cmp_gt_i32_e64 s20, 0, v39
	v_not_b32_e32 v39, v40
	v_lshlrev_b32_e32 v44, 26, v37
	v_cmp_ne_u32_e32 vcc_lo, 0, v42
	v_ashrrev_i32_e32 v48, 31, v48
	v_lshlrev_b32_e32 v47, 25, v37
	v_ashrrev_i32_e32 v39, 31, v39
	v_lshlrev_b32_e32 v42, 24, v37
	s_wait_alu 0xfffd
	v_xor_b32_e32 v38, vcc_lo, v38
	v_cmp_gt_i32_e32 vcc_lo, 0, v40
	v_not_b32_e32 v40, v41
	s_wait_alu 0xf1ff
	v_xor_b32_e32 v48, s20, v48
	v_cmp_gt_i32_e64 s20, 0, v41
	v_and_b32_e32 v38, exec_lo, v38
	v_not_b32_e32 v41, v43
	v_ashrrev_i32_e32 v40, 31, v40
	s_wait_alu 0xfffd
	v_xor_b32_e32 v39, vcc_lo, v39
	v_cmp_gt_i32_e32 vcc_lo, 0, v43
	v_and_b32_e32 v38, v38, v48
	v_not_b32_e32 v43, v44
	v_ashrrev_i32_e32 v41, 31, v41
	s_wait_alu 0xf1ff
	v_xor_b32_e32 v40, s20, v40
	v_cmp_gt_i32_e64 s20, 0, v44
	v_and_b32_e32 v38, v38, v39
	v_not_b32_e32 v39, v47
	v_ashrrev_i32_e32 v43, 31, v43
	s_wait_alu 0xfffd
	v_xor_b32_e32 v41, vcc_lo, v41
	v_cmp_gt_i32_e32 vcc_lo, 0, v47
	v_and_b32_e32 v38, v38, v40
	v_not_b32_e32 v40, v42
	v_ashrrev_i32_e32 v39, 31, v39
	s_wait_alu 0xf1ff
	v_xor_b32_e32 v43, s20, v43
	v_lshlrev_b32_e32 v37, 4, v37
	v_and_b32_e32 v38, v38, v41
	v_cmp_gt_i32_e64 s20, 0, v42
	v_ashrrev_i32_e32 v40, 31, v40
	s_wait_alu 0xfffd
	v_xor_b32_e32 v39, vcc_lo, v39
	v_add_nc_u32_e32 v49, v131, v37
	v_and_b32_e32 v38, v38, v43
	s_wait_alu 0xf1ff
	v_xor_b32_e32 v37, s20, v40
	ds_load_b32 v47, v49 offset:16
	v_and_b32_e32 v38, v38, v39
	; wave barrier
	s_delay_alu instid0(VALU_DEP_1) | instskip(NEXT) | instid1(VALU_DEP_1)
	v_and_b32_e32 v37, v38, v37
	v_mbcnt_lo_u32_b32 v48, v37, 0
	v_cmp_ne_u32_e64 s20, 0, v37
	s_delay_alu instid0(VALU_DEP_2)
	v_cmp_eq_u32_e32 vcc_lo, 0, v48
	s_and_b32 s23, s20, vcc_lo
	s_wait_alu 0xfffe
	s_and_saveexec_b32 s20, s23
	s_cbranch_execz .LBB152_39
; %bb.38:                               ;   in Loop: Header=BB152_35 Depth=1
	s_wait_dscnt 0x0
	v_bcnt_u32_b32 v37, v37, v47
	ds_store_b32 v49, v37 offset:16
.LBB152_39:                             ;   in Loop: Header=BB152_35 Depth=1
	s_wait_alu 0xfffe
	s_or_b32 exec_lo, exec_lo, s20
	v_lshrrev_b64 v[37:38], v70, v[103:104]
	; wave barrier
	s_delay_alu instid0(VALU_DEP_1) | instskip(NEXT) | instid1(VALU_DEP_1)
	v_and_b32_e32 v37, s22, v37
	v_and_b32_e32 v38, 1, v37
	v_lshlrev_b32_e32 v39, 30, v37
	v_lshlrev_b32_e32 v40, 29, v37
	;; [unrolled: 1-line block ×4, first 2 shown]
	v_add_co_u32 v38, s20, v38, -1
	s_wait_alu 0xf1ff
	v_cndmask_b32_e64 v42, 0, 1, s20
	v_not_b32_e32 v51, v39
	v_cmp_gt_i32_e64 s20, 0, v39
	v_not_b32_e32 v39, v40
	v_lshlrev_b32_e32 v44, 26, v37
	v_cmp_ne_u32_e32 vcc_lo, 0, v42
	v_ashrrev_i32_e32 v51, 31, v51
	v_lshlrev_b32_e32 v50, 25, v37
	v_ashrrev_i32_e32 v39, 31, v39
	v_lshlrev_b32_e32 v42, 24, v37
	s_wait_alu 0xfffd
	v_xor_b32_e32 v38, vcc_lo, v38
	v_cmp_gt_i32_e32 vcc_lo, 0, v40
	v_not_b32_e32 v40, v41
	s_wait_alu 0xf1ff
	v_xor_b32_e32 v51, s20, v51
	v_cmp_gt_i32_e64 s20, 0, v41
	v_and_b32_e32 v38, exec_lo, v38
	v_not_b32_e32 v41, v43
	v_ashrrev_i32_e32 v40, 31, v40
	s_wait_alu 0xfffd
	v_xor_b32_e32 v39, vcc_lo, v39
	v_cmp_gt_i32_e32 vcc_lo, 0, v43
	v_and_b32_e32 v38, v38, v51
	v_not_b32_e32 v43, v44
	v_ashrrev_i32_e32 v41, 31, v41
	s_wait_alu 0xf1ff
	v_xor_b32_e32 v40, s20, v40
	v_cmp_gt_i32_e64 s20, 0, v44
	v_and_b32_e32 v38, v38, v39
	v_not_b32_e32 v39, v50
	v_ashrrev_i32_e32 v43, 31, v43
	s_wait_alu 0xfffd
	v_xor_b32_e32 v41, vcc_lo, v41
	v_cmp_gt_i32_e32 vcc_lo, 0, v50
	v_and_b32_e32 v38, v38, v40
	v_not_b32_e32 v40, v42
	v_ashrrev_i32_e32 v39, 31, v39
	s_wait_alu 0xf1ff
	v_xor_b32_e32 v43, s20, v43
	v_lshlrev_b32_e32 v37, 4, v37
	v_and_b32_e32 v38, v38, v41
	v_cmp_gt_i32_e64 s20, 0, v42
	v_ashrrev_i32_e32 v40, 31, v40
	s_wait_alu 0xfffd
	v_xor_b32_e32 v39, vcc_lo, v39
	v_add_nc_u32_e32 v52, v131, v37
	v_and_b32_e32 v38, v38, v43
	s_wait_alu 0xf1ff
	v_xor_b32_e32 v37, s20, v40
	ds_load_b32 v50, v52 offset:16
	v_and_b32_e32 v38, v38, v39
	; wave barrier
	s_delay_alu instid0(VALU_DEP_1) | instskip(NEXT) | instid1(VALU_DEP_1)
	v_and_b32_e32 v37, v38, v37
	v_mbcnt_lo_u32_b32 v51, v37, 0
	v_cmp_ne_u32_e64 s20, 0, v37
	s_delay_alu instid0(VALU_DEP_2)
	v_cmp_eq_u32_e32 vcc_lo, 0, v51
	s_and_b32 s23, s20, vcc_lo
	s_wait_alu 0xfffe
	s_and_saveexec_b32 s20, s23
	s_cbranch_execz .LBB152_41
; %bb.40:                               ;   in Loop: Header=BB152_35 Depth=1
	s_wait_dscnt 0x0
	v_bcnt_u32_b32 v37, v37, v50
	ds_store_b32 v52, v37 offset:16
.LBB152_41:                             ;   in Loop: Header=BB152_35 Depth=1
	s_wait_alu 0xfffe
	s_or_b32 exec_lo, exec_lo, s20
	v_lshrrev_b64 v[37:38], v70, v[101:102]
	; wave barrier
	s_delay_alu instid0(VALU_DEP_1) | instskip(NEXT) | instid1(VALU_DEP_1)
	v_and_b32_e32 v37, s22, v37
	v_and_b32_e32 v38, 1, v37
	v_lshlrev_b32_e32 v39, 30, v37
	v_lshlrev_b32_e32 v40, 29, v37
	;; [unrolled: 1-line block ×4, first 2 shown]
	v_add_co_u32 v38, s20, v38, -1
	s_wait_alu 0xf1ff
	v_cndmask_b32_e64 v42, 0, 1, s20
	v_not_b32_e32 v54, v39
	v_cmp_gt_i32_e64 s20, 0, v39
	v_not_b32_e32 v39, v40
	v_lshlrev_b32_e32 v44, 26, v37
	v_cmp_ne_u32_e32 vcc_lo, 0, v42
	v_ashrrev_i32_e32 v54, 31, v54
	v_lshlrev_b32_e32 v53, 25, v37
	v_ashrrev_i32_e32 v39, 31, v39
	v_lshlrev_b32_e32 v42, 24, v37
	s_wait_alu 0xfffd
	v_xor_b32_e32 v38, vcc_lo, v38
	v_cmp_gt_i32_e32 vcc_lo, 0, v40
	v_not_b32_e32 v40, v41
	s_wait_alu 0xf1ff
	v_xor_b32_e32 v54, s20, v54
	v_cmp_gt_i32_e64 s20, 0, v41
	v_and_b32_e32 v38, exec_lo, v38
	v_not_b32_e32 v41, v43
	v_ashrrev_i32_e32 v40, 31, v40
	s_wait_alu 0xfffd
	v_xor_b32_e32 v39, vcc_lo, v39
	v_cmp_gt_i32_e32 vcc_lo, 0, v43
	v_and_b32_e32 v38, v38, v54
	v_not_b32_e32 v43, v44
	v_ashrrev_i32_e32 v41, 31, v41
	s_wait_alu 0xf1ff
	v_xor_b32_e32 v40, s20, v40
	v_cmp_gt_i32_e64 s20, 0, v44
	v_and_b32_e32 v38, v38, v39
	v_not_b32_e32 v39, v53
	v_ashrrev_i32_e32 v43, 31, v43
	s_wait_alu 0xfffd
	v_xor_b32_e32 v41, vcc_lo, v41
	v_cmp_gt_i32_e32 vcc_lo, 0, v53
	v_and_b32_e32 v38, v38, v40
	v_not_b32_e32 v40, v42
	v_ashrrev_i32_e32 v39, 31, v39
	s_wait_alu 0xf1ff
	v_xor_b32_e32 v43, s20, v43
	v_lshlrev_b32_e32 v37, 4, v37
	v_and_b32_e32 v38, v38, v41
	v_cmp_gt_i32_e64 s20, 0, v42
	v_ashrrev_i32_e32 v40, 31, v40
	s_wait_alu 0xfffd
	v_xor_b32_e32 v39, vcc_lo, v39
	v_add_nc_u32_e32 v55, v131, v37
	v_and_b32_e32 v38, v38, v43
	s_wait_alu 0xf1ff
	v_xor_b32_e32 v37, s20, v40
	ds_load_b32 v53, v55 offset:16
	v_and_b32_e32 v38, v38, v39
	; wave barrier
	s_delay_alu instid0(VALU_DEP_1) | instskip(NEXT) | instid1(VALU_DEP_1)
	v_and_b32_e32 v37, v38, v37
	v_mbcnt_lo_u32_b32 v54, v37, 0
	v_cmp_ne_u32_e64 s20, 0, v37
	s_delay_alu instid0(VALU_DEP_2)
	v_cmp_eq_u32_e32 vcc_lo, 0, v54
	s_and_b32 s23, s20, vcc_lo
	s_wait_alu 0xfffe
	s_and_saveexec_b32 s20, s23
	s_cbranch_execz .LBB152_43
; %bb.42:                               ;   in Loop: Header=BB152_35 Depth=1
	s_wait_dscnt 0x0
	v_bcnt_u32_b32 v37, v37, v53
	ds_store_b32 v55, v37 offset:16
.LBB152_43:                             ;   in Loop: Header=BB152_35 Depth=1
	s_wait_alu 0xfffe
	s_or_b32 exec_lo, exec_lo, s20
	v_lshrrev_b64 v[37:38], v70, v[99:100]
	; wave barrier
	s_delay_alu instid0(VALU_DEP_1) | instskip(NEXT) | instid1(VALU_DEP_1)
	v_and_b32_e32 v37, s22, v37
	v_and_b32_e32 v38, 1, v37
	v_lshlrev_b32_e32 v39, 30, v37
	v_lshlrev_b32_e32 v40, 29, v37
	;; [unrolled: 1-line block ×4, first 2 shown]
	v_add_co_u32 v38, s20, v38, -1
	s_wait_alu 0xf1ff
	v_cndmask_b32_e64 v42, 0, 1, s20
	v_not_b32_e32 v57, v39
	v_cmp_gt_i32_e64 s20, 0, v39
	v_not_b32_e32 v39, v40
	v_lshlrev_b32_e32 v44, 26, v37
	v_cmp_ne_u32_e32 vcc_lo, 0, v42
	v_ashrrev_i32_e32 v57, 31, v57
	v_lshlrev_b32_e32 v56, 25, v37
	v_ashrrev_i32_e32 v39, 31, v39
	v_lshlrev_b32_e32 v42, 24, v37
	s_wait_alu 0xfffd
	v_xor_b32_e32 v38, vcc_lo, v38
	v_cmp_gt_i32_e32 vcc_lo, 0, v40
	v_not_b32_e32 v40, v41
	s_wait_alu 0xf1ff
	v_xor_b32_e32 v57, s20, v57
	v_cmp_gt_i32_e64 s20, 0, v41
	v_and_b32_e32 v38, exec_lo, v38
	v_not_b32_e32 v41, v43
	v_ashrrev_i32_e32 v40, 31, v40
	s_wait_alu 0xfffd
	v_xor_b32_e32 v39, vcc_lo, v39
	v_cmp_gt_i32_e32 vcc_lo, 0, v43
	v_and_b32_e32 v38, v38, v57
	v_not_b32_e32 v43, v44
	v_ashrrev_i32_e32 v41, 31, v41
	s_wait_alu 0xf1ff
	v_xor_b32_e32 v40, s20, v40
	v_cmp_gt_i32_e64 s20, 0, v44
	v_and_b32_e32 v38, v38, v39
	v_not_b32_e32 v39, v56
	v_ashrrev_i32_e32 v43, 31, v43
	s_wait_alu 0xfffd
	v_xor_b32_e32 v41, vcc_lo, v41
	v_cmp_gt_i32_e32 vcc_lo, 0, v56
	v_and_b32_e32 v38, v38, v40
	v_not_b32_e32 v40, v42
	v_ashrrev_i32_e32 v39, 31, v39
	s_wait_alu 0xf1ff
	v_xor_b32_e32 v43, s20, v43
	v_lshlrev_b32_e32 v37, 4, v37
	v_and_b32_e32 v38, v38, v41
	v_cmp_gt_i32_e64 s20, 0, v42
	v_ashrrev_i32_e32 v40, 31, v40
	s_wait_alu 0xfffd
	v_xor_b32_e32 v39, vcc_lo, v39
	v_add_nc_u32_e32 v58, v131, v37
	v_and_b32_e32 v38, v38, v43
	s_wait_alu 0xf1ff
	v_xor_b32_e32 v37, s20, v40
	ds_load_b32 v56, v58 offset:16
	v_and_b32_e32 v38, v38, v39
	; wave barrier
	s_delay_alu instid0(VALU_DEP_1) | instskip(NEXT) | instid1(VALU_DEP_1)
	v_and_b32_e32 v37, v38, v37
	v_mbcnt_lo_u32_b32 v57, v37, 0
	v_cmp_ne_u32_e64 s20, 0, v37
	s_delay_alu instid0(VALU_DEP_2)
	v_cmp_eq_u32_e32 vcc_lo, 0, v57
	s_and_b32 s23, s20, vcc_lo
	s_wait_alu 0xfffe
	s_and_saveexec_b32 s20, s23
	s_cbranch_execz .LBB152_45
; %bb.44:                               ;   in Loop: Header=BB152_35 Depth=1
	s_wait_dscnt 0x0
	v_bcnt_u32_b32 v37, v37, v56
	ds_store_b32 v58, v37 offset:16
.LBB152_45:                             ;   in Loop: Header=BB152_35 Depth=1
	s_wait_alu 0xfffe
	s_or_b32 exec_lo, exec_lo, s20
	v_lshrrev_b64 v[37:38], v70, v[81:82]
	; wave barrier
	s_delay_alu instid0(VALU_DEP_1) | instskip(NEXT) | instid1(VALU_DEP_1)
	v_and_b32_e32 v37, s22, v37
	v_and_b32_e32 v38, 1, v37
	v_lshlrev_b32_e32 v39, 30, v37
	v_lshlrev_b32_e32 v40, 29, v37
	;; [unrolled: 1-line block ×4, first 2 shown]
	v_add_co_u32 v38, s20, v38, -1
	s_wait_alu 0xf1ff
	v_cndmask_b32_e64 v42, 0, 1, s20
	v_not_b32_e32 v60, v39
	v_cmp_gt_i32_e64 s20, 0, v39
	v_not_b32_e32 v39, v40
	v_lshlrev_b32_e32 v44, 26, v37
	v_cmp_ne_u32_e32 vcc_lo, 0, v42
	v_ashrrev_i32_e32 v60, 31, v60
	v_lshlrev_b32_e32 v59, 25, v37
	v_ashrrev_i32_e32 v39, 31, v39
	v_lshlrev_b32_e32 v42, 24, v37
	s_wait_alu 0xfffd
	v_xor_b32_e32 v38, vcc_lo, v38
	v_cmp_gt_i32_e32 vcc_lo, 0, v40
	v_not_b32_e32 v40, v41
	s_wait_alu 0xf1ff
	v_xor_b32_e32 v60, s20, v60
	v_cmp_gt_i32_e64 s20, 0, v41
	v_and_b32_e32 v38, exec_lo, v38
	v_not_b32_e32 v41, v43
	v_ashrrev_i32_e32 v40, 31, v40
	s_wait_alu 0xfffd
	v_xor_b32_e32 v39, vcc_lo, v39
	v_cmp_gt_i32_e32 vcc_lo, 0, v43
	v_and_b32_e32 v38, v38, v60
	v_not_b32_e32 v43, v44
	v_ashrrev_i32_e32 v41, 31, v41
	s_wait_alu 0xf1ff
	v_xor_b32_e32 v40, s20, v40
	v_cmp_gt_i32_e64 s20, 0, v44
	v_and_b32_e32 v38, v38, v39
	v_not_b32_e32 v39, v59
	v_ashrrev_i32_e32 v43, 31, v43
	s_wait_alu 0xfffd
	v_xor_b32_e32 v41, vcc_lo, v41
	v_cmp_gt_i32_e32 vcc_lo, 0, v59
	v_and_b32_e32 v38, v38, v40
	v_not_b32_e32 v40, v42
	v_ashrrev_i32_e32 v39, 31, v39
	s_wait_alu 0xf1ff
	v_xor_b32_e32 v43, s20, v43
	v_lshlrev_b32_e32 v37, 4, v37
	v_and_b32_e32 v38, v38, v41
	v_cmp_gt_i32_e64 s20, 0, v42
	v_ashrrev_i32_e32 v40, 31, v40
	s_wait_alu 0xfffd
	v_xor_b32_e32 v39, vcc_lo, v39
	v_add_nc_u32_e32 v61, v131, v37
	v_and_b32_e32 v38, v38, v43
	s_wait_alu 0xf1ff
	v_xor_b32_e32 v37, s20, v40
	ds_load_b32 v59, v61 offset:16
	v_and_b32_e32 v38, v38, v39
	; wave barrier
	s_delay_alu instid0(VALU_DEP_1) | instskip(NEXT) | instid1(VALU_DEP_1)
	v_and_b32_e32 v37, v38, v37
	v_mbcnt_lo_u32_b32 v60, v37, 0
	v_cmp_ne_u32_e64 s20, 0, v37
	s_delay_alu instid0(VALU_DEP_2)
	v_cmp_eq_u32_e32 vcc_lo, 0, v60
	s_and_b32 s23, s20, vcc_lo
	s_wait_alu 0xfffe
	s_and_saveexec_b32 s20, s23
	s_cbranch_execz .LBB152_47
; %bb.46:                               ;   in Loop: Header=BB152_35 Depth=1
	s_wait_dscnt 0x0
	v_bcnt_u32_b32 v37, v37, v59
	ds_store_b32 v61, v37 offset:16
.LBB152_47:                             ;   in Loop: Header=BB152_35 Depth=1
	s_wait_alu 0xfffe
	s_or_b32 exec_lo, exec_lo, s20
	v_lshrrev_b64 v[37:38], v70, v[79:80]
	; wave barrier
	s_delay_alu instid0(VALU_DEP_1) | instskip(NEXT) | instid1(VALU_DEP_1)
	v_and_b32_e32 v37, s22, v37
	v_and_b32_e32 v38, 1, v37
	v_lshlrev_b32_e32 v39, 30, v37
	v_lshlrev_b32_e32 v40, 29, v37
	;; [unrolled: 1-line block ×4, first 2 shown]
	v_add_co_u32 v38, s20, v38, -1
	s_wait_alu 0xf1ff
	v_cndmask_b32_e64 v42, 0, 1, s20
	v_not_b32_e32 v63, v39
	v_cmp_gt_i32_e64 s20, 0, v39
	v_not_b32_e32 v39, v40
	v_lshlrev_b32_e32 v44, 26, v37
	v_cmp_ne_u32_e32 vcc_lo, 0, v42
	v_ashrrev_i32_e32 v63, 31, v63
	v_lshlrev_b32_e32 v62, 25, v37
	v_ashrrev_i32_e32 v39, 31, v39
	v_lshlrev_b32_e32 v42, 24, v37
	s_wait_alu 0xfffd
	v_xor_b32_e32 v38, vcc_lo, v38
	v_cmp_gt_i32_e32 vcc_lo, 0, v40
	v_not_b32_e32 v40, v41
	s_wait_alu 0xf1ff
	v_xor_b32_e32 v63, s20, v63
	v_cmp_gt_i32_e64 s20, 0, v41
	v_and_b32_e32 v38, exec_lo, v38
	v_not_b32_e32 v41, v43
	v_ashrrev_i32_e32 v40, 31, v40
	s_wait_alu 0xfffd
	v_xor_b32_e32 v39, vcc_lo, v39
	v_cmp_gt_i32_e32 vcc_lo, 0, v43
	v_and_b32_e32 v38, v38, v63
	v_not_b32_e32 v43, v44
	v_ashrrev_i32_e32 v41, 31, v41
	s_wait_alu 0xf1ff
	v_xor_b32_e32 v40, s20, v40
	v_cmp_gt_i32_e64 s20, 0, v44
	v_and_b32_e32 v38, v38, v39
	v_not_b32_e32 v39, v62
	v_ashrrev_i32_e32 v43, 31, v43
	s_wait_alu 0xfffd
	v_xor_b32_e32 v41, vcc_lo, v41
	v_cmp_gt_i32_e32 vcc_lo, 0, v62
	v_and_b32_e32 v38, v38, v40
	v_not_b32_e32 v40, v42
	v_ashrrev_i32_e32 v39, 31, v39
	s_wait_alu 0xf1ff
	v_xor_b32_e32 v43, s20, v43
	v_lshlrev_b32_e32 v37, 4, v37
	v_and_b32_e32 v38, v38, v41
	v_cmp_gt_i32_e64 s20, 0, v42
	v_ashrrev_i32_e32 v40, 31, v40
	s_wait_alu 0xfffd
	v_xor_b32_e32 v39, vcc_lo, v39
	v_add_nc_u32_e32 v64, v131, v37
	v_and_b32_e32 v38, v38, v43
	s_wait_alu 0xf1ff
	v_xor_b32_e32 v37, s20, v40
	ds_load_b32 v62, v64 offset:16
	v_and_b32_e32 v38, v38, v39
	; wave barrier
	s_delay_alu instid0(VALU_DEP_1) | instskip(NEXT) | instid1(VALU_DEP_1)
	v_and_b32_e32 v37, v38, v37
	v_mbcnt_lo_u32_b32 v63, v37, 0
	v_cmp_ne_u32_e64 s20, 0, v37
	s_delay_alu instid0(VALU_DEP_2)
	v_cmp_eq_u32_e32 vcc_lo, 0, v63
	s_and_b32 s23, s20, vcc_lo
	s_wait_alu 0xfffe
	s_and_saveexec_b32 s20, s23
	s_cbranch_execz .LBB152_49
; %bb.48:                               ;   in Loop: Header=BB152_35 Depth=1
	s_wait_dscnt 0x0
	v_bcnt_u32_b32 v37, v37, v62
	ds_store_b32 v64, v37 offset:16
.LBB152_49:                             ;   in Loop: Header=BB152_35 Depth=1
	s_wait_alu 0xfffe
	s_or_b32 exec_lo, exec_lo, s20
	v_lshrrev_b64 v[37:38], v70, v[77:78]
	; wave barrier
	s_delay_alu instid0(VALU_DEP_1) | instskip(NEXT) | instid1(VALU_DEP_1)
	v_and_b32_e32 v37, s22, v37
	v_and_b32_e32 v38, 1, v37
	v_lshlrev_b32_e32 v39, 30, v37
	v_lshlrev_b32_e32 v40, 29, v37
	v_lshlrev_b32_e32 v41, 28, v37
	v_lshlrev_b32_e32 v43, 27, v37
	v_add_co_u32 v38, s20, v38, -1
	s_wait_alu 0xf1ff
	v_cndmask_b32_e64 v42, 0, 1, s20
	v_not_b32_e32 v66, v39
	v_cmp_gt_i32_e64 s20, 0, v39
	v_not_b32_e32 v39, v40
	v_lshlrev_b32_e32 v44, 26, v37
	v_cmp_ne_u32_e32 vcc_lo, 0, v42
	v_ashrrev_i32_e32 v66, 31, v66
	v_lshlrev_b32_e32 v65, 25, v37
	v_ashrrev_i32_e32 v39, 31, v39
	v_lshlrev_b32_e32 v42, 24, v37
	s_wait_alu 0xfffd
	v_xor_b32_e32 v38, vcc_lo, v38
	v_cmp_gt_i32_e32 vcc_lo, 0, v40
	v_not_b32_e32 v40, v41
	s_wait_alu 0xf1ff
	v_xor_b32_e32 v66, s20, v66
	v_cmp_gt_i32_e64 s20, 0, v41
	v_and_b32_e32 v38, exec_lo, v38
	v_not_b32_e32 v41, v43
	v_ashrrev_i32_e32 v40, 31, v40
	s_wait_alu 0xfffd
	v_xor_b32_e32 v39, vcc_lo, v39
	v_cmp_gt_i32_e32 vcc_lo, 0, v43
	v_and_b32_e32 v38, v38, v66
	v_not_b32_e32 v43, v44
	v_ashrrev_i32_e32 v41, 31, v41
	s_wait_alu 0xf1ff
	v_xor_b32_e32 v40, s20, v40
	v_cmp_gt_i32_e64 s20, 0, v44
	v_and_b32_e32 v38, v38, v39
	v_not_b32_e32 v39, v65
	v_ashrrev_i32_e32 v43, 31, v43
	s_wait_alu 0xfffd
	v_xor_b32_e32 v41, vcc_lo, v41
	v_cmp_gt_i32_e32 vcc_lo, 0, v65
	v_and_b32_e32 v38, v38, v40
	v_not_b32_e32 v40, v42
	v_ashrrev_i32_e32 v39, 31, v39
	s_wait_alu 0xf1ff
	v_xor_b32_e32 v43, s20, v43
	v_lshlrev_b32_e32 v37, 4, v37
	v_and_b32_e32 v38, v38, v41
	v_cmp_gt_i32_e64 s20, 0, v42
	v_ashrrev_i32_e32 v40, 31, v40
	s_wait_alu 0xfffd
	v_xor_b32_e32 v39, vcc_lo, v39
	v_add_nc_u32_e32 v67, v131, v37
	v_and_b32_e32 v38, v38, v43
	s_wait_alu 0xf1ff
	v_xor_b32_e32 v37, s20, v40
	ds_load_b32 v65, v67 offset:16
	v_and_b32_e32 v38, v38, v39
	; wave barrier
	s_delay_alu instid0(VALU_DEP_1) | instskip(NEXT) | instid1(VALU_DEP_1)
	v_and_b32_e32 v37, v38, v37
	v_mbcnt_lo_u32_b32 v66, v37, 0
	v_cmp_ne_u32_e64 s20, 0, v37
	s_delay_alu instid0(VALU_DEP_2)
	v_cmp_eq_u32_e32 vcc_lo, 0, v66
	s_and_b32 s22, s20, vcc_lo
	s_wait_alu 0xfffe
	s_and_saveexec_b32 s20, s22
	s_cbranch_execz .LBB152_51
; %bb.50:                               ;   in Loop: Header=BB152_35 Depth=1
	s_wait_dscnt 0x0
	v_bcnt_u32_b32 v37, v37, v65
	ds_store_b32 v67, v37 offset:16
.LBB152_51:                             ;   in Loop: Header=BB152_35 Depth=1
	s_wait_alu 0xfffe
	s_or_b32 exec_lo, exec_lo, s20
	; wave barrier
	s_wait_loadcnt_dscnt 0x0
	s_barrier_signal -1
	s_barrier_wait -1
	global_inv scope:SCOPE_SE
	ds_load_b128 v[41:44], v116 offset:16
	ds_load_b128 v[37:40], v116 offset:32
	s_wait_dscnt 0x1
	v_add_nc_u32_e32 v68, v42, v41
	s_delay_alu instid0(VALU_DEP_1) | instskip(SKIP_1) | instid1(VALU_DEP_1)
	v_add3_u32 v68, v68, v43, v44
	s_wait_dscnt 0x0
	v_add3_u32 v68, v68, v37, v38
	s_delay_alu instid0(VALU_DEP_1) | instskip(NEXT) | instid1(VALU_DEP_1)
	v_add3_u32 v40, v68, v39, v40
	v_mov_b32_dpp v68, v40 row_shr:1 row_mask:0xf bank_mask:0xf
	s_delay_alu instid0(VALU_DEP_1) | instskip(NEXT) | instid1(VALU_DEP_1)
	v_cndmask_b32_e64 v68, v68, 0, s12
	v_add_nc_u32_e32 v40, v68, v40
	s_delay_alu instid0(VALU_DEP_1) | instskip(NEXT) | instid1(VALU_DEP_1)
	v_mov_b32_dpp v68, v40 row_shr:2 row_mask:0xf bank_mask:0xf
	v_cndmask_b32_e64 v68, 0, v68, s13
	s_delay_alu instid0(VALU_DEP_1) | instskip(NEXT) | instid1(VALU_DEP_1)
	v_add_nc_u32_e32 v40, v40, v68
	v_mov_b32_dpp v68, v40 row_shr:4 row_mask:0xf bank_mask:0xf
	s_delay_alu instid0(VALU_DEP_1) | instskip(NEXT) | instid1(VALU_DEP_1)
	v_cndmask_b32_e64 v68, 0, v68, s14
	v_add_nc_u32_e32 v40, v40, v68
	s_delay_alu instid0(VALU_DEP_1) | instskip(NEXT) | instid1(VALU_DEP_1)
	v_mov_b32_dpp v68, v40 row_shr:8 row_mask:0xf bank_mask:0xf
	v_cndmask_b32_e64 v68, 0, v68, s15
	s_delay_alu instid0(VALU_DEP_1) | instskip(SKIP_3) | instid1(VALU_DEP_1)
	v_add_nc_u32_e32 v40, v40, v68
	ds_swizzle_b32 v68, v40 offset:swizzle(BROADCAST,32,15)
	s_wait_dscnt 0x0
	v_cndmask_b32_e64 v68, v68, 0, s16
	v_add_nc_u32_e32 v40, v40, v68
	s_and_saveexec_b32 s20, s17
; %bb.52:                               ;   in Loop: Header=BB152_35 Depth=1
	ds_store_b32 v117, v40
; %bb.53:                               ;   in Loop: Header=BB152_35 Depth=1
	s_wait_alu 0xfffe
	s_or_b32 exec_lo, exec_lo, s20
	s_wait_loadcnt_dscnt 0x0
	s_barrier_signal -1
	s_barrier_wait -1
	global_inv scope:SCOPE_SE
	s_and_saveexec_b32 s20, s1
	s_cbranch_execz .LBB152_55
; %bb.54:                               ;   in Loop: Header=BB152_35 Depth=1
	ds_load_b32 v68, v132
	s_wait_dscnt 0x0
	v_mov_b32_dpp v133, v68 row_shr:1 row_mask:0xf bank_mask:0xf
	s_delay_alu instid0(VALU_DEP_1) | instskip(NEXT) | instid1(VALU_DEP_1)
	v_cndmask_b32_e64 v133, v133, 0, s18
	v_add_nc_u32_e32 v68, v133, v68
	s_delay_alu instid0(VALU_DEP_1) | instskip(NEXT) | instid1(VALU_DEP_1)
	v_mov_b32_dpp v133, v68 row_shr:2 row_mask:0xf bank_mask:0xf
	v_cndmask_b32_e64 v133, 0, v133, s19
	s_delay_alu instid0(VALU_DEP_1)
	v_add_nc_u32_e32 v68, v68, v133
	ds_store_b32 v132, v68
.LBB152_55:                             ;   in Loop: Header=BB152_35 Depth=1
	s_wait_alu 0xfffe
	s_or_b32 exec_lo, exec_lo, s20
	v_mov_b32_e32 v68, 0
	s_wait_loadcnt_dscnt 0x0
	s_barrier_signal -1
	s_barrier_wait -1
	global_inv scope:SCOPE_SE
	s_and_saveexec_b32 s20, s9
; %bb.56:                               ;   in Loop: Header=BB152_35 Depth=1
	ds_load_b32 v68, v129
; %bb.57:                               ;   in Loop: Header=BB152_35 Depth=1
	s_wait_alu 0xfffe
	s_or_b32 exec_lo, exec_lo, s20
	s_wait_dscnt 0x0
	v_add_nc_u32_e32 v40, v68, v40
	v_cmp_lt_u32_e32 vcc_lo, 55, v70
	s_mov_b32 s20, -1
	ds_bpermute_b32 v40, v128, v40
	s_and_b32 vcc_lo, exec_lo, vcc_lo
	s_wait_dscnt 0x0
	v_cndmask_b32_e64 v40, v40, v68, s11
	s_delay_alu instid0(VALU_DEP_1) | instskip(NEXT) | instid1(VALU_DEP_1)
	v_cndmask_b32_e64 v40, v40, 0, s10
	v_add_nc_u32_e32 v41, v40, v41
	s_delay_alu instid0(VALU_DEP_1) | instskip(NEXT) | instid1(VALU_DEP_1)
	v_add_nc_u32_e32 v42, v41, v42
	v_add_nc_u32_e32 v43, v42, v43
	s_delay_alu instid0(VALU_DEP_1) | instskip(NEXT) | instid1(VALU_DEP_1)
	v_add_nc_u32_e32 v133, v43, v44
	;; [unrolled: 3-line block ×3, first 2 shown]
	v_add_nc_u32_e32 v136, v135, v39
	ds_store_b128 v116, v[40:43] offset:16
	ds_store_b128 v116, v[133:136] offset:32
	s_wait_loadcnt_dscnt 0x0
	s_barrier_signal -1
	s_barrier_wait -1
	global_inv scope:SCOPE_SE
	ds_load_b32 v37, v46 offset:16
	ds_load_b32 v38, v49 offset:16
	;; [unrolled: 1-line block ×8, first 2 shown]
	s_wait_dscnt 0x7
	v_add_nc_u32_e32 v140, v37, v45
	s_wait_dscnt 0x6
	v_add3_u32 v139, v48, v47, v38
	s_wait_dscnt 0x5
	v_add3_u32 v138, v51, v50, v39
	;; [unrolled: 2-line block ×7, first 2 shown]
                                        ; implicit-def: $vgpr67_vgpr68
                                        ; implicit-def: $vgpr47_vgpr48
                                        ; implicit-def: $vgpr43_vgpr44
                                        ; implicit-def: $vgpr39_vgpr40
                                        ; implicit-def: $vgpr63_vgpr64
                                        ; implicit-def: $vgpr59_vgpr60
                                        ; implicit-def: $vgpr55_vgpr56
                                        ; implicit-def: $vgpr51_vgpr52
	s_wait_alu 0xfffe
	s_cbranch_vccnz .LBB152_34
; %bb.58:                               ;   in Loop: Header=BB152_35 Depth=1
	v_lshlrev_b32_e32 v49, 3, v140
	v_lshlrev_b32_e32 v52, 3, v137
	;; [unrolled: 1-line block ×8, first 2 shown]
	s_wait_loadcnt 0x0
	s_barrier_signal -1
	s_barrier_wait -1
	global_inv scope:SCOPE_SE
	ds_store_b64 v49, v[75:76]
	ds_store_b64 v50, v[105:106]
	;; [unrolled: 1-line block ×8, first 2 shown]
	s_wait_loadcnt_dscnt 0x0
	s_barrier_signal -1
	s_barrier_wait -1
	global_inv scope:SCOPE_SE
	ds_load_2addr_b64 v[37:40], v130 offset1:32
	ds_load_2addr_b64 v[41:44], v130 offset0:64 offset1:96
	ds_load_2addr_b64 v[45:48], v130 offset0:128 offset1:160
	;; [unrolled: 1-line block ×3, first 2 shown]
	s_wait_loadcnt_dscnt 0x0
	s_barrier_signal -1
	s_barrier_wait -1
	global_inv scope:SCOPE_SE
	ds_store_b64 v49, v[97:98]
	ds_store_b64 v50, v[95:96]
	;; [unrolled: 1-line block ×8, first 2 shown]
	s_wait_loadcnt_dscnt 0x0
	s_barrier_signal -1
	s_barrier_wait -1
	global_inv scope:SCOPE_SE
	ds_load_2addr_b64 v[49:52], v130 offset1:32
	ds_load_2addr_b64 v[53:56], v130 offset0:64 offset1:96
	ds_load_2addr_b64 v[57:60], v130 offset0:128 offset1:160
	;; [unrolled: 1-line block ×3, first 2 shown]
	v_add_co_u32 v70, vcc_lo, v70, 8
	s_wait_alu 0xfffd
	v_add_co_ci_u32_e64 v71, null, 0, v71, vcc_lo
	s_add_co_i32 s21, s21, -8
	s_mov_b32 s20, 0
	s_wait_loadcnt_dscnt 0x0
	s_barrier_signal -1
	s_barrier_wait -1
	global_inv scope:SCOPE_SE
	s_branch .LBB152_34
.LBB152_59:
	v_lshlrev_b64_e32 v[17:18], 3, v[69:70]
	v_mov_b32_e32 v71, v70
	v_dual_mov_b32 v19, v70 :: v_dual_mov_b32 v22, v70
	v_dual_mov_b32 v21, v70 :: v_dual_mov_b32 v24, v70
	s_wait_alu 0xfffe
	s_delay_alu instid0(VALU_DEP_4)
	v_add_co_u32 v17, vcc_lo, s24, v17
	s_wait_alu 0xfffd
	v_add_co_ci_u32_e64 v18, null, s25, v18, vcc_lo
	v_dual_mov_b32 v23, v70 :: v_dual_mov_b32 v26, v70
	v_dual_mov_b32 v25, v70 :: v_dual_mov_b32 v30, v70
	global_load_b64 v[27:28], v[17:18], off
	v_dual_mov_b32 v17, v70 :: v_dual_mov_b32 v20, v70
	v_dual_mov_b32 v18, v70 :: v_dual_mov_b32 v29, v70
	s_or_b32 exec_lo, exec_lo, s1
	s_and_saveexec_b32 s1, s3
	s_cbranch_execz .LBB152_25
.LBB152_60:
	v_mul_lo_u32 v39, s28, v31
	v_mov_b32_e32 v40, 0
	s_delay_alu instid0(VALU_DEP_1) | instskip(SKIP_1) | instid1(VALU_DEP_1)
	v_lshlrev_b64_e32 v[39:40], 3, v[39:40]
	s_wait_alu 0xfffe
	v_add_co_u32 v39, vcc_lo, s24, v39
	s_wait_alu 0xfffd
	s_delay_alu instid0(VALU_DEP_2)
	v_add_co_ci_u32_e64 v40, null, s25, v40, vcc_lo
	global_load_b64 v[70:71], v[39:40], off
	s_or_b32 exec_lo, exec_lo, s1
	s_and_saveexec_b32 s1, s4
	s_cbranch_execz .LBB152_26
.LBB152_61:
	v_mul_lo_u32 v17, s28, v32
	v_mov_b32_e32 v18, 0
	s_delay_alu instid0(VALU_DEP_1) | instskip(SKIP_1) | instid1(VALU_DEP_1)
	v_lshlrev_b64_e32 v[17:18], 3, v[17:18]
	s_wait_alu 0xfffe
	v_add_co_u32 v17, vcc_lo, s24, v17
	s_wait_alu 0xfffd
	s_delay_alu instid0(VALU_DEP_2)
	v_add_co_ci_u32_e64 v18, null, s25, v18, vcc_lo
	global_load_b64 v[17:18], v[17:18], off
	s_or_b32 exec_lo, exec_lo, s1
	s_and_saveexec_b32 s1, s5
	s_cbranch_execz .LBB152_27
.LBB152_62:
	v_mul_lo_u32 v19, s28, v34
	v_mov_b32_e32 v20, 0
	s_delay_alu instid0(VALU_DEP_1) | instskip(SKIP_1) | instid1(VALU_DEP_1)
	v_lshlrev_b64_e32 v[19:20], 3, v[19:20]
	s_wait_alu 0xfffe
	v_add_co_u32 v19, vcc_lo, s24, v19
	s_wait_alu 0xfffd
	s_delay_alu instid0(VALU_DEP_2)
	v_add_co_ci_u32_e64 v20, null, s25, v20, vcc_lo
	global_load_b64 v[19:20], v[19:20], off
	s_or_b32 exec_lo, exec_lo, s1
	s_and_saveexec_b32 s1, s6
	s_cbranch_execz .LBB152_28
.LBB152_63:
	v_mul_lo_u32 v21, s28, v35
	v_mov_b32_e32 v22, 0
	s_delay_alu instid0(VALU_DEP_1) | instskip(SKIP_1) | instid1(VALU_DEP_1)
	v_lshlrev_b64_e32 v[21:22], 3, v[21:22]
	s_wait_alu 0xfffe
	v_add_co_u32 v21, vcc_lo, s24, v21
	s_wait_alu 0xfffd
	s_delay_alu instid0(VALU_DEP_2)
	v_add_co_ci_u32_e64 v22, null, s25, v22, vcc_lo
	global_load_b64 v[21:22], v[21:22], off
	s_or_b32 exec_lo, exec_lo, s1
	s_and_saveexec_b32 s1, s7
	s_cbranch_execz .LBB152_29
.LBB152_64:
	v_mul_lo_u32 v23, s28, v36
	v_mov_b32_e32 v24, 0
	s_delay_alu instid0(VALU_DEP_1) | instskip(SKIP_1) | instid1(VALU_DEP_1)
	v_lshlrev_b64_e32 v[23:24], 3, v[23:24]
	s_wait_alu 0xfffe
	v_add_co_u32 v23, vcc_lo, s24, v23
	s_wait_alu 0xfffd
	s_delay_alu instid0(VALU_DEP_2)
	v_add_co_ci_u32_e64 v24, null, s25, v24, vcc_lo
	global_load_b64 v[23:24], v[23:24], off
	s_or_b32 exec_lo, exec_lo, s1
	s_and_saveexec_b32 s1, s8
	s_cbranch_execz .LBB152_30
.LBB152_65:
	v_mul_lo_u32 v25, s28, v37
	v_mov_b32_e32 v26, 0
	s_delay_alu instid0(VALU_DEP_1) | instskip(SKIP_1) | instid1(VALU_DEP_1)
	v_lshlrev_b64_e32 v[25:26], 3, v[25:26]
	s_wait_alu 0xfffe
	v_add_co_u32 v25, vcc_lo, s24, v25
	s_wait_alu 0xfffd
	s_delay_alu instid0(VALU_DEP_2)
	v_add_co_ci_u32_e64 v26, null, s25, v26, vcc_lo
	global_load_b64 v[25:26], v[25:26], off
	s_or_b32 exec_lo, exec_lo, s1
	s_xor_b32 s1, s20, -1
	s_and_saveexec_b32 s9, s0
	s_cbranch_execnz .LBB152_31
	s_branch .LBB152_32
.LBB152_66:
	v_lshlrev_b32_e32 v33, 3, v140
	v_lshlrev_b32_e32 v36, 3, v137
	v_lshlrev_b32_e32 v65, 3, v73
	v_lshlrev_b32_e32 v34, 3, v139
	v_lshlrev_b32_e32 v37, 3, v136
	v_lshlrev_b32_e32 v35, 3, v138
	v_lshlrev_b32_e32 v38, 3, v135
	v_lshlrev_b32_e32 v39, 3, v134
	v_lshlrev_b32_e32 v40, 3, v133
	s_wait_loadcnt 0x0
	s_barrier_signal -1
	s_barrier_wait -1
	global_inv scope:SCOPE_SE
	ds_store_b64 v33, v[75:76]
	ds_store_b64 v34, v[105:106]
	;; [unrolled: 1-line block ×8, first 2 shown]
	s_wait_loadcnt_dscnt 0x0
	s_barrier_signal -1
	s_barrier_wait -1
	global_inv scope:SCOPE_SE
	ds_load_b128 v[49:52], v65
	ds_load_b128 v[53:56], v65 offset:16
	ds_load_b128 v[57:60], v65 offset:32
	;; [unrolled: 1-line block ×3, first 2 shown]
	s_wait_loadcnt_dscnt 0x0
	s_barrier_signal -1
	s_barrier_wait -1
	global_inv scope:SCOPE_SE
	ds_store_b64 v33, v[97:98]
	ds_store_b64 v34, v[95:96]
	;; [unrolled: 1-line block ×8, first 2 shown]
	s_wait_loadcnt_dscnt 0x0
	s_barrier_signal -1
	s_barrier_wait -1
	global_inv scope:SCOPE_SE
	ds_load_b128 v[45:48], v65
	ds_load_b128 v[41:44], v65 offset:16
	ds_load_b128 v[37:40], v65 offset:32
	;; [unrolled: 1-line block ×3, first 2 shown]
	s_mov_b32 s11, 0
	v_xor_b32_e32 v50, 0x80000000, v50
	v_xor_b32_e32 v52, 0x80000000, v52
	v_xor_b32_e32 v54, 0x80000000, v54
	v_xor_b32_e32 v56, 0x80000000, v56
	v_xor_b32_e32 v58, 0x80000000, v58
	v_xor_b32_e32 v60, 0x80000000, v60
	v_xor_b32_e32 v62, 0x80000000, v62
	v_xor_b32_e32 v64, 0x80000000, v64
.LBB152_67:
	s_wait_alu 0xfffe
	s_and_b32 vcc_lo, exec_lo, s11
	s_wait_alu 0xfffe
	s_cbranch_vccz .LBB152_95
; %bb.68:
	v_xor_b32_e32 v14, 0x7fffffff, v14
	v_xor_b32_e32 v13, -1, v13
	v_xor_b32_e32 v16, 0x7fffffff, v16
	v_xor_b32_e32 v15, -1, v15
	;; [unrolled: 2-line block ×8, first 2 shown]
	ds_store_b128 v127, v[13:16]
	ds_store_b128 v127, v[9:12] offset:16
	ds_store_b128 v127, v[5:8] offset:32
	;; [unrolled: 1-line block ×3, first 2 shown]
	; wave barrier
	ds_load_2addr_b64 v[4:7], v126 offset1:32
	ds_load_2addr_b64 v[8:11], v126 offset0:64 offset1:96
	ds_load_2addr_b64 v[12:15], v126 offset0:128 offset1:160
	s_wait_dscnt 0x7
	ds_load_2addr_b64 v[33:36], v126 offset0:192 offset1:224
	; wave barrier
	ds_store_b128 v127, v[21:24]
	ds_store_b128 v127, v[17:20] offset:16
	ds_store_b128 v127, v[29:32] offset:32
	;; [unrolled: 1-line block ×3, first 2 shown]
	; wave barrier
	ds_load_2addr_b64 v[16:19], v126 offset1:32
	ds_load_2addr_b64 v[20:23], v126 offset0:64 offset1:96
	ds_load_2addr_b64 v[24:27], v126 offset0:128 offset1:160
	;; [unrolled: 1-line block ×3, first 2 shown]
	s_wait_loadcnt_dscnt 0x0
	s_barrier_signal -1
	s_barrier_wait -1
	global_inv scope:SCOPE_SE
	s_load_b32 s1, s[34:35], 0xc
	s_getpc_b64 s[10:11]
	s_wait_alu 0xfffe
	s_sext_i32_i16 s11, s11
	s_add_co_u32 s10, s10, _ZN7rocprim17ROCPRIM_400000_NS16block_radix_sortIlLj128ELj8ElLj1ELj1ELj0ELNS0_26block_radix_rank_algorithmE1ELNS0_18block_padding_hintE2ELNS0_4arch9wavefront6targetE0EE19radix_bits_per_passE@rel32@lo+12
	s_wait_alu 0xfffe
	s_add_co_ci_u32 s11, s11, _ZN7rocprim17ROCPRIM_400000_NS16block_radix_sortIlLj128ELj8ElLj1ELj1ELj0ELNS0_26block_radix_rank_algorithmE1ELNS0_18block_padding_hintE2ELNS0_4arch9wavefront6targetE0EE19radix_bits_per_passE@rel32@hi+24
	v_or_b32_e32 v3, 31, v123
	s_load_b32 s21, s[10:11], 0x0
	s_mov_b32 s36, 0
	v_cmp_lt_u32_e64 s10, 1, v122
	s_mov_b32 s37, s36
	s_mov_b32 s38, s36
	;; [unrolled: 1-line block ×3, first 2 shown]
	v_cmp_eq_u32_e64 s14, v74, v3
	v_cmp_lt_u32_e64 s11, 3, v122
	v_cmp_lt_u32_e64 s12, 7, v122
	v_mov_b32_e32 v37, 0
	v_cmp_eq_u32_e64 s13, 0, v121
	v_cmp_gt_u32_e64 s15, 4, v74
	v_cmp_lt_u32_e64 s16, 31, v74
	v_cmp_eq_u32_e64 s17, 0, v74
	v_cmp_eq_u32_e64 s18, 0, v120
	v_cmp_lt_u32_e64 s19, 1, v120
	v_dual_mov_b32 v38, 0 :: v_dual_add_nc_u32 v77, v116, v119
	s_wait_kmcnt 0x0
	s_lshr_b32 s9, s1, 16
	s_and_b32 s1, s1, 0xffff
	s_wait_alu 0xfffe
	v_mad_u32_u24 v1, v125, s9, v124
	s_mov_b32 s22, 64
	s_delay_alu instid0(VALU_DEP_1) | instskip(SKIP_4) | instid1(VALU_DEP_4)
	v_mad_co_u64_u32 v[1:2], null, v1, s1, v[74:75]
	v_sub_co_u32 v2, s9, v118, 1
	v_lshl_add_u32 v75, v118, 3, v0
	v_cmp_eq_u32_e64 s1, 0, v122
	v_add_nc_u32_e32 v74, -4, v117
	v_cmp_gt_i32_e32 vcc_lo, 0, v2
	v_lshrrev_b32_e32 v1, 3, v1
	s_wait_alu 0xfffd
	v_cndmask_b32_e32 v2, v2, v118, vcc_lo
	s_delay_alu instid0(VALU_DEP_2) | instskip(NEXT) | instid1(VALU_DEP_2)
	v_and_b32_e32 v76, 0x1ffffffc, v1
	v_lshlrev_b32_e32 v32, 2, v2
	v_dual_mov_b32 v0, s36 :: v_dual_mov_b32 v1, s37
	v_dual_mov_b32 v2, s38 :: v_dual_mov_b32 v3, s39
	s_branch .LBB152_70
.LBB152_69:                             ;   in Loop: Header=BB152_70 Depth=1
	s_wait_alu 0xfffe
	s_and_not1_b32 vcc_lo, exec_lo, s20
	s_wait_alu 0xfffe
	s_cbranch_vccz .LBB152_94
.LBB152_70:                             ; =>This Inner Loop Header: Depth=1
	v_dual_mov_b32 v40, v5 :: v_dual_mov_b32 v39, v4
	s_wait_alu 0xfffe
	s_min_u32 s20, s21, s22
	v_mov_b32_e32 v52, v27
	s_wait_alu 0xfffe
	s_lshl_b32 s20, -1, s20
	v_mov_b32_e32 v60, v19
	v_lshrrev_b64 v[4:5], v37, v[39:40]
	s_wait_alu 0xfffe
	s_not_b32 s23, s20
	v_mov_b32_e32 v50, v29
	v_mov_b32_e32 v54, v25
	;; [unrolled: 1-line block ×3, first 2 shown]
	s_wait_alu 0xfffe
	v_dual_mov_b32 v42, v36 :: v_dual_and_b32 v5, s23, v4
	v_dual_mov_b32 v41, v35 :: v_dual_mov_b32 v44, v34
	v_dual_mov_b32 v43, v33 :: v_dual_mov_b32 v46, v15
	s_delay_alu instid0(VALU_DEP_3) | instskip(SKIP_3) | instid1(VALU_DEP_4)
	v_dual_mov_b32 v45, v14 :: v_dual_and_b32 v4, 1, v5
	v_lshlrev_b32_e32 v14, 30, v5
	v_dual_mov_b32 v64, v13 :: v_dual_lshlrev_b32 v15, 29, v5
	v_mov_b32_e32 v63, v12
	v_add_co_u32 v4, s20, v4, -1
	s_wait_alu 0xf1ff
	v_cndmask_b32_e64 v34, 0, 1, s20
	v_not_b32_e32 v48, v14
	v_dual_mov_b32 v66, v11 :: v_dual_lshlrev_b32 v33, 28, v5
	v_cmp_gt_i32_e64 s20, 0, v14
	s_delay_alu instid0(VALU_DEP_4)
	v_cmp_ne_u32_e32 vcc_lo, 0, v34
	v_not_b32_e32 v14, v15
	v_ashrrev_i32_e32 v48, 31, v48
	v_dual_mov_b32 v68, v9 :: v_dual_lshlrev_b32 v35, 27, v5
	s_wait_alu 0xfffd
	v_xor_b32_e32 v4, vcc_lo, v4
	v_cmp_gt_i32_e32 vcc_lo, 0, v15
	v_not_b32_e32 v15, v33
	v_ashrrev_i32_e32 v14, 31, v14
	s_wait_alu 0xf1ff
	v_xor_b32_e32 v48, s20, v48
	v_dual_mov_b32 v71, v7 :: v_dual_and_b32 v4, exec_lo, v4
	v_dual_mov_b32 v65, v10 :: v_dual_lshlrev_b32 v36, 26, v5
	v_cmp_gt_i32_e64 s20, 0, v33
	v_not_b32_e32 v33, v35
	v_ashrrev_i32_e32 v15, 31, v15
	s_wait_alu 0xfffd
	v_xor_b32_e32 v14, vcc_lo, v14
	v_and_b32_e32 v4, v4, v48
	v_dual_mov_b32 v70, v6 :: v_dual_lshlrev_b32 v47, 25, v5
	v_cmp_gt_i32_e32 vcc_lo, 0, v35
	v_not_b32_e32 v35, v36
	v_ashrrev_i32_e32 v33, 31, v33
	s_wait_alu 0xf1ff
	v_xor_b32_e32 v15, s20, v15
	v_dual_mov_b32 v51, v26 :: v_dual_and_b32 v4, v4, v14
	v_dual_mov_b32 v67, v8 :: v_dual_lshlrev_b32 v34, 24, v5
	v_cmp_gt_i32_e64 s20, 0, v36
	v_not_b32_e32 v14, v47
	v_ashrrev_i32_e32 v35, 31, v35
	s_wait_alu 0xfffd
	v_xor_b32_e32 v33, vcc_lo, v33
	v_and_b32_e32 v4, v4, v15
	v_dual_mov_b32 v56, v23 :: v_dual_lshlrev_b32 v5, 4, v5
	v_cmp_gt_i32_e32 vcc_lo, 0, v47
	v_not_b32_e32 v15, v34
	v_ashrrev_i32_e32 v14, 31, v14
	s_wait_alu 0xf1ff
	v_xor_b32_e32 v35, s20, v35
	v_dual_mov_b32 v55, v22 :: v_dual_and_b32 v4, v4, v33
	v_mov_b32_e32 v59, v18
	v_cmp_gt_i32_e64 s20, 0, v34
	v_ashrrev_i32_e32 v12, 31, v15
	s_wait_alu 0xfffd
	v_xor_b32_e32 v13, vcc_lo, v14
	v_and_b32_e32 v4, v4, v35
	v_dual_mov_b32 v48, v31 :: v_dual_mov_b32 v49, v28
	s_wait_alu 0xf1ff
	v_xor_b32_e32 v6, s20, v12
	v_mov_b32_e32 v58, v21
	v_dual_mov_b32 v47, v30 :: v_dual_and_b32 v4, v4, v13
	v_mov_b32_e32 v53, v24
	v_mov_b32_e32 v57, v20
	;; [unrolled: 1-line block ×3, first 2 shown]
	s_delay_alu instid0(VALU_DEP_4)
	v_and_b32_e32 v4, v4, v6
	v_add_nc_u32_e32 v13, v76, v5
	ds_store_b128 v116, v[0:3] offset:16
	ds_store_b128 v116, v[0:3] offset:32
	s_wait_loadcnt_dscnt 0x0
	s_barrier_signal -1
	v_mbcnt_lo_u32_b32 v12, v4, 0
	v_cmp_ne_u32_e64 s20, 0, v4
	s_barrier_wait -1
	global_inv scope:SCOPE_SE
	v_cmp_eq_u32_e32 vcc_lo, 0, v12
	; wave barrier
	s_and_b32 s27, s20, vcc_lo
	s_wait_alu 0xfffe
	s_and_saveexec_b32 s20, s27
; %bb.71:                               ;   in Loop: Header=BB152_70 Depth=1
	v_bcnt_u32_b32 v4, v4, 0
	ds_store_b32 v13, v4 offset:16
; %bb.72:                               ;   in Loop: Header=BB152_70 Depth=1
	s_wait_alu 0xfffe
	s_or_b32 exec_lo, exec_lo, s20
	v_lshrrev_b64 v[4:5], v37, v[70:71]
	; wave barrier
	s_delay_alu instid0(VALU_DEP_1) | instskip(NEXT) | instid1(VALU_DEP_1)
	v_and_b32_e32 v4, s23, v4
	v_and_b32_e32 v5, 1, v4
	v_lshlrev_b32_e32 v6, 30, v4
	v_lshlrev_b32_e32 v7, 29, v4
	;; [unrolled: 1-line block ×4, first 2 shown]
	v_add_co_u32 v5, s20, v5, -1
	s_wait_alu 0xf1ff
	v_cndmask_b32_e64 v9, 0, 1, s20
	v_not_b32_e32 v15, v6
	v_cmp_gt_i32_e64 s20, 0, v6
	v_not_b32_e32 v6, v7
	v_lshlrev_b32_e32 v11, 26, v4
	v_cmp_ne_u32_e32 vcc_lo, 0, v9
	v_ashrrev_i32_e32 v15, 31, v15
	v_lshlrev_b32_e32 v14, 25, v4
	v_ashrrev_i32_e32 v6, 31, v6
	v_lshlrev_b32_e32 v9, 24, v4
	s_wait_alu 0xfffd
	v_xor_b32_e32 v5, vcc_lo, v5
	v_cmp_gt_i32_e32 vcc_lo, 0, v7
	v_not_b32_e32 v7, v8
	s_wait_alu 0xf1ff
	v_xor_b32_e32 v15, s20, v15
	v_cmp_gt_i32_e64 s20, 0, v8
	v_and_b32_e32 v5, exec_lo, v5
	v_not_b32_e32 v8, v10
	v_ashrrev_i32_e32 v7, 31, v7
	s_wait_alu 0xfffd
	v_xor_b32_e32 v6, vcc_lo, v6
	v_cmp_gt_i32_e32 vcc_lo, 0, v10
	v_and_b32_e32 v5, v5, v15
	v_not_b32_e32 v10, v11
	v_ashrrev_i32_e32 v8, 31, v8
	s_wait_alu 0xf1ff
	v_xor_b32_e32 v7, s20, v7
	v_cmp_gt_i32_e64 s20, 0, v11
	v_and_b32_e32 v5, v5, v6
	v_not_b32_e32 v6, v14
	v_ashrrev_i32_e32 v10, 31, v10
	s_wait_alu 0xfffd
	v_xor_b32_e32 v8, vcc_lo, v8
	v_cmp_gt_i32_e32 vcc_lo, 0, v14
	v_and_b32_e32 v5, v5, v7
	v_not_b32_e32 v7, v9
	v_ashrrev_i32_e32 v6, 31, v6
	s_wait_alu 0xf1ff
	v_xor_b32_e32 v10, s20, v10
	v_lshlrev_b32_e32 v4, 4, v4
	v_and_b32_e32 v5, v5, v8
	v_cmp_gt_i32_e64 s20, 0, v9
	v_ashrrev_i32_e32 v7, 31, v7
	s_wait_alu 0xfffd
	v_xor_b32_e32 v6, vcc_lo, v6
	v_add_nc_u32_e32 v16, v76, v4
	v_and_b32_e32 v5, v5, v10
	s_wait_alu 0xf1ff
	v_xor_b32_e32 v4, s20, v7
	ds_load_b32 v14, v16 offset:16
	v_and_b32_e32 v5, v5, v6
	; wave barrier
	s_delay_alu instid0(VALU_DEP_1) | instskip(NEXT) | instid1(VALU_DEP_1)
	v_and_b32_e32 v4, v5, v4
	v_mbcnt_lo_u32_b32 v15, v4, 0
	v_cmp_ne_u32_e64 s20, 0, v4
	s_delay_alu instid0(VALU_DEP_2)
	v_cmp_eq_u32_e32 vcc_lo, 0, v15
	s_and_b32 s27, s20, vcc_lo
	s_wait_alu 0xfffe
	s_and_saveexec_b32 s20, s27
	s_cbranch_execz .LBB152_74
; %bb.73:                               ;   in Loop: Header=BB152_70 Depth=1
	s_wait_dscnt 0x0
	v_bcnt_u32_b32 v4, v4, v14
	ds_store_b32 v16, v4 offset:16
.LBB152_74:                             ;   in Loop: Header=BB152_70 Depth=1
	s_wait_alu 0xfffe
	s_or_b32 exec_lo, exec_lo, s20
	v_lshrrev_b64 v[4:5], v37, v[67:68]
	; wave barrier
	s_delay_alu instid0(VALU_DEP_1) | instskip(NEXT) | instid1(VALU_DEP_1)
	v_and_b32_e32 v4, s23, v4
	v_and_b32_e32 v5, 1, v4
	v_lshlrev_b32_e32 v6, 30, v4
	v_lshlrev_b32_e32 v7, 29, v4
	v_lshlrev_b32_e32 v8, 28, v4
	v_lshlrev_b32_e32 v10, 27, v4
	v_add_co_u32 v5, s20, v5, -1
	s_wait_alu 0xf1ff
	v_cndmask_b32_e64 v9, 0, 1, s20
	v_not_b32_e32 v18, v6
	v_cmp_gt_i32_e64 s20, 0, v6
	v_not_b32_e32 v6, v7
	v_lshlrev_b32_e32 v11, 26, v4
	v_cmp_ne_u32_e32 vcc_lo, 0, v9
	v_ashrrev_i32_e32 v18, 31, v18
	v_lshlrev_b32_e32 v17, 25, v4
	v_ashrrev_i32_e32 v6, 31, v6
	v_lshlrev_b32_e32 v9, 24, v4
	s_wait_alu 0xfffd
	v_xor_b32_e32 v5, vcc_lo, v5
	v_cmp_gt_i32_e32 vcc_lo, 0, v7
	v_not_b32_e32 v7, v8
	s_wait_alu 0xf1ff
	v_xor_b32_e32 v18, s20, v18
	v_cmp_gt_i32_e64 s20, 0, v8
	v_and_b32_e32 v5, exec_lo, v5
	v_not_b32_e32 v8, v10
	v_ashrrev_i32_e32 v7, 31, v7
	s_wait_alu 0xfffd
	v_xor_b32_e32 v6, vcc_lo, v6
	v_cmp_gt_i32_e32 vcc_lo, 0, v10
	v_and_b32_e32 v5, v5, v18
	v_not_b32_e32 v10, v11
	v_ashrrev_i32_e32 v8, 31, v8
	s_wait_alu 0xf1ff
	v_xor_b32_e32 v7, s20, v7
	v_cmp_gt_i32_e64 s20, 0, v11
	v_and_b32_e32 v5, v5, v6
	v_not_b32_e32 v6, v17
	v_ashrrev_i32_e32 v10, 31, v10
	s_wait_alu 0xfffd
	v_xor_b32_e32 v8, vcc_lo, v8
	v_cmp_gt_i32_e32 vcc_lo, 0, v17
	v_and_b32_e32 v5, v5, v7
	v_not_b32_e32 v7, v9
	v_ashrrev_i32_e32 v6, 31, v6
	s_wait_alu 0xf1ff
	v_xor_b32_e32 v10, s20, v10
	v_lshlrev_b32_e32 v4, 4, v4
	v_and_b32_e32 v5, v5, v8
	v_cmp_gt_i32_e64 s20, 0, v9
	v_ashrrev_i32_e32 v7, 31, v7
	s_wait_alu 0xfffd
	v_xor_b32_e32 v6, vcc_lo, v6
	v_add_nc_u32_e32 v19, v76, v4
	v_and_b32_e32 v5, v5, v10
	s_wait_alu 0xf1ff
	v_xor_b32_e32 v4, s20, v7
	ds_load_b32 v17, v19 offset:16
	v_and_b32_e32 v5, v5, v6
	; wave barrier
	s_delay_alu instid0(VALU_DEP_1) | instskip(NEXT) | instid1(VALU_DEP_1)
	v_and_b32_e32 v4, v5, v4
	v_mbcnt_lo_u32_b32 v18, v4, 0
	v_cmp_ne_u32_e64 s20, 0, v4
	s_delay_alu instid0(VALU_DEP_2)
	v_cmp_eq_u32_e32 vcc_lo, 0, v18
	s_and_b32 s27, s20, vcc_lo
	s_wait_alu 0xfffe
	s_and_saveexec_b32 s20, s27
	s_cbranch_execz .LBB152_76
; %bb.75:                               ;   in Loop: Header=BB152_70 Depth=1
	s_wait_dscnt 0x0
	v_bcnt_u32_b32 v4, v4, v17
	ds_store_b32 v19, v4 offset:16
.LBB152_76:                             ;   in Loop: Header=BB152_70 Depth=1
	s_wait_alu 0xfffe
	s_or_b32 exec_lo, exec_lo, s20
	v_lshrrev_b64 v[4:5], v37, v[65:66]
	; wave barrier
	s_delay_alu instid0(VALU_DEP_1) | instskip(NEXT) | instid1(VALU_DEP_1)
	v_and_b32_e32 v4, s23, v4
	v_and_b32_e32 v5, 1, v4
	v_lshlrev_b32_e32 v6, 30, v4
	v_lshlrev_b32_e32 v7, 29, v4
	;; [unrolled: 1-line block ×4, first 2 shown]
	v_add_co_u32 v5, s20, v5, -1
	s_wait_alu 0xf1ff
	v_cndmask_b32_e64 v9, 0, 1, s20
	v_not_b32_e32 v21, v6
	v_cmp_gt_i32_e64 s20, 0, v6
	v_not_b32_e32 v6, v7
	v_lshlrev_b32_e32 v11, 26, v4
	v_cmp_ne_u32_e32 vcc_lo, 0, v9
	v_ashrrev_i32_e32 v21, 31, v21
	v_lshlrev_b32_e32 v20, 25, v4
	v_ashrrev_i32_e32 v6, 31, v6
	v_lshlrev_b32_e32 v9, 24, v4
	s_wait_alu 0xfffd
	v_xor_b32_e32 v5, vcc_lo, v5
	v_cmp_gt_i32_e32 vcc_lo, 0, v7
	v_not_b32_e32 v7, v8
	s_wait_alu 0xf1ff
	v_xor_b32_e32 v21, s20, v21
	v_cmp_gt_i32_e64 s20, 0, v8
	v_and_b32_e32 v5, exec_lo, v5
	v_not_b32_e32 v8, v10
	v_ashrrev_i32_e32 v7, 31, v7
	s_wait_alu 0xfffd
	v_xor_b32_e32 v6, vcc_lo, v6
	v_cmp_gt_i32_e32 vcc_lo, 0, v10
	v_and_b32_e32 v5, v5, v21
	v_not_b32_e32 v10, v11
	v_ashrrev_i32_e32 v8, 31, v8
	s_wait_alu 0xf1ff
	v_xor_b32_e32 v7, s20, v7
	v_cmp_gt_i32_e64 s20, 0, v11
	v_and_b32_e32 v5, v5, v6
	v_not_b32_e32 v6, v20
	v_ashrrev_i32_e32 v10, 31, v10
	s_wait_alu 0xfffd
	v_xor_b32_e32 v8, vcc_lo, v8
	v_cmp_gt_i32_e32 vcc_lo, 0, v20
	v_and_b32_e32 v5, v5, v7
	v_not_b32_e32 v7, v9
	v_ashrrev_i32_e32 v6, 31, v6
	s_wait_alu 0xf1ff
	v_xor_b32_e32 v10, s20, v10
	v_lshlrev_b32_e32 v4, 4, v4
	v_and_b32_e32 v5, v5, v8
	v_cmp_gt_i32_e64 s20, 0, v9
	v_ashrrev_i32_e32 v7, 31, v7
	s_wait_alu 0xfffd
	v_xor_b32_e32 v6, vcc_lo, v6
	v_add_nc_u32_e32 v22, v76, v4
	v_and_b32_e32 v5, v5, v10
	s_wait_alu 0xf1ff
	v_xor_b32_e32 v4, s20, v7
	ds_load_b32 v20, v22 offset:16
	v_and_b32_e32 v5, v5, v6
	; wave barrier
	s_delay_alu instid0(VALU_DEP_1) | instskip(NEXT) | instid1(VALU_DEP_1)
	v_and_b32_e32 v4, v5, v4
	v_mbcnt_lo_u32_b32 v21, v4, 0
	v_cmp_ne_u32_e64 s20, 0, v4
	s_delay_alu instid0(VALU_DEP_2)
	v_cmp_eq_u32_e32 vcc_lo, 0, v21
	s_and_b32 s27, s20, vcc_lo
	s_wait_alu 0xfffe
	s_and_saveexec_b32 s20, s27
	s_cbranch_execz .LBB152_78
; %bb.77:                               ;   in Loop: Header=BB152_70 Depth=1
	s_wait_dscnt 0x0
	v_bcnt_u32_b32 v4, v4, v20
	ds_store_b32 v22, v4 offset:16
.LBB152_78:                             ;   in Loop: Header=BB152_70 Depth=1
	s_wait_alu 0xfffe
	s_or_b32 exec_lo, exec_lo, s20
	v_lshrrev_b64 v[4:5], v37, v[63:64]
	; wave barrier
	s_delay_alu instid0(VALU_DEP_1) | instskip(NEXT) | instid1(VALU_DEP_1)
	v_and_b32_e32 v4, s23, v4
	v_and_b32_e32 v5, 1, v4
	v_lshlrev_b32_e32 v6, 30, v4
	v_lshlrev_b32_e32 v7, 29, v4
	;; [unrolled: 1-line block ×4, first 2 shown]
	v_add_co_u32 v5, s20, v5, -1
	s_wait_alu 0xf1ff
	v_cndmask_b32_e64 v9, 0, 1, s20
	v_not_b32_e32 v24, v6
	v_cmp_gt_i32_e64 s20, 0, v6
	v_not_b32_e32 v6, v7
	v_lshlrev_b32_e32 v11, 26, v4
	v_cmp_ne_u32_e32 vcc_lo, 0, v9
	v_ashrrev_i32_e32 v24, 31, v24
	v_lshlrev_b32_e32 v23, 25, v4
	v_ashrrev_i32_e32 v6, 31, v6
	v_lshlrev_b32_e32 v9, 24, v4
	s_wait_alu 0xfffd
	v_xor_b32_e32 v5, vcc_lo, v5
	v_cmp_gt_i32_e32 vcc_lo, 0, v7
	v_not_b32_e32 v7, v8
	s_wait_alu 0xf1ff
	v_xor_b32_e32 v24, s20, v24
	v_cmp_gt_i32_e64 s20, 0, v8
	v_and_b32_e32 v5, exec_lo, v5
	v_not_b32_e32 v8, v10
	v_ashrrev_i32_e32 v7, 31, v7
	s_wait_alu 0xfffd
	v_xor_b32_e32 v6, vcc_lo, v6
	v_cmp_gt_i32_e32 vcc_lo, 0, v10
	v_and_b32_e32 v5, v5, v24
	v_not_b32_e32 v10, v11
	v_ashrrev_i32_e32 v8, 31, v8
	s_wait_alu 0xf1ff
	v_xor_b32_e32 v7, s20, v7
	v_cmp_gt_i32_e64 s20, 0, v11
	v_and_b32_e32 v5, v5, v6
	v_not_b32_e32 v6, v23
	v_ashrrev_i32_e32 v10, 31, v10
	s_wait_alu 0xfffd
	v_xor_b32_e32 v8, vcc_lo, v8
	v_cmp_gt_i32_e32 vcc_lo, 0, v23
	v_and_b32_e32 v5, v5, v7
	v_not_b32_e32 v7, v9
	v_ashrrev_i32_e32 v6, 31, v6
	s_wait_alu 0xf1ff
	v_xor_b32_e32 v10, s20, v10
	v_lshlrev_b32_e32 v4, 4, v4
	v_and_b32_e32 v5, v5, v8
	v_cmp_gt_i32_e64 s20, 0, v9
	v_ashrrev_i32_e32 v7, 31, v7
	s_wait_alu 0xfffd
	v_xor_b32_e32 v6, vcc_lo, v6
	v_add_nc_u32_e32 v25, v76, v4
	v_and_b32_e32 v5, v5, v10
	s_wait_alu 0xf1ff
	v_xor_b32_e32 v4, s20, v7
	ds_load_b32 v23, v25 offset:16
	v_and_b32_e32 v5, v5, v6
	; wave barrier
	s_delay_alu instid0(VALU_DEP_1) | instskip(NEXT) | instid1(VALU_DEP_1)
	v_and_b32_e32 v4, v5, v4
	v_mbcnt_lo_u32_b32 v24, v4, 0
	v_cmp_ne_u32_e64 s20, 0, v4
	s_delay_alu instid0(VALU_DEP_2)
	v_cmp_eq_u32_e32 vcc_lo, 0, v24
	s_and_b32 s27, s20, vcc_lo
	s_wait_alu 0xfffe
	s_and_saveexec_b32 s20, s27
	s_cbranch_execz .LBB152_80
; %bb.79:                               ;   in Loop: Header=BB152_70 Depth=1
	s_wait_dscnt 0x0
	v_bcnt_u32_b32 v4, v4, v23
	ds_store_b32 v25, v4 offset:16
.LBB152_80:                             ;   in Loop: Header=BB152_70 Depth=1
	s_wait_alu 0xfffe
	s_or_b32 exec_lo, exec_lo, s20
	v_lshrrev_b64 v[4:5], v37, v[45:46]
	; wave barrier
	s_delay_alu instid0(VALU_DEP_1) | instskip(NEXT) | instid1(VALU_DEP_1)
	v_and_b32_e32 v4, s23, v4
	v_and_b32_e32 v5, 1, v4
	v_lshlrev_b32_e32 v6, 30, v4
	v_lshlrev_b32_e32 v7, 29, v4
	;; [unrolled: 1-line block ×4, first 2 shown]
	v_add_co_u32 v5, s20, v5, -1
	s_wait_alu 0xf1ff
	v_cndmask_b32_e64 v9, 0, 1, s20
	v_not_b32_e32 v27, v6
	v_cmp_gt_i32_e64 s20, 0, v6
	v_not_b32_e32 v6, v7
	v_lshlrev_b32_e32 v11, 26, v4
	v_cmp_ne_u32_e32 vcc_lo, 0, v9
	v_ashrrev_i32_e32 v27, 31, v27
	v_lshlrev_b32_e32 v26, 25, v4
	v_ashrrev_i32_e32 v6, 31, v6
	v_lshlrev_b32_e32 v9, 24, v4
	s_wait_alu 0xfffd
	v_xor_b32_e32 v5, vcc_lo, v5
	v_cmp_gt_i32_e32 vcc_lo, 0, v7
	v_not_b32_e32 v7, v8
	s_wait_alu 0xf1ff
	v_xor_b32_e32 v27, s20, v27
	v_cmp_gt_i32_e64 s20, 0, v8
	v_and_b32_e32 v5, exec_lo, v5
	v_not_b32_e32 v8, v10
	v_ashrrev_i32_e32 v7, 31, v7
	s_wait_alu 0xfffd
	v_xor_b32_e32 v6, vcc_lo, v6
	v_cmp_gt_i32_e32 vcc_lo, 0, v10
	v_and_b32_e32 v5, v5, v27
	v_not_b32_e32 v10, v11
	v_ashrrev_i32_e32 v8, 31, v8
	s_wait_alu 0xf1ff
	v_xor_b32_e32 v7, s20, v7
	v_cmp_gt_i32_e64 s20, 0, v11
	v_and_b32_e32 v5, v5, v6
	v_not_b32_e32 v6, v26
	v_ashrrev_i32_e32 v10, 31, v10
	s_wait_alu 0xfffd
	v_xor_b32_e32 v8, vcc_lo, v8
	v_cmp_gt_i32_e32 vcc_lo, 0, v26
	v_and_b32_e32 v5, v5, v7
	v_not_b32_e32 v7, v9
	v_ashrrev_i32_e32 v6, 31, v6
	s_wait_alu 0xf1ff
	v_xor_b32_e32 v10, s20, v10
	v_lshlrev_b32_e32 v4, 4, v4
	v_and_b32_e32 v5, v5, v8
	v_cmp_gt_i32_e64 s20, 0, v9
	v_ashrrev_i32_e32 v7, 31, v7
	s_wait_alu 0xfffd
	v_xor_b32_e32 v6, vcc_lo, v6
	v_add_nc_u32_e32 v28, v76, v4
	v_and_b32_e32 v5, v5, v10
	s_wait_alu 0xf1ff
	v_xor_b32_e32 v4, s20, v7
	ds_load_b32 v26, v28 offset:16
	v_and_b32_e32 v5, v5, v6
	; wave barrier
	s_delay_alu instid0(VALU_DEP_1) | instskip(NEXT) | instid1(VALU_DEP_1)
	v_and_b32_e32 v4, v5, v4
	v_mbcnt_lo_u32_b32 v27, v4, 0
	v_cmp_ne_u32_e64 s20, 0, v4
	s_delay_alu instid0(VALU_DEP_2)
	v_cmp_eq_u32_e32 vcc_lo, 0, v27
	s_and_b32 s27, s20, vcc_lo
	s_wait_alu 0xfffe
	s_and_saveexec_b32 s20, s27
	s_cbranch_execz .LBB152_82
; %bb.81:                               ;   in Loop: Header=BB152_70 Depth=1
	s_wait_dscnt 0x0
	v_bcnt_u32_b32 v4, v4, v26
	ds_store_b32 v28, v4 offset:16
.LBB152_82:                             ;   in Loop: Header=BB152_70 Depth=1
	s_wait_alu 0xfffe
	s_or_b32 exec_lo, exec_lo, s20
	v_lshrrev_b64 v[4:5], v37, v[43:44]
	; wave barrier
	s_delay_alu instid0(VALU_DEP_1) | instskip(NEXT) | instid1(VALU_DEP_1)
	v_and_b32_e32 v4, s23, v4
	v_and_b32_e32 v5, 1, v4
	v_lshlrev_b32_e32 v6, 30, v4
	v_lshlrev_b32_e32 v7, 29, v4
	;; [unrolled: 1-line block ×4, first 2 shown]
	v_add_co_u32 v5, s20, v5, -1
	s_wait_alu 0xf1ff
	v_cndmask_b32_e64 v9, 0, 1, s20
	v_not_b32_e32 v30, v6
	v_cmp_gt_i32_e64 s20, 0, v6
	v_not_b32_e32 v6, v7
	v_lshlrev_b32_e32 v11, 26, v4
	v_cmp_ne_u32_e32 vcc_lo, 0, v9
	v_ashrrev_i32_e32 v30, 31, v30
	v_lshlrev_b32_e32 v29, 25, v4
	v_ashrrev_i32_e32 v6, 31, v6
	v_lshlrev_b32_e32 v9, 24, v4
	s_wait_alu 0xfffd
	v_xor_b32_e32 v5, vcc_lo, v5
	v_cmp_gt_i32_e32 vcc_lo, 0, v7
	v_not_b32_e32 v7, v8
	s_wait_alu 0xf1ff
	v_xor_b32_e32 v30, s20, v30
	v_cmp_gt_i32_e64 s20, 0, v8
	v_and_b32_e32 v5, exec_lo, v5
	v_not_b32_e32 v8, v10
	v_ashrrev_i32_e32 v7, 31, v7
	s_wait_alu 0xfffd
	v_xor_b32_e32 v6, vcc_lo, v6
	v_cmp_gt_i32_e32 vcc_lo, 0, v10
	v_and_b32_e32 v5, v5, v30
	v_not_b32_e32 v10, v11
	v_ashrrev_i32_e32 v8, 31, v8
	s_wait_alu 0xf1ff
	v_xor_b32_e32 v7, s20, v7
	v_cmp_gt_i32_e64 s20, 0, v11
	v_and_b32_e32 v5, v5, v6
	v_not_b32_e32 v6, v29
	v_ashrrev_i32_e32 v10, 31, v10
	s_wait_alu 0xfffd
	v_xor_b32_e32 v8, vcc_lo, v8
	v_cmp_gt_i32_e32 vcc_lo, 0, v29
	v_and_b32_e32 v5, v5, v7
	v_not_b32_e32 v7, v9
	v_ashrrev_i32_e32 v6, 31, v6
	s_wait_alu 0xf1ff
	v_xor_b32_e32 v10, s20, v10
	v_lshlrev_b32_e32 v4, 4, v4
	v_and_b32_e32 v5, v5, v8
	v_cmp_gt_i32_e64 s20, 0, v9
	v_ashrrev_i32_e32 v7, 31, v7
	s_wait_alu 0xfffd
	v_xor_b32_e32 v6, vcc_lo, v6
	v_add_nc_u32_e32 v31, v76, v4
	v_and_b32_e32 v5, v5, v10
	s_wait_alu 0xf1ff
	v_xor_b32_e32 v4, s20, v7
	ds_load_b32 v29, v31 offset:16
	v_and_b32_e32 v5, v5, v6
	; wave barrier
	s_delay_alu instid0(VALU_DEP_1) | instskip(NEXT) | instid1(VALU_DEP_1)
	v_and_b32_e32 v4, v5, v4
	v_mbcnt_lo_u32_b32 v30, v4, 0
	v_cmp_ne_u32_e64 s20, 0, v4
	s_delay_alu instid0(VALU_DEP_2)
	v_cmp_eq_u32_e32 vcc_lo, 0, v30
	s_and_b32 s27, s20, vcc_lo
	s_wait_alu 0xfffe
	s_and_saveexec_b32 s20, s27
	s_cbranch_execz .LBB152_84
; %bb.83:                               ;   in Loop: Header=BB152_70 Depth=1
	s_wait_dscnt 0x0
	v_bcnt_u32_b32 v4, v4, v29
	ds_store_b32 v31, v4 offset:16
.LBB152_84:                             ;   in Loop: Header=BB152_70 Depth=1
	s_wait_alu 0xfffe
	s_or_b32 exec_lo, exec_lo, s20
	v_lshrrev_b64 v[4:5], v37, v[41:42]
	; wave barrier
	s_delay_alu instid0(VALU_DEP_1) | instskip(NEXT) | instid1(VALU_DEP_1)
	v_and_b32_e32 v4, s23, v4
	v_and_b32_e32 v5, 1, v4
	v_lshlrev_b32_e32 v6, 30, v4
	v_lshlrev_b32_e32 v7, 29, v4
	;; [unrolled: 1-line block ×4, first 2 shown]
	v_add_co_u32 v5, s20, v5, -1
	s_wait_alu 0xf1ff
	v_cndmask_b32_e64 v9, 0, 1, s20
	v_not_b32_e32 v34, v6
	v_cmp_gt_i32_e64 s20, 0, v6
	v_not_b32_e32 v6, v7
	v_lshlrev_b32_e32 v11, 26, v4
	v_cmp_ne_u32_e32 vcc_lo, 0, v9
	v_ashrrev_i32_e32 v34, 31, v34
	v_lshlrev_b32_e32 v33, 25, v4
	v_ashrrev_i32_e32 v6, 31, v6
	v_lshlrev_b32_e32 v9, 24, v4
	s_wait_alu 0xfffd
	v_xor_b32_e32 v5, vcc_lo, v5
	v_cmp_gt_i32_e32 vcc_lo, 0, v7
	v_not_b32_e32 v7, v8
	s_wait_alu 0xf1ff
	v_xor_b32_e32 v34, s20, v34
	v_cmp_gt_i32_e64 s20, 0, v8
	v_and_b32_e32 v5, exec_lo, v5
	v_not_b32_e32 v8, v10
	v_ashrrev_i32_e32 v7, 31, v7
	s_wait_alu 0xfffd
	v_xor_b32_e32 v6, vcc_lo, v6
	v_cmp_gt_i32_e32 vcc_lo, 0, v10
	v_and_b32_e32 v5, v5, v34
	v_not_b32_e32 v10, v11
	v_ashrrev_i32_e32 v8, 31, v8
	s_wait_alu 0xf1ff
	v_xor_b32_e32 v7, s20, v7
	v_cmp_gt_i32_e64 s20, 0, v11
	v_and_b32_e32 v5, v5, v6
	v_not_b32_e32 v6, v33
	v_ashrrev_i32_e32 v10, 31, v10
	s_wait_alu 0xfffd
	v_xor_b32_e32 v8, vcc_lo, v8
	v_cmp_gt_i32_e32 vcc_lo, 0, v33
	v_and_b32_e32 v5, v5, v7
	v_not_b32_e32 v7, v9
	v_ashrrev_i32_e32 v6, 31, v6
	s_wait_alu 0xf1ff
	v_xor_b32_e32 v10, s20, v10
	v_lshlrev_b32_e32 v4, 4, v4
	v_and_b32_e32 v5, v5, v8
	v_cmp_gt_i32_e64 s20, 0, v9
	v_ashrrev_i32_e32 v7, 31, v7
	s_wait_alu 0xfffd
	v_xor_b32_e32 v6, vcc_lo, v6
	v_add_nc_u32_e32 v35, v76, v4
	v_and_b32_e32 v5, v5, v10
	s_wait_alu 0xf1ff
	v_xor_b32_e32 v4, s20, v7
	ds_load_b32 v33, v35 offset:16
	v_and_b32_e32 v5, v5, v6
	; wave barrier
	s_delay_alu instid0(VALU_DEP_1) | instskip(NEXT) | instid1(VALU_DEP_1)
	v_and_b32_e32 v4, v5, v4
	v_mbcnt_lo_u32_b32 v34, v4, 0
	v_cmp_ne_u32_e64 s20, 0, v4
	s_delay_alu instid0(VALU_DEP_2)
	v_cmp_eq_u32_e32 vcc_lo, 0, v34
	s_and_b32 s23, s20, vcc_lo
	s_wait_alu 0xfffe
	s_and_saveexec_b32 s20, s23
	s_cbranch_execz .LBB152_86
; %bb.85:                               ;   in Loop: Header=BB152_70 Depth=1
	s_wait_dscnt 0x0
	v_bcnt_u32_b32 v4, v4, v33
	ds_store_b32 v35, v4 offset:16
.LBB152_86:                             ;   in Loop: Header=BB152_70 Depth=1
	s_wait_alu 0xfffe
	s_or_b32 exec_lo, exec_lo, s20
	; wave barrier
	s_wait_loadcnt_dscnt 0x0
	s_barrier_signal -1
	s_barrier_wait -1
	global_inv scope:SCOPE_SE
	ds_load_b128 v[8:11], v116 offset:16
	ds_load_b128 v[4:7], v116 offset:32
	s_wait_dscnt 0x1
	v_add_nc_u32_e32 v36, v9, v8
	s_delay_alu instid0(VALU_DEP_1) | instskip(SKIP_1) | instid1(VALU_DEP_1)
	v_add3_u32 v36, v36, v10, v11
	s_wait_dscnt 0x0
	v_add3_u32 v36, v36, v4, v5
	s_delay_alu instid0(VALU_DEP_1) | instskip(NEXT) | instid1(VALU_DEP_1)
	v_add3_u32 v7, v36, v6, v7
	v_mov_b32_dpp v36, v7 row_shr:1 row_mask:0xf bank_mask:0xf
	s_delay_alu instid0(VALU_DEP_1) | instskip(NEXT) | instid1(VALU_DEP_1)
	v_cndmask_b32_e64 v36, v36, 0, s1
	v_add_nc_u32_e32 v7, v36, v7
	s_delay_alu instid0(VALU_DEP_1) | instskip(NEXT) | instid1(VALU_DEP_1)
	v_mov_b32_dpp v36, v7 row_shr:2 row_mask:0xf bank_mask:0xf
	v_cndmask_b32_e64 v36, 0, v36, s10
	s_delay_alu instid0(VALU_DEP_1) | instskip(NEXT) | instid1(VALU_DEP_1)
	v_add_nc_u32_e32 v7, v7, v36
	v_mov_b32_dpp v36, v7 row_shr:4 row_mask:0xf bank_mask:0xf
	s_delay_alu instid0(VALU_DEP_1) | instskip(NEXT) | instid1(VALU_DEP_1)
	v_cndmask_b32_e64 v36, 0, v36, s11
	v_add_nc_u32_e32 v7, v7, v36
	s_delay_alu instid0(VALU_DEP_1) | instskip(NEXT) | instid1(VALU_DEP_1)
	v_mov_b32_dpp v36, v7 row_shr:8 row_mask:0xf bank_mask:0xf
	v_cndmask_b32_e64 v36, 0, v36, s12
	s_delay_alu instid0(VALU_DEP_1) | instskip(SKIP_3) | instid1(VALU_DEP_1)
	v_add_nc_u32_e32 v7, v7, v36
	ds_swizzle_b32 v36, v7 offset:swizzle(BROADCAST,32,15)
	s_wait_dscnt 0x0
	v_cndmask_b32_e64 v36, v36, 0, s13
	v_add_nc_u32_e32 v7, v7, v36
	s_and_saveexec_b32 s20, s14
; %bb.87:                               ;   in Loop: Header=BB152_70 Depth=1
	ds_store_b32 v117, v7
; %bb.88:                               ;   in Loop: Header=BB152_70 Depth=1
	s_wait_alu 0xfffe
	s_or_b32 exec_lo, exec_lo, s20
	s_wait_loadcnt_dscnt 0x0
	s_barrier_signal -1
	s_barrier_wait -1
	global_inv scope:SCOPE_SE
	s_and_saveexec_b32 s20, s15
	s_cbranch_execz .LBB152_90
; %bb.89:                               ;   in Loop: Header=BB152_70 Depth=1
	ds_load_b32 v36, v77
	s_wait_dscnt 0x0
	v_mov_b32_dpp v78, v36 row_shr:1 row_mask:0xf bank_mask:0xf
	s_delay_alu instid0(VALU_DEP_1) | instskip(NEXT) | instid1(VALU_DEP_1)
	v_cndmask_b32_e64 v78, v78, 0, s18
	v_add_nc_u32_e32 v36, v78, v36
	s_delay_alu instid0(VALU_DEP_1) | instskip(NEXT) | instid1(VALU_DEP_1)
	v_mov_b32_dpp v78, v36 row_shr:2 row_mask:0xf bank_mask:0xf
	v_cndmask_b32_e64 v78, 0, v78, s19
	s_delay_alu instid0(VALU_DEP_1)
	v_add_nc_u32_e32 v36, v36, v78
	ds_store_b32 v77, v36
.LBB152_90:                             ;   in Loop: Header=BB152_70 Depth=1
	s_wait_alu 0xfffe
	s_or_b32 exec_lo, exec_lo, s20
	v_mov_b32_e32 v36, 0
	s_wait_loadcnt_dscnt 0x0
	s_barrier_signal -1
	s_barrier_wait -1
	global_inv scope:SCOPE_SE
	s_and_saveexec_b32 s20, s16
; %bb.91:                               ;   in Loop: Header=BB152_70 Depth=1
	ds_load_b32 v36, v74
; %bb.92:                               ;   in Loop: Header=BB152_70 Depth=1
	s_wait_alu 0xfffe
	s_or_b32 exec_lo, exec_lo, s20
	s_wait_dscnt 0x0
	v_add_nc_u32_e32 v7, v36, v7
	v_cmp_lt_u32_e32 vcc_lo, 55, v37
	s_mov_b32 s20, -1
	ds_bpermute_b32 v7, v32, v7
	s_and_b32 vcc_lo, exec_lo, vcc_lo
	s_wait_dscnt 0x0
	v_cndmask_b32_e64 v7, v7, v36, s9
	s_delay_alu instid0(VALU_DEP_1) | instskip(NEXT) | instid1(VALU_DEP_1)
	v_cndmask_b32_e64 v7, v7, 0, s17
	v_add_nc_u32_e32 v8, v7, v8
	s_delay_alu instid0(VALU_DEP_1) | instskip(NEXT) | instid1(VALU_DEP_1)
	v_add_nc_u32_e32 v9, v8, v9
	v_add_nc_u32_e32 v10, v9, v10
	s_delay_alu instid0(VALU_DEP_1) | instskip(NEXT) | instid1(VALU_DEP_1)
	v_add_nc_u32_e32 v78, v10, v11
	;; [unrolled: 3-line block ×3, first 2 shown]
	v_add_nc_u32_e32 v81, v80, v6
	ds_store_b128 v116, v[7:10] offset:16
	ds_store_b128 v116, v[78:81] offset:32
	s_wait_loadcnt_dscnt 0x0
	s_barrier_signal -1
	s_barrier_wait -1
	global_inv scope:SCOPE_SE
	ds_load_b32 v4, v13 offset:16
	ds_load_b32 v5, v16 offset:16
	;; [unrolled: 1-line block ×8, first 2 shown]
	s_wait_dscnt 0x7
	v_add_nc_u32_e32 v85, v4, v12
	s_wait_dscnt 0x6
	v_add3_u32 v84, v15, v14, v5
	s_wait_dscnt 0x5
	v_add3_u32 v83, v18, v17, v6
	;; [unrolled: 2-line block ×7, first 2 shown]
                                        ; implicit-def: $vgpr35_vgpr36
                                        ; implicit-def: $vgpr14_vgpr15
                                        ; implicit-def: $vgpr10_vgpr11
                                        ; implicit-def: $vgpr6_vgpr7
                                        ; implicit-def: $vgpr30_vgpr31
                                        ; implicit-def: $vgpr26_vgpr27
                                        ; implicit-def: $vgpr22_vgpr23
                                        ; implicit-def: $vgpr18_vgpr19
	s_wait_alu 0xfffe
	s_cbranch_vccnz .LBB152_69
; %bb.93:                               ;   in Loop: Header=BB152_70 Depth=1
	v_lshlrev_b32_e32 v16, 3, v85
	v_lshlrev_b32_e32 v19, 3, v82
	;; [unrolled: 1-line block ×8, first 2 shown]
	s_wait_loadcnt 0x0
	s_barrier_signal -1
	s_barrier_wait -1
	global_inv scope:SCOPE_SE
	ds_store_b64 v16, v[39:40]
	ds_store_b64 v17, v[70:71]
	;; [unrolled: 1-line block ×8, first 2 shown]
	s_wait_loadcnt_dscnt 0x0
	s_barrier_signal -1
	s_barrier_wait -1
	global_inv scope:SCOPE_SE
	ds_load_2addr_b64 v[4:7], v75 offset1:32
	ds_load_2addr_b64 v[8:11], v75 offset0:64 offset1:96
	ds_load_2addr_b64 v[12:15], v75 offset0:128 offset1:160
	ds_load_2addr_b64 v[33:36], v75 offset0:192 offset1:224
	s_wait_loadcnt_dscnt 0x0
	s_barrier_signal -1
	s_barrier_wait -1
	global_inv scope:SCOPE_SE
	ds_store_b64 v16, v[61:62]
	ds_store_b64 v17, v[59:60]
	;; [unrolled: 1-line block ×8, first 2 shown]
	s_wait_loadcnt_dscnt 0x0
	s_barrier_signal -1
	s_barrier_wait -1
	global_inv scope:SCOPE_SE
	ds_load_2addr_b64 v[16:19], v75 offset1:32
	ds_load_2addr_b64 v[20:23], v75 offset0:64 offset1:96
	ds_load_2addr_b64 v[24:27], v75 offset0:128 offset1:160
	;; [unrolled: 1-line block ×3, first 2 shown]
	v_add_co_u32 v37, vcc_lo, v37, 8
	s_wait_alu 0xfffd
	v_add_co_ci_u32_e64 v38, null, 0, v38, vcc_lo
	s_add_co_i32 s22, s22, -8
	s_mov_b32 s20, 0
	s_wait_loadcnt_dscnt 0x0
	s_barrier_signal -1
	s_barrier_wait -1
	global_inv scope:SCOPE_SE
	s_branch .LBB152_69
.LBB152_94:
	v_lshlrev_b32_e32 v16, 3, v85
	v_lshlrev_b32_e32 v19, 3, v82
	;; [unrolled: 1-line block ×9, first 2 shown]
	s_wait_loadcnt 0x0
	s_barrier_signal -1
	s_barrier_wait -1
	global_inv scope:SCOPE_SE
	ds_store_b64 v16, v[39:40]
	ds_store_b64 v17, v[70:71]
	;; [unrolled: 1-line block ×8, first 2 shown]
	s_wait_loadcnt_dscnt 0x0
	s_barrier_signal -1
	s_barrier_wait -1
	global_inv scope:SCOPE_SE
	ds_load_b128 v[0:3], v24
	ds_load_b128 v[4:7], v24 offset:16
	ds_load_b128 v[8:11], v24 offset:32
	;; [unrolled: 1-line block ×3, first 2 shown]
	s_wait_loadcnt_dscnt 0x0
	s_barrier_signal -1
	s_barrier_wait -1
	global_inv scope:SCOPE_SE
	ds_store_b64 v16, v[61:62]
	ds_store_b64 v17, v[59:60]
	;; [unrolled: 1-line block ×8, first 2 shown]
	s_wait_loadcnt_dscnt 0x0
	s_barrier_signal -1
	s_barrier_wait -1
	global_inv scope:SCOPE_SE
	ds_load_b128 v[45:48], v24
	ds_load_b128 v[41:44], v24 offset:16
	ds_load_b128 v[37:40], v24 offset:32
	;; [unrolled: 1-line block ×3, first 2 shown]
	v_xor_b32_e32 v50, 0x7fffffff, v1
	v_xor_b32_e32 v49, -1, v0
	v_xor_b32_e32 v52, 0x7fffffff, v3
	v_xor_b32_e32 v51, -1, v2
	;; [unrolled: 2-line block ×8, first 2 shown]
.LBB152_95:
	s_wait_loadcnt_dscnt 0x0
	s_barrier_signal -1
	s_barrier_wait -1
	global_inv scope:SCOPE_SE
	ds_store_2addr_b64 v115, v[49:50], v[51:52] offset1:1
	ds_store_2addr_b64 v115, v[53:54], v[55:56] offset0:2 offset1:3
	ds_store_2addr_b64 v115, v[57:58], v[59:60] offset0:4 offset1:5
	;; [unrolled: 1-line block ×3, first 2 shown]
	s_wait_loadcnt_dscnt 0x0
	s_barrier_signal -1
	s_barrier_wait -1
	global_inv scope:SCOPE_SE
	ds_load_b64 v[14:15], v108 offset:1024
	ds_load_b64 v[12:13], v109 offset:2048
	;; [unrolled: 1-line block ×7, first 2 shown]
	v_mov_b32_e32 v73, 0
	s_delay_alu instid0(VALU_DEP_1) | instskip(NEXT) | instid1(VALU_DEP_1)
	v_lshlrev_b64_e32 v[2:3], 3, v[72:73]
	v_add_co_u32 v2, vcc_lo, s30, v2
	s_wait_alu 0xfffd
	s_delay_alu instid0(VALU_DEP_2)
	v_add_co_ci_u32_e64 v3, null, s31, v3, vcc_lo
	s_and_saveexec_b32 s1, s2
	s_cbranch_execnz .LBB152_114
; %bb.96:
	s_wait_alu 0xfffe
	s_or_b32 exec_lo, exec_lo, s1
	s_and_saveexec_b32 s1, s3
	s_cbranch_execnz .LBB152_115
.LBB152_97:
	s_wait_alu 0xfffe
	s_or_b32 exec_lo, exec_lo, s1
	s_and_saveexec_b32 s1, s4
	s_cbranch_execnz .LBB152_116
.LBB152_98:
	s_wait_alu 0xfffe
	s_or_b32 exec_lo, exec_lo, s1
	s_and_saveexec_b32 s1, s5
	s_cbranch_execnz .LBB152_117
.LBB152_99:
	s_wait_alu 0xfffe
	s_or_b32 exec_lo, exec_lo, s1
	s_and_saveexec_b32 s1, s6
	s_cbranch_execnz .LBB152_118
.LBB152_100:
	s_wait_alu 0xfffe
	s_or_b32 exec_lo, exec_lo, s1
	s_and_saveexec_b32 s1, s7
	s_cbranch_execnz .LBB152_119
.LBB152_101:
	s_wait_alu 0xfffe
	s_or_b32 exec_lo, exec_lo, s1
	s_and_saveexec_b32 s1, s8
	s_cbranch_execnz .LBB152_120
.LBB152_102:
	s_wait_alu 0xfffe
	s_or_b32 exec_lo, exec_lo, s1
	s_and_saveexec_b32 s1, s0
	s_cbranch_execz .LBB152_104
.LBB152_103:
	s_mul_i32 s10, s26, 0x380
	s_mov_b32 s11, 0
	s_wait_alu 0xfffe
	s_lshl_b64 s[10:11], s[10:11], 3
	s_wait_alu 0xfffe
	v_add_co_u32 v2, vcc_lo, v2, s10
	s_wait_alu 0xfffd
	v_add_co_ci_u32_e64 v3, null, s11, v3, vcc_lo
	s_wait_dscnt 0x0
	global_store_b64 v[2:3], v[0:1], off
.LBB152_104:
	s_wait_alu 0xfffe
	s_or_b32 exec_lo, exec_lo, s1
	s_wait_storecnt 0x0
	s_wait_loadcnt_dscnt 0x0
	s_barrier_signal -1
	s_barrier_wait -1
	global_inv scope:SCOPE_SE
	ds_store_2addr_b64 v115, v[45:46], v[47:48] offset1:1
	ds_store_2addr_b64 v115, v[41:42], v[43:44] offset0:2 offset1:3
	ds_store_2addr_b64 v115, v[37:38], v[39:40] offset0:4 offset1:5
	ds_store_2addr_b64 v115, v[33:34], v[35:36] offset0:6 offset1:7
	s_wait_loadcnt_dscnt 0x0
	s_barrier_signal -1
	s_barrier_wait -1
	global_inv scope:SCOPE_SE
	ds_load_b64 v[14:15], v108 offset:1024
	ds_load_b64 v[12:13], v109 offset:2048
	;; [unrolled: 1-line block ×7, first 2 shown]
	v_mov_b32_e32 v70, 0
	s_delay_alu instid0(VALU_DEP_1) | instskip(NEXT) | instid1(VALU_DEP_1)
	v_lshlrev_b64_e32 v[2:3], 3, v[69:70]
	v_add_co_u32 v2, vcc_lo, s24, v2
	s_wait_alu 0xfffd
	s_delay_alu instid0(VALU_DEP_2)
	v_add_co_ci_u32_e64 v3, null, s25, v3, vcc_lo
	s_and_saveexec_b32 s1, s2
	s_cbranch_execnz .LBB152_121
; %bb.105:
	s_wait_alu 0xfffe
	s_or_b32 exec_lo, exec_lo, s1
	s_and_saveexec_b32 s1, s3
	s_cbranch_execnz .LBB152_122
.LBB152_106:
	s_wait_alu 0xfffe
	s_or_b32 exec_lo, exec_lo, s1
	s_and_saveexec_b32 s1, s4
	s_cbranch_execnz .LBB152_123
.LBB152_107:
	s_wait_alu 0xfffe
	s_or_b32 exec_lo, exec_lo, s1
	s_and_saveexec_b32 s1, s5
	s_cbranch_execnz .LBB152_124
.LBB152_108:
	s_wait_alu 0xfffe
	s_or_b32 exec_lo, exec_lo, s1
	s_and_saveexec_b32 s1, s6
	s_cbranch_execnz .LBB152_125
.LBB152_109:
	s_wait_alu 0xfffe
	s_or_b32 exec_lo, exec_lo, s1
	s_and_saveexec_b32 s1, s7
	s_cbranch_execnz .LBB152_126
.LBB152_110:
	s_wait_alu 0xfffe
	s_or_b32 exec_lo, exec_lo, s1
	s_and_saveexec_b32 s1, s8
	s_cbranch_execnz .LBB152_127
.LBB152_111:
	s_wait_alu 0xfffe
	s_or_b32 exec_lo, exec_lo, s1
	s_and_saveexec_b32 s1, s0
	s_cbranch_execz .LBB152_113
.LBB152_112:
	s_mul_i32 s0, s28, 0x380
	s_mov_b32 s1, 0
	s_wait_alu 0xfffe
	s_lshl_b64 s[0:1], s[0:1], 3
	s_wait_alu 0xfffe
	v_add_co_u32 v2, vcc_lo, v2, s0
	s_wait_alu 0xfffd
	v_add_co_ci_u32_e64 v3, null, s1, v3, vcc_lo
	s_wait_dscnt 0x0
	global_store_b64 v[2:3], v[0:1], off
.LBB152_113:
	s_nop 0
	s_sendmsg sendmsg(MSG_DEALLOC_VGPRS)
	s_endpgm
.LBB152_114:
	ds_load_b64 v[16:17], v107
	s_wait_dscnt 0x0
	global_store_b64 v[2:3], v[16:17], off
	s_wait_alu 0xfffe
	s_or_b32 exec_lo, exec_lo, s1
	s_and_saveexec_b32 s1, s3
	s_cbranch_execz .LBB152_97
.LBB152_115:
	s_lshl_b32 s10, s26, 7
	s_mov_b32 s11, 0
	s_wait_alu 0xfffe
	s_lshl_b64 s[10:11], s[10:11], 3
	s_wait_alu 0xfffe
	v_add_co_u32 v16, vcc_lo, v2, s10
	s_wait_alu 0xfffd
	v_add_co_ci_u32_e64 v17, null, s11, v3, vcc_lo
	s_wait_dscnt 0x6
	global_store_b64 v[16:17], v[14:15], off
	s_or_b32 exec_lo, exec_lo, s1
	s_and_saveexec_b32 s1, s4
	s_cbranch_execz .LBB152_98
.LBB152_116:
	s_lshl_b32 s10, s26, 8
	s_mov_b32 s11, 0
	s_wait_alu 0xfffe
	s_lshl_b64 s[10:11], s[10:11], 3
	s_wait_dscnt 0x6
	s_wait_alu 0xfffe
	v_add_co_u32 v14, vcc_lo, v2, s10
	s_wait_alu 0xfffd
	v_add_co_ci_u32_e64 v15, null, s11, v3, vcc_lo
	s_wait_dscnt 0x5
	global_store_b64 v[14:15], v[12:13], off
	s_or_b32 exec_lo, exec_lo, s1
	s_and_saveexec_b32 s1, s5
	s_cbranch_execz .LBB152_99
.LBB152_117:
	s_mul_i32 s10, s26, 0x180
	s_mov_b32 s11, 0
	s_wait_alu 0xfffe
	s_lshl_b64 s[10:11], s[10:11], 3
	s_wait_dscnt 0x5
	s_wait_alu 0xfffe
	v_add_co_u32 v12, vcc_lo, v2, s10
	s_wait_alu 0xfffd
	v_add_co_ci_u32_e64 v13, null, s11, v3, vcc_lo
	s_wait_dscnt 0x4
	global_store_b64 v[12:13], v[10:11], off
	s_or_b32 exec_lo, exec_lo, s1
	s_and_saveexec_b32 s1, s6
	s_cbranch_execz .LBB152_100
.LBB152_118:
	s_lshl_b32 s10, s26, 9
	s_mov_b32 s11, 0
	s_wait_alu 0xfffe
	s_lshl_b64 s[10:11], s[10:11], 3
	s_wait_dscnt 0x4
	s_wait_alu 0xfffe
	v_add_co_u32 v10, vcc_lo, v2, s10
	s_wait_alu 0xfffd
	v_add_co_ci_u32_e64 v11, null, s11, v3, vcc_lo
	s_wait_dscnt 0x3
	global_store_b64 v[10:11], v[8:9], off
	s_or_b32 exec_lo, exec_lo, s1
	s_and_saveexec_b32 s1, s7
	s_cbranch_execz .LBB152_101
.LBB152_119:
	s_mul_i32 s10, s26, 0x280
	s_mov_b32 s11, 0
	s_wait_alu 0xfffe
	s_lshl_b64 s[10:11], s[10:11], 3
	s_wait_dscnt 0x3
	s_wait_alu 0xfffe
	v_add_co_u32 v8, vcc_lo, v2, s10
	s_wait_alu 0xfffd
	v_add_co_ci_u32_e64 v9, null, s11, v3, vcc_lo
	s_wait_dscnt 0x2
	global_store_b64 v[8:9], v[6:7], off
	s_or_b32 exec_lo, exec_lo, s1
	s_and_saveexec_b32 s1, s8
	s_cbranch_execz .LBB152_102
.LBB152_120:
	s_mul_i32 s10, s26, 0x300
	s_mov_b32 s11, 0
	s_wait_alu 0xfffe
	s_lshl_b64 s[10:11], s[10:11], 3
	s_wait_dscnt 0x2
	s_wait_alu 0xfffe
	v_add_co_u32 v6, vcc_lo, v2, s10
	s_wait_alu 0xfffd
	v_add_co_ci_u32_e64 v7, null, s11, v3, vcc_lo
	s_wait_dscnt 0x1
	global_store_b64 v[6:7], v[4:5], off
	s_or_b32 exec_lo, exec_lo, s1
	s_and_saveexec_b32 s1, s0
	s_cbranch_execnz .LBB152_103
	s_branch .LBB152_104
.LBB152_121:
	ds_load_b64 v[16:17], v107
	s_wait_dscnt 0x0
	global_store_b64 v[2:3], v[16:17], off
	s_wait_alu 0xfffe
	s_or_b32 exec_lo, exec_lo, s1
	s_and_saveexec_b32 s1, s3
	s_cbranch_execz .LBB152_106
.LBB152_122:
	s_lshl_b32 s2, s28, 7
	s_mov_b32 s3, 0
	s_delay_alu instid0(SALU_CYCLE_1) | instskip(NEXT) | instid1(SALU_CYCLE_1)
	s_lshl_b64 s[2:3], s[2:3], 3
	v_add_co_u32 v16, vcc_lo, v2, s2
	s_wait_alu 0xfffd
	v_add_co_ci_u32_e64 v17, null, s3, v3, vcc_lo
	s_wait_dscnt 0x6
	global_store_b64 v[16:17], v[14:15], off
	s_wait_alu 0xfffe
	s_or_b32 exec_lo, exec_lo, s1
	s_and_saveexec_b32 s1, s4
	s_cbranch_execz .LBB152_107
.LBB152_123:
	s_lshl_b32 s2, s28, 8
	s_mov_b32 s3, 0
	s_wait_alu 0xfffe
	s_lshl_b64 s[2:3], s[2:3], 3
	s_wait_dscnt 0x6
	s_wait_alu 0xfffe
	v_add_co_u32 v14, vcc_lo, v2, s2
	s_wait_alu 0xfffd
	v_add_co_ci_u32_e64 v15, null, s3, v3, vcc_lo
	s_wait_dscnt 0x5
	global_store_b64 v[14:15], v[12:13], off
	s_or_b32 exec_lo, exec_lo, s1
	s_and_saveexec_b32 s1, s5
	s_cbranch_execz .LBB152_108
.LBB152_124:
	s_mul_i32 s2, s28, 0x180
	s_mov_b32 s3, 0
	s_wait_alu 0xfffe
	s_lshl_b64 s[2:3], s[2:3], 3
	s_wait_dscnt 0x5
	s_wait_alu 0xfffe
	v_add_co_u32 v12, vcc_lo, v2, s2
	s_wait_alu 0xfffd
	v_add_co_ci_u32_e64 v13, null, s3, v3, vcc_lo
	s_wait_dscnt 0x4
	global_store_b64 v[12:13], v[10:11], off
	s_or_b32 exec_lo, exec_lo, s1
	s_and_saveexec_b32 s1, s6
	s_cbranch_execz .LBB152_109
.LBB152_125:
	s_lshl_b32 s2, s28, 9
	s_mov_b32 s3, 0
	s_wait_alu 0xfffe
	s_lshl_b64 s[2:3], s[2:3], 3
	s_wait_dscnt 0x4
	s_wait_alu 0xfffe
	v_add_co_u32 v10, vcc_lo, v2, s2
	s_wait_alu 0xfffd
	v_add_co_ci_u32_e64 v11, null, s3, v3, vcc_lo
	s_wait_dscnt 0x3
	global_store_b64 v[10:11], v[8:9], off
	s_or_b32 exec_lo, exec_lo, s1
	s_and_saveexec_b32 s1, s7
	s_cbranch_execz .LBB152_110
.LBB152_126:
	s_mul_i32 s2, s28, 0x280
	s_mov_b32 s3, 0
	s_wait_alu 0xfffe
	s_lshl_b64 s[2:3], s[2:3], 3
	s_wait_dscnt 0x3
	s_wait_alu 0xfffe
	v_add_co_u32 v8, vcc_lo, v2, s2
	s_wait_alu 0xfffd
	v_add_co_ci_u32_e64 v9, null, s3, v3, vcc_lo
	s_wait_dscnt 0x2
	global_store_b64 v[8:9], v[6:7], off
	s_or_b32 exec_lo, exec_lo, s1
	s_and_saveexec_b32 s1, s8
	s_cbranch_execz .LBB152_111
.LBB152_127:
	s_mul_i32 s2, s28, 0x300
	s_mov_b32 s3, 0
	s_wait_alu 0xfffe
	s_lshl_b64 s[2:3], s[2:3], 3
	s_wait_dscnt 0x2
	s_wait_alu 0xfffe
	v_add_co_u32 v6, vcc_lo, v2, s2
	s_wait_alu 0xfffd
	v_add_co_ci_u32_e64 v7, null, s3, v3, vcc_lo
	s_wait_dscnt 0x1
	global_store_b64 v[6:7], v[4:5], off
	s_or_b32 exec_lo, exec_lo, s1
	s_and_saveexec_b32 s1, s0
	s_cbranch_execnz .LBB152_112
	s_branch .LBB152_113
	.section	.rodata,"a",@progbits
	.p2align	6, 0x0
	.amdhsa_kernel _ZN2at6native18radixSortKVInPlaceILin1ELin1ELi128ELi8ElljEEvNS_4cuda6detail10TensorInfoIT3_T5_EES6_S6_S6_NS4_IT4_S6_EES6_b
		.amdhsa_group_segment_fixed_size 8448
		.amdhsa_private_segment_fixed_size 0
		.amdhsa_kernarg_size 712
		.amdhsa_user_sgpr_count 2
		.amdhsa_user_sgpr_dispatch_ptr 0
		.amdhsa_user_sgpr_queue_ptr 0
		.amdhsa_user_sgpr_kernarg_segment_ptr 1
		.amdhsa_user_sgpr_dispatch_id 0
		.amdhsa_user_sgpr_private_segment_size 0
		.amdhsa_wavefront_size32 1
		.amdhsa_uses_dynamic_stack 0
		.amdhsa_enable_private_segment 0
		.amdhsa_system_sgpr_workgroup_id_x 1
		.amdhsa_system_sgpr_workgroup_id_y 1
		.amdhsa_system_sgpr_workgroup_id_z 1
		.amdhsa_system_sgpr_workgroup_info 0
		.amdhsa_system_vgpr_workitem_id 2
		.amdhsa_next_free_vgpr 141
		.amdhsa_next_free_sgpr 40
		.amdhsa_reserve_vcc 1
		.amdhsa_float_round_mode_32 0
		.amdhsa_float_round_mode_16_64 0
		.amdhsa_float_denorm_mode_32 3
		.amdhsa_float_denorm_mode_16_64 3
		.amdhsa_fp16_overflow 0
		.amdhsa_workgroup_processor_mode 1
		.amdhsa_memory_ordered 1
		.amdhsa_forward_progress 1
		.amdhsa_inst_pref_size 116
		.amdhsa_round_robin_scheduling 0
		.amdhsa_exception_fp_ieee_invalid_op 0
		.amdhsa_exception_fp_denorm_src 0
		.amdhsa_exception_fp_ieee_div_zero 0
		.amdhsa_exception_fp_ieee_overflow 0
		.amdhsa_exception_fp_ieee_underflow 0
		.amdhsa_exception_fp_ieee_inexact 0
		.amdhsa_exception_int_div_zero 0
	.end_amdhsa_kernel
	.section	.text._ZN2at6native18radixSortKVInPlaceILin1ELin1ELi128ELi8ElljEEvNS_4cuda6detail10TensorInfoIT3_T5_EES6_S6_S6_NS4_IT4_S6_EES6_b,"axG",@progbits,_ZN2at6native18radixSortKVInPlaceILin1ELin1ELi128ELi8ElljEEvNS_4cuda6detail10TensorInfoIT3_T5_EES6_S6_S6_NS4_IT4_S6_EES6_b,comdat
.Lfunc_end152:
	.size	_ZN2at6native18radixSortKVInPlaceILin1ELin1ELi128ELi8ElljEEvNS_4cuda6detail10TensorInfoIT3_T5_EES6_S6_S6_NS4_IT4_S6_EES6_b, .Lfunc_end152-_ZN2at6native18radixSortKVInPlaceILin1ELin1ELi128ELi8ElljEEvNS_4cuda6detail10TensorInfoIT3_T5_EES6_S6_S6_NS4_IT4_S6_EES6_b
                                        ; -- End function
	.set _ZN2at6native18radixSortKVInPlaceILin1ELin1ELi128ELi8ElljEEvNS_4cuda6detail10TensorInfoIT3_T5_EES6_S6_S6_NS4_IT4_S6_EES6_b.num_vgpr, 141
	.set _ZN2at6native18radixSortKVInPlaceILin1ELin1ELi128ELi8ElljEEvNS_4cuda6detail10TensorInfoIT3_T5_EES6_S6_S6_NS4_IT4_S6_EES6_b.num_agpr, 0
	.set _ZN2at6native18radixSortKVInPlaceILin1ELin1ELi128ELi8ElljEEvNS_4cuda6detail10TensorInfoIT3_T5_EES6_S6_S6_NS4_IT4_S6_EES6_b.numbered_sgpr, 40
	.set _ZN2at6native18radixSortKVInPlaceILin1ELin1ELi128ELi8ElljEEvNS_4cuda6detail10TensorInfoIT3_T5_EES6_S6_S6_NS4_IT4_S6_EES6_b.num_named_barrier, 0
	.set _ZN2at6native18radixSortKVInPlaceILin1ELin1ELi128ELi8ElljEEvNS_4cuda6detail10TensorInfoIT3_T5_EES6_S6_S6_NS4_IT4_S6_EES6_b.private_seg_size, 0
	.set _ZN2at6native18radixSortKVInPlaceILin1ELin1ELi128ELi8ElljEEvNS_4cuda6detail10TensorInfoIT3_T5_EES6_S6_S6_NS4_IT4_S6_EES6_b.uses_vcc, 1
	.set _ZN2at6native18radixSortKVInPlaceILin1ELin1ELi128ELi8ElljEEvNS_4cuda6detail10TensorInfoIT3_T5_EES6_S6_S6_NS4_IT4_S6_EES6_b.uses_flat_scratch, 0
	.set _ZN2at6native18radixSortKVInPlaceILin1ELin1ELi128ELi8ElljEEvNS_4cuda6detail10TensorInfoIT3_T5_EES6_S6_S6_NS4_IT4_S6_EES6_b.has_dyn_sized_stack, 0
	.set _ZN2at6native18radixSortKVInPlaceILin1ELin1ELi128ELi8ElljEEvNS_4cuda6detail10TensorInfoIT3_T5_EES6_S6_S6_NS4_IT4_S6_EES6_b.has_recursion, 0
	.set _ZN2at6native18radixSortKVInPlaceILin1ELin1ELi128ELi8ElljEEvNS_4cuda6detail10TensorInfoIT3_T5_EES6_S6_S6_NS4_IT4_S6_EES6_b.has_indirect_call, 0
	.section	.AMDGPU.csdata,"",@progbits
; Kernel info:
; codeLenInByte = 14800
; TotalNumSgprs: 42
; NumVgprs: 141
; ScratchSize: 0
; MemoryBound: 0
; FloatMode: 240
; IeeeMode: 1
; LDSByteSize: 8448 bytes/workgroup (compile time only)
; SGPRBlocks: 0
; VGPRBlocks: 17
; NumSGPRsForWavesPerEU: 42
; NumVGPRsForWavesPerEU: 141
; Occupancy: 10
; WaveLimiterHint : 1
; COMPUTE_PGM_RSRC2:SCRATCH_EN: 0
; COMPUTE_PGM_RSRC2:USER_SGPR: 2
; COMPUTE_PGM_RSRC2:TRAP_HANDLER: 0
; COMPUTE_PGM_RSRC2:TGID_X_EN: 1
; COMPUTE_PGM_RSRC2:TGID_Y_EN: 1
; COMPUTE_PGM_RSRC2:TGID_Z_EN: 1
; COMPUTE_PGM_RSRC2:TIDIG_COMP_CNT: 2
	.section	.text._ZN2at6native18radixSortKVInPlaceILin1ELin1ELi32ELi4ElljEEvNS_4cuda6detail10TensorInfoIT3_T5_EES6_S6_S6_NS4_IT4_S6_EES6_b,"axG",@progbits,_ZN2at6native18radixSortKVInPlaceILin1ELin1ELi32ELi4ElljEEvNS_4cuda6detail10TensorInfoIT3_T5_EES6_S6_S6_NS4_IT4_S6_EES6_b,comdat
	.protected	_ZN2at6native18radixSortKVInPlaceILin1ELin1ELi32ELi4ElljEEvNS_4cuda6detail10TensorInfoIT3_T5_EES6_S6_S6_NS4_IT4_S6_EES6_b ; -- Begin function _ZN2at6native18radixSortKVInPlaceILin1ELin1ELi32ELi4ElljEEvNS_4cuda6detail10TensorInfoIT3_T5_EES6_S6_S6_NS4_IT4_S6_EES6_b
	.globl	_ZN2at6native18radixSortKVInPlaceILin1ELin1ELi32ELi4ElljEEvNS_4cuda6detail10TensorInfoIT3_T5_EES6_S6_S6_NS4_IT4_S6_EES6_b
	.p2align	8
	.type	_ZN2at6native18radixSortKVInPlaceILin1ELin1ELi32ELi4ElljEEvNS_4cuda6detail10TensorInfoIT3_T5_EES6_S6_S6_NS4_IT4_S6_EES6_b,@function
_ZN2at6native18radixSortKVInPlaceILin1ELin1ELi32ELi4ElljEEvNS_4cuda6detail10TensorInfoIT3_T5_EES6_S6_S6_NS4_IT4_S6_EES6_b: ; @_ZN2at6native18radixSortKVInPlaceILin1ELin1ELi32ELi4ElljEEvNS_4cuda6detail10TensorInfoIT3_T5_EES6_S6_S6_NS4_IT4_S6_EES6_b
; %bb.0:
	s_clause 0x1
	s_load_b64 s[2:3], s[0:1], 0x1c8
	s_load_b96 s[12:14], s[0:1], 0xd8
	s_lshr_b32 s4, ttmp7, 16
	s_wait_kmcnt 0x0
	s_mul_i32 s3, s3, s4
	s_and_b32 s4, ttmp7, 0xffff
	s_delay_alu instid0(SALU_CYCLE_1) | instskip(NEXT) | instid1(SALU_CYCLE_1)
	s_add_co_i32 s3, s3, s4
	s_mul_i32 s2, s3, s2
	s_delay_alu instid0(SALU_CYCLE_1) | instskip(NEXT) | instid1(SALU_CYCLE_1)
	s_add_co_i32 s15, s2, ttmp9
	s_cmp_ge_u32 s15, s12
	s_cbranch_scc1 .LBB153_65
; %bb.1:
	s_load_b32 s4, s[0:1], 0xd0
	s_mov_b32 s3, 0
	s_mov_b32 s2, s15
	s_wait_kmcnt 0x0
	s_cmp_lt_i32 s4, 2
	s_cbranch_scc1 .LBB153_4
; %bb.2:
	s_add_co_i32 s2, s4, -1
	s_delay_alu instid0(SALU_CYCLE_1)
	s_lshl_b64 s[6:7], s[2:3], 2
	s_mov_b32 s2, s15
	s_add_nc_u64 s[8:9], s[0:1], s[6:7]
	s_add_co_i32 s6, s4, 1
	s_add_nc_u64 s[4:5], s[8:9], 8
.LBB153_3:                              ; =>This Inner Loop Header: Depth=1
	s_clause 0x1
	s_load_b32 s7, s[4:5], 0x0
	s_load_b32 s8, s[4:5], 0x64
	s_mov_b32 s11, s2
	s_add_nc_u64 s[4:5], s[4:5], -4
	s_wait_kmcnt 0x0
	s_cvt_f32_u32 s9, s7
	s_sub_co_i32 s10, 0, s7
	s_wait_alu 0xfffe
	s_delay_alu instid0(SALU_CYCLE_1) | instskip(NEXT) | instid1(TRANS32_DEP_1)
	v_rcp_iflag_f32_e32 v1, s9
	v_readfirstlane_b32 s9, v1
	s_mul_f32 s9, s9, 0x4f7ffffe
	s_wait_alu 0xfffe
	s_delay_alu instid0(SALU_CYCLE_2) | instskip(SKIP_1) | instid1(SALU_CYCLE_2)
	s_cvt_u32_f32 s9, s9
	s_wait_alu 0xfffe
	s_mul_i32 s10, s10, s9
	s_delay_alu instid0(SALU_CYCLE_1) | instskip(NEXT) | instid1(SALU_CYCLE_1)
	s_mul_hi_u32 s10, s9, s10
	s_add_co_i32 s9, s9, s10
	s_wait_alu 0xfffe
	s_mul_hi_u32 s2, s2, s9
	s_delay_alu instid0(SALU_CYCLE_1)
	s_mul_i32 s9, s2, s7
	s_add_co_i32 s10, s2, 1
	s_wait_alu 0xfffe
	s_sub_co_i32 s9, s11, s9
	s_wait_alu 0xfffe
	s_sub_co_i32 s12, s9, s7
	s_cmp_ge_u32 s9, s7
	s_cselect_b32 s2, s10, s2
	s_cselect_b32 s9, s12, s9
	s_add_co_i32 s10, s2, 1
	s_wait_alu 0xfffe
	s_cmp_ge_u32 s9, s7
	s_cselect_b32 s2, s10, s2
	s_add_co_i32 s6, s6, -1
	s_mul_i32 s7, s2, s7
	s_delay_alu instid0(SALU_CYCLE_1) | instskip(NEXT) | instid1(SALU_CYCLE_1)
	s_sub_co_i32 s7, s11, s7
	s_mul_i32 s7, s8, s7
	s_delay_alu instid0(SALU_CYCLE_1)
	s_add_co_i32 s3, s7, s3
	s_cmp_gt_u32 s6, 2
	s_cbranch_scc1 .LBB153_3
.LBB153_4:
	s_load_b32 s4, s[0:1], 0x1b8
	s_add_nc_u64 s[20:21], s[0:1], 0x1c8
	s_mov_b32 s23, 0
	s_wait_kmcnt 0x0
	s_cmp_lt_i32 s4, 2
	s_cbranch_scc1 .LBB153_7
; %bb.5:
	s_add_co_i32 s22, s4, -1
	s_delay_alu instid0(SALU_CYCLE_1) | instskip(NEXT) | instid1(SALU_CYCLE_1)
	s_lshl_b64 s[6:7], s[22:23], 2
	s_add_nc_u64 s[8:9], s[0:1], s[6:7]
	s_add_co_i32 s6, s4, 1
	s_wait_alu 0xfffe
	s_add_nc_u64 s[4:5], s[8:9], 0xf0
.LBB153_6:                              ; =>This Inner Loop Header: Depth=1
	s_clause 0x1
	s_load_b32 s7, s[4:5], 0x0
	s_load_b32 s8, s[4:5], 0x64
	s_mov_b32 s11, s15
	s_add_nc_u64 s[4:5], s[4:5], -4
	s_wait_kmcnt 0x0
	s_cvt_f32_u32 s9, s7
	s_sub_co_i32 s10, 0, s7
	s_wait_alu 0xfffe
	s_delay_alu instid0(SALU_CYCLE_1) | instskip(NEXT) | instid1(TRANS32_DEP_1)
	v_rcp_iflag_f32_e32 v1, s9
	v_readfirstlane_b32 s9, v1
	s_mul_f32 s9, s9, 0x4f7ffffe
	s_wait_alu 0xfffe
	s_delay_alu instid0(SALU_CYCLE_2) | instskip(SKIP_1) | instid1(SALU_CYCLE_2)
	s_cvt_u32_f32 s9, s9
	s_wait_alu 0xfffe
	s_mul_i32 s10, s10, s9
	s_delay_alu instid0(SALU_CYCLE_1) | instskip(NEXT) | instid1(SALU_CYCLE_1)
	s_mul_hi_u32 s10, s9, s10
	s_add_co_i32 s9, s9, s10
	s_wait_alu 0xfffe
	s_mul_hi_u32 s9, s15, s9
	s_wait_alu 0xfffe
	s_mul_i32 s10, s9, s7
	s_add_co_i32 s12, s9, 1
	s_sub_co_i32 s10, s15, s10
	s_delay_alu instid0(SALU_CYCLE_1)
	s_sub_co_i32 s15, s10, s7
	s_cmp_ge_u32 s10, s7
	s_cselect_b32 s9, s12, s9
	s_cselect_b32 s10, s15, s10
	s_wait_alu 0xfffe
	s_add_co_i32 s12, s9, 1
	s_cmp_ge_u32 s10, s7
	s_cselect_b32 s15, s12, s9
	s_add_co_i32 s6, s6, -1
	s_mul_i32 s7, s15, s7
	s_delay_alu instid0(SALU_CYCLE_1) | instskip(NEXT) | instid1(SALU_CYCLE_1)
	s_sub_co_i32 s7, s11, s7
	s_mul_i32 s7, s8, s7
	s_delay_alu instid0(SALU_CYCLE_1)
	s_add_co_i32 s23, s7, s23
	s_cmp_gt_u32 s6, 2
	s_cbranch_scc1 .LBB153_6
.LBB153_7:
	s_clause 0x2
	s_load_b32 s4, s[0:1], 0x6c
	s_load_b64 s[16:17], s[0:1], 0x1c0
	s_load_b64 s[18:19], s[0:1], 0x0
	s_mov_b32 s5, 0
	s_brev_b32 s6, 1
	s_wait_kmcnt 0x0
	s_mul_i32 s2, s4, s2
	s_delay_alu instid0(SALU_CYCLE_1)
	s_add_co_i32 s4, s2, s3
	s_bitcmp1_b32 s17, 0
	s_cselect_b32 s17, -1, 0
	s_lshl_b64 s[24:25], s[4:5], 3
	s_and_b32 s2, s17, exec_lo
	s_cselect_b32 s4, 0, -1
	s_cselect_b32 s5, s6, 0x7fffffff
	s_mov_b32 s6, s4
	s_mov_b32 s7, s5
	;; [unrolled: 1-line block ×6, first 2 shown]
	v_and_b32_e32 v37, 0x3ff, v0
	v_dual_mov_b32 v1, s4 :: v_dual_mov_b32 v4, s7
	v_dual_mov_b32 v2, s5 :: v_dual_mov_b32 v7, s10
	v_mov_b32_e32 v10, s5
	s_delay_alu instid0(VALU_DEP_4)
	v_mul_lo_u32 v33, s14, v37
	v_cmp_gt_u32_e64 s2, s13, v37
	s_wait_alu 0xfffe
	v_dual_mov_b32 v3, s6 :: v_dual_mov_b32 v6, s9
	v_dual_mov_b32 v5, s8 :: v_dual_mov_b32 v8, s11
	v_mov_b32_e32 v9, s4
	s_add_nc_u64 s[18:19], s[18:19], s[24:25]
	s_and_saveexec_b32 s3, s2
	s_cbranch_execz .LBB153_9
; %bb.8:
	v_mov_b32_e32 v34, 0
	s_delay_alu instid0(VALU_DEP_1) | instskip(NEXT) | instid1(VALU_DEP_1)
	v_lshlrev_b64_e32 v[1:2], 3, v[33:34]
	v_add_co_u32 v1, vcc_lo, s18, v1
	s_delay_alu instid0(VALU_DEP_1)
	v_add_co_ci_u32_e64 v2, null, s19, v2, vcc_lo
	global_load_b64 v[9:10], v[1:2], off
	v_dual_mov_b32 v1, s4 :: v_dual_mov_b32 v2, s5
	v_dual_mov_b32 v3, s6 :: v_dual_mov_b32 v4, s7
	;; [unrolled: 1-line block ×4, first 2 shown]
.LBB153_9:
	s_or_b32 exec_lo, exec_lo, s3
	v_add_nc_u32_e32 v17, 32, v37
	s_delay_alu instid0(VALU_DEP_1)
	v_cmp_gt_u32_e64 s3, s13, v17
	s_and_saveexec_b32 s4, s3
	s_cbranch_execz .LBB153_11
; %bb.10:
	v_mul_lo_u32 v1, s14, v17
	v_mov_b32_e32 v2, 0
	s_delay_alu instid0(VALU_DEP_1) | instskip(NEXT) | instid1(VALU_DEP_1)
	v_lshlrev_b64_e32 v[1:2], 3, v[1:2]
	v_add_co_u32 v1, vcc_lo, s18, v1
	s_wait_alu 0xfffd
	s_delay_alu instid0(VALU_DEP_2)
	v_add_co_ci_u32_e64 v2, null, s19, v2, vcc_lo
	global_load_b64 v[3:4], v[1:2], off
.LBB153_11:
	s_wait_alu 0xfffe
	s_or_b32 exec_lo, exec_lo, s4
	v_add_nc_u32_e32 v18, 64, v37
	s_delay_alu instid0(VALU_DEP_1)
	v_cmp_gt_u32_e64 s4, s13, v18
	s_and_saveexec_b32 s5, s4
	s_cbranch_execz .LBB153_13
; %bb.12:
	v_mul_lo_u32 v1, s14, v18
	v_mov_b32_e32 v2, 0
	s_delay_alu instid0(VALU_DEP_1) | instskip(NEXT) | instid1(VALU_DEP_1)
	v_lshlrev_b64_e32 v[1:2], 3, v[1:2]
	v_add_co_u32 v1, vcc_lo, s18, v1
	s_wait_alu 0xfffd
	s_delay_alu instid0(VALU_DEP_2)
	v_add_co_ci_u32_e64 v2, null, s19, v2, vcc_lo
	global_load_b64 v[5:6], v[1:2], off
.LBB153_13:
	s_wait_alu 0xfffe
	s_or_b32 exec_lo, exec_lo, s5
	s_clause 0x1
	s_load_b32 s5, s[0:1], 0x154
	s_load_b64 s[6:7], s[0:1], 0xe8
	v_add_nc_u32_e32 v19, 0x60, v37
	s_delay_alu instid0(VALU_DEP_1)
	v_cmp_gt_u32_e64 s0, s13, v19
	s_and_saveexec_b32 s1, s0
	s_cbranch_execz .LBB153_15
; %bb.14:
	v_mul_lo_u32 v1, s14, v19
	v_mov_b32_e32 v2, 0
	s_delay_alu instid0(VALU_DEP_1) | instskip(NEXT) | instid1(VALU_DEP_1)
	v_lshlrev_b64_e32 v[1:2], 3, v[1:2]
	v_add_co_u32 v1, vcc_lo, s18, v1
	s_wait_alu 0xfffd
	s_delay_alu instid0(VALU_DEP_2)
	v_add_co_ci_u32_e64 v2, null, s19, v2, vcc_lo
	global_load_b64 v[7:8], v[1:2], off
.LBB153_15:
	s_or_b32 exec_lo, exec_lo, s1
	v_lshrrev_b32_e32 v1, 2, v37
	v_lshrrev_b32_e32 v2, 2, v17
	v_lshlrev_b32_e32 v11, 3, v37
	v_lshrrev_b32_e32 v12, 2, v18
	v_lshrrev_b32_e32 v13, 2, v19
	v_and_b32_e32 v1, 0xf8, v1
	v_and_b32_e32 v2, 0x1f8, v2
	s_wait_kmcnt 0x0
	s_mul_i32 s1, s5, s15
	v_and_b32_e32 v12, 0x1f8, v12
	v_and_b32_e32 v13, 0x1f8, v13
	v_add_nc_u32_e32 v56, v1, v11
	v_and_b32_e32 v1, 0x3f8, v37
	v_add_nc_u32_e32 v57, v2, v11
	v_mul_lo_u32 v35, s16, v37
	s_add_co_i32 s8, s1, s23
	s_wait_loadcnt 0x0
	ds_store_b64 v56, v[9:10]
	ds_store_b64 v57, v[3:4] offset:256
	v_lshl_add_u32 v60, v37, 5, v1
	v_mov_b32_e32 v1, 0
	v_mov_b32_e32 v2, 0
	v_add_nc_u32_e32 v58, v12, v11
	v_add_nc_u32_e32 v59, v13, v11
	ds_store_b64 v58, v[5:6] offset:512
	ds_store_b64 v59, v[7:8] offset:768
	s_wait_dscnt 0x0
	; wave barrier
	global_inv scope:SCOPE_SE
	ds_load_2addr_b64 v[13:16], v60 offset1:1
	ds_load_2addr_b64 v[9:12], v60 offset0:2 offset1:3
	s_mov_b32 s9, 0
	v_mov_b32_e32 v3, 0
	v_mov_b32_e32 v4, 0
	s_wait_alu 0xfffe
	s_lshl_b64 s[8:9], s[8:9], 3
	s_wait_loadcnt_dscnt 0x0
	s_wait_alu 0xfffe
	s_add_nc_u64 s[12:13], s[6:7], s[8:9]
	; wave barrier
	global_inv scope:SCOPE_SE
	s_and_saveexec_b32 s1, s2
	s_cbranch_execz .LBB153_17
; %bb.16:
	v_mov_b32_e32 v36, 0
	s_delay_alu instid0(VALU_DEP_1) | instskip(SKIP_1) | instid1(VALU_DEP_1)
	v_lshlrev_b64_e32 v[3:4], 3, v[35:36]
	s_wait_alu 0xfffe
	v_add_co_u32 v3, vcc_lo, s12, v3
	s_wait_alu 0xfffd
	s_delay_alu instid0(VALU_DEP_2)
	v_add_co_ci_u32_e64 v4, null, s13, v4, vcc_lo
	global_load_b64 v[3:4], v[3:4], off
.LBB153_17:
	s_or_b32 exec_lo, exec_lo, s1
	s_and_saveexec_b32 s1, s3
	s_cbranch_execz .LBB153_19
; %bb.18:
	v_mul_lo_u32 v1, s16, v17
	v_mov_b32_e32 v2, 0
	s_delay_alu instid0(VALU_DEP_1) | instskip(SKIP_1) | instid1(VALU_DEP_1)
	v_lshlrev_b64_e32 v[1:2], 3, v[1:2]
	s_wait_alu 0xfffe
	v_add_co_u32 v1, vcc_lo, s12, v1
	s_wait_alu 0xfffd
	s_delay_alu instid0(VALU_DEP_2)
	v_add_co_ci_u32_e64 v2, null, s13, v2, vcc_lo
	global_load_b64 v[1:2], v[1:2], off
.LBB153_19:
	s_or_b32 exec_lo, exec_lo, s1
	v_mov_b32_e32 v5, 0
	v_dual_mov_b32 v6, 0 :: v_dual_mov_b32 v7, 0
	v_mov_b32_e32 v8, 0
	s_and_saveexec_b32 s1, s4
	s_cbranch_execz .LBB153_21
; %bb.20:
	v_mul_lo_u32 v7, s16, v18
	v_mov_b32_e32 v8, 0
	s_delay_alu instid0(VALU_DEP_1) | instskip(SKIP_1) | instid1(VALU_DEP_1)
	v_lshlrev_b64_e32 v[7:8], 3, v[7:8]
	s_wait_alu 0xfffe
	v_add_co_u32 v7, vcc_lo, s12, v7
	s_wait_alu 0xfffd
	s_delay_alu instid0(VALU_DEP_2)
	v_add_co_ci_u32_e64 v8, null, s13, v8, vcc_lo
	global_load_b64 v[7:8], v[7:8], off
.LBB153_21:
	s_or_b32 exec_lo, exec_lo, s1
	s_xor_b32 s1, s17, -1
	s_and_saveexec_b32 s5, s0
	s_cbranch_execz .LBB153_23
; %bb.22:
	v_mul_lo_u32 v5, s16, v19
	v_mov_b32_e32 v6, 0
	s_delay_alu instid0(VALU_DEP_1) | instskip(SKIP_1) | instid1(VALU_DEP_1)
	v_lshlrev_b64_e32 v[5:6], 3, v[5:6]
	s_wait_alu 0xfffe
	v_add_co_u32 v5, vcc_lo, s12, v5
	s_wait_alu 0xfffd
	s_delay_alu instid0(VALU_DEP_2)
	v_add_co_ci_u32_e64 v6, null, s13, v6, vcc_lo
	global_load_b64 v[5:6], v[5:6], off
.LBB153_23:
	s_wait_alu 0xfffe
	s_or_b32 exec_lo, exec_lo, s5
	s_wait_loadcnt 0x0
	ds_store_b64 v56, v[3:4]
	ds_store_b64 v57, v[1:2] offset:256
	ds_store_b64 v58, v[7:8] offset:512
	;; [unrolled: 1-line block ×3, first 2 shown]
	s_wait_dscnt 0x0
	; wave barrier
	global_inv scope:SCOPE_SE
	ds_load_2addr_b64 v[5:8], v60 offset1:1
	ds_load_2addr_b64 v[1:4], v60 offset0:2 offset1:3
	v_lshlrev_b32_e32 v34, 2, v37
	s_and_b32 vcc_lo, exec_lo, s1
	v_bfe_u32 v62, v0, 10, 10
	v_bfe_u32 v63, v0, 20, 10
	v_mbcnt_lo_u32_b32 v36, -1, 0
	v_lshlrev_b32_e32 v61, 5, v37
	v_cmp_eq_u32_e64 s1, 31, v37
	v_cmp_eq_u32_e64 s10, 0, v37
	; wave barrier
	s_wait_loadcnt_dscnt 0x0
	global_inv scope:SCOPE_SE
	s_wait_alu 0xfffe
	s_cbranch_vccz .LBB153_38
; %bb.24:
	v_and_b32_e32 v21, 3, v36
	v_xor_b32_e32 v17, 0x80000000, v14
	v_xor_b32_e32 v19, 0x80000000, v16
	;; [unrolled: 1-line block ×4, first 2 shown]
	v_cmp_eq_u32_e32 vcc_lo, 0, v21
	v_and_b32_e32 v0, 28, v36
	s_wait_loadcnt 0x0
	; wave barrier
	global_inv scope:SCOPE_SE
	s_load_b32 s15, s[20:21], 0xc
	s_getpc_b64 s[8:9]
	s_wait_alu 0xfffe
	s_sext_i32_i16 s9, s9
	s_add_co_u32 s8, s8, _ZN7rocprim17ROCPRIM_400000_NS16block_radix_sortIlLj32ELj4ElLj1ELj1ELj0ELNS0_26block_radix_rank_algorithmE1ELNS0_18block_padding_hintE2ELNS0_4arch9wavefront6targetE0EE19radix_bits_per_passE@rel32@lo+12
	s_wait_alu 0xfffe
	s_add_co_ci_u32 s9, s9, _ZN7rocprim17ROCPRIM_400000_NS16block_radix_sortIlLj32ELj4ElLj1ELj1ELj0ELNS0_26block_radix_rank_algorithmE1ELNS0_18block_padding_hintE2ELNS0_4arch9wavefront6targetE0EE19radix_bits_per_passE@rel32@hi+24
	ds_bpermute_b32 v31, v0, v17 offset:32
	s_load_b32 s11, s[8:9], 0x0
	s_mov_b32 s17, 64
	s_wait_dscnt 0x0
	v_dual_mov_b32 v66, 0 :: v_dual_cndmask_b32 v31, 0, v31
	ds_bpermute_b32 v18, v0, v13
	ds_bpermute_b32 v20, v0, v17
	;; [unrolled: 1-line block ×5, first 2 shown]
	ds_bpermute_b32 v38, v0, v19 offset:32
	ds_bpermute_b32 v27, v0, v23
	ds_bpermute_b32 v29, v0, v11
	ds_bpermute_b32 v40, v0, v23 offset:32
	ds_bpermute_b32 v30, v0, v24
	ds_bpermute_b32 v43, v0, v13 offset:64
	ds_bpermute_b32 v28, v0, v13 offset:32
	;; [unrolled: 1-line block ×10, first 2 shown]
	s_wait_dscnt 0x13
	v_cndmask_b32_e32 v18, 0, v18, vcc_lo
	v_cmp_eq_u32_e64 s5, 1, v21
	v_cmp_eq_u32_e64 s6, 2, v21
	;; [unrolled: 1-line block ×3, first 2 shown]
	ds_bpermute_b32 v21, v0, v17 offset:96
	s_wait_dscnt 0x13
	v_cndmask_b32_e32 v20, 0, v20, vcc_lo
	s_wait_dscnt 0x12
	s_wait_alu 0xf1ff
	v_cndmask_b32_e64 v18, v18, v25, s5
	s_wait_dscnt 0xf
	v_cndmask_b32_e64 v17, v31, v38, s5
	ds_bpermute_b32 v31, v0, v19 offset:96
	ds_bpermute_b32 v25, v0, v23 offset:64
	;; [unrolled: 1-line block ×3, first 2 shown]
	v_cndmask_b32_e64 v26, v18, v26, s6
	s_wait_dscnt 0xf
	v_cndmask_b32_e64 v19, v17, v40, s6
	ds_bpermute_b32 v38, v0, v8
	ds_bpermute_b32 v40, v0, v5 offset:32
	ds_bpermute_b32 v24, v0, v24 offset:96
	v_cndmask_b32_e64 v17, v26, v29, s7
	ds_bpermute_b32 v29, v0, v6
	s_wait_dscnt 0x10
	v_cndmask_b32_e32 v28, 0, v28, vcc_lo
	ds_bpermute_b32 v48, v0, v8 offset:32
	ds_bpermute_b32 v50, v0, v1 offset:96
	ds_bpermute_b32 v49, v0, v4 offset:64
	ds_bpermute_b32 v51, v0, v4 offset:96
	s_wait_dscnt 0xb
	v_cndmask_b32_e32 v21, 0, v21, vcc_lo
	v_cndmask_b32_e64 v20, v20, v22, s5
	ds_bpermute_b32 v22, v0, v15 offset:64
	s_wait_dscnt 0xb
	v_cndmask_b32_e64 v31, v21, v31, s5
	v_cndmask_b32_e64 v20, v20, v27, s6
	ds_bpermute_b32 v27, v0, v11 offset:32
	s_wait_dscnt 0xa
	v_cndmask_b32_e64 v23, v31, v23, s6
	v_cndmask_b32_e64 v18, v20, v30, s7
	v_cndmask_b32_e32 v30, 0, v43, vcc_lo
	ds_bpermute_b32 v43, v0, v6 offset:32
	v_cndmask_b32_e32 v20, 0, v41, vcc_lo
	s_wait_dscnt 0x7
	v_cndmask_b32_e32 v29, 0, v29, vcc_lo
	v_cndmask_b32_e64 v28, v28, v32, s5
	ds_bpermute_b32 v41, v0, v2
	ds_bpermute_b32 v32, v0, v9 offset:96
	v_cndmask_b32_e64 v24, v23, v24, s7
	v_cndmask_b32_e64 v28, v28, v39, s6
	s_wait_dscnt 0x4
	v_cndmask_b32_e64 v22, v30, v22, s5
	ds_bpermute_b32 v30, v0, v5
	ds_bpermute_b32 v39, v0, v7
	v_cndmask_b32_e64 v26, v22, v45, s6
	ds_bpermute_b32 v45, v0, v7 offset:32
	s_wait_dscnt 0x5
	v_cndmask_b32_e32 v31, 0, v43, vcc_lo
	v_cndmask_b32_e64 v20, v20, v44, s5
	ds_bpermute_b32 v44, v0, v11 offset:96
	ds_bpermute_b32 v43, v0, v8 offset:96
	v_cndmask_b32_e64 v25, v20, v25, s6
	v_cndmask_b32_e64 v20, v19, v42, s7
	v_cndmask_b32_e64 v19, v28, v27, s7
	ds_bpermute_b32 v27, v0, v11 offset:64
	ds_bpermute_b32 v42, v0, v1
	v_cndmask_b32_e64 v22, v25, v46, s7
	ds_bpermute_b32 v25, v0, v15 offset:96
	s_wait_dscnt 0x7
	v_cndmask_b32_e32 v30, 0, v30, vcc_lo
	ds_bpermute_b32 v46, v0, v4
	s_wait_dscnt 0x3
	v_cndmask_b32_e64 v21, v26, v27, s7
	v_cndmask_b32_e64 v26, v29, v38, s5
	v_cndmask_b32_e64 v27, v30, v39, s5
	v_cndmask_b32_e32 v30, 0, v40, vcc_lo
	ds_bpermute_b32 v29, v0, v6 offset:64
	ds_bpermute_b32 v39, v0, v6 offset:96
	v_cndmask_b32_e64 v26, v26, v41, s6
	ds_bpermute_b32 v41, v0, v5 offset:96
	v_cndmask_b32_e32 v28, 0, v47, vcc_lo
	ds_bpermute_b32 v47, v0, v3
	s_wait_dscnt 0x6
	v_cndmask_b32_e64 v27, v27, v42, s6
	v_cndmask_b32_e64 v30, v30, v45, s5
	ds_bpermute_b32 v38, v0, v4 offset:32
	s_wait_dscnt 0x6
	v_cndmask_b32_e64 v25, v28, v25, s5
	ds_bpermute_b32 v28, v0, v1 offset:32
	ds_bpermute_b32 v40, v0, v8 offset:64
	;; [unrolled: 1-line block ×4, first 2 shown]
	v_cndmask_b32_e64 v25, v25, v32, s6
	s_wait_dscnt 0x9
	v_cndmask_b32_e64 v26, v26, v46, s7
	ds_bpermute_b32 v32, v0, v3 offset:32
	ds_bpermute_b32 v46, v0, v1 offset:64
	v_cndmask_b32_e64 v23, v25, v44, s7
	ds_bpermute_b32 v44, v0, v2 offset:64
	s_wait_dscnt 0xb
	v_cndmask_b32_e32 v29, 0, v29, vcc_lo
	s_wait_dscnt 0x8
	v_cndmask_b32_e64 v25, v27, v47, s7
	v_cndmask_b32_e64 v27, v31, v48, s5
	ds_bpermute_b32 v31, v0, v2 offset:32
	ds_bpermute_b32 v48, v0, v2 offset:96
	;; [unrolled: 1-line block ×3, first 2 shown]
	s_wait_dscnt 0x9
	v_cndmask_b32_e64 v30, v30, v28, s6
	ds_bpermute_b32 v28, v0, v5 offset:64
	ds_bpermute_b32 v0, v0, v3 offset:96
	s_wait_dscnt 0xa
	v_cndmask_b32_e64 v29, v29, v40, s5
	s_wait_dscnt 0x5
	s_delay_alu instid0(VALU_DEP_1)
	v_cndmask_b32_e64 v29, v29, v44, s6
	s_wait_dscnt 0x4
	v_cndmask_b32_e64 v27, v27, v31, s6
	v_cndmask_b32_e32 v31, 0, v39, vcc_lo
	v_cndmask_b32_e32 v39, 0, v41, vcc_lo
	v_and_or_b32 v41, 0xf80, v34, v36
	s_wait_dscnt 0x1
	v_cndmask_b32_e32 v28, 0, v28, vcc_lo
	v_cndmask_b32_e64 v31, v31, v43, s5
	s_delay_alu instid0(VALU_DEP_3) | instskip(NEXT) | instid1(VALU_DEP_3)
	v_lshlrev_b32_e32 v64, 3, v41
	v_cndmask_b32_e64 v40, v28, v42, s5
	v_cndmask_b32_e64 v28, v27, v38, s7
	;; [unrolled: 1-line block ×4, first 2 shown]
	s_wait_kmcnt 0x0
	s_lshr_b32 s5, s15, 16
	v_cndmask_b32_e64 v39, v40, v46, s6
	v_cndmask_b32_e64 v27, v30, v32, s7
	;; [unrolled: 1-line block ×6, first 2 shown]
	v_and_b32_e32 v40, 15, v36
	s_wait_dscnt 0x0
	v_cndmask_b32_e64 v31, v38, v0, s7
	s_wait_alu 0xfffe
	v_mad_u32_u24 v0, v63, s5, v62
	s_and_b32 s5, s15, 0xffff
	v_cmp_lt_u32_e64 s6, 1, v40
	v_cmp_lt_u32_e64 s7, 3, v40
	s_wait_alu 0xfffe
	v_mad_co_u64_u32 v[38:39], null, v0, s5, v[37:38]
	v_sub_co_u32 v0, s15, v36, 1
	v_and_b32_e32 v39, 16, v36
	v_cmp_eq_u32_e64 s5, 0, v40
	v_cmp_lt_u32_e64 s8, 7, v40
	s_delay_alu instid0(VALU_DEP_4)
	v_cmp_gt_i32_e32 vcc_lo, 0, v0
	v_lshrrev_b32_e32 v38, 3, v38
	v_cmp_eq_u32_e64 s9, 0, v39
	s_or_b32 s15, s10, s15
	s_wait_alu 0xfffd
	v_dual_cndmask_b32 v0, v0, v36 :: v_dual_and_b32 v65, 0x1ffffffc, v38
	v_mov_b32_e32 v38, 0
	s_delay_alu instid0(VALU_DEP_2)
	v_dual_mov_b32 v39, 0 :: v_dual_lshlrev_b32 v0, 2, v0
	s_branch .LBB153_26
.LBB153_25:                             ;   in Loop: Header=BB153_26 Depth=1
	s_wait_alu 0xfffe
	s_and_not1_b32 vcc_lo, exec_lo, s10
	s_wait_alu 0xfffe
	s_cbranch_vccz .LBB153_39
.LBB153_26:                             ; =>This Inner Loop Header: Depth=1
	v_dual_mov_b32 v41, v18 :: v_dual_mov_b32 v40, v17
	s_min_u32 s10, s11, s17
	ds_store_2addr_b32 v61, v66, v66 offset0:1 offset1:2
	ds_store_2addr_b32 v61, v66, v66 offset0:3 offset1:4
	;; [unrolled: 1-line block ×4, first 2 shown]
	s_wait_alu 0xfffe
	s_lshl_b32 s10, -1, s10
	s_wait_loadcnt_dscnt 0x0
	v_lshrrev_b64 v[17:18], v38, v[40:41]
	s_wait_alu 0xfffe
	s_not_b32 s22, s10
	; wave barrier
	global_inv scope:SCOPE_SE
	; wave barrier
	s_wait_alu 0xfffe
	v_dual_mov_b32 v51, v24 :: v_dual_and_b32 v18, s22, v17
	v_dual_mov_b32 v50, v23 :: v_dual_mov_b32 v53, v22
	v_dual_mov_b32 v55, v20 :: v_dual_mov_b32 v52, v21
	s_delay_alu instid0(VALU_DEP_3)
	v_lshlrev_b32_e32 v43, 29, v18
	v_and_b32_e32 v17, 1, v18
	v_lshlrev_b32_e32 v42, 30, v18
	v_lshlrev_b32_e32 v44, 28, v18
	;; [unrolled: 1-line block ×3, first 2 shown]
	v_dual_mov_b32 v54, v19 :: v_dual_lshlrev_b32 v47, 26, v18
	v_add_co_u32 v17, s10, v17, -1
	s_wait_alu 0xf1ff
	v_cndmask_b32_e64 v45, 0, 1, s10
	v_not_b32_e32 v49, v42
	v_cmp_gt_i32_e64 s10, 0, v42
	v_not_b32_e32 v42, v43
	v_lshlrev_b32_e32 v48, 25, v18
	v_cmp_ne_u32_e32 vcc_lo, 0, v45
	v_ashrrev_i32_e32 v49, 31, v49
	v_lshlrev_b32_e32 v45, 24, v18
	v_ashrrev_i32_e32 v42, 31, v42
	s_wait_alu 0xfffd
	v_xor_b32_e32 v17, vcc_lo, v17
	v_cmp_gt_i32_e32 vcc_lo, 0, v43
	v_not_b32_e32 v43, v44
	s_wait_alu 0xf1ff
	v_xor_b32_e32 v49, s10, v49
	v_cmp_gt_i32_e64 s10, 0, v44
	v_and_b32_e32 v17, exec_lo, v17
	v_not_b32_e32 v44, v46
	v_ashrrev_i32_e32 v43, 31, v43
	s_wait_alu 0xfffd
	v_xor_b32_e32 v42, vcc_lo, v42
	v_cmp_gt_i32_e32 vcc_lo, 0, v46
	v_and_b32_e32 v17, v17, v49
	v_not_b32_e32 v46, v47
	v_ashrrev_i32_e32 v44, 31, v44
	s_wait_alu 0xf1ff
	v_xor_b32_e32 v43, s10, v43
	v_cmp_gt_i32_e64 s10, 0, v47
	v_and_b32_e32 v17, v17, v42
	v_ashrrev_i32_e32 v46, 31, v46
	s_wait_alu 0xfffd
	v_xor_b32_e32 v44, vcc_lo, v44
	s_delay_alu instid0(VALU_DEP_3) | instskip(SKIP_2) | instid1(VALU_DEP_2)
	v_and_b32_e32 v17, v17, v43
	s_wait_alu 0xf1ff
	v_xor_b32_e32 v46, s10, v46
	v_and_b32_e32 v17, v17, v44
	s_delay_alu instid0(VALU_DEP_1)
	v_and_b32_e32 v17, v17, v46
	v_mov_b32_e32 v47, v28
	v_not_b32_e32 v42, v48
	v_cmp_gt_i32_e32 vcc_lo, 0, v48
	v_dual_mov_b32 v49, v26 :: v_dual_mov_b32 v48, v25
	v_not_b32_e32 v43, v45
	s_delay_alu instid0(VALU_DEP_4)
	v_ashrrev_i32_e32 v42, 31, v42
	v_cmp_gt_i32_e64 s10, 0, v45
	v_dual_mov_b32 v46, v27 :: v_dual_mov_b32 v45, v30
	v_mov_b32_e32 v44, v29
	v_ashrrev_i32_e32 v43, 31, v43
	s_wait_alu 0xfffd
	v_xor_b32_e32 v42, vcc_lo, v42
	v_lshl_add_u32 v26, v18, 2, v65
	s_wait_alu 0xf1ff
	v_xor_b32_e32 v43, s10, v43
	s_delay_alu instid0(VALU_DEP_3) | instskip(NEXT) | instid1(VALU_DEP_1)
	v_and_b32_e32 v17, v17, v42
	v_and_b32_e32 v17, v17, v43
	v_dual_mov_b32 v43, v32 :: v_dual_mov_b32 v42, v31
	s_delay_alu instid0(VALU_DEP_2) | instskip(SKIP_1) | instid1(VALU_DEP_2)
	v_mbcnt_lo_u32_b32 v25, v17, 0
	v_cmp_ne_u32_e64 s10, 0, v17
	v_cmp_eq_u32_e32 vcc_lo, 0, v25
	s_and_b32 s23, s10, vcc_lo
	s_wait_alu 0xfffe
	s_and_saveexec_b32 s10, s23
; %bb.27:                               ;   in Loop: Header=BB153_26 Depth=1
	v_bcnt_u32_b32 v17, v17, 0
	ds_store_b32 v26, v17 offset:4
; %bb.28:                               ;   in Loop: Header=BB153_26 Depth=1
	s_wait_alu 0xfffe
	s_or_b32 exec_lo, exec_lo, s10
	v_lshrrev_b64 v[17:18], v38, v[54:55]
	; wave barrier
	s_delay_alu instid0(VALU_DEP_1) | instskip(NEXT) | instid1(VALU_DEP_1)
	v_and_b32_e32 v17, s22, v17
	v_and_b32_e32 v18, 1, v17
	v_lshlrev_b32_e32 v19, 30, v17
	v_lshlrev_b32_e32 v20, 29, v17
	;; [unrolled: 1-line block ×4, first 2 shown]
	v_add_co_u32 v18, s10, v18, -1
	s_wait_alu 0xf1ff
	v_cndmask_b32_e64 v22, 0, 1, s10
	v_not_b32_e32 v28, v19
	v_cmp_gt_i32_e64 s10, 0, v19
	v_not_b32_e32 v19, v20
	v_lshlrev_b32_e32 v24, 26, v17
	v_cmp_ne_u32_e32 vcc_lo, 0, v22
	v_ashrrev_i32_e32 v28, 31, v28
	v_lshlrev_b32_e32 v27, 25, v17
	v_ashrrev_i32_e32 v19, 31, v19
	v_lshlrev_b32_e32 v22, 24, v17
	s_wait_alu 0xfffd
	v_xor_b32_e32 v18, vcc_lo, v18
	v_cmp_gt_i32_e32 vcc_lo, 0, v20
	v_not_b32_e32 v20, v21
	s_wait_alu 0xf1ff
	v_xor_b32_e32 v28, s10, v28
	v_cmp_gt_i32_e64 s10, 0, v21
	v_and_b32_e32 v18, exec_lo, v18
	v_not_b32_e32 v21, v23
	v_ashrrev_i32_e32 v20, 31, v20
	s_wait_alu 0xfffd
	v_xor_b32_e32 v19, vcc_lo, v19
	v_cmp_gt_i32_e32 vcc_lo, 0, v23
	v_and_b32_e32 v18, v18, v28
	v_not_b32_e32 v23, v24
	v_ashrrev_i32_e32 v21, 31, v21
	s_wait_alu 0xf1ff
	v_xor_b32_e32 v20, s10, v20
	v_cmp_gt_i32_e64 s10, 0, v24
	v_and_b32_e32 v18, v18, v19
	v_not_b32_e32 v19, v27
	v_ashrrev_i32_e32 v23, 31, v23
	s_wait_alu 0xfffd
	v_xor_b32_e32 v21, vcc_lo, v21
	v_cmp_gt_i32_e32 vcc_lo, 0, v27
	v_and_b32_e32 v18, v18, v20
	v_not_b32_e32 v20, v22
	v_ashrrev_i32_e32 v19, 31, v19
	s_wait_alu 0xf1ff
	v_xor_b32_e32 v23, s10, v23
	v_cmp_gt_i32_e64 s10, 0, v22
	v_and_b32_e32 v18, v18, v21
	v_ashrrev_i32_e32 v20, 31, v20
	s_wait_alu 0xfffd
	v_xor_b32_e32 v19, vcc_lo, v19
	v_lshl_add_u32 v28, v17, 2, v65
	v_and_b32_e32 v18, v18, v23
	s_wait_alu 0xf1ff
	v_xor_b32_e32 v17, s10, v20
	ds_load_b32 v27, v28 offset:4
	v_and_b32_e32 v18, v18, v19
	; wave barrier
	s_delay_alu instid0(VALU_DEP_1) | instskip(NEXT) | instid1(VALU_DEP_1)
	v_and_b32_e32 v17, v18, v17
	v_mbcnt_lo_u32_b32 v29, v17, 0
	v_cmp_ne_u32_e64 s10, 0, v17
	s_delay_alu instid0(VALU_DEP_2)
	v_cmp_eq_u32_e32 vcc_lo, 0, v29
	s_and_b32 s23, s10, vcc_lo
	s_wait_alu 0xfffe
	s_and_saveexec_b32 s10, s23
	s_cbranch_execz .LBB153_30
; %bb.29:                               ;   in Loop: Header=BB153_26 Depth=1
	s_wait_dscnt 0x0
	v_bcnt_u32_b32 v17, v17, v27
	ds_store_b32 v28, v17 offset:4
.LBB153_30:                             ;   in Loop: Header=BB153_26 Depth=1
	s_wait_alu 0xfffe
	s_or_b32 exec_lo, exec_lo, s10
	v_lshrrev_b64 v[17:18], v38, v[52:53]
	; wave barrier
	s_delay_alu instid0(VALU_DEP_1) | instskip(NEXT) | instid1(VALU_DEP_1)
	v_and_b32_e32 v17, s22, v17
	v_and_b32_e32 v18, 1, v17
	v_lshlrev_b32_e32 v19, 30, v17
	v_lshlrev_b32_e32 v20, 29, v17
	;; [unrolled: 1-line block ×4, first 2 shown]
	v_add_co_u32 v18, s10, v18, -1
	s_wait_alu 0xf1ff
	v_cndmask_b32_e64 v22, 0, 1, s10
	v_not_b32_e32 v31, v19
	v_cmp_gt_i32_e64 s10, 0, v19
	v_not_b32_e32 v19, v20
	v_lshlrev_b32_e32 v24, 26, v17
	v_cmp_ne_u32_e32 vcc_lo, 0, v22
	v_ashrrev_i32_e32 v31, 31, v31
	v_lshlrev_b32_e32 v30, 25, v17
	v_ashrrev_i32_e32 v19, 31, v19
	v_lshlrev_b32_e32 v22, 24, v17
	s_wait_alu 0xfffd
	v_xor_b32_e32 v18, vcc_lo, v18
	v_cmp_gt_i32_e32 vcc_lo, 0, v20
	v_not_b32_e32 v20, v21
	s_wait_alu 0xf1ff
	v_xor_b32_e32 v31, s10, v31
	v_cmp_gt_i32_e64 s10, 0, v21
	v_and_b32_e32 v18, exec_lo, v18
	v_not_b32_e32 v21, v23
	v_ashrrev_i32_e32 v20, 31, v20
	s_wait_alu 0xfffd
	v_xor_b32_e32 v19, vcc_lo, v19
	v_cmp_gt_i32_e32 vcc_lo, 0, v23
	v_and_b32_e32 v18, v18, v31
	v_not_b32_e32 v23, v24
	v_ashrrev_i32_e32 v21, 31, v21
	s_wait_alu 0xf1ff
	v_xor_b32_e32 v20, s10, v20
	v_cmp_gt_i32_e64 s10, 0, v24
	v_and_b32_e32 v18, v18, v19
	v_not_b32_e32 v19, v30
	v_ashrrev_i32_e32 v23, 31, v23
	s_wait_alu 0xfffd
	v_xor_b32_e32 v21, vcc_lo, v21
	v_cmp_gt_i32_e32 vcc_lo, 0, v30
	v_and_b32_e32 v18, v18, v20
	v_not_b32_e32 v20, v22
	v_ashrrev_i32_e32 v19, 31, v19
	s_wait_alu 0xf1ff
	v_xor_b32_e32 v23, s10, v23
	v_cmp_gt_i32_e64 s10, 0, v22
	v_and_b32_e32 v18, v18, v21
	v_ashrrev_i32_e32 v20, 31, v20
	s_wait_alu 0xfffd
	v_xor_b32_e32 v19, vcc_lo, v19
	v_lshl_add_u32 v31, v17, 2, v65
	v_and_b32_e32 v18, v18, v23
	s_wait_alu 0xf1ff
	v_xor_b32_e32 v17, s10, v20
	ds_load_b32 v30, v31 offset:4
	v_and_b32_e32 v18, v18, v19
	; wave barrier
	s_delay_alu instid0(VALU_DEP_1) | instskip(NEXT) | instid1(VALU_DEP_1)
	v_and_b32_e32 v17, v18, v17
	v_mbcnt_lo_u32_b32 v32, v17, 0
	v_cmp_ne_u32_e64 s10, 0, v17
	s_delay_alu instid0(VALU_DEP_2)
	v_cmp_eq_u32_e32 vcc_lo, 0, v32
	s_and_b32 s23, s10, vcc_lo
	s_wait_alu 0xfffe
	s_and_saveexec_b32 s10, s23
	s_cbranch_execz .LBB153_32
; %bb.31:                               ;   in Loop: Header=BB153_26 Depth=1
	s_wait_dscnt 0x0
	v_bcnt_u32_b32 v17, v17, v30
	ds_store_b32 v31, v17 offset:4
.LBB153_32:                             ;   in Loop: Header=BB153_26 Depth=1
	s_wait_alu 0xfffe
	s_or_b32 exec_lo, exec_lo, s10
	v_lshrrev_b64 v[17:18], v38, v[50:51]
	; wave barrier
	s_delay_alu instid0(VALU_DEP_1) | instskip(NEXT) | instid1(VALU_DEP_1)
	v_and_b32_e32 v17, s22, v17
	v_and_b32_e32 v18, 1, v17
	v_lshlrev_b32_e32 v19, 30, v17
	v_lshlrev_b32_e32 v20, 29, v17
	v_lshlrev_b32_e32 v21, 28, v17
	v_lshlrev_b32_e32 v23, 27, v17
	v_add_co_u32 v18, s10, v18, -1
	s_wait_alu 0xf1ff
	v_cndmask_b32_e64 v22, 0, 1, s10
	v_not_b32_e32 v68, v19
	v_cmp_gt_i32_e64 s10, 0, v19
	v_not_b32_e32 v19, v20
	v_lshlrev_b32_e32 v24, 26, v17
	v_cmp_ne_u32_e32 vcc_lo, 0, v22
	v_ashrrev_i32_e32 v68, 31, v68
	v_lshlrev_b32_e32 v67, 25, v17
	v_ashrrev_i32_e32 v19, 31, v19
	v_lshlrev_b32_e32 v22, 24, v17
	s_wait_alu 0xfffd
	v_xor_b32_e32 v18, vcc_lo, v18
	v_cmp_gt_i32_e32 vcc_lo, 0, v20
	v_not_b32_e32 v20, v21
	s_wait_alu 0xf1ff
	v_xor_b32_e32 v68, s10, v68
	v_cmp_gt_i32_e64 s10, 0, v21
	v_and_b32_e32 v18, exec_lo, v18
	v_not_b32_e32 v21, v23
	v_ashrrev_i32_e32 v20, 31, v20
	s_wait_alu 0xfffd
	v_xor_b32_e32 v19, vcc_lo, v19
	v_cmp_gt_i32_e32 vcc_lo, 0, v23
	v_and_b32_e32 v18, v18, v68
	v_not_b32_e32 v23, v24
	v_ashrrev_i32_e32 v21, 31, v21
	s_wait_alu 0xf1ff
	v_xor_b32_e32 v20, s10, v20
	v_cmp_gt_i32_e64 s10, 0, v24
	v_and_b32_e32 v18, v18, v19
	v_not_b32_e32 v19, v67
	v_ashrrev_i32_e32 v23, 31, v23
	s_wait_alu 0xfffd
	v_xor_b32_e32 v21, vcc_lo, v21
	v_cmp_gt_i32_e32 vcc_lo, 0, v67
	v_and_b32_e32 v18, v18, v20
	v_not_b32_e32 v20, v22
	v_ashrrev_i32_e32 v19, 31, v19
	s_wait_alu 0xf1ff
	v_xor_b32_e32 v23, s10, v23
	v_cmp_gt_i32_e64 s10, 0, v22
	v_and_b32_e32 v18, v18, v21
	v_ashrrev_i32_e32 v20, 31, v20
	s_wait_alu 0xfffd
	v_xor_b32_e32 v19, vcc_lo, v19
	v_lshl_add_u32 v68, v17, 2, v65
	v_and_b32_e32 v18, v18, v23
	s_wait_alu 0xf1ff
	v_xor_b32_e32 v17, s10, v20
	ds_load_b32 v67, v68 offset:4
	v_and_b32_e32 v18, v18, v19
	; wave barrier
	s_delay_alu instid0(VALU_DEP_1) | instskip(NEXT) | instid1(VALU_DEP_1)
	v_and_b32_e32 v17, v18, v17
	v_mbcnt_lo_u32_b32 v71, v17, 0
	v_cmp_ne_u32_e64 s10, 0, v17
	s_delay_alu instid0(VALU_DEP_2)
	v_cmp_eq_u32_e32 vcc_lo, 0, v71
	s_and_b32 s22, s10, vcc_lo
	s_wait_alu 0xfffe
	s_and_saveexec_b32 s10, s22
	s_cbranch_execz .LBB153_34
; %bb.33:                               ;   in Loop: Header=BB153_26 Depth=1
	s_wait_dscnt 0x0
	v_bcnt_u32_b32 v17, v17, v67
	ds_store_b32 v68, v17 offset:4
.LBB153_34:                             ;   in Loop: Header=BB153_26 Depth=1
	s_wait_alu 0xfffe
	s_or_b32 exec_lo, exec_lo, s10
	; wave barrier
	; wave barrier
	s_wait_loadcnt_dscnt 0x0
	global_inv scope:SCOPE_SE
	ds_load_2addr_b32 v[23:24], v61 offset0:1 offset1:2
	ds_load_2addr_b32 v[21:22], v61 offset0:3 offset1:4
	;; [unrolled: 1-line block ×4, first 2 shown]
	s_wait_dscnt 0x3
	v_add_nc_u32_e32 v69, v24, v23
	s_wait_dscnt 0x2
	s_delay_alu instid0(VALU_DEP_1) | instskip(SKIP_1) | instid1(VALU_DEP_1)
	v_add3_u32 v69, v69, v21, v22
	s_wait_dscnt 0x1
	v_add3_u32 v69, v69, v19, v20
	s_wait_dscnt 0x0
	s_delay_alu instid0(VALU_DEP_1) | instskip(NEXT) | instid1(VALU_DEP_1)
	v_add3_u32 v18, v69, v17, v18
	v_mov_b32_dpp v69, v18 row_shr:1 row_mask:0xf bank_mask:0xf
	s_delay_alu instid0(VALU_DEP_1) | instskip(NEXT) | instid1(VALU_DEP_1)
	v_cndmask_b32_e64 v69, v69, 0, s5
	v_add_nc_u32_e32 v18, v69, v18
	s_delay_alu instid0(VALU_DEP_1) | instskip(NEXT) | instid1(VALU_DEP_1)
	v_mov_b32_dpp v69, v18 row_shr:2 row_mask:0xf bank_mask:0xf
	v_cndmask_b32_e64 v69, 0, v69, s6
	s_delay_alu instid0(VALU_DEP_1) | instskip(NEXT) | instid1(VALU_DEP_1)
	v_add_nc_u32_e32 v18, v18, v69
	v_mov_b32_dpp v69, v18 row_shr:4 row_mask:0xf bank_mask:0xf
	s_delay_alu instid0(VALU_DEP_1) | instskip(NEXT) | instid1(VALU_DEP_1)
	v_cndmask_b32_e64 v69, 0, v69, s7
	v_add_nc_u32_e32 v18, v18, v69
	s_delay_alu instid0(VALU_DEP_1) | instskip(NEXT) | instid1(VALU_DEP_1)
	v_mov_b32_dpp v69, v18 row_shr:8 row_mask:0xf bank_mask:0xf
	v_cndmask_b32_e64 v69, 0, v69, s8
	s_delay_alu instid0(VALU_DEP_1) | instskip(SKIP_3) | instid1(VALU_DEP_1)
	v_add_nc_u32_e32 v18, v18, v69
	ds_swizzle_b32 v69, v18 offset:swizzle(BROADCAST,32,15)
	s_wait_dscnt 0x0
	v_cndmask_b32_e64 v69, v69, 0, s9
	v_add_nc_u32_e32 v18, v18, v69
	s_and_saveexec_b32 s10, s1
; %bb.35:                               ;   in Loop: Header=BB153_26 Depth=1
	ds_store_b32 v66, v18
; %bb.36:                               ;   in Loop: Header=BB153_26 Depth=1
	s_wait_alu 0xfffe
	s_or_b32 exec_lo, exec_lo, s10
	ds_bpermute_b32 v18, v0, v18
	; wave barrier
	s_wait_loadcnt_dscnt 0x0
	global_inv scope:SCOPE_SE
	v_cmp_lt_u32_e32 vcc_lo, 55, v38
	s_mov_b32 s10, -1
	s_and_b32 vcc_lo, exec_lo, vcc_lo
	v_cndmask_b32_e64 v18, v18, 0, s15
	s_delay_alu instid0(VALU_DEP_1) | instskip(NEXT) | instid1(VALU_DEP_1)
	v_add_nc_u32_e32 v23, v18, v23
	v_add_nc_u32_e32 v24, v23, v24
	s_delay_alu instid0(VALU_DEP_1) | instskip(NEXT) | instid1(VALU_DEP_1)
	v_add_nc_u32_e32 v21, v24, v21
	v_add_nc_u32_e32 v22, v21, v22
	;; [unrolled: 3-line block ×3, first 2 shown]
	s_delay_alu instid0(VALU_DEP_1)
	v_add_nc_u32_e32 v17, v20, v17
	ds_store_2addr_b32 v61, v18, v23 offset0:1 offset1:2
	ds_store_2addr_b32 v61, v24, v21 offset0:3 offset1:4
	;; [unrolled: 1-line block ×4, first 2 shown]
	; wave barrier
	s_wait_loadcnt_dscnt 0x0
	global_inv scope:SCOPE_SE
	ds_load_b32 v17, v26 offset:4
	ds_load_b32 v18, v28 offset:4
	;; [unrolled: 1-line block ×4, first 2 shown]
                                        ; implicit-def: $vgpr23_vgpr24
	s_wait_dscnt 0x3
	v_add_nc_u32_e32 v70, v17, v25
	s_wait_dscnt 0x2
	v_add3_u32 v69, v29, v27, v18
	s_wait_dscnt 0x1
	v_add3_u32 v68, v32, v30, v19
	s_wait_dscnt 0x0
	v_add3_u32 v67, v71, v67, v20
                                        ; implicit-def: $vgpr19_vgpr20
                                        ; implicit-def: $vgpr25_vgpr26
                                        ; implicit-def: $vgpr29_vgpr30
	s_wait_alu 0xfffe
	s_cbranch_vccnz .LBB153_25
; %bb.37:                               ;   in Loop: Header=BB153_26 Depth=1
	v_lshlrev_b32_e32 v25, 3, v70
	v_lshlrev_b32_e32 v26, 3, v69
	;; [unrolled: 1-line block ×4, first 2 shown]
	s_wait_loadcnt 0x0
	; wave barrier
	global_inv scope:SCOPE_SE
	ds_store_b64 v25, v[40:41]
	ds_store_b64 v26, v[54:55]
	;; [unrolled: 1-line block ×4, first 2 shown]
	; wave barrier
	s_wait_loadcnt_dscnt 0x0
	global_inv scope:SCOPE_SE
	ds_load_2addr_b64 v[17:20], v64 offset1:32
	ds_load_2addr_b64 v[21:24], v64 offset0:64 offset1:96
	; wave barrier
	s_wait_loadcnt_dscnt 0x0
	global_inv scope:SCOPE_SE
	ds_store_b64 v25, v[48:49]
	ds_store_b64 v26, v[46:47]
	;; [unrolled: 1-line block ×4, first 2 shown]
	; wave barrier
	s_wait_loadcnt_dscnt 0x0
	global_inv scope:SCOPE_SE
	ds_load_2addr_b64 v[25:28], v64 offset1:32
	ds_load_2addr_b64 v[29:32], v64 offset0:64 offset1:96
	v_add_co_u32 v38, vcc_lo, v38, 8
	s_wait_alu 0xfffd
	v_add_co_ci_u32_e64 v39, null, 0, v39, vcc_lo
	s_add_co_i32 s17, s17, -8
	s_mov_b32 s10, 0
	; wave barrier
	s_wait_loadcnt_dscnt 0x0
	global_inv scope:SCOPE_SE
	s_branch .LBB153_25
.LBB153_38:
                                        ; implicit-def: $vgpr23_vgpr24
                                        ; implicit-def: $vgpr19_vgpr20
                                        ; implicit-def: $vgpr38
	s_cbranch_execnz .LBB153_40
	s_branch .LBB153_55
.LBB153_39:
	v_lshlrev_b32_e32 v0, 3, v70
	v_lshlrev_b32_e32 v26, 3, v68
	;; [unrolled: 1-line block ×5, first 2 shown]
	s_wait_loadcnt 0x0
	; wave barrier
	global_inv scope:SCOPE_SE
	ds_store_b64 v0, v[40:41]
	ds_store_b64 v25, v[54:55]
	;; [unrolled: 1-line block ×4, first 2 shown]
	; wave barrier
	s_wait_loadcnt_dscnt 0x0
	global_inv scope:SCOPE_SE
	ds_load_b128 v[17:20], v38
	ds_load_b128 v[21:24], v38 offset:16
	; wave barrier
	s_wait_loadcnt_dscnt 0x0
	global_inv scope:SCOPE_SE
	ds_store_b64 v0, v[48:49]
	ds_store_b64 v25, v[46:47]
	;; [unrolled: 1-line block ×4, first 2 shown]
	; wave barrier
	s_wait_loadcnt_dscnt 0x0
	global_inv scope:SCOPE_SE
	v_xor_b32_e32 v18, 0x80000000, v18
	v_xor_b32_e32 v20, 0x80000000, v20
	;; [unrolled: 1-line block ×4, first 2 shown]
	s_branch .LBB153_55
.LBB153_40:
	v_xor_b32_e32 v21, 0x7fffffff, v10
	v_and_b32_e32 v10, 3, v36
	v_xor_b32_e32 v0, -1, v13
	v_xor_b32_e32 v13, 0x7fffffff, v14
	v_xor_b32_e32 v14, 0x7fffffff, v16
	v_xor_b32_e32 v18, -1, v9
	v_cmp_eq_u32_e32 vcc_lo, 0, v10
	v_and_b32_e32 v19, 28, v36
	v_xor_b32_e32 v22, 0x7fffffff, v12
	v_xor_b32_e32 v15, -1, v15
	v_xor_b32_e32 v23, -1, v11
	s_wait_loadcnt 0x0
	ds_bpermute_b32 v17, v19, v13
	ds_bpermute_b32 v9, v19, v14
	;; [unrolled: 1-line block ×4, first 2 shown]
	ds_bpermute_b32 v31, v19, v13 offset:64
	; wave barrier
	s_wait_dscnt 0x0
	global_inv scope:SCOPE_SE
	s_load_b32 s7, s[20:21], 0xc
	s_getpc_b64 s[8:9]
	s_wait_alu 0xfffe
	s_sext_i32_i16 s9, s9
	s_add_co_u32 s8, s8, _ZN7rocprim17ROCPRIM_400000_NS16block_radix_sortIlLj32ELj4ElLj1ELj1ELj0ELNS0_26block_radix_rank_algorithmE1ELNS0_18block_padding_hintE2ELNS0_4arch9wavefront6targetE0EE19radix_bits_per_passE@rel32@lo+12
	s_wait_alu 0xfffe
	s_add_co_ci_u32 s9, s9, _ZN7rocprim17ROCPRIM_400000_NS16block_radix_sortIlLj32ELj4ElLj1ELj1ELj0ELNS0_26block_radix_rank_algorithmE1ELNS0_18block_padding_hintE2ELNS0_4arch9wavefront6targetE0EE19radix_bits_per_passE@rel32@hi+24
	s_mov_b32 s17, 64
	s_load_b32 s11, s[8:9], 0x0
	v_cmp_eq_u32_e64 s9, 31, v37
	v_cndmask_b32_e32 v17, 0, v17, vcc_lo
	v_cmp_eq_u32_e64 s1, 1, v10
	v_cmp_eq_u32_e64 s5, 2, v10
	;; [unrolled: 1-line block ×3, first 2 shown]
	s_delay_alu instid0(VALU_DEP_3) | instskip(SKIP_1) | instid1(VALU_DEP_1)
	v_cndmask_b32_e64 v9, v17, v9, s1
	s_wait_alu 0xf1ff
	v_cndmask_b32_e64 v9, v9, v12, s5
	s_delay_alu instid0(VALU_DEP_1)
	v_cndmask_b32_e64 v10, v9, v26, s6
	v_cndmask_b32_e32 v26, 0, v31, vcc_lo
	ds_bpermute_b32 v16, v19, v0
	ds_bpermute_b32 v20, v19, v15
	ds_bpermute_b32 v27, v19, v13 offset:32
	ds_bpermute_b32 v11, v19, v18
	ds_bpermute_b32 v24, v19, v0 offset:32
	ds_bpermute_b32 v29, v19, v14 offset:32
	;; [unrolled: 1-line block ×7, first 2 shown]
	ds_bpermute_b32 v25, v19, v23
	ds_bpermute_b32 v39, v19, v23 offset:32
	ds_bpermute_b32 v41, v19, v22 offset:64
	ds_bpermute_b32 v0, v19, v0 offset:96
	ds_bpermute_b32 v13, v19, v13 offset:96
	ds_bpermute_b32 v38, v19, v22 offset:32
	ds_bpermute_b32 v40, v19, v18 offset:64
	ds_bpermute_b32 v15, v19, v15 offset:96
	ds_bpermute_b32 v18, v19, v18 offset:96
	s_wait_dscnt 0x13
	v_cndmask_b32_e32 v16, 0, v16, vcc_lo
	ds_bpermute_b32 v22, v19, v22 offset:96
	s_wait_dscnt 0x12
	v_cndmask_b32_e32 v27, 0, v27, vcc_lo
	ds_bpermute_b32 v31, v19, v7 offset:32
	v_cndmask_b32_e64 v16, v16, v20, s1
	ds_bpermute_b32 v20, v19, v21 offset:32
	s_wait_dscnt 0x11
	v_cndmask_b32_e64 v9, v27, v29, s1
	ds_bpermute_b32 v27, v19, v14 offset:96
	s_wait_dscnt 0x10
	v_cndmask_b32_e32 v17, 0, v17, vcc_lo
	v_cndmask_b32_e64 v11, v16, v11, s5
	v_cndmask_b32_e32 v16, 0, v24, vcc_lo
	ds_bpermute_b32 v24, v19, v21 offset:64
	s_wait_dscnt 0x10
	v_cndmask_b32_e64 v26, v26, v32, s1
	s_wait_dscnt 0x9
	v_dual_cndmask_b32 v0, 0, v0 :: v_dual_cndmask_b32 v13, 0, v13
	v_cndmask_b32_e64 v16, v16, v28, s1
	ds_bpermute_b32 v21, v19, v21 offset:96
	ds_bpermute_b32 v28, v19, v2
	ds_bpermute_b32 v32, v19, v4
	ds_bpermute_b32 v29, v19, v1
	v_cndmask_b32_e64 v14, v16, v30, s5
	v_cndmask_b32_e64 v16, v17, v12, s1
	ds_bpermute_b32 v30, v19, v6 offset:32
	s_wait_dscnt 0xb
	v_cndmask_b32_e64 v0, v0, v15, s1
	s_wait_dscnt 0x7
	v_cndmask_b32_e64 v20, v9, v20, s5
	v_cndmask_b32_e64 v9, v11, v25, s6
	;; [unrolled: 1-line block ×3, first 2 shown]
	ds_bpermute_b32 v25, v19, v8
	s_wait_dscnt 0x7
	v_cndmask_b32_e64 v13, v13, v27, s1
	v_cndmask_b32_e64 v12, v20, v38, s6
	s_wait_dscnt 0x6
	v_cndmask_b32_e64 v17, v26, v24, s5
	ds_bpermute_b32 v20, v19, v23 offset:64
	ds_bpermute_b32 v24, v19, v5
	ds_bpermute_b32 v27, v19, v5 offset:32
	ds_bpermute_b32 v26, v19, v7
	v_cndmask_b32_e64 v14, v17, v41, s6
	ds_bpermute_b32 v17, v19, v6
	ds_bpermute_b32 v23, v19, v23 offset:96
	ds_bpermute_b32 v39, v19, v8 offset:32
	v_cndmask_b32_e64 v16, v16, v40, s5
	ds_bpermute_b32 v38, v19, v3
	s_wait_dscnt 0xd
	v_cndmask_b32_e64 v21, v13, v21, s5
	v_cndmask_b32_e64 v0, v0, v18, s5
	ds_bpermute_b32 v40, v19, v1 offset:32
	v_mov_b32_e32 v41, 0
	s_wait_dscnt 0x8
	v_cndmask_b32_e64 v13, v16, v20, s6
	ds_bpermute_b32 v20, v19, v6 offset:64
	s_wait_dscnt 0x7
	v_cndmask_b32_e32 v18, 0, v27, vcc_lo
	ds_bpermute_b32 v6, v19, v6 offset:96
	v_cndmask_b32_e64 v16, v21, v22, s6
	s_wait_dscnt 0x6
	v_cndmask_b32_e32 v15, 0, v17, vcc_lo
	v_dual_cndmask_b32 v17, 0, v24 :: v_dual_cndmask_b32 v22, 0, v30
	ds_bpermute_b32 v24, v19, v5 offset:64
	ds_bpermute_b32 v5, v19, v5 offset:96
	v_cndmask_b32_e64 v15, v15, v25, s1
	v_cndmask_b32_e64 v17, v17, v26, s1
	ds_bpermute_b32 v26, v19, v8 offset:64
	ds_bpermute_b32 v8, v19, v8 offset:96
	;; [unrolled: 1-line block ×3, first 2 shown]
	v_cndmask_b32_e64 v21, v15, v28, s5
	s_wait_dscnt 0xa
	v_cndmask_b32_e64 v15, v0, v23, s6
	v_cndmask_b32_e64 v0, v18, v31, s1
	ds_bpermute_b32 v28, v19, v2 offset:64
	ds_bpermute_b32 v7, v19, v7 offset:96
	v_cndmask_b32_e64 v18, v21, v32, s6
	s_wait_dscnt 0xb
	v_cndmask_b32_e64 v21, v22, v39, s1
	ds_bpermute_b32 v22, v19, v2 offset:32
	ds_bpermute_b32 v2, v19, v2 offset:96
	v_cndmask_b32_e64 v17, v17, v29, s5
	ds_bpermute_b32 v25, v19, v4 offset:32
	ds_bpermute_b32 v31, v19, v4 offset:64
	;; [unrolled: 1-line block ×4, first 2 shown]
	s_wait_dscnt 0x10
	v_cndmask_b32_e64 v17, v17, v38, s6
	ds_bpermute_b32 v23, v19, v3 offset:32
	s_wait_dscnt 0xf
	v_cndmask_b32_e32 v20, 0, v20, vcc_lo
	ds_bpermute_b32 v30, v19, v3 offset:64
	ds_bpermute_b32 v38, v19, v3 offset:96
	s_wait_dscnt 0x10
	v_cndmask_b32_e32 v3, 0, v6, vcc_lo
	s_wait_dscnt 0xe
	v_cndmask_b32_e32 v5, 0, v5, vcc_lo
	ds_bpermute_b32 v29, v19, v1 offset:64
	v_cndmask_b32_e32 v1, 0, v24, vcc_lo
	s_wait_dscnt 0xe
	v_cndmask_b32_e64 v19, v20, v26, s1
	s_wait_dscnt 0xd
	v_cndmask_b32_e64 v3, v3, v8, s1
	;; [unrolled: 2-line block ×3, first 2 shown]
	v_cndmask_b32_e64 v0, v0, v40, s5
	v_cndmask_b32_e64 v1, v1, v27, s1
	s_wait_kmcnt 0x0
	s_lshr_b32 s1, s7, 16
	s_wait_dscnt 0x8
	v_cndmask_b32_e64 v2, v3, v2, s5
	v_cndmask_b32_e64 v6, v21, v22, s5
	s_wait_dscnt 0x5
	v_cndmask_b32_e64 v5, v5, v32, s5
	s_wait_dscnt 0x4
	v_cndmask_b32_e64 v3, v2, v4, s6
	s_wait_alu 0xfffe
	v_mad_u32_u24 v4, v63, s1, v62
	s_and_b32 s1, s7, 0xffff
	v_cndmask_b32_e64 v20, v6, v25, s6
	s_wait_dscnt 0x1
	v_cndmask_b32_e64 v2, v5, v38, s6
	v_cndmask_b32_e64 v6, v19, v28, s5
	s_wait_alu 0xfffe
	v_mad_co_u64_u32 v[4:5], null, v4, s1, v[37:38]
	v_sub_co_u32 v5, s10, v36, 1
	s_wait_dscnt 0x0
	v_cndmask_b32_e64 v7, v1, v29, s5
	v_cndmask_b32_e64 v1, v6, v31, s6
	v_and_b32_e32 v6, 15, v36
	v_cmp_gt_i32_e32 vcc_lo, 0, v5
	v_lshrrev_b32_e32 v4, 3, v4
	v_cndmask_b32_e64 v19, v0, v23, s6
	v_cndmask_b32_e64 v0, v7, v30, s6
	v_cmp_eq_u32_e64 s1, 0, v6
	s_wait_alu 0xfffd
	v_cndmask_b32_e32 v5, v5, v36, vcc_lo
	v_cmp_lt_u32_e64 s5, 1, v6
	v_and_b32_e32 v7, 16, v36
	v_cmp_lt_u32_e64 s6, 3, v6
	v_cmp_lt_u32_e64 s7, 7, v6
	v_and_or_b32 v6, 0xf80, v34, v36
	v_cmp_eq_u32_e32 vcc_lo, 0, v37
	v_lshlrev_b32_e32 v38, 2, v5
	v_and_b32_e32 v40, 0x1ffffffc, v4
	v_mov_b32_e32 v4, 0
	v_cmp_eq_u32_e64 s8, 0, v7
	v_lshlrev_b32_e32 v39, 3, v6
	v_mov_b32_e32 v5, 0
	s_or_b32 s15, vcc_lo, s10
	s_branch .LBB153_42
.LBB153_41:                             ;   in Loop: Header=BB153_42 Depth=1
	s_wait_alu 0xfffe
	s_and_not1_b32 vcc_lo, exec_lo, s10
	s_wait_alu 0xfffe
	s_cbranch_vccz .LBB153_54
.LBB153_42:                             ; =>This Inner Loop Header: Depth=1
	v_dual_mov_b32 v6, v9 :: v_dual_mov_b32 v7, v10
	s_min_u32 s10, s11, s17
	ds_store_2addr_b32 v61, v41, v41 offset0:1 offset1:2
	ds_store_2addr_b32 v61, v41, v41 offset0:3 offset1:4
	;; [unrolled: 1-line block ×4, first 2 shown]
	s_wait_alu 0xfffe
	s_lshl_b32 s10, -1, s10
	s_wait_loadcnt_dscnt 0x0
	v_lshrrev_b64 v[8:9], v4, v[6:7]
	s_wait_alu 0xfffe
	s_not_b32 s20, s10
	; wave barrier
	global_inv scope:SCOPE_SE
	; wave barrier
	s_wait_alu 0xfffe
	v_dual_mov_b32 v30, v16 :: v_dual_and_b32 v9, s20, v8
	v_dual_mov_b32 v29, v15 :: v_dual_mov_b32 v32, v14
	v_mov_b32_e32 v37, v12
	s_delay_alu instid0(VALU_DEP_3)
	v_dual_mov_b32 v31, v13 :: v_dual_lshlrev_b32 v10, 30, v9
	v_and_b32_e32 v8, 1, v9
	v_lshlrev_b32_e32 v21, 29, v9
	v_lshlrev_b32_e32 v22, 28, v9
	;; [unrolled: 1-line block ×3, first 2 shown]
	v_not_b32_e32 v27, v10
	v_add_co_u32 v8, s10, v8, -1
	s_wait_alu 0xf1ff
	v_cndmask_b32_e64 v23, 0, 1, s10
	v_cmp_gt_i32_e64 s10, 0, v10
	v_not_b32_e32 v10, v21
	v_ashrrev_i32_e32 v27, 31, v27
	v_dual_mov_b32 v36, v11 :: v_dual_lshlrev_b32 v25, 26, v9
	v_cmp_ne_u32_e32 vcc_lo, 0, v23
	s_delay_alu instid0(VALU_DEP_4)
	v_ashrrev_i32_e32 v10, 31, v10
	s_wait_alu 0xf1ff
	v_xor_b32_e32 v27, s10, v27
	v_cmp_gt_i32_e64 s10, 0, v22
	v_lshlrev_b32_e32 v26, 25, v9
	s_wait_alu 0xfffd
	v_xor_b32_e32 v8, vcc_lo, v8
	v_cmp_gt_i32_e32 vcc_lo, 0, v21
	v_not_b32_e32 v21, v22
	v_not_b32_e32 v22, v24
	v_lshlrev_b32_e32 v23, 24, v9
	v_and_b32_e32 v8, exec_lo, v8
	s_wait_alu 0xfffd
	v_xor_b32_e32 v10, vcc_lo, v10
	v_ashrrev_i32_e32 v21, 31, v21
	v_cmp_gt_i32_e32 vcc_lo, 0, v24
	v_not_b32_e32 v24, v25
	v_and_b32_e32 v8, v8, v27
	v_ashrrev_i32_e32 v22, 31, v22
	s_wait_alu 0xf1ff
	v_xor_b32_e32 v21, s10, v21
	v_cmp_gt_i32_e64 s10, 0, v25
	v_ashrrev_i32_e32 v24, 31, v24
	v_and_b32_e32 v8, v8, v10
	v_not_b32_e32 v10, v26
	s_wait_alu 0xfffd
	v_xor_b32_e32 v22, vcc_lo, v22
	v_cmp_gt_i32_e32 vcc_lo, 0, v26
	s_wait_alu 0xf1ff
	v_xor_b32_e32 v24, s10, v24
	v_and_b32_e32 v8, v8, v21
	v_not_b32_e32 v21, v23
	v_ashrrev_i32_e32 v10, 31, v10
	v_cmp_gt_i32_e64 s10, 0, v23
	v_mov_b32_e32 v28, v1
	v_and_b32_e32 v8, v8, v22
	v_ashrrev_i32_e32 v21, 31, v21
	s_wait_alu 0xfffd
	v_xor_b32_e32 v10, vcc_lo, v10
	v_dual_mov_b32 v26, v3 :: v_dual_mov_b32 v27, v0
	v_and_b32_e32 v8, v8, v24
	s_wait_alu 0xf1ff
	v_xor_b32_e32 v21, s10, v21
	v_dual_mov_b32 v24, v18 :: v_dual_mov_b32 v23, v17
	s_delay_alu instid0(VALU_DEP_3) | instskip(SKIP_1) | instid1(VALU_DEP_2)
	v_dual_mov_b32 v25, v2 :: v_dual_and_b32 v8, v8, v10
	v_lshl_add_u32 v13, v9, 2, v40
	v_and_b32_e32 v8, v8, v21
	v_dual_mov_b32 v22, v20 :: v_dual_mov_b32 v21, v19
	s_delay_alu instid0(VALU_DEP_2) | instskip(SKIP_1) | instid1(VALU_DEP_2)
	v_mbcnt_lo_u32_b32 v12, v8, 0
	v_cmp_ne_u32_e64 s10, 0, v8
	v_cmp_eq_u32_e32 vcc_lo, 0, v12
	s_and_b32 s21, s10, vcc_lo
	s_wait_alu 0xfffe
	s_and_saveexec_b32 s10, s21
; %bb.43:                               ;   in Loop: Header=BB153_42 Depth=1
	v_bcnt_u32_b32 v0, v8, 0
	ds_store_b32 v13, v0 offset:4
; %bb.44:                               ;   in Loop: Header=BB153_42 Depth=1
	s_wait_alu 0xfffe
	s_or_b32 exec_lo, exec_lo, s10
	v_lshrrev_b64 v[0:1], v4, v[36:37]
	; wave barrier
	s_delay_alu instid0(VALU_DEP_1) | instskip(NEXT) | instid1(VALU_DEP_1)
	v_and_b32_e32 v0, s20, v0
	v_and_b32_e32 v1, 1, v0
	v_lshlrev_b32_e32 v2, 30, v0
	v_lshlrev_b32_e32 v3, 29, v0
	;; [unrolled: 1-line block ×4, first 2 shown]
	v_add_co_u32 v1, s10, v1, -1
	s_wait_alu 0xf1ff
	v_cndmask_b32_e64 v9, 0, 1, s10
	v_not_b32_e32 v15, v2
	v_cmp_gt_i32_e64 s10, 0, v2
	v_not_b32_e32 v2, v3
	v_lshlrev_b32_e32 v11, 26, v0
	v_cmp_ne_u32_e32 vcc_lo, 0, v9
	v_ashrrev_i32_e32 v15, 31, v15
	v_lshlrev_b32_e32 v14, 25, v0
	v_ashrrev_i32_e32 v2, 31, v2
	v_lshlrev_b32_e32 v9, 24, v0
	s_wait_alu 0xfffd
	v_xor_b32_e32 v1, vcc_lo, v1
	v_cmp_gt_i32_e32 vcc_lo, 0, v3
	v_not_b32_e32 v3, v8
	s_wait_alu 0xf1ff
	v_xor_b32_e32 v15, s10, v15
	v_cmp_gt_i32_e64 s10, 0, v8
	v_and_b32_e32 v1, exec_lo, v1
	v_not_b32_e32 v8, v10
	v_ashrrev_i32_e32 v3, 31, v3
	s_wait_alu 0xfffd
	v_xor_b32_e32 v2, vcc_lo, v2
	v_cmp_gt_i32_e32 vcc_lo, 0, v10
	v_and_b32_e32 v1, v1, v15
	v_not_b32_e32 v10, v11
	v_ashrrev_i32_e32 v8, 31, v8
	s_wait_alu 0xf1ff
	v_xor_b32_e32 v3, s10, v3
	v_cmp_gt_i32_e64 s10, 0, v11
	v_and_b32_e32 v1, v1, v2
	v_not_b32_e32 v2, v14
	v_ashrrev_i32_e32 v10, 31, v10
	s_wait_alu 0xfffd
	v_xor_b32_e32 v8, vcc_lo, v8
	v_cmp_gt_i32_e32 vcc_lo, 0, v14
	v_and_b32_e32 v1, v1, v3
	v_not_b32_e32 v3, v9
	v_ashrrev_i32_e32 v2, 31, v2
	s_wait_alu 0xf1ff
	v_xor_b32_e32 v10, s10, v10
	v_cmp_gt_i32_e64 s10, 0, v9
	v_and_b32_e32 v1, v1, v8
	v_ashrrev_i32_e32 v3, 31, v3
	s_wait_alu 0xfffd
	v_xor_b32_e32 v2, vcc_lo, v2
	v_lshl_add_u32 v15, v0, 2, v40
	v_and_b32_e32 v1, v1, v10
	s_wait_alu 0xf1ff
	v_xor_b32_e32 v0, s10, v3
	ds_load_b32 v14, v15 offset:4
	v_and_b32_e32 v1, v1, v2
	; wave barrier
	s_delay_alu instid0(VALU_DEP_1) | instskip(NEXT) | instid1(VALU_DEP_1)
	v_and_b32_e32 v0, v1, v0
	v_mbcnt_lo_u32_b32 v16, v0, 0
	v_cmp_ne_u32_e64 s10, 0, v0
	s_delay_alu instid0(VALU_DEP_2)
	v_cmp_eq_u32_e32 vcc_lo, 0, v16
	s_and_b32 s21, s10, vcc_lo
	s_wait_alu 0xfffe
	s_and_saveexec_b32 s10, s21
	s_cbranch_execz .LBB153_46
; %bb.45:                               ;   in Loop: Header=BB153_42 Depth=1
	s_wait_dscnt 0x0
	v_bcnt_u32_b32 v0, v0, v14
	ds_store_b32 v15, v0 offset:4
.LBB153_46:                             ;   in Loop: Header=BB153_42 Depth=1
	s_wait_alu 0xfffe
	s_or_b32 exec_lo, exec_lo, s10
	v_lshrrev_b64 v[0:1], v4, v[31:32]
	; wave barrier
	s_delay_alu instid0(VALU_DEP_1) | instskip(NEXT) | instid1(VALU_DEP_1)
	v_and_b32_e32 v0, s20, v0
	v_and_b32_e32 v1, 1, v0
	v_lshlrev_b32_e32 v2, 30, v0
	v_lshlrev_b32_e32 v3, 29, v0
	;; [unrolled: 1-line block ×4, first 2 shown]
	v_add_co_u32 v1, s10, v1, -1
	s_wait_alu 0xf1ff
	v_cndmask_b32_e64 v9, 0, 1, s10
	v_not_b32_e32 v18, v2
	v_cmp_gt_i32_e64 s10, 0, v2
	v_not_b32_e32 v2, v3
	v_lshlrev_b32_e32 v11, 26, v0
	v_cmp_ne_u32_e32 vcc_lo, 0, v9
	v_ashrrev_i32_e32 v18, 31, v18
	v_lshlrev_b32_e32 v17, 25, v0
	v_ashrrev_i32_e32 v2, 31, v2
	v_lshlrev_b32_e32 v9, 24, v0
	s_wait_alu 0xfffd
	v_xor_b32_e32 v1, vcc_lo, v1
	v_cmp_gt_i32_e32 vcc_lo, 0, v3
	v_not_b32_e32 v3, v8
	s_wait_alu 0xf1ff
	v_xor_b32_e32 v18, s10, v18
	v_cmp_gt_i32_e64 s10, 0, v8
	v_and_b32_e32 v1, exec_lo, v1
	v_not_b32_e32 v8, v10
	v_ashrrev_i32_e32 v3, 31, v3
	s_wait_alu 0xfffd
	v_xor_b32_e32 v2, vcc_lo, v2
	v_cmp_gt_i32_e32 vcc_lo, 0, v10
	v_and_b32_e32 v1, v1, v18
	v_not_b32_e32 v10, v11
	v_ashrrev_i32_e32 v8, 31, v8
	s_wait_alu 0xf1ff
	v_xor_b32_e32 v3, s10, v3
	v_cmp_gt_i32_e64 s10, 0, v11
	v_and_b32_e32 v1, v1, v2
	v_not_b32_e32 v2, v17
	v_ashrrev_i32_e32 v10, 31, v10
	s_wait_alu 0xfffd
	v_xor_b32_e32 v8, vcc_lo, v8
	v_cmp_gt_i32_e32 vcc_lo, 0, v17
	v_and_b32_e32 v1, v1, v3
	v_not_b32_e32 v3, v9
	v_ashrrev_i32_e32 v2, 31, v2
	s_wait_alu 0xf1ff
	v_xor_b32_e32 v10, s10, v10
	v_cmp_gt_i32_e64 s10, 0, v9
	v_and_b32_e32 v1, v1, v8
	v_ashrrev_i32_e32 v3, 31, v3
	s_wait_alu 0xfffd
	v_xor_b32_e32 v2, vcc_lo, v2
	v_lshl_add_u32 v18, v0, 2, v40
	v_and_b32_e32 v1, v1, v10
	s_wait_alu 0xf1ff
	v_xor_b32_e32 v0, s10, v3
	ds_load_b32 v17, v18 offset:4
	v_and_b32_e32 v1, v1, v2
	; wave barrier
	s_delay_alu instid0(VALU_DEP_1) | instskip(NEXT) | instid1(VALU_DEP_1)
	v_and_b32_e32 v0, v1, v0
	v_mbcnt_lo_u32_b32 v19, v0, 0
	v_cmp_ne_u32_e64 s10, 0, v0
	s_delay_alu instid0(VALU_DEP_2)
	v_cmp_eq_u32_e32 vcc_lo, 0, v19
	s_and_b32 s21, s10, vcc_lo
	s_wait_alu 0xfffe
	s_and_saveexec_b32 s10, s21
	s_cbranch_execz .LBB153_48
; %bb.47:                               ;   in Loop: Header=BB153_42 Depth=1
	s_wait_dscnt 0x0
	v_bcnt_u32_b32 v0, v0, v17
	ds_store_b32 v18, v0 offset:4
.LBB153_48:                             ;   in Loop: Header=BB153_42 Depth=1
	s_wait_alu 0xfffe
	s_or_b32 exec_lo, exec_lo, s10
	v_lshrrev_b64 v[0:1], v4, v[29:30]
	; wave barrier
	s_delay_alu instid0(VALU_DEP_1) | instskip(NEXT) | instid1(VALU_DEP_1)
	v_and_b32_e32 v0, s20, v0
	v_and_b32_e32 v1, 1, v0
	v_lshlrev_b32_e32 v2, 30, v0
	v_lshlrev_b32_e32 v3, 29, v0
	;; [unrolled: 1-line block ×4, first 2 shown]
	v_add_co_u32 v1, s10, v1, -1
	s_wait_alu 0xf1ff
	v_cndmask_b32_e64 v9, 0, 1, s10
	v_not_b32_e32 v42, v2
	v_cmp_gt_i32_e64 s10, 0, v2
	v_not_b32_e32 v2, v3
	v_lshlrev_b32_e32 v11, 26, v0
	v_cmp_ne_u32_e32 vcc_lo, 0, v9
	v_ashrrev_i32_e32 v42, 31, v42
	v_lshlrev_b32_e32 v20, 25, v0
	v_ashrrev_i32_e32 v2, 31, v2
	v_lshlrev_b32_e32 v9, 24, v0
	s_wait_alu 0xfffd
	v_xor_b32_e32 v1, vcc_lo, v1
	v_cmp_gt_i32_e32 vcc_lo, 0, v3
	v_not_b32_e32 v3, v8
	s_wait_alu 0xf1ff
	v_xor_b32_e32 v42, s10, v42
	v_cmp_gt_i32_e64 s10, 0, v8
	v_and_b32_e32 v1, exec_lo, v1
	v_not_b32_e32 v8, v10
	v_ashrrev_i32_e32 v3, 31, v3
	s_wait_alu 0xfffd
	v_xor_b32_e32 v2, vcc_lo, v2
	v_cmp_gt_i32_e32 vcc_lo, 0, v10
	v_and_b32_e32 v1, v1, v42
	v_not_b32_e32 v10, v11
	v_ashrrev_i32_e32 v8, 31, v8
	s_wait_alu 0xf1ff
	v_xor_b32_e32 v3, s10, v3
	v_cmp_gt_i32_e64 s10, 0, v11
	v_and_b32_e32 v1, v1, v2
	v_not_b32_e32 v2, v20
	v_ashrrev_i32_e32 v10, 31, v10
	s_wait_alu 0xfffd
	v_xor_b32_e32 v8, vcc_lo, v8
	v_cmp_gt_i32_e32 vcc_lo, 0, v20
	v_and_b32_e32 v1, v1, v3
	v_not_b32_e32 v3, v9
	v_ashrrev_i32_e32 v2, 31, v2
	s_wait_alu 0xf1ff
	v_xor_b32_e32 v10, s10, v10
	v_cmp_gt_i32_e64 s10, 0, v9
	v_and_b32_e32 v1, v1, v8
	v_ashrrev_i32_e32 v3, 31, v3
	s_wait_alu 0xfffd
	v_xor_b32_e32 v2, vcc_lo, v2
	v_lshl_add_u32 v42, v0, 2, v40
	v_and_b32_e32 v1, v1, v10
	s_wait_alu 0xf1ff
	v_xor_b32_e32 v0, s10, v3
	ds_load_b32 v20, v42 offset:4
	v_and_b32_e32 v1, v1, v2
	; wave barrier
	s_delay_alu instid0(VALU_DEP_1) | instskip(NEXT) | instid1(VALU_DEP_1)
	v_and_b32_e32 v0, v1, v0
	v_mbcnt_lo_u32_b32 v45, v0, 0
	v_cmp_ne_u32_e64 s10, 0, v0
	s_delay_alu instid0(VALU_DEP_2)
	v_cmp_eq_u32_e32 vcc_lo, 0, v45
	s_and_b32 s20, s10, vcc_lo
	s_wait_alu 0xfffe
	s_and_saveexec_b32 s10, s20
	s_cbranch_execz .LBB153_50
; %bb.49:                               ;   in Loop: Header=BB153_42 Depth=1
	s_wait_dscnt 0x0
	v_bcnt_u32_b32 v0, v0, v20
	ds_store_b32 v42, v0 offset:4
.LBB153_50:                             ;   in Loop: Header=BB153_42 Depth=1
	s_wait_alu 0xfffe
	s_or_b32 exec_lo, exec_lo, s10
	; wave barrier
	; wave barrier
	s_wait_loadcnt_dscnt 0x0
	global_inv scope:SCOPE_SE
	ds_load_2addr_b32 v[10:11], v61 offset0:1 offset1:2
	ds_load_2addr_b32 v[8:9], v61 offset0:3 offset1:4
	;; [unrolled: 1-line block ×4, first 2 shown]
	s_wait_dscnt 0x3
	v_add_nc_u32_e32 v43, v11, v10
	s_wait_dscnt 0x2
	s_delay_alu instid0(VALU_DEP_1) | instskip(SKIP_1) | instid1(VALU_DEP_1)
	v_add3_u32 v43, v43, v8, v9
	s_wait_dscnt 0x1
	v_add3_u32 v43, v43, v2, v3
	s_wait_dscnt 0x0
	s_delay_alu instid0(VALU_DEP_1) | instskip(NEXT) | instid1(VALU_DEP_1)
	v_add3_u32 v1, v43, v0, v1
	v_mov_b32_dpp v43, v1 row_shr:1 row_mask:0xf bank_mask:0xf
	s_delay_alu instid0(VALU_DEP_1) | instskip(NEXT) | instid1(VALU_DEP_1)
	v_cndmask_b32_e64 v43, v43, 0, s1
	v_add_nc_u32_e32 v1, v43, v1
	s_delay_alu instid0(VALU_DEP_1) | instskip(NEXT) | instid1(VALU_DEP_1)
	v_mov_b32_dpp v43, v1 row_shr:2 row_mask:0xf bank_mask:0xf
	v_cndmask_b32_e64 v43, 0, v43, s5
	s_delay_alu instid0(VALU_DEP_1) | instskip(NEXT) | instid1(VALU_DEP_1)
	v_add_nc_u32_e32 v1, v1, v43
	v_mov_b32_dpp v43, v1 row_shr:4 row_mask:0xf bank_mask:0xf
	s_delay_alu instid0(VALU_DEP_1) | instskip(NEXT) | instid1(VALU_DEP_1)
	v_cndmask_b32_e64 v43, 0, v43, s6
	v_add_nc_u32_e32 v1, v1, v43
	s_delay_alu instid0(VALU_DEP_1) | instskip(NEXT) | instid1(VALU_DEP_1)
	v_mov_b32_dpp v43, v1 row_shr:8 row_mask:0xf bank_mask:0xf
	v_cndmask_b32_e64 v43, 0, v43, s7
	s_delay_alu instid0(VALU_DEP_1) | instskip(SKIP_3) | instid1(VALU_DEP_1)
	v_add_nc_u32_e32 v1, v1, v43
	ds_swizzle_b32 v43, v1 offset:swizzle(BROADCAST,32,15)
	s_wait_dscnt 0x0
	v_cndmask_b32_e64 v43, v43, 0, s8
	v_add_nc_u32_e32 v1, v1, v43
	s_and_saveexec_b32 s10, s9
; %bb.51:                               ;   in Loop: Header=BB153_42 Depth=1
	ds_store_b32 v41, v1
; %bb.52:                               ;   in Loop: Header=BB153_42 Depth=1
	s_wait_alu 0xfffe
	s_or_b32 exec_lo, exec_lo, s10
	ds_bpermute_b32 v1, v38, v1
	; wave barrier
	s_wait_loadcnt_dscnt 0x0
	global_inv scope:SCOPE_SE
	v_cmp_lt_u32_e32 vcc_lo, 55, v4
	s_mov_b32 s10, -1
	s_and_b32 vcc_lo, exec_lo, vcc_lo
	v_cndmask_b32_e64 v1, v1, 0, s15
	s_delay_alu instid0(VALU_DEP_1) | instskip(NEXT) | instid1(VALU_DEP_1)
	v_add_nc_u32_e32 v10, v1, v10
	v_add_nc_u32_e32 v11, v10, v11
	s_delay_alu instid0(VALU_DEP_1) | instskip(NEXT) | instid1(VALU_DEP_1)
	v_add_nc_u32_e32 v8, v11, v8
	v_add_nc_u32_e32 v9, v8, v9
	;; [unrolled: 3-line block ×3, first 2 shown]
	s_delay_alu instid0(VALU_DEP_1)
	v_add_nc_u32_e32 v0, v3, v0
	ds_store_2addr_b32 v61, v1, v10 offset0:1 offset1:2
	ds_store_2addr_b32 v61, v11, v8 offset0:3 offset1:4
	;; [unrolled: 1-line block ×4, first 2 shown]
	; wave barrier
	s_wait_loadcnt_dscnt 0x0
	global_inv scope:SCOPE_SE
	ds_load_b32 v0, v13 offset:4
	ds_load_b32 v1, v15 offset:4
	;; [unrolled: 1-line block ×4, first 2 shown]
	s_wait_dscnt 0x3
	v_add_nc_u32_e32 v44, v0, v12
	s_wait_dscnt 0x2
	v_add3_u32 v43, v16, v14, v1
	s_wait_dscnt 0x1
	v_add3_u32 v42, v19, v17, v2
	;; [unrolled: 2-line block ×3, first 2 shown]
                                        ; implicit-def: $vgpr15_vgpr16
                                        ; implicit-def: $vgpr11_vgpr12
                                        ; implicit-def: $vgpr17_vgpr18
                                        ; implicit-def: $vgpr0_vgpr1
	s_wait_alu 0xfffe
	s_cbranch_vccnz .LBB153_41
; %bb.53:                               ;   in Loop: Header=BB153_42 Depth=1
	v_lshlrev_b32_e32 v0, 3, v44
	v_lshlrev_b32_e32 v1, 3, v43
	;; [unrolled: 1-line block ×4, first 2 shown]
	s_wait_loadcnt 0x0
	; wave barrier
	global_inv scope:SCOPE_SE
	ds_store_b64 v0, v[6:7]
	ds_store_b64 v1, v[36:37]
	;; [unrolled: 1-line block ×4, first 2 shown]
	; wave barrier
	s_wait_loadcnt_dscnt 0x0
	global_inv scope:SCOPE_SE
	ds_load_2addr_b64 v[9:12], v39 offset1:32
	ds_load_2addr_b64 v[13:16], v39 offset0:64 offset1:96
	; wave barrier
	s_wait_loadcnt_dscnt 0x0
	global_inv scope:SCOPE_SE
	ds_store_b64 v0, v[23:24]
	ds_store_b64 v1, v[21:22]
	;; [unrolled: 1-line block ×4, first 2 shown]
	; wave barrier
	s_wait_loadcnt_dscnt 0x0
	global_inv scope:SCOPE_SE
	ds_load_2addr_b64 v[17:20], v39 offset1:32
	ds_load_2addr_b64 v[0:3], v39 offset0:64 offset1:96
	v_add_co_u32 v4, vcc_lo, v4, 8
	s_wait_alu 0xfffd
	v_add_co_ci_u32_e64 v5, null, 0, v5, vcc_lo
	s_add_co_i32 s17, s17, -8
	s_mov_b32 s10, 0
	; wave barrier
	s_wait_loadcnt_dscnt 0x0
	global_inv scope:SCOPE_SE
	s_branch .LBB153_41
.LBB153_54:
	v_lshlrev_b32_e32 v9, 3, v44
	v_lshlrev_b32_e32 v11, 3, v42
	;; [unrolled: 1-line block ×5, first 2 shown]
	s_wait_loadcnt 0x0
	; wave barrier
	global_inv scope:SCOPE_SE
	ds_store_b64 v9, v[6:7]
	ds_store_b64 v10, v[36:37]
	;; [unrolled: 1-line block ×4, first 2 shown]
	; wave barrier
	s_wait_loadcnt_dscnt 0x0
	global_inv scope:SCOPE_SE
	ds_load_b128 v[0:3], v38
	ds_load_b128 v[4:7], v38 offset:16
	; wave barrier
	s_wait_loadcnt_dscnt 0x0
	global_inv scope:SCOPE_SE
	ds_store_b64 v9, v[23:24]
	ds_store_b64 v10, v[21:22]
	ds_store_b64 v11, v[27:28]
	ds_store_b64 v8, v[25:26]
	; wave barrier
	s_wait_loadcnt_dscnt 0x0
	global_inv scope:SCOPE_SE
	v_xor_b32_e32 v18, 0x7fffffff, v1
	v_xor_b32_e32 v17, -1, v0
	v_xor_b32_e32 v20, 0x7fffffff, v3
	v_xor_b32_e32 v19, -1, v2
	;; [unrolled: 2-line block ×4, first 2 shown]
.LBB153_55:
	ds_load_2addr_b64 v[0:3], v38 offset1:1
	ds_load_2addr_b64 v[4:7], v38 offset0:2 offset1:3
	; wave barrier
	s_wait_loadcnt_dscnt 0x0
	global_inv scope:SCOPE_SE
	ds_store_2addr_b64 v60, v[17:18], v[19:20] offset1:1
	ds_store_2addr_b64 v60, v[21:22], v[23:24] offset0:2 offset1:3
	; wave barrier
	s_wait_loadcnt_dscnt 0x0
	global_inv scope:SCOPE_SE
	ds_load_b64 v[14:15], v57 offset:256
	ds_load_b64 v[12:13], v58 offset:512
	;; [unrolled: 1-line block ×3, first 2 shown]
	v_mov_b32_e32 v34, 0
	s_delay_alu instid0(VALU_DEP_1) | instskip(NEXT) | instid1(VALU_DEP_1)
	v_lshlrev_b64_e32 v[10:11], 3, v[33:34]
	v_add_co_u32 v10, vcc_lo, s18, v10
	s_wait_alu 0xfffd
	s_delay_alu instid0(VALU_DEP_2)
	v_add_co_ci_u32_e64 v11, null, s19, v11, vcc_lo
	s_and_saveexec_b32 s1, s2
	s_cbranch_execnz .LBB153_66
; %bb.56:
	s_wait_alu 0xfffe
	s_or_b32 exec_lo, exec_lo, s1
	s_and_saveexec_b32 s1, s3
	s_cbranch_execnz .LBB153_67
.LBB153_57:
	s_wait_alu 0xfffe
	s_or_b32 exec_lo, exec_lo, s1
	s_and_saveexec_b32 s1, s4
	s_cbranch_execnz .LBB153_68
.LBB153_58:
	s_wait_alu 0xfffe
	s_or_b32 exec_lo, exec_lo, s1
	s_and_saveexec_b32 s1, s0
	s_cbranch_execz .LBB153_60
.LBB153_59:
	s_mul_i32 s6, s14, 0x60
	s_mov_b32 s7, 0
	s_wait_alu 0xfffe
	s_lshl_b64 s[6:7], s[6:7], 3
	s_wait_alu 0xfffe
	v_add_co_u32 v10, vcc_lo, v10, s6
	s_wait_alu 0xfffd
	v_add_co_ci_u32_e64 v11, null, s7, v11, vcc_lo
	s_wait_dscnt 0x0
	global_store_b64 v[10:11], v[8:9], off
.LBB153_60:
	s_wait_alu 0xfffe
	s_or_b32 exec_lo, exec_lo, s1
	s_wait_storecnt 0x0
	; wave barrier
	s_wait_loadcnt_dscnt 0x0
	global_inv scope:SCOPE_SE
	ds_store_2addr_b64 v60, v[0:1], v[2:3] offset1:1
	ds_store_2addr_b64 v60, v[4:5], v[6:7] offset0:2 offset1:3
	; wave barrier
	s_wait_loadcnt_dscnt 0x0
	global_inv scope:SCOPE_SE
	ds_load_b64 v[6:7], v57 offset:256
	ds_load_b64 v[4:5], v58 offset:512
	;; [unrolled: 1-line block ×3, first 2 shown]
	v_mov_b32_e32 v36, 0
	s_delay_alu instid0(VALU_DEP_1) | instskip(NEXT) | instid1(VALU_DEP_1)
	v_lshlrev_b64_e32 v[2:3], 3, v[35:36]
	v_add_co_u32 v2, vcc_lo, s12, v2
	s_wait_alu 0xfffd
	s_delay_alu instid0(VALU_DEP_2)
	v_add_co_ci_u32_e64 v3, null, s13, v3, vcc_lo
	s_and_saveexec_b32 s1, s2
	s_cbranch_execnz .LBB153_69
; %bb.61:
	s_wait_alu 0xfffe
	s_or_b32 exec_lo, exec_lo, s1
	s_and_saveexec_b32 s1, s3
	s_cbranch_execnz .LBB153_70
.LBB153_62:
	s_wait_alu 0xfffe
	s_or_b32 exec_lo, exec_lo, s1
	s_and_saveexec_b32 s1, s4
	s_cbranch_execnz .LBB153_71
.LBB153_63:
	s_wait_alu 0xfffe
	s_or_b32 exec_lo, exec_lo, s1
	s_and_saveexec_b32 s1, s0
	s_cbranch_execz .LBB153_65
.LBB153_64:
	s_mul_i32 s0, s16, 0x60
	s_mov_b32 s1, 0
	s_wait_alu 0xfffe
	s_lshl_b64 s[0:1], s[0:1], 3
	s_wait_alu 0xfffe
	v_add_co_u32 v2, vcc_lo, v2, s0
	s_wait_alu 0xfffd
	v_add_co_ci_u32_e64 v3, null, s1, v3, vcc_lo
	s_wait_dscnt 0x0
	global_store_b64 v[2:3], v[0:1], off
.LBB153_65:
	s_endpgm
.LBB153_66:
	ds_load_b64 v[16:17], v56
	s_wait_dscnt 0x0
	global_store_b64 v[10:11], v[16:17], off
	s_wait_alu 0xfffe
	s_or_b32 exec_lo, exec_lo, s1
	s_and_saveexec_b32 s1, s3
	s_cbranch_execz .LBB153_57
.LBB153_67:
	s_lshl_b32 s6, s14, 5
	s_mov_b32 s7, 0
	s_wait_alu 0xfffe
	s_lshl_b64 s[6:7], s[6:7], 3
	s_wait_alu 0xfffe
	v_add_co_u32 v16, vcc_lo, v10, s6
	s_wait_alu 0xfffd
	v_add_co_ci_u32_e64 v17, null, s7, v11, vcc_lo
	s_wait_dscnt 0x2
	global_store_b64 v[16:17], v[14:15], off
	s_or_b32 exec_lo, exec_lo, s1
	s_and_saveexec_b32 s1, s4
	s_cbranch_execz .LBB153_58
.LBB153_68:
	s_lshl_b32 s6, s14, 6
	s_mov_b32 s7, 0
	s_wait_alu 0xfffe
	s_lshl_b64 s[6:7], s[6:7], 3
	s_wait_dscnt 0x2
	s_wait_alu 0xfffe
	v_add_co_u32 v14, vcc_lo, v10, s6
	s_wait_alu 0xfffd
	v_add_co_ci_u32_e64 v15, null, s7, v11, vcc_lo
	s_wait_dscnt 0x1
	global_store_b64 v[14:15], v[12:13], off
	s_or_b32 exec_lo, exec_lo, s1
	s_and_saveexec_b32 s1, s0
	s_cbranch_execnz .LBB153_59
	s_branch .LBB153_60
.LBB153_69:
	ds_load_b64 v[8:9], v56
	s_wait_dscnt 0x0
	global_store_b64 v[2:3], v[8:9], off
	s_wait_alu 0xfffe
	s_or_b32 exec_lo, exec_lo, s1
	s_and_saveexec_b32 s1, s3
	s_cbranch_execz .LBB153_62
.LBB153_70:
	s_lshl_b32 s2, s16, 5
	s_mov_b32 s3, 0
	s_delay_alu instid0(SALU_CYCLE_1) | instskip(NEXT) | instid1(SALU_CYCLE_1)
	s_lshl_b64 s[2:3], s[2:3], 3
	v_add_co_u32 v8, vcc_lo, v2, s2
	s_wait_alu 0xfffd
	v_add_co_ci_u32_e64 v9, null, s3, v3, vcc_lo
	s_wait_dscnt 0x2
	global_store_b64 v[8:9], v[6:7], off
	s_wait_alu 0xfffe
	s_or_b32 exec_lo, exec_lo, s1
	s_and_saveexec_b32 s1, s4
	s_cbranch_execz .LBB153_63
.LBB153_71:
	s_lshl_b32 s2, s16, 6
	s_mov_b32 s3, 0
	s_wait_alu 0xfffe
	s_lshl_b64 s[2:3], s[2:3], 3
	s_wait_dscnt 0x2
	s_wait_alu 0xfffe
	v_add_co_u32 v6, vcc_lo, v2, s2
	s_wait_alu 0xfffd
	v_add_co_ci_u32_e64 v7, null, s3, v3, vcc_lo
	s_wait_dscnt 0x1
	global_store_b64 v[6:7], v[4:5], off
	s_or_b32 exec_lo, exec_lo, s1
	s_and_saveexec_b32 s1, s0
	s_cbranch_execnz .LBB153_64
	s_branch .LBB153_65
	.section	.rodata,"a",@progbits
	.p2align	6, 0x0
	.amdhsa_kernel _ZN2at6native18radixSortKVInPlaceILin1ELin1ELi32ELi4ElljEEvNS_4cuda6detail10TensorInfoIT3_T5_EES6_S6_S6_NS4_IT4_S6_EES6_b
		.amdhsa_group_segment_fixed_size 1056
		.amdhsa_private_segment_fixed_size 0
		.amdhsa_kernarg_size 712
		.amdhsa_user_sgpr_count 2
		.amdhsa_user_sgpr_dispatch_ptr 0
		.amdhsa_user_sgpr_queue_ptr 0
		.amdhsa_user_sgpr_kernarg_segment_ptr 1
		.amdhsa_user_sgpr_dispatch_id 0
		.amdhsa_user_sgpr_private_segment_size 0
		.amdhsa_wavefront_size32 1
		.amdhsa_uses_dynamic_stack 0
		.amdhsa_enable_private_segment 0
		.amdhsa_system_sgpr_workgroup_id_x 1
		.amdhsa_system_sgpr_workgroup_id_y 1
		.amdhsa_system_sgpr_workgroup_id_z 1
		.amdhsa_system_sgpr_workgroup_info 0
		.amdhsa_system_vgpr_workitem_id 2
		.amdhsa_next_free_vgpr 72
		.amdhsa_next_free_sgpr 26
		.amdhsa_reserve_vcc 1
		.amdhsa_float_round_mode_32 0
		.amdhsa_float_round_mode_16_64 0
		.amdhsa_float_denorm_mode_32 3
		.amdhsa_float_denorm_mode_16_64 3
		.amdhsa_fp16_overflow 0
		.amdhsa_workgroup_processor_mode 1
		.amdhsa_memory_ordered 1
		.amdhsa_forward_progress 1
		.amdhsa_inst_pref_size 82
		.amdhsa_round_robin_scheduling 0
		.amdhsa_exception_fp_ieee_invalid_op 0
		.amdhsa_exception_fp_denorm_src 0
		.amdhsa_exception_fp_ieee_div_zero 0
		.amdhsa_exception_fp_ieee_overflow 0
		.amdhsa_exception_fp_ieee_underflow 0
		.amdhsa_exception_fp_ieee_inexact 0
		.amdhsa_exception_int_div_zero 0
	.end_amdhsa_kernel
	.section	.text._ZN2at6native18radixSortKVInPlaceILin1ELin1ELi32ELi4ElljEEvNS_4cuda6detail10TensorInfoIT3_T5_EES6_S6_S6_NS4_IT4_S6_EES6_b,"axG",@progbits,_ZN2at6native18radixSortKVInPlaceILin1ELin1ELi32ELi4ElljEEvNS_4cuda6detail10TensorInfoIT3_T5_EES6_S6_S6_NS4_IT4_S6_EES6_b,comdat
.Lfunc_end153:
	.size	_ZN2at6native18radixSortKVInPlaceILin1ELin1ELi32ELi4ElljEEvNS_4cuda6detail10TensorInfoIT3_T5_EES6_S6_S6_NS4_IT4_S6_EES6_b, .Lfunc_end153-_ZN2at6native18radixSortKVInPlaceILin1ELin1ELi32ELi4ElljEEvNS_4cuda6detail10TensorInfoIT3_T5_EES6_S6_S6_NS4_IT4_S6_EES6_b
                                        ; -- End function
	.set _ZN2at6native18radixSortKVInPlaceILin1ELin1ELi32ELi4ElljEEvNS_4cuda6detail10TensorInfoIT3_T5_EES6_S6_S6_NS4_IT4_S6_EES6_b.num_vgpr, 72
	.set _ZN2at6native18radixSortKVInPlaceILin1ELin1ELi32ELi4ElljEEvNS_4cuda6detail10TensorInfoIT3_T5_EES6_S6_S6_NS4_IT4_S6_EES6_b.num_agpr, 0
	.set _ZN2at6native18radixSortKVInPlaceILin1ELin1ELi32ELi4ElljEEvNS_4cuda6detail10TensorInfoIT3_T5_EES6_S6_S6_NS4_IT4_S6_EES6_b.numbered_sgpr, 26
	.set _ZN2at6native18radixSortKVInPlaceILin1ELin1ELi32ELi4ElljEEvNS_4cuda6detail10TensorInfoIT3_T5_EES6_S6_S6_NS4_IT4_S6_EES6_b.num_named_barrier, 0
	.set _ZN2at6native18radixSortKVInPlaceILin1ELin1ELi32ELi4ElljEEvNS_4cuda6detail10TensorInfoIT3_T5_EES6_S6_S6_NS4_IT4_S6_EES6_b.private_seg_size, 0
	.set _ZN2at6native18radixSortKVInPlaceILin1ELin1ELi32ELi4ElljEEvNS_4cuda6detail10TensorInfoIT3_T5_EES6_S6_S6_NS4_IT4_S6_EES6_b.uses_vcc, 1
	.set _ZN2at6native18radixSortKVInPlaceILin1ELin1ELi32ELi4ElljEEvNS_4cuda6detail10TensorInfoIT3_T5_EES6_S6_S6_NS4_IT4_S6_EES6_b.uses_flat_scratch, 0
	.set _ZN2at6native18radixSortKVInPlaceILin1ELin1ELi32ELi4ElljEEvNS_4cuda6detail10TensorInfoIT3_T5_EES6_S6_S6_NS4_IT4_S6_EES6_b.has_dyn_sized_stack, 0
	.set _ZN2at6native18radixSortKVInPlaceILin1ELin1ELi32ELi4ElljEEvNS_4cuda6detail10TensorInfoIT3_T5_EES6_S6_S6_NS4_IT4_S6_EES6_b.has_recursion, 0
	.set _ZN2at6native18radixSortKVInPlaceILin1ELin1ELi32ELi4ElljEEvNS_4cuda6detail10TensorInfoIT3_T5_EES6_S6_S6_NS4_IT4_S6_EES6_b.has_indirect_call, 0
	.section	.AMDGPU.csdata,"",@progbits
; Kernel info:
; codeLenInByte = 10380
; TotalNumSgprs: 28
; NumVgprs: 72
; ScratchSize: 0
; MemoryBound: 0
; FloatMode: 240
; IeeeMode: 1
; LDSByteSize: 1056 bytes/workgroup (compile time only)
; SGPRBlocks: 0
; VGPRBlocks: 8
; NumSGPRsForWavesPerEU: 28
; NumVGPRsForWavesPerEU: 72
; Occupancy: 16
; WaveLimiterHint : 1
; COMPUTE_PGM_RSRC2:SCRATCH_EN: 0
; COMPUTE_PGM_RSRC2:USER_SGPR: 2
; COMPUTE_PGM_RSRC2:TRAP_HANDLER: 0
; COMPUTE_PGM_RSRC2:TGID_X_EN: 1
; COMPUTE_PGM_RSRC2:TGID_Y_EN: 1
; COMPUTE_PGM_RSRC2:TGID_Z_EN: 1
; COMPUTE_PGM_RSRC2:TIDIG_COMP_CNT: 2
	.section	.text._ZN2at6native18radixSortKVInPlaceILin1ELin1ELi16ELi2ElljEEvNS_4cuda6detail10TensorInfoIT3_T5_EES6_S6_S6_NS4_IT4_S6_EES6_b,"axG",@progbits,_ZN2at6native18radixSortKVInPlaceILin1ELin1ELi16ELi2ElljEEvNS_4cuda6detail10TensorInfoIT3_T5_EES6_S6_S6_NS4_IT4_S6_EES6_b,comdat
	.protected	_ZN2at6native18radixSortKVInPlaceILin1ELin1ELi16ELi2ElljEEvNS_4cuda6detail10TensorInfoIT3_T5_EES6_S6_S6_NS4_IT4_S6_EES6_b ; -- Begin function _ZN2at6native18radixSortKVInPlaceILin1ELin1ELi16ELi2ElljEEvNS_4cuda6detail10TensorInfoIT3_T5_EES6_S6_S6_NS4_IT4_S6_EES6_b
	.globl	_ZN2at6native18radixSortKVInPlaceILin1ELin1ELi16ELi2ElljEEvNS_4cuda6detail10TensorInfoIT3_T5_EES6_S6_S6_NS4_IT4_S6_EES6_b
	.p2align	8
	.type	_ZN2at6native18radixSortKVInPlaceILin1ELin1ELi16ELi2ElljEEvNS_4cuda6detail10TensorInfoIT3_T5_EES6_S6_S6_NS4_IT4_S6_EES6_b,@function
_ZN2at6native18radixSortKVInPlaceILin1ELin1ELi16ELi2ElljEEvNS_4cuda6detail10TensorInfoIT3_T5_EES6_S6_S6_NS4_IT4_S6_EES6_b: ; @_ZN2at6native18radixSortKVInPlaceILin1ELin1ELi16ELi2ElljEEvNS_4cuda6detail10TensorInfoIT3_T5_EES6_S6_S6_NS4_IT4_S6_EES6_b
; %bb.0:
	s_clause 0x1
	s_load_b64 s[2:3], s[0:1], 0x1c8
	s_load_b96 s[16:18], s[0:1], 0xd8
	s_lshr_b32 s4, ttmp7, 16
	s_wait_kmcnt 0x0
	s_mul_i32 s3, s3, s4
	s_and_b32 s4, ttmp7, 0xffff
	s_delay_alu instid0(SALU_CYCLE_1) | instskip(NEXT) | instid1(SALU_CYCLE_1)
	s_add_co_i32 s3, s3, s4
	s_mul_i32 s2, s3, s2
	s_delay_alu instid0(SALU_CYCLE_1) | instskip(NEXT) | instid1(SALU_CYCLE_1)
	s_add_co_i32 s8, s2, ttmp9
	s_cmp_ge_u32 s8, s16
	s_cbranch_scc1 .LBB154_57
; %bb.1:
	s_load_b32 s2, s[0:1], 0xd0
	s_mov_b32 s5, 0
	s_mov_b32 s4, s8
	s_wait_kmcnt 0x0
	s_cmp_lt_i32 s2, 2
	s_cbranch_scc1 .LBB154_4
; %bb.2:
	s_add_co_i32 s4, s2, -1
	s_delay_alu instid0(SALU_CYCLE_1)
	s_lshl_b64 s[6:7], s[4:5], 2
	s_mov_b32 s4, s8
	s_add_nc_u64 s[10:11], s[0:1], s[6:7]
	s_add_co_i32 s6, s2, 1
	s_add_nc_u64 s[2:3], s[10:11], 8
.LBB154_3:                              ; =>This Inner Loop Header: Depth=1
	s_clause 0x1
	s_load_b32 s7, s[2:3], 0x0
	s_load_b32 s9, s[2:3], 0x64
	s_mov_b32 s12, s4
	s_add_nc_u64 s[2:3], s[2:3], -4
	s_wait_kmcnt 0x0
	s_cvt_f32_u32 s10, s7
	s_sub_co_i32 s11, 0, s7
	s_wait_alu 0xfffe
	s_delay_alu instid0(SALU_CYCLE_1) | instskip(NEXT) | instid1(TRANS32_DEP_1)
	v_rcp_iflag_f32_e32 v1, s10
	v_readfirstlane_b32 s10, v1
	s_mul_f32 s10, s10, 0x4f7ffffe
	s_wait_alu 0xfffe
	s_delay_alu instid0(SALU_CYCLE_2) | instskip(SKIP_1) | instid1(SALU_CYCLE_2)
	s_cvt_u32_f32 s10, s10
	s_wait_alu 0xfffe
	s_mul_i32 s11, s11, s10
	s_wait_alu 0xfffe
	s_mul_hi_u32 s11, s10, s11
	s_wait_alu 0xfffe
	s_add_co_i32 s10, s10, s11
	s_wait_alu 0xfffe
	s_mul_hi_u32 s4, s4, s10
	s_delay_alu instid0(SALU_CYCLE_1)
	s_mul_i32 s10, s4, s7
	s_add_co_i32 s11, s4, 1
	s_wait_alu 0xfffe
	s_sub_co_i32 s10, s12, s10
	s_wait_alu 0xfffe
	s_sub_co_i32 s13, s10, s7
	s_cmp_ge_u32 s10, s7
	s_cselect_b32 s4, s11, s4
	s_cselect_b32 s10, s13, s10
	s_add_co_i32 s11, s4, 1
	s_wait_alu 0xfffe
	s_cmp_ge_u32 s10, s7
	s_cselect_b32 s4, s11, s4
	s_add_co_i32 s6, s6, -1
	s_mul_i32 s7, s4, s7
	s_delay_alu instid0(SALU_CYCLE_1) | instskip(NEXT) | instid1(SALU_CYCLE_1)
	s_sub_co_i32 s7, s12, s7
	s_mul_i32 s7, s9, s7
	s_delay_alu instid0(SALU_CYCLE_1)
	s_add_co_i32 s5, s7, s5
	s_cmp_gt_u32 s6, 2
	s_cbranch_scc1 .LBB154_3
.LBB154_4:
	s_load_b32 s6, s[0:1], 0x1b8
	s_mov_b32 s3, 0
	s_wait_kmcnt 0x0
	s_cmp_lt_i32 s6, 2
	s_cbranch_scc1 .LBB154_7
; %bb.5:
	s_add_co_i32 s2, s6, -1
	s_delay_alu instid0(SALU_CYCLE_1)
	s_lshl_b64 s[10:11], s[2:3], 2
	s_add_co_i32 s2, s6, 1
	s_wait_alu 0xfffe
	s_add_nc_u64 s[10:11], s[0:1], s[10:11]
	s_wait_alu 0xfffe
	s_add_nc_u64 s[6:7], s[10:11], 0xf0
.LBB154_6:                              ; =>This Inner Loop Header: Depth=1
	s_clause 0x1
	s_load_b32 s9, s[6:7], 0x0
	s_load_b32 s10, s[6:7], 0x64
	s_mov_b32 s13, s8
	s_add_nc_u64 s[6:7], s[6:7], -4
	s_wait_kmcnt 0x0
	s_cvt_f32_u32 s11, s9
	s_sub_co_i32 s12, 0, s9
	s_wait_alu 0xfffe
	s_delay_alu instid0(SALU_CYCLE_1) | instskip(NEXT) | instid1(TRANS32_DEP_1)
	v_rcp_iflag_f32_e32 v1, s11
	v_readfirstlane_b32 s11, v1
	s_mul_f32 s11, s11, 0x4f7ffffe
	s_wait_alu 0xfffe
	s_delay_alu instid0(SALU_CYCLE_2) | instskip(SKIP_1) | instid1(SALU_CYCLE_2)
	s_cvt_u32_f32 s11, s11
	s_wait_alu 0xfffe
	s_mul_i32 s12, s12, s11
	s_delay_alu instid0(SALU_CYCLE_1) | instskip(NEXT) | instid1(SALU_CYCLE_1)
	s_mul_hi_u32 s12, s11, s12
	s_add_co_i32 s11, s11, s12
	s_wait_alu 0xfffe
	s_mul_hi_u32 s8, s8, s11
	s_delay_alu instid0(SALU_CYCLE_1)
	s_mul_i32 s11, s8, s9
	s_add_co_i32 s12, s8, 1
	s_wait_alu 0xfffe
	s_sub_co_i32 s11, s13, s11
	s_wait_alu 0xfffe
	s_sub_co_i32 s14, s11, s9
	s_cmp_ge_u32 s11, s9
	s_cselect_b32 s8, s12, s8
	s_cselect_b32 s11, s14, s11
	s_add_co_i32 s12, s8, 1
	s_wait_alu 0xfffe
	s_cmp_ge_u32 s11, s9
	s_cselect_b32 s8, s12, s8
	s_add_co_i32 s2, s2, -1
	s_mul_i32 s9, s8, s9
	s_delay_alu instid0(SALU_CYCLE_1) | instskip(NEXT) | instid1(SALU_CYCLE_1)
	s_sub_co_i32 s9, s13, s9
	s_mul_i32 s9, s10, s9
	s_delay_alu instid0(SALU_CYCLE_1)
	s_add_co_i32 s3, s9, s3
	s_cmp_gt_u32 s2, 2
	s_cbranch_scc1 .LBB154_6
.LBB154_7:
	s_clause 0x2
	s_load_b32 s2, s[0:1], 0x6c
	s_load_b64 s[20:21], s[0:1], 0x1c0
	s_load_b64 s[10:11], s[0:1], 0x0
	s_mov_b32 s7, 0
	s_brev_b32 s14, 1
	v_mul_lo_u32 v20, s18, v0
	s_wait_kmcnt 0x0
	s_mul_i32 s2, s2, s4
	s_delay_alu instid0(SALU_CYCLE_1)
	s_add_co_i32 s6, s2, s5
	s_bitcmp1_b32 s21, 0
	s_cselect_b32 s9, -1, 0
	s_lshl_b64 s[12:13], s[6:7], 3
	s_and_b32 s2, s9, exec_lo
	s_cselect_b32 s4, 0, -1
	s_cselect_b32 s5, s14, 0x7fffffff
	s_mov_b32 s6, s4
	s_mov_b32 s7, s5
	v_dual_mov_b32 v1, s4 :: v_dual_mov_b32 v2, s5
	v_cmp_gt_u32_e64 s2, s17, v0
	v_dual_mov_b32 v3, s6 :: v_dual_mov_b32 v4, s7
	v_dual_mov_b32 v6, s5 :: v_dual_mov_b32 v5, s4
	s_add_nc_u64 s[22:23], s[10:11], s[12:13]
	s_and_saveexec_b32 s10, s2
	s_cbranch_execz .LBB154_9
; %bb.8:
	v_mov_b32_e32 v21, 0
	s_delay_alu instid0(VALU_DEP_1) | instskip(NEXT) | instid1(VALU_DEP_1)
	v_lshlrev_b64_e32 v[1:2], 3, v[20:21]
	v_add_co_u32 v1, vcc_lo, s22, v1
	s_delay_alu instid0(VALU_DEP_1)
	v_add_co_ci_u32_e64 v2, null, s23, v2, vcc_lo
	global_load_b64 v[5:6], v[1:2], off
	v_dual_mov_b32 v1, s4 :: v_dual_mov_b32 v4, s7
	v_dual_mov_b32 v3, s6 :: v_dual_mov_b32 v2, s5
.LBB154_9:
	s_wait_alu 0xfffe
	s_or_b32 exec_lo, exec_lo, s10
	s_clause 0x1
	s_load_b32 s6, s[0:1], 0x154
	s_load_b64 s[4:5], s[0:1], 0xe8
	v_or_b32_e32 v7, 16, v0
	s_delay_alu instid0(VALU_DEP_1)
	v_cmp_gt_u32_e64 s0, s17, v7
	s_and_saveexec_b32 s1, s0
	s_cbranch_execz .LBB154_11
; %bb.10:
	v_mul_lo_u32 v1, s18, v7
	v_mov_b32_e32 v2, 0
	s_delay_alu instid0(VALU_DEP_1) | instskip(NEXT) | instid1(VALU_DEP_1)
	v_lshlrev_b64_e32 v[1:2], 3, v[1:2]
	v_add_co_u32 v1, vcc_lo, s22, v1
	s_wait_alu 0xfffd
	s_delay_alu instid0(VALU_DEP_2)
	v_add_co_ci_u32_e64 v2, null, s23, v2, vcc_lo
	global_load_b64 v[3:4], v[1:2], off
.LBB154_11:
	s_or_b32 exec_lo, exec_lo, s1
	v_dual_mov_b32 v18, 0 :: v_dual_lshlrev_b32 v29, 3, v0
	v_lshlrev_b32_e32 v30, 4, v0
	s_wait_kmcnt 0x0
	s_mul_i32 s1, s6, s8
	v_mul_lo_u32 v17, s20, v0
	s_wait_loadcnt 0x0
	ds_store_2addr_b64 v29, v[5:6], v[3:4] offset1:16
	s_wait_dscnt 0x0
	; wave barrier
	global_inv scope:SCOPE_SE
	v_mov_b32_e32 v5, 0
	ds_load_2addr_b64 v[1:4], v30 offset1:1
	s_add_co_i32 s6, s1, s3
	s_mov_b32 s7, 0
	v_dual_mov_b32 v6, 0 :: v_dual_mov_b32 v19, v18
	s_wait_alu 0xfffe
	s_lshl_b64 s[6:7], s[6:7], 3
	s_wait_loadcnt_dscnt 0x0
	s_wait_alu 0xfffe
	s_add_nc_u64 s[16:17], s[4:5], s[6:7]
	; wave barrier
	global_inv scope:SCOPE_SE
	s_and_saveexec_b32 s1, s2
	s_cbranch_execz .LBB154_13
; %bb.12:
	v_lshlrev_b64_e32 v[5:6], 3, v[17:18]
	v_mov_b32_e32 v19, v18
	s_wait_alu 0xfffe
	s_delay_alu instid0(VALU_DEP_2) | instskip(SKIP_1) | instid1(VALU_DEP_3)
	v_add_co_u32 v5, vcc_lo, s16, v5
	s_wait_alu 0xfffd
	v_add_co_ci_u32_e64 v6, null, s17, v6, vcc_lo
	global_load_b64 v[5:6], v[5:6], off
.LBB154_13:
	s_or_b32 exec_lo, exec_lo, s1
	s_xor_b32 s8, s9, -1
	s_and_saveexec_b32 s1, s0
	s_cbranch_execz .LBB154_15
; %bb.14:
	v_mul_lo_u32 v7, s20, v7
	v_mov_b32_e32 v8, 0
	s_delay_alu instid0(VALU_DEP_1) | instskip(SKIP_1) | instid1(VALU_DEP_1)
	v_lshlrev_b64_e32 v[7:8], 3, v[7:8]
	s_wait_alu 0xfffe
	v_add_co_u32 v7, vcc_lo, s16, v7
	s_wait_alu 0xfffd
	s_delay_alu instid0(VALU_DEP_2)
	v_add_co_ci_u32_e64 v8, null, s17, v8, vcc_lo
	global_load_b64 v[18:19], v[7:8], off
.LBB154_15:
	s_or_b32 exec_lo, exec_lo, s1
	v_mbcnt_lo_u32_b32 v9, -1, 0
	s_getpc_b64 s[4:5]
	s_wait_alu 0xfffe
	s_sext_i32_i16 s5, s5
	s_add_co_u32 s4, s4, _ZN7rocprim17ROCPRIM_400000_NS16block_radix_sortIlLj16ELj2ElLj1ELj1ELj0ELNS0_26block_radix_rank_algorithmE1ELNS0_18block_padding_hintE2ELNS0_4arch9wavefront6targetE0EE19radix_bits_per_passE@rel32@lo+12
	s_wait_alu 0xfffe
	s_add_co_ci_u32 s5, s5, _ZN7rocprim17ROCPRIM_400000_NS16block_radix_sortIlLj16ELj2ElLj1ELj1ELj0ELNS0_26block_radix_rank_algorithmE1ELNS0_18block_padding_hintE2ELNS0_4arch9wavefront6targetE0EE19radix_bits_per_passE@rel32@hi+24
	s_wait_loadcnt 0x0
	ds_store_2addr_b64 v29, v[5:6], v[18:19] offset1:16
	s_wait_dscnt 0x0
	; wave barrier
	global_inv scope:SCOPE_SE
	ds_load_2addr_b64 v[5:8], v30 offset1:1
	v_sub_co_u32 v11, s15, v9, 1
	v_and_b32_e32 v12, 16, v9
	s_load_b32 s19, s[4:5], 0x0
	v_and_b32_e32 v10, 15, v9
	v_cmp_gt_u32_e64 s1, 0x80, v0
	v_cmp_eq_u32_e64 s7, 15, v0
	v_cmp_lt_i32_e32 vcc_lo, v11, v12
	v_lshlrev_b32_e32 v32, 5, v0
	v_cmp_eq_u32_e64 s3, 0, v10
	v_cmp_lt_u32_e64 s4, 1, v10
	v_cmp_lt_u32_e64 s5, 3, v10
	s_wait_alu 0xfffd
	v_cndmask_b32_e32 v9, v11, v9, vcc_lo
	v_cmp_lt_u32_e64 s6, 7, v10
	v_sub_nc_u32_e32 v31, v32, v30
	s_and_b32 vcc_lo, exec_lo, s8
	v_cmp_gt_u32_e64 s8, 0x70, v0
	v_lshlrev_b32_e32 v33, 2, v9
	v_cmp_gt_u32_e64 s9, 0x60, v0
	v_cmp_gt_u32_e64 s10, 0x50, v0
	;; [unrolled: 1-line block ×6, first 2 shown]
	s_mov_b32 s21, -1
	; wave barrier
	s_wait_loadcnt_dscnt 0x0
	global_inv scope:SCOPE_SE
                                        ; implicit-def: $vgpr15_vgpr16
                                        ; implicit-def: $vgpr11_vgpr12
	s_wait_alu 0xfffe
	s_cbranch_vccz .LBB154_32
; %bb.16:
	v_dual_mov_b32 v25, 0 :: v_dual_mov_b32 v14, v6
	v_dual_mov_b32 v35, 0 :: v_dual_mov_b32 v16, v8
	v_xor_b32_e32 v10, 0x80000000, v2
	v_dual_mov_b32 v9, v1 :: v_dual_lshlrev_b32 v34, 2, v0
	v_xor_b32_e32 v12, 0x80000000, v4
	v_dual_mov_b32 v11, v3 :: v_dual_mov_b32 v26, 0
	v_mov_b32_e32 v13, v5
	v_mov_b32_e32 v15, v7
	s_mov_b32 s21, 64
	s_branch .LBB154_18
.LBB154_17:                             ;   in Loop: Header=BB154_18 Depth=1
	s_wait_alu 0xfffe
	s_and_not1_b32 vcc_lo, exec_lo, s24
	s_wait_alu 0xfffe
	s_cbranch_vccz .LBB154_31
.LBB154_18:                             ; =>This Inner Loop Header: Depth=1
	v_dual_mov_b32 v24, v12 :: v_dual_mov_b32 v23, v11
	v_dual_mov_b32 v28, v10 :: v_dual_mov_b32 v27, v9
	;; [unrolled: 1-line block ×4, first 2 shown]
	s_and_saveexec_b32 s24, s1
	s_cbranch_execz .LBB154_27
; %bb.19:                               ;   in Loop: Header=BB154_18 Depth=1
	ds_store_b32 v34, v35
	s_and_b32 exec_lo, exec_lo, s8
	s_cbranch_execz .LBB154_27
; %bb.20:                               ;   in Loop: Header=BB154_18 Depth=1
	ds_store_b32 v34, v35 offset:64
	s_and_b32 exec_lo, exec_lo, s9
	s_cbranch_execz .LBB154_27
; %bb.21:                               ;   in Loop: Header=BB154_18 Depth=1
	ds_store_b32 v34, v35 offset:128
	;; [unrolled: 4-line block ×6, first 2 shown]
	s_and_b32 exec_lo, exec_lo, s14
; %bb.26:                               ;   in Loop: Header=BB154_18 Depth=1
	ds_store_b32 v34, v35 offset:448
.LBB154_27:                             ;   in Loop: Header=BB154_18 Depth=1
	s_wait_alu 0xfffe
	s_or_b32 exec_lo, exec_lo, s24
	s_wait_kmcnt 0x0
	s_min_u32 s24, s19, s21
	v_lshrrev_b64 v[9:10], v25, v[27:28]
	s_wait_alu 0xfffe
	s_lshl_b32 s24, -1, s24
	s_wait_alu 0xfffe
	s_not_b32 s24, s24
	s_wait_alu 0xfffe
	v_and_b32_e32 v9, s24, v9
	s_delay_alu instid0(VALU_DEP_1) | instskip(SKIP_1) | instid1(VALU_DEP_2)
	v_lshlrev_b32_e32 v10, 4, v9
	v_lshrrev_b32_e32 v9, 2, v9
	v_and_or_b32 v10, 0x70, v10, v0
	s_delay_alu instid0(VALU_DEP_2) | instskip(NEXT) | instid1(VALU_DEP_1)
	v_and_b32_e32 v9, 0x1ffffffe, v9
	v_lshl_add_u32 v36, v10, 2, v9
	v_lshrrev_b64 v[9:10], v25, v[23:24]
	ds_load_u16 v37, v36
	v_and_b32_e32 v9, s24, v9
	s_delay_alu instid0(VALU_DEP_1) | instskip(SKIP_1) | instid1(VALU_DEP_2)
	v_lshlrev_b32_e32 v10, 4, v9
	v_lshrrev_b32_e32 v9, 2, v9
	v_and_or_b32 v10, 0x70, v10, v0
	s_delay_alu instid0(VALU_DEP_2) | instskip(NEXT) | instid1(VALU_DEP_1)
	v_and_b32_e32 v9, 0x1ffffffe, v9
	v_lshl_add_u32 v38, v10, 2, v9
	s_wait_dscnt 0x0
	v_add_nc_u16 v11, v37, 1
	ds_store_b16 v36, v11
	ds_load_u16 v39, v38
	s_wait_dscnt 0x0
	v_add_nc_u16 v9, v39, 1
	ds_store_b16 v38, v9
	; wave barrier
	s_wait_loadcnt_dscnt 0x0
	global_inv scope:SCOPE_SE
	ds_load_b128 v[13:16], v32
	ds_load_b128 v[9:12], v32 offset:16
	s_wait_dscnt 0x1
	v_add_nc_u32_e32 v40, v14, v13
	s_delay_alu instid0(VALU_DEP_1) | instskip(SKIP_1) | instid1(VALU_DEP_1)
	v_add3_u32 v40, v40, v15, v16
	s_wait_dscnt 0x0
	v_add3_u32 v40, v40, v9, v10
	s_delay_alu instid0(VALU_DEP_1) | instskip(NEXT) | instid1(VALU_DEP_1)
	v_add3_u32 v12, v40, v11, v12
	v_mov_b32_dpp v40, v12 row_shr:1 row_mask:0xf bank_mask:0xf
	s_delay_alu instid0(VALU_DEP_1) | instskip(NEXT) | instid1(VALU_DEP_1)
	v_cndmask_b32_e64 v40, v40, 0, s3
	v_add_nc_u32_e32 v12, v40, v12
	s_delay_alu instid0(VALU_DEP_1) | instskip(NEXT) | instid1(VALU_DEP_1)
	v_mov_b32_dpp v40, v12 row_shr:2 row_mask:0xf bank_mask:0xf
	v_cndmask_b32_e64 v40, 0, v40, s4
	s_delay_alu instid0(VALU_DEP_1) | instskip(NEXT) | instid1(VALU_DEP_1)
	v_add_nc_u32_e32 v12, v12, v40
	v_mov_b32_dpp v40, v12 row_shr:4 row_mask:0xf bank_mask:0xf
	s_delay_alu instid0(VALU_DEP_1) | instskip(NEXT) | instid1(VALU_DEP_1)
	v_cndmask_b32_e64 v40, 0, v40, s5
	v_add_nc_u32_e32 v12, v12, v40
	s_delay_alu instid0(VALU_DEP_1) | instskip(NEXT) | instid1(VALU_DEP_1)
	v_mov_b32_dpp v40, v12 row_shr:8 row_mask:0xf bank_mask:0xf
	v_cndmask_b32_e64 v40, 0, v40, s6
	s_delay_alu instid0(VALU_DEP_1)
	v_add_nc_u32_e32 v12, v12, v40
	s_and_saveexec_b32 s24, s7
; %bb.28:                               ;   in Loop: Header=BB154_18 Depth=1
	ds_store_b32 v35, v12 offset:512
; %bb.29:                               ;   in Loop: Header=BB154_18 Depth=1
	s_wait_alu 0xfffe
	s_or_b32 exec_lo, exec_lo, s24
	ds_bpermute_b32 v12, v33, v12
	; wave barrier
	s_wait_loadcnt_dscnt 0x0
	global_inv scope:SCOPE_SE
	ds_load_b32 v40, v35 offset:512
	v_cmp_lt_u32_e32 vcc_lo, 59, v25
	s_mov_b32 s24, -1
	s_and_b32 vcc_lo, exec_lo, vcc_lo
	v_cndmask_b32_e64 v12, v12, 0, s15
	s_wait_dscnt 0x0
	s_delay_alu instid0(VALU_DEP_1) | instskip(NEXT) | instid1(VALU_DEP_1)
	v_lshl_add_u32 v12, v40, 16, v12
	v_add_nc_u32_e32 v13, v12, v13
	s_delay_alu instid0(VALU_DEP_1) | instskip(NEXT) | instid1(VALU_DEP_1)
	v_add_nc_u32_e32 v14, v13, v14
	v_add_nc_u32_e32 v15, v14, v15
	s_delay_alu instid0(VALU_DEP_1) | instskip(NEXT) | instid1(VALU_DEP_1)
	v_add_nc_u32_e32 v40, v15, v16
	;; [unrolled: 3-line block ×3, first 2 shown]
	v_add_nc_u32_e32 v43, v42, v11
	v_and_b32_e32 v11, 0xffff, v37
	ds_store_b128 v32, v[12:15]
	ds_store_b128 v32, v[40:43] offset:16
	; wave barrier
	s_wait_loadcnt_dscnt 0x0
	global_inv scope:SCOPE_SE
	ds_load_u16 v9, v36
	ds_load_u16 v10, v38
	v_and_b32_e32 v12, 0xffff, v39
                                        ; implicit-def: $vgpr15_vgpr16
	s_wait_dscnt 0x1
	v_add_nc_u32_e32 v37, v9, v11
	s_wait_dscnt 0x0
	s_delay_alu instid0(VALU_DEP_2)
	v_add_nc_u32_e32 v36, v10, v12
                                        ; implicit-def: $vgpr11_vgpr12
	s_wait_alu 0xfffe
	s_cbranch_vccnz .LBB154_17
; %bb.30:                               ;   in Loop: Header=BB154_18 Depth=1
	v_lshlrev_b32_e32 v13, 3, v37
	s_delay_alu instid0(VALU_DEP_2)
	v_lshlrev_b32_e32 v14, 3, v36
	s_wait_loadcnt 0x0
	; wave barrier
	global_inv scope:SCOPE_SE
	v_add_co_u32 v25, vcc_lo, v25, 4
	ds_store_b64 v13, v[27:28]
	ds_store_b64 v14, v[23:24]
	; wave barrier
	s_wait_loadcnt_dscnt 0x0
	global_inv scope:SCOPE_SE
	ds_load_b128 v[9:12], v31
	; wave barrier
	s_wait_loadcnt_dscnt 0x0
	global_inv scope:SCOPE_SE
	ds_store_b64 v13, v[21:22]
	ds_store_b64 v14, v[18:19]
	; wave barrier
	s_wait_loadcnt_dscnt 0x0
	global_inv scope:SCOPE_SE
	ds_load_b128 v[13:16], v31
	s_wait_alu 0xfffd
	v_add_co_ci_u32_e64 v26, null, 0, v26, vcc_lo
	s_add_co_i32 s21, s21, -4
	s_mov_b32 s24, 0
	; wave barrier
	s_wait_loadcnt_dscnt 0x0
	global_inv scope:SCOPE_SE
	s_branch .LBB154_17
.LBB154_31:
	v_lshlrev_b32_e32 v9, 3, v37
	v_lshlrev_b32_e32 v10, 3, v36
	s_wait_loadcnt 0x0
	; wave barrier
	global_inv scope:SCOPE_SE
	s_mov_b32 s21, 0
	ds_store_b64 v9, v[27:28]
	ds_store_b64 v10, v[23:24]
	; wave barrier
	s_wait_loadcnt_dscnt 0x0
	global_inv scope:SCOPE_SE
	ds_load_b128 v[13:16], v31
	; wave barrier
	s_wait_loadcnt_dscnt 0x0
	global_inv scope:SCOPE_SE
	ds_store_b64 v9, v[21:22]
	ds_store_b64 v10, v[18:19]
	; wave barrier
	s_wait_loadcnt_dscnt 0x0
	global_inv scope:SCOPE_SE
	ds_load_b128 v[9:12], v31
	v_xor_b32_e32 v14, 0x80000000, v14
	v_xor_b32_e32 v16, 0x80000000, v16
.LBB154_32:
	s_wait_alu 0xfffe
	s_and_b32 vcc_lo, exec_lo, s21
	s_wait_alu 0xfffe
	s_cbranch_vccz .LBB154_49
; %bb.33:
	s_wait_dscnt 0x0
	v_mul_i32_i24_e32 v9, -12, v0
	v_dual_mov_b32 v13, 0 :: v_dual_mov_b32 v22, 0
	v_xor_b32_e32 v2, 0x7fffffff, v2
	v_xor_b32_e32 v1, -1, v1
	v_xor_b32_e32 v4, 0x7fffffff, v4
	v_xor_b32_e32 v3, -1, v3
	v_cmp_gt_u32_e64 s8, 0x70, v0
	v_cmp_gt_u32_e64 s9, 0x60, v0
	;; [unrolled: 1-line block ×7, first 2 shown]
	v_dual_mov_b32 v14, 0 :: v_dual_add_nc_u32 v21, v31, v9
	s_mov_b32 s21, 64
	s_branch .LBB154_35
.LBB154_34:                             ;   in Loop: Header=BB154_35 Depth=1
	s_wait_alu 0xfffe
	s_and_not1_b32 vcc_lo, exec_lo, s24
	s_wait_alu 0xfffe
	s_cbranch_vccz .LBB154_48
.LBB154_35:                             ; =>This Inner Loop Header: Depth=1
	v_dual_mov_b32 v16, v4 :: v_dual_mov_b32 v15, v3
	v_dual_mov_b32 v19, v2 :: v_dual_mov_b32 v18, v1
	v_dual_mov_b32 v10, v8 :: v_dual_mov_b32 v9, v7
	v_dual_mov_b32 v12, v6 :: v_dual_mov_b32 v11, v5
	s_and_saveexec_b32 s24, s1
	s_cbranch_execz .LBB154_44
; %bb.36:                               ;   in Loop: Header=BB154_35 Depth=1
	ds_store_b32 v21, v22
	s_and_b32 exec_lo, exec_lo, s8
	s_cbranch_execz .LBB154_44
; %bb.37:                               ;   in Loop: Header=BB154_35 Depth=1
	ds_store_b32 v21, v22 offset:64
	s_and_b32 exec_lo, exec_lo, s9
	s_cbranch_execz .LBB154_44
; %bb.38:                               ;   in Loop: Header=BB154_35 Depth=1
	ds_store_b32 v21, v22 offset:128
	;; [unrolled: 4-line block ×6, first 2 shown]
	s_and_b32 exec_lo, exec_lo, s14
; %bb.43:                               ;   in Loop: Header=BB154_35 Depth=1
	ds_store_b32 v21, v22 offset:448
.LBB154_44:                             ;   in Loop: Header=BB154_35 Depth=1
	s_wait_alu 0xfffe
	s_or_b32 exec_lo, exec_lo, s24
	s_wait_kmcnt 0x0
	s_min_u32 s24, s19, s21
	v_lshrrev_b64 v[1:2], v13, v[18:19]
	s_wait_alu 0xfffe
	s_lshl_b32 s24, -1, s24
	s_wait_alu 0xfffe
	s_not_b32 s24, s24
	s_wait_alu 0xfffe
	v_and_b32_e32 v1, s24, v1
	s_delay_alu instid0(VALU_DEP_1) | instskip(SKIP_1) | instid1(VALU_DEP_2)
	v_lshlrev_b32_e32 v2, 4, v1
	v_lshrrev_b32_e32 v1, 2, v1
	v_and_or_b32 v2, 0x70, v2, v0
	s_delay_alu instid0(VALU_DEP_2) | instskip(NEXT) | instid1(VALU_DEP_1)
	v_and_b32_e32 v1, 0x1ffffffe, v1
	v_lshl_add_u32 v23, v2, 2, v1
	v_lshrrev_b64 v[1:2], v13, v[15:16]
	ds_load_u16 v24, v23
	v_and_b32_e32 v1, s24, v1
	s_delay_alu instid0(VALU_DEP_1) | instskip(SKIP_1) | instid1(VALU_DEP_2)
	v_lshlrev_b32_e32 v2, 4, v1
	v_lshrrev_b32_e32 v1, 2, v1
	v_and_or_b32 v2, 0x70, v2, v0
	s_delay_alu instid0(VALU_DEP_2) | instskip(NEXT) | instid1(VALU_DEP_1)
	v_and_b32_e32 v1, 0x1ffffffe, v1
	v_lshl_add_u32 v25, v2, 2, v1
	s_wait_dscnt 0x0
	v_add_nc_u16 v3, v24, 1
	ds_store_b16 v23, v3
	ds_load_u16 v26, v25
	s_wait_dscnt 0x0
	v_add_nc_u16 v1, v26, 1
	ds_store_b16 v25, v1
	; wave barrier
	s_wait_loadcnt_dscnt 0x0
	global_inv scope:SCOPE_SE
	ds_load_b128 v[5:8], v32
	ds_load_b128 v[1:4], v32 offset:16
	s_wait_dscnt 0x1
	v_add_nc_u32_e32 v27, v6, v5
	s_delay_alu instid0(VALU_DEP_1) | instskip(SKIP_1) | instid1(VALU_DEP_1)
	v_add3_u32 v27, v27, v7, v8
	s_wait_dscnt 0x0
	v_add3_u32 v27, v27, v1, v2
	s_delay_alu instid0(VALU_DEP_1) | instskip(NEXT) | instid1(VALU_DEP_1)
	v_add3_u32 v4, v27, v3, v4
	v_mov_b32_dpp v27, v4 row_shr:1 row_mask:0xf bank_mask:0xf
	s_delay_alu instid0(VALU_DEP_1) | instskip(NEXT) | instid1(VALU_DEP_1)
	v_cndmask_b32_e64 v27, v27, 0, s3
	v_add_nc_u32_e32 v4, v27, v4
	s_delay_alu instid0(VALU_DEP_1) | instskip(NEXT) | instid1(VALU_DEP_1)
	v_mov_b32_dpp v27, v4 row_shr:2 row_mask:0xf bank_mask:0xf
	v_cndmask_b32_e64 v27, 0, v27, s4
	s_delay_alu instid0(VALU_DEP_1) | instskip(NEXT) | instid1(VALU_DEP_1)
	v_add_nc_u32_e32 v4, v4, v27
	v_mov_b32_dpp v27, v4 row_shr:4 row_mask:0xf bank_mask:0xf
	s_delay_alu instid0(VALU_DEP_1) | instskip(NEXT) | instid1(VALU_DEP_1)
	v_cndmask_b32_e64 v27, 0, v27, s5
	v_add_nc_u32_e32 v4, v4, v27
	s_delay_alu instid0(VALU_DEP_1) | instskip(NEXT) | instid1(VALU_DEP_1)
	v_mov_b32_dpp v27, v4 row_shr:8 row_mask:0xf bank_mask:0xf
	v_cndmask_b32_e64 v27, 0, v27, s6
	s_delay_alu instid0(VALU_DEP_1)
	v_add_nc_u32_e32 v4, v4, v27
	s_and_saveexec_b32 s24, s7
; %bb.45:                               ;   in Loop: Header=BB154_35 Depth=1
	ds_store_b32 v22, v4 offset:512
; %bb.46:                               ;   in Loop: Header=BB154_35 Depth=1
	s_wait_alu 0xfffe
	s_or_b32 exec_lo, exec_lo, s24
	ds_bpermute_b32 v4, v33, v4
	; wave barrier
	s_wait_loadcnt_dscnt 0x0
	global_inv scope:SCOPE_SE
	ds_load_b32 v27, v22 offset:512
	v_cmp_lt_u32_e32 vcc_lo, 59, v13
	s_mov_b32 s24, -1
	s_and_b32 vcc_lo, exec_lo, vcc_lo
	v_cndmask_b32_e64 v4, v4, 0, s15
	s_wait_dscnt 0x0
	s_delay_alu instid0(VALU_DEP_1) | instskip(NEXT) | instid1(VALU_DEP_1)
	v_lshl_add_u32 v4, v27, 16, v4
	v_add_nc_u32_e32 v5, v4, v5
	s_delay_alu instid0(VALU_DEP_1) | instskip(NEXT) | instid1(VALU_DEP_1)
	v_add_nc_u32_e32 v6, v5, v6
	v_add_nc_u32_e32 v7, v6, v7
	s_delay_alu instid0(VALU_DEP_1) | instskip(NEXT) | instid1(VALU_DEP_1)
	v_add_nc_u32_e32 v34, v7, v8
	v_add_nc_u32_e32 v35, v34, v1
	s_delay_alu instid0(VALU_DEP_1) | instskip(NEXT) | instid1(VALU_DEP_1)
	v_add_nc_u32_e32 v36, v35, v2
	v_add_nc_u32_e32 v37, v36, v3
	v_and_b32_e32 v3, 0xffff, v24
	ds_store_b128 v32, v[4:7]
	ds_store_b128 v32, v[34:37] offset:16
	; wave barrier
	s_wait_loadcnt_dscnt 0x0
	global_inv scope:SCOPE_SE
	ds_load_u16 v1, v23
	ds_load_u16 v2, v25
	v_and_b32_e32 v4, 0xffff, v26
                                        ; implicit-def: $vgpr7_vgpr8
	s_wait_dscnt 0x1
	v_add_nc_u32_e32 v24, v1, v3
	s_wait_dscnt 0x0
	s_delay_alu instid0(VALU_DEP_2)
	v_add_nc_u32_e32 v23, v2, v4
                                        ; implicit-def: $vgpr3_vgpr4
	s_wait_alu 0xfffe
	s_cbranch_vccnz .LBB154_34
; %bb.47:                               ;   in Loop: Header=BB154_35 Depth=1
	v_lshlrev_b32_e32 v5, 3, v24
	s_delay_alu instid0(VALU_DEP_2)
	v_lshlrev_b32_e32 v6, 3, v23
	s_wait_loadcnt 0x0
	; wave barrier
	global_inv scope:SCOPE_SE
	v_add_co_u32 v13, vcc_lo, v13, 4
	ds_store_b64 v5, v[18:19]
	ds_store_b64 v6, v[15:16]
	; wave barrier
	s_wait_loadcnt_dscnt 0x0
	global_inv scope:SCOPE_SE
	ds_load_b128 v[1:4], v31
	; wave barrier
	s_wait_loadcnt_dscnt 0x0
	global_inv scope:SCOPE_SE
	ds_store_b64 v5, v[11:12]
	ds_store_b64 v6, v[9:10]
	; wave barrier
	s_wait_loadcnt_dscnt 0x0
	global_inv scope:SCOPE_SE
	ds_load_b128 v[5:8], v31
	s_wait_alu 0xfffd
	v_add_co_ci_u32_e64 v14, null, 0, v14, vcc_lo
	s_add_co_i32 s21, s21, -4
	s_mov_b32 s24, 0
	; wave barrier
	s_wait_loadcnt_dscnt 0x0
	global_inv scope:SCOPE_SE
	s_branch .LBB154_34
.LBB154_48:
	v_lshlrev_b32_e32 v4, 3, v24
	v_lshlrev_b32_e32 v5, 3, v23
	s_wait_loadcnt 0x0
	; wave barrier
	global_inv scope:SCOPE_SE
	ds_store_b64 v4, v[18:19]
	ds_store_b64 v5, v[15:16]
	; wave barrier
	s_wait_loadcnt_dscnt 0x0
	global_inv scope:SCOPE_SE
	ds_load_b128 v[0:3], v31
	; wave barrier
	s_wait_loadcnt_dscnt 0x0
	global_inv scope:SCOPE_SE
	ds_store_b64 v4, v[11:12]
	ds_store_b64 v5, v[9:10]
	; wave barrier
	s_wait_loadcnt_dscnt 0x0
	global_inv scope:SCOPE_SE
	ds_load_b128 v[9:12], v31
	v_xor_b32_e32 v14, 0x7fffffff, v1
	v_xor_b32_e32 v13, -1, v0
	v_xor_b32_e32 v16, 0x7fffffff, v3
	v_xor_b32_e32 v15, -1, v2
.LBB154_49:
	; wave barrier
	s_wait_loadcnt_dscnt 0x0
	global_inv scope:SCOPE_SE
	ds_store_2addr_b64 v30, v[13:14], v[15:16] offset1:1
	; wave barrier
	s_wait_loadcnt_dscnt 0x0
	global_inv scope:SCOPE_SE
	ds_load_b64 v[0:1], v29 offset:128
	v_mov_b32_e32 v21, 0
	s_delay_alu instid0(VALU_DEP_1) | instskip(NEXT) | instid1(VALU_DEP_1)
	v_lshlrev_b64_e32 v[2:3], 3, v[20:21]
	v_add_co_u32 v2, vcc_lo, s22, v2
	s_wait_alu 0xfffd
	s_delay_alu instid0(VALU_DEP_2)
	v_add_co_ci_u32_e64 v3, null, s23, v3, vcc_lo
	s_and_saveexec_b32 s1, s2
	s_cbranch_execz .LBB154_51
; %bb.50:
	ds_load_b64 v[4:5], v29
	s_wait_dscnt 0x0
	global_store_b64 v[2:3], v[4:5], off
.LBB154_51:
	s_or_b32 exec_lo, exec_lo, s1
	s_and_saveexec_b32 s1, s0
	s_cbranch_execz .LBB154_53
; %bb.52:
	s_lshl_b32 s4, s18, 4
	s_mov_b32 s5, 0
	s_wait_alu 0xfffe
	s_lshl_b64 s[4:5], s[4:5], 3
	s_wait_alu 0xfffe
	v_add_co_u32 v2, vcc_lo, v2, s4
	s_wait_alu 0xfffd
	v_add_co_ci_u32_e64 v3, null, s5, v3, vcc_lo
	s_wait_dscnt 0x0
	global_store_b64 v[2:3], v[0:1], off
.LBB154_53:
	s_or_b32 exec_lo, exec_lo, s1
	s_wait_storecnt 0x0
	; wave barrier
	s_wait_loadcnt_dscnt 0x0
	global_inv scope:SCOPE_SE
	ds_store_2addr_b64 v30, v[9:10], v[11:12] offset1:1
	; wave barrier
	s_wait_loadcnt_dscnt 0x0
	global_inv scope:SCOPE_SE
	ds_load_b64 v[0:1], v29 offset:128
	v_mov_b32_e32 v18, 0
	s_delay_alu instid0(VALU_DEP_1) | instskip(NEXT) | instid1(VALU_DEP_1)
	v_lshlrev_b64_e32 v[2:3], 3, v[17:18]
	v_add_co_u32 v2, vcc_lo, s16, v2
	s_wait_alu 0xfffd
	s_delay_alu instid0(VALU_DEP_2)
	v_add_co_ci_u32_e64 v3, null, s17, v3, vcc_lo
	s_and_saveexec_b32 s1, s2
	s_cbranch_execz .LBB154_55
; %bb.54:
	ds_load_b64 v[4:5], v29
	s_wait_dscnt 0x0
	global_store_b64 v[2:3], v[4:5], off
.LBB154_55:
	s_or_b32 exec_lo, exec_lo, s1
	s_and_saveexec_b32 s1, s0
	s_cbranch_execz .LBB154_57
; %bb.56:
	s_lshl_b32 s0, s20, 4
	s_mov_b32 s1, 0
	s_delay_alu instid0(SALU_CYCLE_1) | instskip(NEXT) | instid1(SALU_CYCLE_1)
	s_lshl_b64 s[0:1], s[0:1], 3
	v_add_co_u32 v2, vcc_lo, v2, s0
	s_wait_alu 0xfffd
	v_add_co_ci_u32_e64 v3, null, s1, v3, vcc_lo
	s_wait_dscnt 0x0
	global_store_b64 v[2:3], v[0:1], off
.LBB154_57:
	s_endpgm
	.section	.rodata,"a",@progbits
	.p2align	6, 0x0
	.amdhsa_kernel _ZN2at6native18radixSortKVInPlaceILin1ELin1ELi16ELi2ElljEEvNS_4cuda6detail10TensorInfoIT3_T5_EES6_S6_S6_NS4_IT4_S6_EES6_b
		.amdhsa_group_segment_fixed_size 528
		.amdhsa_private_segment_fixed_size 0
		.amdhsa_kernarg_size 712
		.amdhsa_user_sgpr_count 2
		.amdhsa_user_sgpr_dispatch_ptr 0
		.amdhsa_user_sgpr_queue_ptr 0
		.amdhsa_user_sgpr_kernarg_segment_ptr 1
		.amdhsa_user_sgpr_dispatch_id 0
		.amdhsa_user_sgpr_private_segment_size 0
		.amdhsa_wavefront_size32 1
		.amdhsa_uses_dynamic_stack 0
		.amdhsa_enable_private_segment 0
		.amdhsa_system_sgpr_workgroup_id_x 1
		.amdhsa_system_sgpr_workgroup_id_y 1
		.amdhsa_system_sgpr_workgroup_id_z 1
		.amdhsa_system_sgpr_workgroup_info 0
		.amdhsa_system_vgpr_workitem_id 0
		.amdhsa_next_free_vgpr 44
		.amdhsa_next_free_sgpr 25
		.amdhsa_reserve_vcc 1
		.amdhsa_float_round_mode_32 0
		.amdhsa_float_round_mode_16_64 0
		.amdhsa_float_denorm_mode_32 3
		.amdhsa_float_denorm_mode_16_64 3
		.amdhsa_fp16_overflow 0
		.amdhsa_workgroup_processor_mode 1
		.amdhsa_memory_ordered 1
		.amdhsa_forward_progress 1
		.amdhsa_inst_pref_size 33
		.amdhsa_round_robin_scheduling 0
		.amdhsa_exception_fp_ieee_invalid_op 0
		.amdhsa_exception_fp_denorm_src 0
		.amdhsa_exception_fp_ieee_div_zero 0
		.amdhsa_exception_fp_ieee_overflow 0
		.amdhsa_exception_fp_ieee_underflow 0
		.amdhsa_exception_fp_ieee_inexact 0
		.amdhsa_exception_int_div_zero 0
	.end_amdhsa_kernel
	.section	.text._ZN2at6native18radixSortKVInPlaceILin1ELin1ELi16ELi2ElljEEvNS_4cuda6detail10TensorInfoIT3_T5_EES6_S6_S6_NS4_IT4_S6_EES6_b,"axG",@progbits,_ZN2at6native18radixSortKVInPlaceILin1ELin1ELi16ELi2ElljEEvNS_4cuda6detail10TensorInfoIT3_T5_EES6_S6_S6_NS4_IT4_S6_EES6_b,comdat
.Lfunc_end154:
	.size	_ZN2at6native18radixSortKVInPlaceILin1ELin1ELi16ELi2ElljEEvNS_4cuda6detail10TensorInfoIT3_T5_EES6_S6_S6_NS4_IT4_S6_EES6_b, .Lfunc_end154-_ZN2at6native18radixSortKVInPlaceILin1ELin1ELi16ELi2ElljEEvNS_4cuda6detail10TensorInfoIT3_T5_EES6_S6_S6_NS4_IT4_S6_EES6_b
                                        ; -- End function
	.set _ZN2at6native18radixSortKVInPlaceILin1ELin1ELi16ELi2ElljEEvNS_4cuda6detail10TensorInfoIT3_T5_EES6_S6_S6_NS4_IT4_S6_EES6_b.num_vgpr, 44
	.set _ZN2at6native18radixSortKVInPlaceILin1ELin1ELi16ELi2ElljEEvNS_4cuda6detail10TensorInfoIT3_T5_EES6_S6_S6_NS4_IT4_S6_EES6_b.num_agpr, 0
	.set _ZN2at6native18radixSortKVInPlaceILin1ELin1ELi16ELi2ElljEEvNS_4cuda6detail10TensorInfoIT3_T5_EES6_S6_S6_NS4_IT4_S6_EES6_b.numbered_sgpr, 25
	.set _ZN2at6native18radixSortKVInPlaceILin1ELin1ELi16ELi2ElljEEvNS_4cuda6detail10TensorInfoIT3_T5_EES6_S6_S6_NS4_IT4_S6_EES6_b.num_named_barrier, 0
	.set _ZN2at6native18radixSortKVInPlaceILin1ELin1ELi16ELi2ElljEEvNS_4cuda6detail10TensorInfoIT3_T5_EES6_S6_S6_NS4_IT4_S6_EES6_b.private_seg_size, 0
	.set _ZN2at6native18radixSortKVInPlaceILin1ELin1ELi16ELi2ElljEEvNS_4cuda6detail10TensorInfoIT3_T5_EES6_S6_S6_NS4_IT4_S6_EES6_b.uses_vcc, 1
	.set _ZN2at6native18radixSortKVInPlaceILin1ELin1ELi16ELi2ElljEEvNS_4cuda6detail10TensorInfoIT3_T5_EES6_S6_S6_NS4_IT4_S6_EES6_b.uses_flat_scratch, 0
	.set _ZN2at6native18radixSortKVInPlaceILin1ELin1ELi16ELi2ElljEEvNS_4cuda6detail10TensorInfoIT3_T5_EES6_S6_S6_NS4_IT4_S6_EES6_b.has_dyn_sized_stack, 0
	.set _ZN2at6native18radixSortKVInPlaceILin1ELin1ELi16ELi2ElljEEvNS_4cuda6detail10TensorInfoIT3_T5_EES6_S6_S6_NS4_IT4_S6_EES6_b.has_recursion, 0
	.set _ZN2at6native18radixSortKVInPlaceILin1ELin1ELi16ELi2ElljEEvNS_4cuda6detail10TensorInfoIT3_T5_EES6_S6_S6_NS4_IT4_S6_EES6_b.has_indirect_call, 0
	.section	.AMDGPU.csdata,"",@progbits
; Kernel info:
; codeLenInByte = 4180
; TotalNumSgprs: 27
; NumVgprs: 44
; ScratchSize: 0
; MemoryBound: 0
; FloatMode: 240
; IeeeMode: 1
; LDSByteSize: 528 bytes/workgroup (compile time only)
; SGPRBlocks: 0
; VGPRBlocks: 5
; NumSGPRsForWavesPerEU: 27
; NumVGPRsForWavesPerEU: 44
; Occupancy: 16
; WaveLimiterHint : 1
; COMPUTE_PGM_RSRC2:SCRATCH_EN: 0
; COMPUTE_PGM_RSRC2:USER_SGPR: 2
; COMPUTE_PGM_RSRC2:TRAP_HANDLER: 0
; COMPUTE_PGM_RSRC2:TGID_X_EN: 1
; COMPUTE_PGM_RSRC2:TGID_Y_EN: 1
; COMPUTE_PGM_RSRC2:TGID_Z_EN: 1
; COMPUTE_PGM_RSRC2:TIDIG_COMP_CNT: 0
	.section	.text._ZN2at6native18radixSortKVInPlaceILin1ELin1ELi512ELi8EllmEEvNS_4cuda6detail10TensorInfoIT3_T5_EES6_S6_S6_NS4_IT4_S6_EES6_b,"axG",@progbits,_ZN2at6native18radixSortKVInPlaceILin1ELin1ELi512ELi8EllmEEvNS_4cuda6detail10TensorInfoIT3_T5_EES6_S6_S6_NS4_IT4_S6_EES6_b,comdat
	.protected	_ZN2at6native18radixSortKVInPlaceILin1ELin1ELi512ELi8EllmEEvNS_4cuda6detail10TensorInfoIT3_T5_EES6_S6_S6_NS4_IT4_S6_EES6_b ; -- Begin function _ZN2at6native18radixSortKVInPlaceILin1ELin1ELi512ELi8EllmEEvNS_4cuda6detail10TensorInfoIT3_T5_EES6_S6_S6_NS4_IT4_S6_EES6_b
	.globl	_ZN2at6native18radixSortKVInPlaceILin1ELin1ELi512ELi8EllmEEvNS_4cuda6detail10TensorInfoIT3_T5_EES6_S6_S6_NS4_IT4_S6_EES6_b
	.p2align	8
	.type	_ZN2at6native18radixSortKVInPlaceILin1ELin1ELi512ELi8EllmEEvNS_4cuda6detail10TensorInfoIT3_T5_EES6_S6_S6_NS4_IT4_S6_EES6_b,@function
_ZN2at6native18radixSortKVInPlaceILin1ELin1ELi512ELi8EllmEEvNS_4cuda6detail10TensorInfoIT3_T5_EES6_S6_S6_NS4_IT4_S6_EES6_b: ; @_ZN2at6native18radixSortKVInPlaceILin1ELin1ELi512ELi8EllmEEvNS_4cuda6detail10TensorInfoIT3_T5_EES6_S6_S6_NS4_IT4_S6_EES6_b
; %bb.0:
	s_clause 0x1
	s_load_b64 s[2:3], s[0:1], 0x368
	s_load_b128 s[20:23], s[0:1], 0x1a0
	s_lshr_b32 s4, ttmp7, 16
	s_and_b32 s5, ttmp7, 0xffff
	s_wait_kmcnt 0x0
	s_mul_i32 s3, s3, s4
	s_delay_alu instid0(SALU_CYCLE_1) | instskip(SKIP_2) | instid1(SALU_CYCLE_1)
	s_add_co_i32 s3, s3, s5
	s_mov_b32 s5, 0
	s_mul_i32 s2, s3, s2
	s_add_co_i32 s4, s2, ttmp9
	s_delay_alu instid0(SALU_CYCLE_1)
	v_cmp_le_u64_e64 s2, s[20:21], s[4:5]
	s_and_b32 vcc_lo, exec_lo, s2
	s_cbranch_vccnz .LBB155_124
; %bb.1:
	s_clause 0x1
	s_load_b32 s9, s[0:1], 0x198
	s_load_b64 s[24:25], s[0:1], 0x1b0
	s_mov_b64 s[2:3], 0
	s_mov_b64 s[6:7], s[4:5]
	s_wait_kmcnt 0x0
	s_cmp_lt_i32 s9, 2
	s_cbranch_scc1 .LBB155_9
; %bb.2:
	s_mov_b32 s8, 0
	s_add_co_i32 s2, s9, -1
	s_mov_b32 s3, s8
	s_add_co_i32 s16, s9, 1
	s_lshl_b64 s[2:3], s[2:3], 3
	s_mov_b64 s[12:13], s[4:5]
	s_add_nc_u64 s[6:7], s[0:1], s[2:3]
	s_mov_b64 s[2:3], 0
	s_add_nc_u64 s[10:11], s[6:7], 8
.LBB155_3:                              ; =>This Inner Loop Header: Depth=1
	s_load_b64 s[14:15], s[10:11], 0x0
	s_wait_kmcnt 0x0
	s_or_b64 s[6:7], s[12:13], s[14:15]
	s_wait_alu 0xfffe
	s_mov_b32 s9, s7
                                        ; implicit-def: $sgpr6_sgpr7
	s_delay_alu instid0(SALU_CYCLE_1)
	s_cmp_lg_u64 s[8:9], 0
	s_mov_b32 s9, -1
	s_cbranch_scc0 .LBB155_5
; %bb.4:                                ;   in Loop: Header=BB155_3 Depth=1
	s_cvt_f32_u32 s6, s14
	s_cvt_f32_u32 s7, s15
	s_sub_nc_u64 s[18:19], 0, s[14:15]
	s_mov_b32 s21, s8
	s_mov_b32 s29, s8
	s_wait_alu 0xfffe
	s_fmamk_f32 s6, s7, 0x4f800000, s6
	s_wait_alu 0xfffe
	s_delay_alu instid0(SALU_CYCLE_2) | instskip(NEXT) | instid1(TRANS32_DEP_1)
	v_s_rcp_f32 s6, s6
	s_mul_f32 s6, s6, 0x5f7ffffc
	s_wait_alu 0xfffe
	s_delay_alu instid0(SALU_CYCLE_2) | instskip(SKIP_1) | instid1(SALU_CYCLE_2)
	s_mul_f32 s7, s6, 0x2f800000
	s_wait_alu 0xfffe
	s_trunc_f32 s7, s7
	s_wait_alu 0xfffe
	s_delay_alu instid0(SALU_CYCLE_2) | instskip(SKIP_2) | instid1(SALU_CYCLE_1)
	s_fmamk_f32 s6, s7, 0xcf800000, s6
	s_cvt_u32_f32 s7, s7
	s_wait_alu 0xfffe
	s_cvt_u32_f32 s6, s6
	s_wait_alu 0xfffe
	s_delay_alu instid0(SALU_CYCLE_2) | instskip(NEXT) | instid1(SALU_CYCLE_1)
	s_mul_u64 s[26:27], s[18:19], s[6:7]
	s_mul_hi_u32 s31, s6, s27
	s_mul_i32 s30, s6, s27
	s_mul_hi_u32 s20, s6, s26
	s_mul_i32 s17, s7, s26
	s_wait_alu 0xfffe
	s_add_nc_u64 s[20:21], s[20:21], s[30:31]
	s_mul_hi_u32 s9, s7, s26
	s_mul_hi_u32 s23, s7, s27
	s_wait_alu 0xfffe
	s_add_co_u32 s17, s20, s17
	s_add_co_ci_u32 s28, s21, s9
	s_mul_i32 s26, s7, s27
	s_add_co_ci_u32 s27, s23, 0
	s_delay_alu instid0(SALU_CYCLE_1) | instskip(SKIP_4) | instid1(SALU_CYCLE_1)
	s_add_nc_u64 s[20:21], s[28:29], s[26:27]
	s_mov_b32 s27, s8
	s_wait_alu 0xfffe
	s_add_co_u32 s6, s6, s20
	s_cselect_b32 s9, -1, 0
	s_cmp_lg_u32 s9, 0
	s_add_co_ci_u32 s7, s7, s21
	s_mov_b32 s21, s8
	s_wait_alu 0xfffe
	s_mul_u64 s[18:19], s[18:19], s[6:7]
	s_delay_alu instid0(SALU_CYCLE_1)
	s_mul_hi_u32 s29, s6, s19
	s_mul_i32 s28, s6, s19
	s_mul_hi_u32 s20, s6, s18
	s_mul_i32 s17, s7, s18
	s_wait_alu 0xfffe
	s_add_nc_u64 s[20:21], s[20:21], s[28:29]
	s_mul_hi_u32 s9, s7, s18
	s_mul_hi_u32 s23, s7, s19
	s_wait_alu 0xfffe
	s_add_co_u32 s17, s20, s17
	s_add_co_ci_u32 s26, s21, s9
	s_mul_i32 s18, s7, s19
	s_add_co_ci_u32 s19, s23, 0
	s_mov_b32 s21, s8
	s_add_nc_u64 s[18:19], s[26:27], s[18:19]
	s_delay_alu instid0(SALU_CYCLE_1)
	s_add_co_u32 s6, s6, s18
	s_cselect_b32 s9, -1, 0
	s_wait_alu 0xfffe
	s_mul_hi_u32 s20, s12, s6
	s_cmp_lg_u32 s9, 0
	s_mul_hi_u32 s9, s13, s6
	s_add_co_ci_u32 s17, s7, s19
	s_mul_i32 s19, s13, s6
	s_mul_hi_u32 s7, s12, s17
	s_mul_i32 s6, s12, s17
	s_mul_hi_u32 s23, s13, s17
	s_wait_alu 0xfffe
	s_add_nc_u64 s[6:7], s[20:21], s[6:7]
	s_mul_i32 s18, s13, s17
	s_wait_alu 0xfffe
	s_add_co_u32 s6, s6, s19
	s_add_co_ci_u32 s26, s7, s9
	s_add_co_ci_u32 s19, s23, 0
	s_delay_alu instid0(SALU_CYCLE_1) | instskip(SKIP_2) | instid1(SALU_CYCLE_1)
	s_add_nc_u64 s[6:7], s[26:27], s[18:19]
	s_wait_alu 0xfffe
	s_mul_u64 s[18:19], s[14:15], s[6:7]
	s_sub_co_u32 s9, s12, s18
	s_cselect_b32 s17, -1, 0
	s_sub_co_i32 s18, s13, s19
	s_cmp_lg_u32 s17, 0
	s_sub_co_ci_u32 s18, s18, s15
	s_sub_co_u32 s20, s9, s14
	s_cselect_b32 s21, -1, 0
	s_wait_alu 0xfffe
	s_cmp_lg_u32 s21, 0
	s_sub_co_ci_u32 s18, s18, 0
	s_delay_alu instid0(SALU_CYCLE_1)
	s_cmp_ge_u32 s18, s15
	s_cselect_b32 s23, -1, 0
	s_cmp_ge_u32 s20, s14
	s_add_nc_u64 s[20:21], s[6:7], 1
	s_cselect_b32 s26, -1, 0
	s_cmp_eq_u32 s18, s15
	s_cselect_b32 s18, s26, s23
	s_add_nc_u64 s[26:27], s[6:7], 2
	s_cmp_lg_u32 s18, 0
	s_wait_alu 0xfffe
	s_cselect_b32 s18, s26, s20
	s_cselect_b32 s20, s27, s21
	s_cmp_lg_u32 s17, 0
	s_sub_co_ci_u32 s17, s13, s19
	s_delay_alu instid0(SALU_CYCLE_1)
	s_cmp_ge_u32 s17, s15
	s_cselect_b32 s19, -1, 0
	s_cmp_ge_u32 s9, s14
	s_cselect_b32 s9, -1, 0
	s_cmp_eq_u32 s17, s15
	s_cselect_b32 s9, s9, s19
	s_delay_alu instid0(SALU_CYCLE_1)
	s_cmp_lg_u32 s9, 0
	s_mov_b32 s9, 0
	s_wait_alu 0xfffe
	s_cselect_b32 s7, s20, s7
	s_cselect_b32 s6, s18, s6
.LBB155_5:                              ;   in Loop: Header=BB155_3 Depth=1
	s_and_not1_b32 vcc_lo, exec_lo, s9
	s_cbranch_vccnz .LBB155_7
; %bb.6:                                ;   in Loop: Header=BB155_3 Depth=1
	v_cvt_f32_u32_e32 v1, s14
	s_sub_co_i32 s7, 0, s14
	s_delay_alu instid0(VALU_DEP_1) | instskip(NEXT) | instid1(TRANS32_DEP_1)
	v_rcp_iflag_f32_e32 v1, v1
	v_mul_f32_e32 v1, 0x4f7ffffe, v1
	s_delay_alu instid0(VALU_DEP_1) | instskip(NEXT) | instid1(VALU_DEP_1)
	v_cvt_u32_f32_e32 v1, v1
	v_readfirstlane_b32 s6, v1
	s_wait_alu 0xfffe
	s_mul_i32 s7, s7, s6
	s_wait_alu 0xfffe
	s_mul_hi_u32 s7, s6, s7
	s_wait_alu 0xfffe
	s_add_co_i32 s6, s6, s7
	s_wait_alu 0xfffe
	s_mul_hi_u32 s6, s12, s6
	s_wait_alu 0xfffe
	s_mul_i32 s7, s6, s14
	s_add_co_i32 s9, s6, 1
	s_wait_alu 0xfffe
	s_sub_co_i32 s7, s12, s7
	s_wait_alu 0xfffe
	s_sub_co_i32 s17, s7, s14
	s_cmp_ge_u32 s7, s14
	s_cselect_b32 s6, s9, s6
	s_cselect_b32 s7, s17, s7
	s_wait_alu 0xfffe
	s_add_co_i32 s9, s6, 1
	s_cmp_ge_u32 s7, s14
	s_mov_b32 s7, s8
	s_cselect_b32 s6, s9, s6
.LBB155_7:                              ;   in Loop: Header=BB155_3 Depth=1
	s_load_b64 s[18:19], s[10:11], 0xc8
	s_mul_u64 s[14:15], s[6:7], s[14:15]
	s_add_co_i32 s16, s16, -1
	s_wait_alu 0xfffe
	s_sub_nc_u64 s[12:13], s[12:13], s[14:15]
	s_cmp_gt_u32 s16, 2
	s_add_nc_u64 s[10:11], s[10:11], -8
	s_wait_kmcnt 0x0
	s_mul_u64 s[12:13], s[18:19], s[12:13]
	s_delay_alu instid0(SALU_CYCLE_1)
	s_add_nc_u64 s[2:3], s[12:13], s[2:3]
	s_cbranch_scc0 .LBB155_9
; %bb.8:                                ;   in Loop: Header=BB155_3 Depth=1
	s_mov_b64 s[12:13], s[6:7]
	s_branch .LBB155_3
.LBB155_9:
	s_load_b32 s9, s[0:1], 0x350
	s_add_nc_u64 s[34:35], s[0:1], 0x368
	s_mov_b64 s[20:21], 0
	s_wait_kmcnt 0x0
	s_cmp_lt_i32 s9, 2
	s_cbranch_scc1 .LBB155_17
; %bb.10:
	s_mov_b32 s8, 0
	s_add_co_i32 s10, s9, -1
	s_mov_b32 s11, s8
	s_add_co_i32 s14, s9, 1
	s_lshl_b64 s[10:11], s[10:11], 3
	s_delay_alu instid0(SALU_CYCLE_1) | instskip(NEXT) | instid1(SALU_CYCLE_1)
	s_add_nc_u64 s[10:11], s[0:1], s[10:11]
	s_add_nc_u64 s[10:11], s[10:11], 0x1c0
.LBB155_11:                             ; =>This Inner Loop Header: Depth=1
	s_load_b64 s[12:13], s[10:11], 0x0
                                        ; implicit-def: $sgpr26_sgpr27
	s_wait_kmcnt 0x0
	s_or_b64 s[16:17], s[4:5], s[12:13]
	s_delay_alu instid0(SALU_CYCLE_1)
	s_mov_b32 s9, s17
	s_wait_alu 0xfffe
	s_cmp_lg_u64 s[8:9], 0
	s_mov_b32 s9, -1
	s_cbranch_scc0 .LBB155_13
; %bb.12:                               ;   in Loop: Header=BB155_11 Depth=1
	s_cvt_f32_u32 s9, s12
	s_cvt_f32_u32 s15, s13
	s_sub_nc_u64 s[18:19], 0, s[12:13]
	s_mov_b32 s27, s8
	s_mov_b32 s31, s8
	s_wait_alu 0xfffe
	s_fmamk_f32 s9, s15, 0x4f800000, s9
	s_wait_alu 0xfffe
	s_delay_alu instid0(SALU_CYCLE_2) | instskip(NEXT) | instid1(TRANS32_DEP_1)
	v_s_rcp_f32 s9, s9
	s_mul_f32 s9, s9, 0x5f7ffffc
	s_wait_alu 0xfffe
	s_delay_alu instid0(SALU_CYCLE_2) | instskip(SKIP_1) | instid1(SALU_CYCLE_2)
	s_mul_f32 s15, s9, 0x2f800000
	s_wait_alu 0xfffe
	s_trunc_f32 s15, s15
	s_wait_alu 0xfffe
	s_delay_alu instid0(SALU_CYCLE_2) | instskip(SKIP_2) | instid1(SALU_CYCLE_1)
	s_fmamk_f32 s9, s15, 0xcf800000, s9
	s_cvt_u32_f32 s17, s15
	s_wait_alu 0xfffe
	s_cvt_u32_f32 s16, s9
	s_delay_alu instid0(SALU_CYCLE_3) | instskip(NEXT) | instid1(SALU_CYCLE_1)
	s_mul_u64 s[28:29], s[18:19], s[16:17]
	s_mul_hi_u32 s37, s16, s29
	s_mul_i32 s36, s16, s29
	s_mul_hi_u32 s26, s16, s28
	s_mul_i32 s15, s17, s28
	s_add_nc_u64 s[26:27], s[26:27], s[36:37]
	s_mul_hi_u32 s9, s17, s28
	s_mul_hi_u32 s23, s17, s29
	s_wait_alu 0xfffe
	s_add_co_u32 s15, s26, s15
	s_add_co_ci_u32 s30, s27, s9
	s_mul_i32 s28, s17, s29
	s_add_co_ci_u32 s29, s23, 0
	s_delay_alu instid0(SALU_CYCLE_1)
	s_add_nc_u64 s[26:27], s[30:31], s[28:29]
	s_mov_b32 s29, s8
	s_add_co_u32 s16, s16, s26
	s_cselect_b32 s9, -1, 0
	s_wait_alu 0xfffe
	s_cmp_lg_u32 s9, 0
	s_add_co_ci_u32 s17, s17, s27
	s_mov_b32 s27, s8
	s_mul_u64 s[18:19], s[18:19], s[16:17]
	s_delay_alu instid0(SALU_CYCLE_1)
	s_mul_hi_u32 s31, s16, s19
	s_mul_i32 s30, s16, s19
	s_mul_hi_u32 s26, s16, s18
	s_mul_i32 s15, s17, s18
	s_add_nc_u64 s[26:27], s[26:27], s[30:31]
	s_mul_hi_u32 s9, s17, s18
	s_mul_hi_u32 s23, s17, s19
	s_wait_alu 0xfffe
	s_add_co_u32 s15, s26, s15
	s_add_co_ci_u32 s28, s27, s9
	s_mul_i32 s18, s17, s19
	s_add_co_ci_u32 s19, s23, 0
	s_mov_b32 s27, s8
	s_add_nc_u64 s[18:19], s[28:29], s[18:19]
	s_delay_alu instid0(SALU_CYCLE_1)
	s_add_co_u32 s9, s16, s18
	s_cselect_b32 s15, -1, 0
	s_wait_alu 0xfffe
	s_mul_hi_u32 s26, s4, s9
	s_cmp_lg_u32 s15, 0
	s_mul_hi_u32 s15, s5, s9
	s_add_co_ci_u32 s18, s17, s19
	s_mul_i32 s9, s5, s9
	s_mul_hi_u32 s17, s4, s18
	s_mul_i32 s16, s4, s18
	s_mul_hi_u32 s19, s5, s18
	s_add_nc_u64 s[16:17], s[26:27], s[16:17]
	s_mul_i32 s18, s5, s18
	s_wait_alu 0xfffe
	s_add_co_u32 s9, s16, s9
	s_add_co_ci_u32 s28, s17, s15
	s_add_co_ci_u32 s19, s19, 0
	s_delay_alu instid0(SALU_CYCLE_1) | instskip(NEXT) | instid1(SALU_CYCLE_1)
	s_add_nc_u64 s[16:17], s[28:29], s[18:19]
	s_mul_u64 s[18:19], s[12:13], s[16:17]
	s_delay_alu instid0(SALU_CYCLE_1)
	s_sub_co_u32 s9, s4, s18
	s_cselect_b32 s15, -1, 0
	s_sub_co_i32 s18, s5, s19
	s_wait_alu 0xfffe
	s_cmp_lg_u32 s15, 0
	s_sub_co_ci_u32 s18, s18, s13
	s_sub_co_u32 s23, s9, s12
	s_cselect_b32 s26, -1, 0
	s_delay_alu instid0(SALU_CYCLE_1) | instskip(SKIP_2) | instid1(SALU_CYCLE_1)
	s_cmp_lg_u32 s26, 0
	s_add_nc_u64 s[26:27], s[16:17], 1
	s_sub_co_ci_u32 s18, s18, 0
	s_cmp_ge_u32 s18, s13
	s_cselect_b32 s28, -1, 0
	s_cmp_ge_u32 s23, s12
	s_cselect_b32 s23, -1, 0
	s_cmp_eq_u32 s18, s13
	s_cselect_b32 s18, s23, s28
	s_add_nc_u64 s[28:29], s[16:17], 2
	s_cmp_lg_u32 s18, 0
	s_cselect_b32 s18, s28, s26
	s_cselect_b32 s23, s29, s27
	s_cmp_lg_u32 s15, 0
	s_sub_co_ci_u32 s15, s5, s19
	s_wait_alu 0xfffe
	s_cmp_ge_u32 s15, s13
	s_cselect_b32 s19, -1, 0
	s_cmp_ge_u32 s9, s12
	s_cselect_b32 s9, -1, 0
	s_cmp_eq_u32 s15, s13
	s_wait_alu 0xfffe
	s_cselect_b32 s9, s9, s19
	s_wait_alu 0xfffe
	s_cmp_lg_u32 s9, 0
	s_mov_b32 s9, 0
	s_cselect_b32 s27, s23, s17
	s_cselect_b32 s26, s18, s16
.LBB155_13:                             ;   in Loop: Header=BB155_11 Depth=1
	s_wait_alu 0xfffe
	s_and_not1_b32 vcc_lo, exec_lo, s9
	s_cbranch_vccnz .LBB155_15
; %bb.14:                               ;   in Loop: Header=BB155_11 Depth=1
	v_cvt_f32_u32_e32 v1, s12
	s_sub_co_i32 s15, 0, s12
	s_mov_b32 s27, s8
	s_delay_alu instid0(VALU_DEP_1) | instskip(NEXT) | instid1(TRANS32_DEP_1)
	v_rcp_iflag_f32_e32 v1, v1
	v_mul_f32_e32 v1, 0x4f7ffffe, v1
	s_delay_alu instid0(VALU_DEP_1) | instskip(NEXT) | instid1(VALU_DEP_1)
	v_cvt_u32_f32_e32 v1, v1
	v_readfirstlane_b32 s9, v1
	s_wait_alu 0xfffe
	s_mul_i32 s15, s15, s9
	s_wait_alu 0xfffe
	s_mul_hi_u32 s15, s9, s15
	s_wait_alu 0xfffe
	s_add_co_i32 s9, s9, s15
	s_wait_alu 0xfffe
	s_mul_hi_u32 s9, s4, s9
	s_wait_alu 0xfffe
	s_mul_i32 s15, s9, s12
	s_add_co_i32 s16, s9, 1
	s_wait_alu 0xfffe
	s_sub_co_i32 s15, s4, s15
	s_wait_alu 0xfffe
	s_sub_co_i32 s17, s15, s12
	s_cmp_ge_u32 s15, s12
	s_cselect_b32 s9, s16, s9
	s_cselect_b32 s15, s17, s15
	s_wait_alu 0xfffe
	s_add_co_i32 s16, s9, 1
	s_cmp_ge_u32 s15, s12
	s_cselect_b32 s26, s16, s9
.LBB155_15:                             ;   in Loop: Header=BB155_11 Depth=1
	s_load_b64 s[16:17], s[10:11], 0xc8
	s_mul_u64 s[12:13], s[26:27], s[12:13]
	s_add_co_i32 s14, s14, -1
	s_wait_alu 0xfffe
	s_sub_nc_u64 s[4:5], s[4:5], s[12:13]
	s_cmp_gt_u32 s14, 2
	s_add_nc_u64 s[10:11], s[10:11], -8
	s_wait_kmcnt 0x0
	s_wait_alu 0xfffe
	s_mul_u64 s[4:5], s[16:17], s[4:5]
	s_wait_alu 0xfffe
	s_add_nc_u64 s[20:21], s[4:5], s[20:21]
	s_cbranch_scc0 .LBB155_18
; %bb.16:                               ;   in Loop: Header=BB155_11 Depth=1
	s_mov_b64 s[4:5], s[26:27]
	s_branch .LBB155_11
.LBB155_17:
	s_mov_b64 s[26:27], s[4:5]
.LBB155_18:
	s_clause 0x2
	s_load_b64 s[4:5], s[0:1], 0xd0
	s_load_b32 s8, s[0:1], 0x360
	s_load_b64 s[28:29], s[0:1], 0x0
	s_wait_kmcnt 0x0
	s_mul_u64 s[4:5], s[4:5], s[6:7]
	s_bitcmp1_b32 s8, 0
	s_brev_b32 s6, 1
	s_cselect_b32 s23, -1, 0
	s_wait_alu 0xfffe
	s_lshl_b64 s[30:31], s[4:5], 3
	s_lshl_b64 s[36:37], s[2:3], 3
	s_and_b32 s2, s23, exec_lo
	s_cselect_b32 s4, 0, -1
	s_cselect_b32 s5, s6, 0x7fffffff
	s_wait_alu 0xfffe
	s_mov_b32 s6, s4
	s_mov_b32 s7, s5
	;; [unrolled: 1-line block ×14, first 2 shown]
	v_and_b32_e32 v69, 0x3ff, v0
	s_wait_alu 0xfffe
	v_dual_mov_b32 v1, s4 :: v_dual_mov_b32 v4, s7
	v_dual_mov_b32 v15, s18 :: v_dual_mov_b32 v18, s5
	v_mov_b32_e32 v2, s5
	v_cmp_gt_u32_e64 s2, s22, v69
	v_dual_mov_b32 v3, s6 :: v_dual_mov_b32 v6, s9
	v_dual_mov_b32 v5, s8 :: v_dual_mov_b32 v8, s11
	;; [unrolled: 1-line block ×6, first 2 shown]
	v_mov_b32_e32 v17, s4
	s_add_nc_u64 s[28:29], s[28:29], s[30:31]
	s_delay_alu instid0(SALU_CYCLE_1)
	s_add_nc_u64 s[28:29], s[28:29], s[36:37]
	s_and_saveexec_b32 s3, s2
	s_cbranch_execz .LBB155_20
; %bb.19:
	v_mad_co_u64_u32 v[1:2], null, s24, v69, 0
	s_delay_alu instid0(VALU_DEP_1) | instskip(NEXT) | instid1(VALU_DEP_1)
	v_mad_co_u64_u32 v[2:3], null, s25, v69, v[2:3]
	v_lshlrev_b64_e32 v[1:2], 3, v[1:2]
	s_delay_alu instid0(VALU_DEP_1) | instskip(NEXT) | instid1(VALU_DEP_1)
	v_add_co_u32 v1, vcc_lo, s28, v1
	v_add_co_ci_u32_e64 v2, null, s29, v2, vcc_lo
	global_load_b64 v[17:18], v[1:2], off
	v_dual_mov_b32 v1, s4 :: v_dual_mov_b32 v2, s5
	v_dual_mov_b32 v3, s6 :: v_dual_mov_b32 v4, s7
	;; [unrolled: 1-line block ×8, first 2 shown]
.LBB155_20:
	s_or_b32 exec_lo, exec_lo, s3
	v_add_nc_u32_e32 v34, 0x200, v69
	s_delay_alu instid0(VALU_DEP_1)
	v_cmp_gt_u32_e64 s3, s22, v34
	s_and_saveexec_b32 s4, s3
	s_cbranch_execz .LBB155_22
; %bb.21:
	v_mad_co_u64_u32 v[1:2], null, s24, v34, 0
	s_delay_alu instid0(VALU_DEP_1) | instskip(NEXT) | instid1(VALU_DEP_1)
	v_mad_co_u64_u32 v[2:3], null, s25, v34, v[2:3]
	v_lshlrev_b64_e32 v[1:2], 3, v[1:2]
	s_delay_alu instid0(VALU_DEP_1) | instskip(SKIP_1) | instid1(VALU_DEP_2)
	v_add_co_u32 v1, vcc_lo, s28, v1
	s_wait_alu 0xfffd
	v_add_co_ci_u32_e64 v2, null, s29, v2, vcc_lo
	global_load_b64 v[3:4], v[1:2], off
.LBB155_22:
	s_wait_alu 0xfffe
	s_or_b32 exec_lo, exec_lo, s4
	v_or_b32_e32 v35, 0x400, v69
	s_delay_alu instid0(VALU_DEP_1)
	v_cmp_gt_u32_e64 s4, s22, v35
	s_and_saveexec_b32 s5, s4
	s_cbranch_execz .LBB155_24
; %bb.23:
	v_mad_co_u64_u32 v[1:2], null, s24, v35, 0
	s_wait_loadcnt 0x0
	s_delay_alu instid0(VALU_DEP_1) | instskip(NEXT) | instid1(VALU_DEP_1)
	v_mad_co_u64_u32 v[5:6], null, s25, v35, v[2:3]
	v_mov_b32_e32 v2, v5
	s_delay_alu instid0(VALU_DEP_1) | instskip(NEXT) | instid1(VALU_DEP_1)
	v_lshlrev_b64_e32 v[1:2], 3, v[1:2]
	v_add_co_u32 v1, vcc_lo, s28, v1
	s_wait_alu 0xfffd
	s_delay_alu instid0(VALU_DEP_2)
	v_add_co_ci_u32_e64 v2, null, s29, v2, vcc_lo
	global_load_b64 v[5:6], v[1:2], off
.LBB155_24:
	s_wait_alu 0xfffe
	s_or_b32 exec_lo, exec_lo, s5
	v_add_nc_u32_e32 v36, 0x600, v69
	s_delay_alu instid0(VALU_DEP_1)
	v_cmp_gt_u32_e64 s5, s22, v36
	s_and_saveexec_b32 s6, s5
	s_cbranch_execz .LBB155_26
; %bb.25:
	v_mad_co_u64_u32 v[1:2], null, s24, v36, 0
	s_wait_loadcnt 0x0
	s_delay_alu instid0(VALU_DEP_1) | instskip(NEXT) | instid1(VALU_DEP_1)
	v_mad_co_u64_u32 v[7:8], null, s25, v36, v[2:3]
	v_mov_b32_e32 v2, v7
	s_delay_alu instid0(VALU_DEP_1) | instskip(NEXT) | instid1(VALU_DEP_1)
	v_lshlrev_b64_e32 v[1:2], 3, v[1:2]
	v_add_co_u32 v1, vcc_lo, s28, v1
	s_wait_alu 0xfffd
	s_delay_alu instid0(VALU_DEP_2)
	v_add_co_ci_u32_e64 v2, null, s29, v2, vcc_lo
	global_load_b64 v[7:8], v[1:2], off
.LBB155_26:
	s_wait_alu 0xfffe
	s_or_b32 exec_lo, exec_lo, s6
	v_or_b32_e32 v37, 0x800, v69
	s_delay_alu instid0(VALU_DEP_1)
	v_cmp_gt_u32_e64 s6, s22, v37
	s_and_saveexec_b32 s7, s6
	s_cbranch_execz .LBB155_28
; %bb.27:
	v_mad_co_u64_u32 v[1:2], null, s24, v37, 0
	s_wait_loadcnt 0x0
	s_delay_alu instid0(VALU_DEP_1) | instskip(NEXT) | instid1(VALU_DEP_1)
	v_mad_co_u64_u32 v[9:10], null, s25, v37, v[2:3]
	v_mov_b32_e32 v2, v9
	s_delay_alu instid0(VALU_DEP_1) | instskip(NEXT) | instid1(VALU_DEP_1)
	v_lshlrev_b64_e32 v[1:2], 3, v[1:2]
	v_add_co_u32 v1, vcc_lo, s28, v1
	s_wait_alu 0xfffd
	s_delay_alu instid0(VALU_DEP_2)
	v_add_co_ci_u32_e64 v2, null, s29, v2, vcc_lo
	global_load_b64 v[9:10], v[1:2], off
.LBB155_28:
	s_wait_alu 0xfffe
	s_or_b32 exec_lo, exec_lo, s7
	v_add_nc_u32_e32 v38, 0xa00, v69
	s_delay_alu instid0(VALU_DEP_1)
	v_cmp_gt_u32_e64 s7, s22, v38
	s_and_saveexec_b32 s8, s7
	s_cbranch_execz .LBB155_30
; %bb.29:
	v_mad_co_u64_u32 v[1:2], null, s24, v38, 0
	s_wait_loadcnt 0x0
	s_delay_alu instid0(VALU_DEP_1) | instskip(NEXT) | instid1(VALU_DEP_1)
	v_mad_co_u64_u32 v[11:12], null, s25, v38, v[2:3]
	v_mov_b32_e32 v2, v11
	s_delay_alu instid0(VALU_DEP_1) | instskip(NEXT) | instid1(VALU_DEP_1)
	v_lshlrev_b64_e32 v[1:2], 3, v[1:2]
	v_add_co_u32 v1, vcc_lo, s28, v1
	s_wait_alu 0xfffd
	s_delay_alu instid0(VALU_DEP_2)
	v_add_co_ci_u32_e64 v2, null, s29, v2, vcc_lo
	global_load_b64 v[11:12], v[1:2], off
.LBB155_30:
	s_wait_alu 0xfffe
	s_or_b32 exec_lo, exec_lo, s8
	v_or_b32_e32 v39, 0xc00, v69
	s_delay_alu instid0(VALU_DEP_1)
	v_cmp_gt_u32_e64 s8, s22, v39
	s_and_saveexec_b32 s9, s8
	s_cbranch_execz .LBB155_32
; %bb.31:
	v_mad_co_u64_u32 v[1:2], null, s24, v39, 0
	s_wait_loadcnt 0x0
	s_delay_alu instid0(VALU_DEP_1) | instskip(NEXT) | instid1(VALU_DEP_1)
	v_mad_co_u64_u32 v[13:14], null, s25, v39, v[2:3]
	v_mov_b32_e32 v2, v13
	s_delay_alu instid0(VALU_DEP_1) | instskip(NEXT) | instid1(VALU_DEP_1)
	v_lshlrev_b64_e32 v[1:2], 3, v[1:2]
	v_add_co_u32 v1, vcc_lo, s28, v1
	s_wait_alu 0xfffd
	s_delay_alu instid0(VALU_DEP_2)
	v_add_co_ci_u32_e64 v2, null, s29, v2, vcc_lo
	global_load_b64 v[13:14], v[1:2], off
.LBB155_32:
	s_wait_alu 0xfffe
	s_or_b32 exec_lo, exec_lo, s9
	s_clause 0x1
	s_load_b64 s[12:13], s[0:1], 0x288
	s_load_b64 s[10:11], s[0:1], 0x1b8
	v_add_nc_u32_e32 v40, 0xe00, v69
	s_delay_alu instid0(VALU_DEP_1)
	v_cmp_gt_u32_e64 s9, s22, v40
	s_and_saveexec_b32 s14, s9
	s_cbranch_execz .LBB155_34
; %bb.33:
	v_mad_co_u64_u32 v[1:2], null, s24, v40, 0
	s_wait_loadcnt 0x0
	s_delay_alu instid0(VALU_DEP_1) | instskip(NEXT) | instid1(VALU_DEP_1)
	v_mad_co_u64_u32 v[15:16], null, s25, v40, v[2:3]
	v_mov_b32_e32 v2, v15
	s_delay_alu instid0(VALU_DEP_1) | instskip(NEXT) | instid1(VALU_DEP_1)
	v_lshlrev_b64_e32 v[1:2], 3, v[1:2]
	v_add_co_u32 v1, vcc_lo, s28, v1
	s_wait_alu 0xfffd
	s_delay_alu instid0(VALU_DEP_2)
	v_add_co_ci_u32_e64 v2, null, s29, v2, vcc_lo
	global_load_b64 v[15:16], v[1:2], off
.LBB155_34:
	s_wait_alu 0xfffe
	s_or_b32 exec_lo, exec_lo, s14
	v_lshrrev_b32_e32 v1, 2, v34
	v_lshrrev_b32_e32 v2, 2, v35
	;; [unrolled: 1-line block ×4, first 2 shown]
	v_lshlrev_b32_e32 v113, 3, v69
	v_and_b32_e32 v1, 0x1f8, v1
	v_and_b32_e32 v2, 0x1f8, v2
	v_and_b32_e32 v19, 0x3f8, v19
	v_mov_b32_e32 v27, 0
	v_lshl_add_u32 v104, v33, 3, v113
	v_dual_mov_b32 v28, 0 :: v_dual_add_nc_u32 v105, v1, v113
	v_lshrrev_b32_e32 v1, 2, v37
	v_add_nc_u32_e32 v106, v2, v113
	v_add_nc_u32_e32 v107, v19, v113
	s_wait_loadcnt 0x0
	ds_store_b64 v104, v[17:18]
	ds_store_b64 v105, v[3:4] offset:4096
	ds_store_b64 v106, v[5:6] offset:8192
	;; [unrolled: 1-line block ×3, first 2 shown]
	v_mov_b32_e32 v17, 0
	v_and_b32_e32 v1, 0x3f8, v1
	v_lshlrev_b32_e32 v5, 1, v69
	v_lshrrev_b32_e32 v2, 2, v38
	v_lshrrev_b32_e32 v19, 2, v39
	;; [unrolled: 1-line block ×3, first 2 shown]
	v_mov_b32_e32 v18, v17
	v_mov_b32_e32 v26, v17
	v_add_nc_u32_e32 v108, v1, v113
	v_dual_mov_b32 v32, v17 :: v_dual_and_b32 v1, 0x7f8, v5
	v_dual_mov_b32 v21, v17 :: v_dual_and_b32 v2, 0x3f8, v2
	;; [unrolled: 1-line block ×4, first 2 shown]
	s_delay_alu instid0(VALU_DEP_4) | instskip(NEXT) | instid1(VALU_DEP_4)
	v_lshl_add_u32 v112, v69, 6, v1
	v_add_nc_u32_e32 v109, v2, v113
	s_delay_alu instid0(VALU_DEP_4) | instskip(NEXT) | instid1(VALU_DEP_4)
	v_dual_mov_b32 v25, v17 :: v_dual_add_nc_u32 v110, v3, v113
	v_add_nc_u32_e32 v111, v4, v113
	ds_store_b64 v108, v[9:10] offset:16384
	ds_store_b64 v109, v[11:12] offset:20480
	;; [unrolled: 1-line block ×4, first 2 shown]
	s_wait_dscnt 0x0
	s_barrier_signal -1
	s_barrier_wait -1
	global_inv scope:SCOPE_SE
	ds_load_2addr_b64 v[13:16], v112 offset1:1
	ds_load_2addr_b64 v[9:12], v112 offset0:2 offset1:3
	ds_load_2addr_b64 v[5:8], v112 offset0:4 offset1:5
	;; [unrolled: 1-line block ×3, first 2 shown]
	s_wait_kmcnt 0x0
	s_mul_u64 s[12:13], s[12:13], s[26:27]
	s_load_b64 s[26:27], s[0:1], 0x358
	s_lshl_b64 s[12:13], s[12:13], 3
	v_dual_mov_b32 v19, v17 :: v_dual_mov_b32 v20, v17
	v_mov_b32_e32 v22, v17
	v_dual_mov_b32 v24, v17 :: v_dual_mov_b32 v29, v17
	v_mov_b32_e32 v31, v17
	s_lshl_b64 s[14:15], s[20:21], 3
	s_wait_alu 0xfffe
	s_add_nc_u64 s[10:11], s[10:11], s[12:13]
	s_wait_loadcnt_dscnt 0x0
	s_wait_alu 0xfffe
	s_add_nc_u64 s[30:31], s[10:11], s[14:15]
	s_barrier_signal -1
	s_barrier_wait -1
	global_inv scope:SCOPE_SE
	s_and_saveexec_b32 s0, s2
	s_cbranch_execnz .LBB155_70
; %bb.35:
	s_or_b32 exec_lo, exec_lo, s0
	s_and_saveexec_b32 s0, s3
	s_cbranch_execnz .LBB155_71
.LBB155_36:
	s_or_b32 exec_lo, exec_lo, s0
	s_and_saveexec_b32 s0, s4
	s_cbranch_execnz .LBB155_72
.LBB155_37:
	s_or_b32 exec_lo, exec_lo, s0
	s_and_saveexec_b32 s0, s5
	s_cbranch_execnz .LBB155_73
.LBB155_38:
	s_or_b32 exec_lo, exec_lo, s0
	s_and_saveexec_b32 s0, s6
	s_cbranch_execnz .LBB155_74
.LBB155_39:
	s_or_b32 exec_lo, exec_lo, s0
	s_and_saveexec_b32 s0, s7
	s_cbranch_execnz .LBB155_75
.LBB155_40:
	s_or_b32 exec_lo, exec_lo, s0
	s_and_saveexec_b32 s0, s8
	s_cbranch_execnz .LBB155_76
.LBB155_41:
	s_or_b32 exec_lo, exec_lo, s0
	s_xor_b32 s0, s23, -1
	s_and_saveexec_b32 s1, s9
	s_cbranch_execz .LBB155_43
.LBB155_42:
	s_wait_kmcnt 0x0
	v_mad_co_u64_u32 v[31:32], null, s26, v40, 0
	s_delay_alu instid0(VALU_DEP_1) | instskip(NEXT) | instid1(VALU_DEP_1)
	v_mad_co_u64_u32 v[34:35], null, s27, v40, v[32:33]
	v_mov_b32_e32 v32, v34
	s_delay_alu instid0(VALU_DEP_1) | instskip(NEXT) | instid1(VALU_DEP_1)
	v_lshlrev_b64_e32 v[31:32], 3, v[31:32]
	v_add_co_u32 v31, vcc_lo, s30, v31
	s_wait_alu 0xfffd
	s_delay_alu instid0(VALU_DEP_2)
	v_add_co_ci_u32_e64 v32, null, s31, v32, vcc_lo
	global_load_b64 v[31:32], v[31:32], off
.LBB155_43:
	s_or_b32 exec_lo, exec_lo, s1
	s_wait_loadcnt 0x0
	ds_store_b64 v104, v[27:28]
	ds_store_b64 v105, v[17:18] offset:4096
	ds_store_b64 v106, v[19:20] offset:8192
	;; [unrolled: 1-line block ×7, first 2 shown]
	s_wait_dscnt 0x0
	s_barrier_signal -1
	s_barrier_wait -1
	global_inv scope:SCOPE_SE
	ds_load_2addr_b64 v[21:24], v112 offset1:1
	ds_load_2addr_b64 v[17:20], v112 offset0:2 offset1:3
	ds_load_2addr_b64 v[29:32], v112 offset0:4 offset1:5
	;; [unrolled: 1-line block ×3, first 2 shown]
	v_mbcnt_lo_u32_b32 v116, -1, 0
	v_and_b32_e32 v34, 0x3e0, v69
	v_and_b32_e32 v35, 0x1f00, v113
	s_and_b32 vcc_lo, exec_lo, s0
	v_bfe_u32 v121, v0, 10, 10
	v_bfe_u32 v122, v0, 20, 10
	v_or_b32_e32 v36, v116, v34
	v_or_b32_e32 v37, v116, v35
	v_lshlrev_b32_e32 v114, 2, v113
	v_and_b32_e32 v118, 15, v116
	v_and_b32_e32 v119, 16, v116
	v_lshlrev_b32_e32 v124, 6, v36
	v_lshlrev_b32_e32 v123, 3, v37
	v_min_u32_e32 v120, 0x1e0, v34
	v_cmp_gt_u32_e64 s0, 16, v69
	v_cmp_lt_u32_e64 s1, 31, v69
	v_cmp_eq_u32_e64 s10, 0, v69
	v_lshlrev_b32_e32 v115, 2, v33
	v_mul_i32_i24_e32 v117, 0xffffffe4, v69
	v_lshlrev_b32_e32 v0, 3, v35
	s_mov_b32 s20, 0
	s_mov_b32 s11, -1
	s_wait_loadcnt_dscnt 0x0
	s_barrier_signal -1
	s_barrier_wait -1
	global_inv scope:SCOPE_SE
                                        ; implicit-def: $vgpr63_vgpr64
                                        ; implicit-def: $vgpr59_vgpr60
                                        ; implicit-def: $vgpr55_vgpr56
                                        ; implicit-def: $vgpr51_vgpr52
                                        ; implicit-def: $vgpr35_vgpr36
                                        ; implicit-def: $vgpr39_vgpr40
                                        ; implicit-def: $vgpr43_vgpr44
                                        ; implicit-def: $vgpr47_vgpr48
	s_wait_alu 0xfffe
	s_cbranch_vccz .LBB155_78
; %bb.44:
	v_xor_b32_e32 v34, 0x80000000, v14
	v_xor_b32_e32 v36, 0x80000000, v16
	v_mov_b32_e32 v33, v13
	v_dual_mov_b32 v35, v15 :: v_dual_add_nc_u32 v126, -4, v115
	v_xor_b32_e32 v38, 0x80000000, v10
	v_xor_b32_e32 v40, 0x80000000, v12
	v_mov_b32_e32 v37, v9
	v_mov_b32_e32 v39, v11
	v_xor_b32_e32 v42, 0x80000000, v6
	v_xor_b32_e32 v44, 0x80000000, v8
	s_mov_b32 s21, s20
	s_mov_b32 s22, s20
	;; [unrolled: 1-line block ×3, first 2 shown]
	v_mov_b32_e32 v41, v5
	v_mov_b32_e32 v43, v7
	v_xor_b32_e32 v46, 0x80000000, v2
	v_xor_b32_e32 v48, 0x80000000, v4
	v_mov_b32_e32 v45, v1
	v_mov_b32_e32 v47, v3
	ds_store_b128 v124, v[33:36]
	ds_store_b128 v124, v[37:40] offset:16
	ds_store_b128 v124, v[41:44] offset:32
	;; [unrolled: 1-line block ×3, first 2 shown]
	; wave barrier
	ds_load_2addr_b64 v[37:40], v123 offset1:32
	ds_load_2addr_b64 v[41:44], v123 offset0:64 offset1:96
	ds_load_2addr_b64 v[45:48], v123 offset0:128 offset1:160
	;; [unrolled: 1-line block ×3, first 2 shown]
	; wave barrier
	ds_store_b128 v124, v[21:24]
	ds_store_b128 v124, v[17:20] offset:16
	ds_store_b128 v124, v[29:32] offset:32
	;; [unrolled: 1-line block ×3, first 2 shown]
	; wave barrier
	ds_load_2addr_b64 v[49:52], v123 offset1:32
	ds_load_2addr_b64 v[53:56], v123 offset0:64 offset1:96
	ds_load_2addr_b64 v[57:60], v123 offset0:128 offset1:160
	;; [unrolled: 1-line block ×3, first 2 shown]
	s_wait_loadcnt_dscnt 0x0
	s_barrier_signal -1
	s_barrier_wait -1
	global_inv scope:SCOPE_SE
	s_load_b32 s11, s[34:35], 0xc
	s_getpc_b64 s[12:13]
	s_wait_alu 0xfffe
	s_sext_i32_i16 s13, s13
	s_add_co_u32 s12, s12, _ZN7rocprim17ROCPRIM_400000_NS16block_radix_sortIlLj512ELj8ElLj1ELj1ELj0ELNS0_26block_radix_rank_algorithmE1ELNS0_18block_padding_hintE2ELNS0_4arch9wavefront6targetE0EE19radix_bits_per_passE@rel32@lo+12
	s_wait_alu 0xfffe
	s_add_co_ci_u32 s13, s13, _ZN7rocprim17ROCPRIM_400000_NS16block_radix_sortIlLj512ELj8ElLj1ELj1ELj0ELNS0_26block_radix_rank_algorithmE1ELNS0_18block_padding_hintE2ELNS0_4arch9wavefront6targetE0EE19radix_bits_per_passE@rel32@hi+24
	v_or_b32_e32 v35, 31, v120
	s_load_b32 s19, s[12:13], 0x0
	v_cmp_eq_u32_e64 s12, 0, v118
	v_cmp_lt_u32_e64 s13, 1, v118
	v_cmp_lt_u32_e64 s15, 7, v118
	v_cmp_eq_u32_e64 s17, v69, v35
	v_cmp_eq_u32_e64 s16, 0, v119
	v_lshl_add_u32 v127, v116, 3, v0
	v_add_nc_u32_e32 v129, v114, v117
	s_wait_kmcnt 0x0
	s_lshr_b32 s14, s11, 16
	s_and_b32 s11, s11, 0xffff
	s_wait_alu 0xfffe
	v_mad_u32_u24 v33, v122, s14, v121
	v_cmp_lt_u32_e64 s14, 3, v118
	s_delay_alu instid0(VALU_DEP_2) | instskip(SKIP_3) | instid1(VALU_DEP_3)
	v_mad_co_u64_u32 v[33:34], null, v33, s11, v[69:70]
	v_sub_co_u32 v34, s11, v116, 1
	v_mov_b32_e32 v70, 0
	v_mov_b32_e32 v71, 0
	v_cmp_gt_i32_e32 vcc_lo, 0, v34
	v_lshrrev_b32_e32 v33, 3, v33
	s_wait_alu 0xfffd
	v_cndmask_b32_e32 v34, v34, v116, vcc_lo
	s_delay_alu instid0(VALU_DEP_2) | instskip(NEXT) | instid1(VALU_DEP_2)
	v_and_b32_e32 v128, 0x1ffffffc, v33
	v_dual_mov_b32 v36, s23 :: v_dual_lshlrev_b32 v125, 2, v34
	v_dual_mov_b32 v35, s22 :: v_dual_mov_b32 v34, s21
	v_mov_b32_e32 v33, s20
	s_mov_b32 s20, 64
	s_branch .LBB155_46
.LBB155_45:                             ;   in Loop: Header=BB155_46 Depth=1
	s_wait_alu 0xfffe
	s_and_not1_b32 vcc_lo, exec_lo, s18
	s_wait_alu 0xfffe
	s_cbranch_vccz .LBB155_77
.LBB155_46:                             ; =>This Inner Loop Header: Depth=1
	v_dual_mov_b32 v73, v38 :: v_dual_mov_b32 v72, v37
	s_wait_alu 0xfffe
	s_min_u32 s18, s19, s20
	v_mov_b32_e32 v85, v60
	s_wait_alu 0xfffe
	s_lshl_b32 s18, -1, s18
	v_mov_b32_e32 v93, v52
	v_lshrrev_b64 v[37:38], v70, v[72:73]
	s_wait_alu 0xfffe
	s_not_b32 s21, s18
	v_mov_b32_e32 v83, v62
	v_mov_b32_e32 v87, v58
	;; [unrolled: 1-line block ×3, first 2 shown]
	s_wait_alu 0xfffe
	v_dual_mov_b32 v75, v68 :: v_dual_and_b32 v38, s21, v37
	v_dual_mov_b32 v74, v67 :: v_dual_mov_b32 v77, v66
	v_dual_mov_b32 v76, v65 :: v_dual_mov_b32 v79, v48
	s_delay_alu instid0(VALU_DEP_3) | instskip(SKIP_3) | instid1(VALU_DEP_4)
	v_dual_mov_b32 v78, v47 :: v_dual_and_b32 v37, 1, v38
	v_lshlrev_b32_e32 v47, 30, v38
	v_dual_mov_b32 v97, v46 :: v_dual_lshlrev_b32 v48, 29, v38
	v_mov_b32_e32 v96, v45
	v_add_co_u32 v37, s18, v37, -1
	s_wait_alu 0xf1ff
	v_cndmask_b32_e64 v66, 0, 1, s18
	v_not_b32_e32 v81, v47
	v_lshlrev_b32_e32 v65, 28, v38
	v_cmp_gt_i32_e64 s18, 0, v47
	v_not_b32_e32 v47, v48
	v_cmp_ne_u32_e32 vcc_lo, 0, v66
	v_ashrrev_i32_e32 v81, 31, v81
	v_dual_mov_b32 v99, v44 :: v_dual_lshlrev_b32 v68, 26, v38
	v_lshlrev_b32_e32 v67, 27, v38
	s_wait_alu 0xfffd
	v_xor_b32_e32 v37, vcc_lo, v37
	v_cmp_gt_i32_e32 vcc_lo, 0, v48
	v_ashrrev_i32_e32 v47, 31, v47
	s_wait_alu 0xf1ff
	v_xor_b32_e32 v81, s18, v81
	v_mov_b32_e32 v98, v43
	v_not_b32_e32 v48, v65
	v_and_b32_e32 v37, exec_lo, v37
	v_dual_mov_b32 v101, v42 :: v_dual_lshlrev_b32 v80, 25, v38
	v_dual_mov_b32 v103, v40 :: v_dual_lshlrev_b32 v66, 24, v38
	v_cmp_gt_i32_e64 s18, 0, v65
	v_ashrrev_i32_e32 v48, 31, v48
	s_wait_alu 0xfffd
	v_xor_b32_e32 v47, vcc_lo, v47
	v_mov_b32_e32 v100, v41
	v_not_b32_e32 v65, v67
	v_dual_mov_b32 v102, v39 :: v_dual_and_b32 v37, v37, v81
	v_cmp_gt_i32_e32 vcc_lo, 0, v67
	v_not_b32_e32 v67, v68
	s_delay_alu instid0(VALU_DEP_4)
	v_ashrrev_i32_e32 v65, 31, v65
	s_wait_alu 0xf1ff
	v_xor_b32_e32 v48, s18, v48
	v_dual_mov_b32 v84, v59 :: v_dual_and_b32 v37, v37, v47
	v_cmp_gt_i32_e64 s18, 0, v68
	v_not_b32_e32 v47, v80
	v_ashrrev_i32_e32 v67, 31, v67
	s_wait_alu 0xfffd
	v_xor_b32_e32 v65, vcc_lo, v65
	v_and_b32_e32 v37, v37, v48
	v_dual_mov_b32 v89, v56 :: v_dual_lshlrev_b32 v38, 6, v38
	v_cmp_gt_i32_e32 vcc_lo, 0, v80
	v_not_b32_e32 v48, v66
	v_ashrrev_i32_e32 v47, 31, v47
	s_wait_alu 0xf1ff
	v_xor_b32_e32 v67, s18, v67
	v_dual_mov_b32 v88, v55 :: v_dual_and_b32 v37, v37, v65
	v_mov_b32_e32 v92, v51
	v_cmp_gt_i32_e64 s18, 0, v66
	v_ashrrev_i32_e32 v45, 31, v48
	s_wait_alu 0xfffd
	v_xor_b32_e32 v46, vcc_lo, v47
	v_and_b32_e32 v37, v37, v67
	v_dual_mov_b32 v81, v64 :: v_dual_mov_b32 v82, v61
	s_wait_alu 0xf1ff
	v_xor_b32_e32 v39, s18, v45
	v_mov_b32_e32 v91, v54
	v_dual_mov_b32 v80, v63 :: v_dual_and_b32 v37, v37, v46
	v_mov_b32_e32 v86, v57
	v_mov_b32_e32 v90, v53
	;; [unrolled: 1-line block ×3, first 2 shown]
	s_delay_alu instid0(VALU_DEP_4)
	v_and_b32_e32 v37, v37, v39
	v_add_nc_u32_e32 v46, v128, v38
	ds_store_b128 v114, v[33:36] offset:64
	ds_store_b128 v114, v[33:36] offset:80
	s_wait_loadcnt_dscnt 0x0
	s_barrier_signal -1
	v_mbcnt_lo_u32_b32 v45, v37, 0
	v_cmp_ne_u32_e64 s18, 0, v37
	s_barrier_wait -1
	global_inv scope:SCOPE_SE
	v_cmp_eq_u32_e32 vcc_lo, 0, v45
	; wave barrier
	s_and_b32 s22, s18, vcc_lo
	s_wait_alu 0xfffe
	s_and_saveexec_b32 s18, s22
; %bb.47:                               ;   in Loop: Header=BB155_46 Depth=1
	v_bcnt_u32_b32 v37, v37, 0
	ds_store_b32 v46, v37 offset:64
; %bb.48:                               ;   in Loop: Header=BB155_46 Depth=1
	s_wait_alu 0xfffe
	s_or_b32 exec_lo, exec_lo, s18
	v_lshrrev_b64 v[37:38], v70, v[102:103]
	; wave barrier
	s_delay_alu instid0(VALU_DEP_1) | instskip(NEXT) | instid1(VALU_DEP_1)
	v_and_b32_e32 v37, s21, v37
	v_and_b32_e32 v38, 1, v37
	v_lshlrev_b32_e32 v39, 30, v37
	v_lshlrev_b32_e32 v40, 29, v37
	;; [unrolled: 1-line block ×4, first 2 shown]
	v_add_co_u32 v38, s18, v38, -1
	s_wait_alu 0xf1ff
	v_cndmask_b32_e64 v42, 0, 1, s18
	v_not_b32_e32 v48, v39
	v_cmp_gt_i32_e64 s18, 0, v39
	v_not_b32_e32 v39, v40
	v_lshlrev_b32_e32 v44, 26, v37
	v_cmp_ne_u32_e32 vcc_lo, 0, v42
	v_ashrrev_i32_e32 v48, 31, v48
	v_lshlrev_b32_e32 v47, 25, v37
	v_ashrrev_i32_e32 v39, 31, v39
	v_lshlrev_b32_e32 v42, 24, v37
	s_wait_alu 0xfffd
	v_xor_b32_e32 v38, vcc_lo, v38
	v_cmp_gt_i32_e32 vcc_lo, 0, v40
	v_not_b32_e32 v40, v41
	s_wait_alu 0xf1ff
	v_xor_b32_e32 v48, s18, v48
	v_cmp_gt_i32_e64 s18, 0, v41
	v_and_b32_e32 v38, exec_lo, v38
	v_not_b32_e32 v41, v43
	v_ashrrev_i32_e32 v40, 31, v40
	s_wait_alu 0xfffd
	v_xor_b32_e32 v39, vcc_lo, v39
	v_cmp_gt_i32_e32 vcc_lo, 0, v43
	v_and_b32_e32 v38, v38, v48
	v_not_b32_e32 v43, v44
	v_ashrrev_i32_e32 v41, 31, v41
	s_wait_alu 0xf1ff
	v_xor_b32_e32 v40, s18, v40
	v_cmp_gt_i32_e64 s18, 0, v44
	v_and_b32_e32 v38, v38, v39
	v_not_b32_e32 v39, v47
	v_ashrrev_i32_e32 v43, 31, v43
	s_wait_alu 0xfffd
	v_xor_b32_e32 v41, vcc_lo, v41
	v_cmp_gt_i32_e32 vcc_lo, 0, v47
	v_and_b32_e32 v38, v38, v40
	v_not_b32_e32 v40, v42
	v_ashrrev_i32_e32 v39, 31, v39
	s_wait_alu 0xf1ff
	v_xor_b32_e32 v43, s18, v43
	v_lshlrev_b32_e32 v37, 6, v37
	v_and_b32_e32 v38, v38, v41
	v_cmp_gt_i32_e64 s18, 0, v42
	v_ashrrev_i32_e32 v40, 31, v40
	s_wait_alu 0xfffd
	v_xor_b32_e32 v39, vcc_lo, v39
	v_add_nc_u32_e32 v49, v128, v37
	v_and_b32_e32 v38, v38, v43
	s_wait_alu 0xf1ff
	v_xor_b32_e32 v37, s18, v40
	ds_load_b32 v47, v49 offset:64
	v_and_b32_e32 v38, v38, v39
	; wave barrier
	s_delay_alu instid0(VALU_DEP_1) | instskip(NEXT) | instid1(VALU_DEP_1)
	v_and_b32_e32 v37, v38, v37
	v_mbcnt_lo_u32_b32 v48, v37, 0
	v_cmp_ne_u32_e64 s18, 0, v37
	s_delay_alu instid0(VALU_DEP_2)
	v_cmp_eq_u32_e32 vcc_lo, 0, v48
	s_and_b32 s22, s18, vcc_lo
	s_wait_alu 0xfffe
	s_and_saveexec_b32 s18, s22
	s_cbranch_execz .LBB155_50
; %bb.49:                               ;   in Loop: Header=BB155_46 Depth=1
	s_wait_dscnt 0x0
	v_bcnt_u32_b32 v37, v37, v47
	ds_store_b32 v49, v37 offset:64
.LBB155_50:                             ;   in Loop: Header=BB155_46 Depth=1
	s_wait_alu 0xfffe
	s_or_b32 exec_lo, exec_lo, s18
	v_lshrrev_b64 v[37:38], v70, v[100:101]
	; wave barrier
	s_delay_alu instid0(VALU_DEP_1) | instskip(NEXT) | instid1(VALU_DEP_1)
	v_and_b32_e32 v37, s21, v37
	v_and_b32_e32 v38, 1, v37
	v_lshlrev_b32_e32 v39, 30, v37
	v_lshlrev_b32_e32 v40, 29, v37
	v_lshlrev_b32_e32 v41, 28, v37
	v_lshlrev_b32_e32 v43, 27, v37
	v_add_co_u32 v38, s18, v38, -1
	s_wait_alu 0xf1ff
	v_cndmask_b32_e64 v42, 0, 1, s18
	v_not_b32_e32 v51, v39
	v_cmp_gt_i32_e64 s18, 0, v39
	v_not_b32_e32 v39, v40
	v_lshlrev_b32_e32 v44, 26, v37
	v_cmp_ne_u32_e32 vcc_lo, 0, v42
	v_ashrrev_i32_e32 v51, 31, v51
	v_lshlrev_b32_e32 v50, 25, v37
	v_ashrrev_i32_e32 v39, 31, v39
	v_lshlrev_b32_e32 v42, 24, v37
	s_wait_alu 0xfffd
	v_xor_b32_e32 v38, vcc_lo, v38
	v_cmp_gt_i32_e32 vcc_lo, 0, v40
	v_not_b32_e32 v40, v41
	s_wait_alu 0xf1ff
	v_xor_b32_e32 v51, s18, v51
	v_cmp_gt_i32_e64 s18, 0, v41
	v_and_b32_e32 v38, exec_lo, v38
	v_not_b32_e32 v41, v43
	v_ashrrev_i32_e32 v40, 31, v40
	s_wait_alu 0xfffd
	v_xor_b32_e32 v39, vcc_lo, v39
	v_cmp_gt_i32_e32 vcc_lo, 0, v43
	v_and_b32_e32 v38, v38, v51
	v_not_b32_e32 v43, v44
	v_ashrrev_i32_e32 v41, 31, v41
	s_wait_alu 0xf1ff
	v_xor_b32_e32 v40, s18, v40
	v_cmp_gt_i32_e64 s18, 0, v44
	v_and_b32_e32 v38, v38, v39
	v_not_b32_e32 v39, v50
	v_ashrrev_i32_e32 v43, 31, v43
	s_wait_alu 0xfffd
	v_xor_b32_e32 v41, vcc_lo, v41
	v_cmp_gt_i32_e32 vcc_lo, 0, v50
	v_and_b32_e32 v38, v38, v40
	v_not_b32_e32 v40, v42
	v_ashrrev_i32_e32 v39, 31, v39
	s_wait_alu 0xf1ff
	v_xor_b32_e32 v43, s18, v43
	v_lshlrev_b32_e32 v37, 6, v37
	v_and_b32_e32 v38, v38, v41
	v_cmp_gt_i32_e64 s18, 0, v42
	v_ashrrev_i32_e32 v40, 31, v40
	s_wait_alu 0xfffd
	v_xor_b32_e32 v39, vcc_lo, v39
	v_add_nc_u32_e32 v52, v128, v37
	v_and_b32_e32 v38, v38, v43
	s_wait_alu 0xf1ff
	v_xor_b32_e32 v37, s18, v40
	ds_load_b32 v50, v52 offset:64
	v_and_b32_e32 v38, v38, v39
	; wave barrier
	s_delay_alu instid0(VALU_DEP_1) | instskip(NEXT) | instid1(VALU_DEP_1)
	v_and_b32_e32 v37, v38, v37
	v_mbcnt_lo_u32_b32 v51, v37, 0
	v_cmp_ne_u32_e64 s18, 0, v37
	s_delay_alu instid0(VALU_DEP_2)
	v_cmp_eq_u32_e32 vcc_lo, 0, v51
	s_and_b32 s22, s18, vcc_lo
	s_wait_alu 0xfffe
	s_and_saveexec_b32 s18, s22
	s_cbranch_execz .LBB155_52
; %bb.51:                               ;   in Loop: Header=BB155_46 Depth=1
	s_wait_dscnt 0x0
	v_bcnt_u32_b32 v37, v37, v50
	ds_store_b32 v52, v37 offset:64
.LBB155_52:                             ;   in Loop: Header=BB155_46 Depth=1
	s_wait_alu 0xfffe
	s_or_b32 exec_lo, exec_lo, s18
	v_lshrrev_b64 v[37:38], v70, v[98:99]
	; wave barrier
	s_delay_alu instid0(VALU_DEP_1) | instskip(NEXT) | instid1(VALU_DEP_1)
	v_and_b32_e32 v37, s21, v37
	v_and_b32_e32 v38, 1, v37
	v_lshlrev_b32_e32 v39, 30, v37
	v_lshlrev_b32_e32 v40, 29, v37
	v_lshlrev_b32_e32 v41, 28, v37
	v_lshlrev_b32_e32 v43, 27, v37
	v_add_co_u32 v38, s18, v38, -1
	s_wait_alu 0xf1ff
	v_cndmask_b32_e64 v42, 0, 1, s18
	v_not_b32_e32 v54, v39
	v_cmp_gt_i32_e64 s18, 0, v39
	v_not_b32_e32 v39, v40
	v_lshlrev_b32_e32 v44, 26, v37
	v_cmp_ne_u32_e32 vcc_lo, 0, v42
	v_ashrrev_i32_e32 v54, 31, v54
	v_lshlrev_b32_e32 v53, 25, v37
	v_ashrrev_i32_e32 v39, 31, v39
	v_lshlrev_b32_e32 v42, 24, v37
	s_wait_alu 0xfffd
	v_xor_b32_e32 v38, vcc_lo, v38
	v_cmp_gt_i32_e32 vcc_lo, 0, v40
	v_not_b32_e32 v40, v41
	s_wait_alu 0xf1ff
	v_xor_b32_e32 v54, s18, v54
	v_cmp_gt_i32_e64 s18, 0, v41
	v_and_b32_e32 v38, exec_lo, v38
	v_not_b32_e32 v41, v43
	v_ashrrev_i32_e32 v40, 31, v40
	s_wait_alu 0xfffd
	v_xor_b32_e32 v39, vcc_lo, v39
	v_cmp_gt_i32_e32 vcc_lo, 0, v43
	v_and_b32_e32 v38, v38, v54
	v_not_b32_e32 v43, v44
	v_ashrrev_i32_e32 v41, 31, v41
	s_wait_alu 0xf1ff
	v_xor_b32_e32 v40, s18, v40
	v_cmp_gt_i32_e64 s18, 0, v44
	v_and_b32_e32 v38, v38, v39
	v_not_b32_e32 v39, v53
	v_ashrrev_i32_e32 v43, 31, v43
	s_wait_alu 0xfffd
	v_xor_b32_e32 v41, vcc_lo, v41
	v_cmp_gt_i32_e32 vcc_lo, 0, v53
	v_and_b32_e32 v38, v38, v40
	v_not_b32_e32 v40, v42
	v_ashrrev_i32_e32 v39, 31, v39
	s_wait_alu 0xf1ff
	v_xor_b32_e32 v43, s18, v43
	v_lshlrev_b32_e32 v37, 6, v37
	v_and_b32_e32 v38, v38, v41
	v_cmp_gt_i32_e64 s18, 0, v42
	v_ashrrev_i32_e32 v40, 31, v40
	s_wait_alu 0xfffd
	v_xor_b32_e32 v39, vcc_lo, v39
	v_add_nc_u32_e32 v55, v128, v37
	v_and_b32_e32 v38, v38, v43
	s_wait_alu 0xf1ff
	v_xor_b32_e32 v37, s18, v40
	ds_load_b32 v53, v55 offset:64
	v_and_b32_e32 v38, v38, v39
	; wave barrier
	s_delay_alu instid0(VALU_DEP_1) | instskip(NEXT) | instid1(VALU_DEP_1)
	v_and_b32_e32 v37, v38, v37
	v_mbcnt_lo_u32_b32 v54, v37, 0
	v_cmp_ne_u32_e64 s18, 0, v37
	s_delay_alu instid0(VALU_DEP_2)
	v_cmp_eq_u32_e32 vcc_lo, 0, v54
	s_and_b32 s22, s18, vcc_lo
	s_wait_alu 0xfffe
	s_and_saveexec_b32 s18, s22
	s_cbranch_execz .LBB155_54
; %bb.53:                               ;   in Loop: Header=BB155_46 Depth=1
	s_wait_dscnt 0x0
	v_bcnt_u32_b32 v37, v37, v53
	ds_store_b32 v55, v37 offset:64
.LBB155_54:                             ;   in Loop: Header=BB155_46 Depth=1
	s_wait_alu 0xfffe
	s_or_b32 exec_lo, exec_lo, s18
	v_lshrrev_b64 v[37:38], v70, v[96:97]
	; wave barrier
	s_delay_alu instid0(VALU_DEP_1) | instskip(NEXT) | instid1(VALU_DEP_1)
	v_and_b32_e32 v37, s21, v37
	v_and_b32_e32 v38, 1, v37
	v_lshlrev_b32_e32 v39, 30, v37
	v_lshlrev_b32_e32 v40, 29, v37
	;; [unrolled: 1-line block ×4, first 2 shown]
	v_add_co_u32 v38, s18, v38, -1
	s_wait_alu 0xf1ff
	v_cndmask_b32_e64 v42, 0, 1, s18
	v_not_b32_e32 v57, v39
	v_cmp_gt_i32_e64 s18, 0, v39
	v_not_b32_e32 v39, v40
	v_lshlrev_b32_e32 v44, 26, v37
	v_cmp_ne_u32_e32 vcc_lo, 0, v42
	v_ashrrev_i32_e32 v57, 31, v57
	v_lshlrev_b32_e32 v56, 25, v37
	v_ashrrev_i32_e32 v39, 31, v39
	v_lshlrev_b32_e32 v42, 24, v37
	s_wait_alu 0xfffd
	v_xor_b32_e32 v38, vcc_lo, v38
	v_cmp_gt_i32_e32 vcc_lo, 0, v40
	v_not_b32_e32 v40, v41
	s_wait_alu 0xf1ff
	v_xor_b32_e32 v57, s18, v57
	v_cmp_gt_i32_e64 s18, 0, v41
	v_and_b32_e32 v38, exec_lo, v38
	v_not_b32_e32 v41, v43
	v_ashrrev_i32_e32 v40, 31, v40
	s_wait_alu 0xfffd
	v_xor_b32_e32 v39, vcc_lo, v39
	v_cmp_gt_i32_e32 vcc_lo, 0, v43
	v_and_b32_e32 v38, v38, v57
	v_not_b32_e32 v43, v44
	v_ashrrev_i32_e32 v41, 31, v41
	s_wait_alu 0xf1ff
	v_xor_b32_e32 v40, s18, v40
	v_cmp_gt_i32_e64 s18, 0, v44
	v_and_b32_e32 v38, v38, v39
	v_not_b32_e32 v39, v56
	v_ashrrev_i32_e32 v43, 31, v43
	s_wait_alu 0xfffd
	v_xor_b32_e32 v41, vcc_lo, v41
	v_cmp_gt_i32_e32 vcc_lo, 0, v56
	v_and_b32_e32 v38, v38, v40
	v_not_b32_e32 v40, v42
	v_ashrrev_i32_e32 v39, 31, v39
	s_wait_alu 0xf1ff
	v_xor_b32_e32 v43, s18, v43
	v_lshlrev_b32_e32 v37, 6, v37
	v_and_b32_e32 v38, v38, v41
	v_cmp_gt_i32_e64 s18, 0, v42
	v_ashrrev_i32_e32 v40, 31, v40
	s_wait_alu 0xfffd
	v_xor_b32_e32 v39, vcc_lo, v39
	v_add_nc_u32_e32 v58, v128, v37
	v_and_b32_e32 v38, v38, v43
	s_wait_alu 0xf1ff
	v_xor_b32_e32 v37, s18, v40
	ds_load_b32 v56, v58 offset:64
	v_and_b32_e32 v38, v38, v39
	; wave barrier
	s_delay_alu instid0(VALU_DEP_1) | instskip(NEXT) | instid1(VALU_DEP_1)
	v_and_b32_e32 v37, v38, v37
	v_mbcnt_lo_u32_b32 v57, v37, 0
	v_cmp_ne_u32_e64 s18, 0, v37
	s_delay_alu instid0(VALU_DEP_2)
	v_cmp_eq_u32_e32 vcc_lo, 0, v57
	s_and_b32 s22, s18, vcc_lo
	s_wait_alu 0xfffe
	s_and_saveexec_b32 s18, s22
	s_cbranch_execz .LBB155_56
; %bb.55:                               ;   in Loop: Header=BB155_46 Depth=1
	s_wait_dscnt 0x0
	v_bcnt_u32_b32 v37, v37, v56
	ds_store_b32 v58, v37 offset:64
.LBB155_56:                             ;   in Loop: Header=BB155_46 Depth=1
	s_wait_alu 0xfffe
	s_or_b32 exec_lo, exec_lo, s18
	v_lshrrev_b64 v[37:38], v70, v[78:79]
	; wave barrier
	s_delay_alu instid0(VALU_DEP_1) | instskip(NEXT) | instid1(VALU_DEP_1)
	v_and_b32_e32 v37, s21, v37
	v_and_b32_e32 v38, 1, v37
	v_lshlrev_b32_e32 v39, 30, v37
	v_lshlrev_b32_e32 v40, 29, v37
	v_lshlrev_b32_e32 v41, 28, v37
	v_lshlrev_b32_e32 v43, 27, v37
	v_add_co_u32 v38, s18, v38, -1
	s_wait_alu 0xf1ff
	v_cndmask_b32_e64 v42, 0, 1, s18
	v_not_b32_e32 v60, v39
	v_cmp_gt_i32_e64 s18, 0, v39
	v_not_b32_e32 v39, v40
	v_lshlrev_b32_e32 v44, 26, v37
	v_cmp_ne_u32_e32 vcc_lo, 0, v42
	v_ashrrev_i32_e32 v60, 31, v60
	v_lshlrev_b32_e32 v59, 25, v37
	v_ashrrev_i32_e32 v39, 31, v39
	v_lshlrev_b32_e32 v42, 24, v37
	s_wait_alu 0xfffd
	v_xor_b32_e32 v38, vcc_lo, v38
	v_cmp_gt_i32_e32 vcc_lo, 0, v40
	v_not_b32_e32 v40, v41
	s_wait_alu 0xf1ff
	v_xor_b32_e32 v60, s18, v60
	v_cmp_gt_i32_e64 s18, 0, v41
	v_and_b32_e32 v38, exec_lo, v38
	v_not_b32_e32 v41, v43
	v_ashrrev_i32_e32 v40, 31, v40
	s_wait_alu 0xfffd
	v_xor_b32_e32 v39, vcc_lo, v39
	v_cmp_gt_i32_e32 vcc_lo, 0, v43
	v_and_b32_e32 v38, v38, v60
	v_not_b32_e32 v43, v44
	v_ashrrev_i32_e32 v41, 31, v41
	s_wait_alu 0xf1ff
	v_xor_b32_e32 v40, s18, v40
	v_cmp_gt_i32_e64 s18, 0, v44
	v_and_b32_e32 v38, v38, v39
	v_not_b32_e32 v39, v59
	v_ashrrev_i32_e32 v43, 31, v43
	s_wait_alu 0xfffd
	v_xor_b32_e32 v41, vcc_lo, v41
	v_cmp_gt_i32_e32 vcc_lo, 0, v59
	v_and_b32_e32 v38, v38, v40
	v_not_b32_e32 v40, v42
	v_ashrrev_i32_e32 v39, 31, v39
	s_wait_alu 0xf1ff
	v_xor_b32_e32 v43, s18, v43
	v_lshlrev_b32_e32 v37, 6, v37
	v_and_b32_e32 v38, v38, v41
	v_cmp_gt_i32_e64 s18, 0, v42
	v_ashrrev_i32_e32 v40, 31, v40
	s_wait_alu 0xfffd
	v_xor_b32_e32 v39, vcc_lo, v39
	v_add_nc_u32_e32 v61, v128, v37
	v_and_b32_e32 v38, v38, v43
	s_wait_alu 0xf1ff
	v_xor_b32_e32 v37, s18, v40
	ds_load_b32 v59, v61 offset:64
	v_and_b32_e32 v38, v38, v39
	; wave barrier
	s_delay_alu instid0(VALU_DEP_1) | instskip(NEXT) | instid1(VALU_DEP_1)
	v_and_b32_e32 v37, v38, v37
	v_mbcnt_lo_u32_b32 v60, v37, 0
	v_cmp_ne_u32_e64 s18, 0, v37
	s_delay_alu instid0(VALU_DEP_2)
	v_cmp_eq_u32_e32 vcc_lo, 0, v60
	s_and_b32 s22, s18, vcc_lo
	s_wait_alu 0xfffe
	s_and_saveexec_b32 s18, s22
	s_cbranch_execz .LBB155_58
; %bb.57:                               ;   in Loop: Header=BB155_46 Depth=1
	s_wait_dscnt 0x0
	v_bcnt_u32_b32 v37, v37, v59
	ds_store_b32 v61, v37 offset:64
.LBB155_58:                             ;   in Loop: Header=BB155_46 Depth=1
	s_wait_alu 0xfffe
	s_or_b32 exec_lo, exec_lo, s18
	v_lshrrev_b64 v[37:38], v70, v[76:77]
	; wave barrier
	s_delay_alu instid0(VALU_DEP_1) | instskip(NEXT) | instid1(VALU_DEP_1)
	v_and_b32_e32 v37, s21, v37
	v_and_b32_e32 v38, 1, v37
	v_lshlrev_b32_e32 v39, 30, v37
	v_lshlrev_b32_e32 v40, 29, v37
	;; [unrolled: 1-line block ×4, first 2 shown]
	v_add_co_u32 v38, s18, v38, -1
	s_wait_alu 0xf1ff
	v_cndmask_b32_e64 v42, 0, 1, s18
	v_not_b32_e32 v63, v39
	v_cmp_gt_i32_e64 s18, 0, v39
	v_not_b32_e32 v39, v40
	v_lshlrev_b32_e32 v44, 26, v37
	v_cmp_ne_u32_e32 vcc_lo, 0, v42
	v_ashrrev_i32_e32 v63, 31, v63
	v_lshlrev_b32_e32 v62, 25, v37
	v_ashrrev_i32_e32 v39, 31, v39
	v_lshlrev_b32_e32 v42, 24, v37
	s_wait_alu 0xfffd
	v_xor_b32_e32 v38, vcc_lo, v38
	v_cmp_gt_i32_e32 vcc_lo, 0, v40
	v_not_b32_e32 v40, v41
	s_wait_alu 0xf1ff
	v_xor_b32_e32 v63, s18, v63
	v_cmp_gt_i32_e64 s18, 0, v41
	v_and_b32_e32 v38, exec_lo, v38
	v_not_b32_e32 v41, v43
	v_ashrrev_i32_e32 v40, 31, v40
	s_wait_alu 0xfffd
	v_xor_b32_e32 v39, vcc_lo, v39
	v_cmp_gt_i32_e32 vcc_lo, 0, v43
	v_and_b32_e32 v38, v38, v63
	v_not_b32_e32 v43, v44
	v_ashrrev_i32_e32 v41, 31, v41
	s_wait_alu 0xf1ff
	v_xor_b32_e32 v40, s18, v40
	v_cmp_gt_i32_e64 s18, 0, v44
	v_and_b32_e32 v38, v38, v39
	v_not_b32_e32 v39, v62
	v_ashrrev_i32_e32 v43, 31, v43
	s_wait_alu 0xfffd
	v_xor_b32_e32 v41, vcc_lo, v41
	v_cmp_gt_i32_e32 vcc_lo, 0, v62
	v_and_b32_e32 v38, v38, v40
	v_not_b32_e32 v40, v42
	v_ashrrev_i32_e32 v39, 31, v39
	s_wait_alu 0xf1ff
	v_xor_b32_e32 v43, s18, v43
	v_lshlrev_b32_e32 v37, 6, v37
	v_and_b32_e32 v38, v38, v41
	v_cmp_gt_i32_e64 s18, 0, v42
	v_ashrrev_i32_e32 v40, 31, v40
	s_wait_alu 0xfffd
	v_xor_b32_e32 v39, vcc_lo, v39
	v_add_nc_u32_e32 v64, v128, v37
	v_and_b32_e32 v38, v38, v43
	s_wait_alu 0xf1ff
	v_xor_b32_e32 v37, s18, v40
	ds_load_b32 v62, v64 offset:64
	v_and_b32_e32 v38, v38, v39
	; wave barrier
	s_delay_alu instid0(VALU_DEP_1) | instskip(NEXT) | instid1(VALU_DEP_1)
	v_and_b32_e32 v37, v38, v37
	v_mbcnt_lo_u32_b32 v63, v37, 0
	v_cmp_ne_u32_e64 s18, 0, v37
	s_delay_alu instid0(VALU_DEP_2)
	v_cmp_eq_u32_e32 vcc_lo, 0, v63
	s_and_b32 s22, s18, vcc_lo
	s_wait_alu 0xfffe
	s_and_saveexec_b32 s18, s22
	s_cbranch_execz .LBB155_60
; %bb.59:                               ;   in Loop: Header=BB155_46 Depth=1
	s_wait_dscnt 0x0
	v_bcnt_u32_b32 v37, v37, v62
	ds_store_b32 v64, v37 offset:64
.LBB155_60:                             ;   in Loop: Header=BB155_46 Depth=1
	s_wait_alu 0xfffe
	s_or_b32 exec_lo, exec_lo, s18
	v_lshrrev_b64 v[37:38], v70, v[74:75]
	; wave barrier
	s_delay_alu instid0(VALU_DEP_1) | instskip(NEXT) | instid1(VALU_DEP_1)
	v_and_b32_e32 v37, s21, v37
	v_and_b32_e32 v38, 1, v37
	v_lshlrev_b32_e32 v39, 30, v37
	v_lshlrev_b32_e32 v40, 29, v37
	v_lshlrev_b32_e32 v41, 28, v37
	v_lshlrev_b32_e32 v43, 27, v37
	v_add_co_u32 v38, s18, v38, -1
	s_wait_alu 0xf1ff
	v_cndmask_b32_e64 v42, 0, 1, s18
	v_not_b32_e32 v66, v39
	v_cmp_gt_i32_e64 s18, 0, v39
	v_not_b32_e32 v39, v40
	v_lshlrev_b32_e32 v44, 26, v37
	v_cmp_ne_u32_e32 vcc_lo, 0, v42
	v_ashrrev_i32_e32 v66, 31, v66
	v_lshlrev_b32_e32 v65, 25, v37
	v_ashrrev_i32_e32 v39, 31, v39
	v_lshlrev_b32_e32 v42, 24, v37
	s_wait_alu 0xfffd
	v_xor_b32_e32 v38, vcc_lo, v38
	v_cmp_gt_i32_e32 vcc_lo, 0, v40
	v_not_b32_e32 v40, v41
	s_wait_alu 0xf1ff
	v_xor_b32_e32 v66, s18, v66
	v_cmp_gt_i32_e64 s18, 0, v41
	v_and_b32_e32 v38, exec_lo, v38
	v_not_b32_e32 v41, v43
	v_ashrrev_i32_e32 v40, 31, v40
	s_wait_alu 0xfffd
	v_xor_b32_e32 v39, vcc_lo, v39
	v_cmp_gt_i32_e32 vcc_lo, 0, v43
	v_and_b32_e32 v38, v38, v66
	v_not_b32_e32 v43, v44
	v_ashrrev_i32_e32 v41, 31, v41
	s_wait_alu 0xf1ff
	v_xor_b32_e32 v40, s18, v40
	v_cmp_gt_i32_e64 s18, 0, v44
	v_and_b32_e32 v38, v38, v39
	v_not_b32_e32 v39, v65
	v_ashrrev_i32_e32 v43, 31, v43
	s_wait_alu 0xfffd
	v_xor_b32_e32 v41, vcc_lo, v41
	v_cmp_gt_i32_e32 vcc_lo, 0, v65
	v_and_b32_e32 v38, v38, v40
	v_not_b32_e32 v40, v42
	v_ashrrev_i32_e32 v39, 31, v39
	s_wait_alu 0xf1ff
	v_xor_b32_e32 v43, s18, v43
	v_lshlrev_b32_e32 v37, 6, v37
	v_and_b32_e32 v38, v38, v41
	v_cmp_gt_i32_e64 s18, 0, v42
	v_ashrrev_i32_e32 v40, 31, v40
	s_wait_alu 0xfffd
	v_xor_b32_e32 v39, vcc_lo, v39
	v_add_nc_u32_e32 v67, v128, v37
	v_and_b32_e32 v38, v38, v43
	s_wait_alu 0xf1ff
	v_xor_b32_e32 v37, s18, v40
	ds_load_b32 v65, v67 offset:64
	v_and_b32_e32 v38, v38, v39
	; wave barrier
	s_delay_alu instid0(VALU_DEP_1) | instskip(NEXT) | instid1(VALU_DEP_1)
	v_and_b32_e32 v37, v38, v37
	v_mbcnt_lo_u32_b32 v66, v37, 0
	v_cmp_ne_u32_e64 s18, 0, v37
	s_delay_alu instid0(VALU_DEP_2)
	v_cmp_eq_u32_e32 vcc_lo, 0, v66
	s_and_b32 s21, s18, vcc_lo
	s_wait_alu 0xfffe
	s_and_saveexec_b32 s18, s21
	s_cbranch_execz .LBB155_62
; %bb.61:                               ;   in Loop: Header=BB155_46 Depth=1
	s_wait_dscnt 0x0
	v_bcnt_u32_b32 v37, v37, v65
	ds_store_b32 v67, v37 offset:64
.LBB155_62:                             ;   in Loop: Header=BB155_46 Depth=1
	s_wait_alu 0xfffe
	s_or_b32 exec_lo, exec_lo, s18
	; wave barrier
	s_wait_loadcnt_dscnt 0x0
	s_barrier_signal -1
	s_barrier_wait -1
	global_inv scope:SCOPE_SE
	ds_load_b128 v[41:44], v114 offset:64
	ds_load_b128 v[37:40], v114 offset:80
	s_wait_dscnt 0x1
	v_add_nc_u32_e32 v68, v42, v41
	s_delay_alu instid0(VALU_DEP_1) | instskip(SKIP_1) | instid1(VALU_DEP_1)
	v_add3_u32 v68, v68, v43, v44
	s_wait_dscnt 0x0
	v_add3_u32 v68, v68, v37, v38
	s_delay_alu instid0(VALU_DEP_1) | instskip(NEXT) | instid1(VALU_DEP_1)
	v_add3_u32 v40, v68, v39, v40
	v_mov_b32_dpp v68, v40 row_shr:1 row_mask:0xf bank_mask:0xf
	s_delay_alu instid0(VALU_DEP_1) | instskip(NEXT) | instid1(VALU_DEP_1)
	v_cndmask_b32_e64 v68, v68, 0, s12
	v_add_nc_u32_e32 v40, v68, v40
	s_delay_alu instid0(VALU_DEP_1) | instskip(NEXT) | instid1(VALU_DEP_1)
	v_mov_b32_dpp v68, v40 row_shr:2 row_mask:0xf bank_mask:0xf
	v_cndmask_b32_e64 v68, 0, v68, s13
	s_delay_alu instid0(VALU_DEP_1) | instskip(NEXT) | instid1(VALU_DEP_1)
	v_add_nc_u32_e32 v40, v40, v68
	v_mov_b32_dpp v68, v40 row_shr:4 row_mask:0xf bank_mask:0xf
	s_delay_alu instid0(VALU_DEP_1) | instskip(NEXT) | instid1(VALU_DEP_1)
	v_cndmask_b32_e64 v68, 0, v68, s14
	v_add_nc_u32_e32 v40, v40, v68
	s_delay_alu instid0(VALU_DEP_1) | instskip(NEXT) | instid1(VALU_DEP_1)
	v_mov_b32_dpp v68, v40 row_shr:8 row_mask:0xf bank_mask:0xf
	v_cndmask_b32_e64 v68, 0, v68, s15
	s_delay_alu instid0(VALU_DEP_1) | instskip(SKIP_3) | instid1(VALU_DEP_1)
	v_add_nc_u32_e32 v40, v40, v68
	ds_swizzle_b32 v68, v40 offset:swizzle(BROADCAST,32,15)
	s_wait_dscnt 0x0
	v_cndmask_b32_e64 v68, v68, 0, s16
	v_add_nc_u32_e32 v40, v40, v68
	s_and_saveexec_b32 s18, s17
; %bb.63:                               ;   in Loop: Header=BB155_46 Depth=1
	ds_store_b32 v115, v40
; %bb.64:                               ;   in Loop: Header=BB155_46 Depth=1
	s_wait_alu 0xfffe
	s_or_b32 exec_lo, exec_lo, s18
	s_wait_loadcnt_dscnt 0x0
	s_barrier_signal -1
	s_barrier_wait -1
	global_inv scope:SCOPE_SE
	s_and_saveexec_b32 s18, s0
	s_cbranch_execz .LBB155_66
; %bb.65:                               ;   in Loop: Header=BB155_46 Depth=1
	ds_load_b32 v68, v129
	s_wait_dscnt 0x0
	v_mov_b32_dpp v130, v68 row_shr:1 row_mask:0xf bank_mask:0xf
	s_delay_alu instid0(VALU_DEP_1) | instskip(NEXT) | instid1(VALU_DEP_1)
	v_cndmask_b32_e64 v130, v130, 0, s12
	v_add_nc_u32_e32 v68, v130, v68
	s_delay_alu instid0(VALU_DEP_1) | instskip(NEXT) | instid1(VALU_DEP_1)
	v_mov_b32_dpp v130, v68 row_shr:2 row_mask:0xf bank_mask:0xf
	v_cndmask_b32_e64 v130, 0, v130, s13
	s_delay_alu instid0(VALU_DEP_1) | instskip(NEXT) | instid1(VALU_DEP_1)
	v_add_nc_u32_e32 v68, v68, v130
	v_mov_b32_dpp v130, v68 row_shr:4 row_mask:0xf bank_mask:0xf
	s_delay_alu instid0(VALU_DEP_1) | instskip(NEXT) | instid1(VALU_DEP_1)
	v_cndmask_b32_e64 v130, 0, v130, s14
	v_add_nc_u32_e32 v68, v68, v130
	s_delay_alu instid0(VALU_DEP_1) | instskip(NEXT) | instid1(VALU_DEP_1)
	v_mov_b32_dpp v130, v68 row_shr:8 row_mask:0xf bank_mask:0xf
	v_cndmask_b32_e64 v130, 0, v130, s15
	s_delay_alu instid0(VALU_DEP_1)
	v_add_nc_u32_e32 v68, v68, v130
	ds_store_b32 v129, v68
.LBB155_66:                             ;   in Loop: Header=BB155_46 Depth=1
	s_wait_alu 0xfffe
	s_or_b32 exec_lo, exec_lo, s18
	v_mov_b32_e32 v68, 0
	s_wait_loadcnt_dscnt 0x0
	s_barrier_signal -1
	s_barrier_wait -1
	global_inv scope:SCOPE_SE
	s_and_saveexec_b32 s18, s1
; %bb.67:                               ;   in Loop: Header=BB155_46 Depth=1
	ds_load_b32 v68, v126
; %bb.68:                               ;   in Loop: Header=BB155_46 Depth=1
	s_wait_alu 0xfffe
	s_or_b32 exec_lo, exec_lo, s18
	s_wait_dscnt 0x0
	v_add_nc_u32_e32 v40, v68, v40
	v_cmp_lt_u32_e32 vcc_lo, 55, v70
	s_mov_b32 s18, -1
	ds_bpermute_b32 v40, v125, v40
	s_and_b32 vcc_lo, exec_lo, vcc_lo
	s_wait_dscnt 0x0
	v_cndmask_b32_e64 v40, v40, v68, s11
	s_delay_alu instid0(VALU_DEP_1) | instskip(NEXT) | instid1(VALU_DEP_1)
	v_cndmask_b32_e64 v40, v40, 0, s10
	v_add_nc_u32_e32 v41, v40, v41
	s_delay_alu instid0(VALU_DEP_1) | instskip(NEXT) | instid1(VALU_DEP_1)
	v_add_nc_u32_e32 v42, v41, v42
	v_add_nc_u32_e32 v43, v42, v43
	s_delay_alu instid0(VALU_DEP_1) | instskip(NEXT) | instid1(VALU_DEP_1)
	v_add_nc_u32_e32 v130, v43, v44
	;; [unrolled: 3-line block ×3, first 2 shown]
	v_add_nc_u32_e32 v133, v132, v39
	ds_store_b128 v114, v[40:43] offset:64
	ds_store_b128 v114, v[130:133] offset:80
	s_wait_loadcnt_dscnt 0x0
	s_barrier_signal -1
	s_barrier_wait -1
	global_inv scope:SCOPE_SE
	ds_load_b32 v37, v46 offset:64
	ds_load_b32 v38, v49 offset:64
	;; [unrolled: 1-line block ×8, first 2 shown]
	s_wait_dscnt 0x7
	v_add_nc_u32_e32 v137, v37, v45
	s_wait_dscnt 0x6
	v_add3_u32 v136, v48, v47, v38
	s_wait_dscnt 0x5
	v_add3_u32 v135, v51, v50, v39
	;; [unrolled: 2-line block ×7, first 2 shown]
                                        ; implicit-def: $vgpr67_vgpr68
                                        ; implicit-def: $vgpr47_vgpr48
                                        ; implicit-def: $vgpr43_vgpr44
                                        ; implicit-def: $vgpr39_vgpr40
                                        ; implicit-def: $vgpr63_vgpr64
                                        ; implicit-def: $vgpr59_vgpr60
                                        ; implicit-def: $vgpr55_vgpr56
                                        ; implicit-def: $vgpr51_vgpr52
	s_wait_alu 0xfffe
	s_cbranch_vccnz .LBB155_45
; %bb.69:                               ;   in Loop: Header=BB155_46 Depth=1
	v_lshlrev_b32_e32 v49, 3, v137
	v_lshlrev_b32_e32 v52, 3, v134
	;; [unrolled: 1-line block ×8, first 2 shown]
	s_wait_loadcnt 0x0
	s_barrier_signal -1
	s_barrier_wait -1
	global_inv scope:SCOPE_SE
	ds_store_b64 v49, v[72:73]
	ds_store_b64 v50, v[102:103]
	;; [unrolled: 1-line block ×8, first 2 shown]
	s_wait_loadcnt_dscnt 0x0
	s_barrier_signal -1
	s_barrier_wait -1
	global_inv scope:SCOPE_SE
	ds_load_2addr_b64 v[37:40], v127 offset1:32
	ds_load_2addr_b64 v[41:44], v127 offset0:64 offset1:96
	ds_load_2addr_b64 v[45:48], v127 offset0:128 offset1:160
	;; [unrolled: 1-line block ×3, first 2 shown]
	s_wait_loadcnt_dscnt 0x0
	s_barrier_signal -1
	s_barrier_wait -1
	global_inv scope:SCOPE_SE
	ds_store_b64 v49, v[94:95]
	ds_store_b64 v50, v[92:93]
	;; [unrolled: 1-line block ×8, first 2 shown]
	s_wait_loadcnt_dscnt 0x0
	s_barrier_signal -1
	s_barrier_wait -1
	global_inv scope:SCOPE_SE
	ds_load_2addr_b64 v[49:52], v127 offset1:32
	ds_load_2addr_b64 v[53:56], v127 offset0:64 offset1:96
	ds_load_2addr_b64 v[57:60], v127 offset0:128 offset1:160
	ds_load_2addr_b64 v[61:64], v127 offset0:192 offset1:224
	v_add_co_u32 v70, vcc_lo, v70, 8
	s_wait_alu 0xfffd
	v_add_co_ci_u32_e64 v71, null, 0, v71, vcc_lo
	s_add_co_i32 s20, s20, -8
	s_mov_b32 s18, 0
	s_wait_loadcnt_dscnt 0x0
	s_barrier_signal -1
	s_barrier_wait -1
	global_inv scope:SCOPE_SE
	s_branch .LBB155_45
.LBB155_70:
	s_wait_kmcnt 0x0
	v_mad_co_u64_u32 v[18:19], null, s26, v69, 0
	v_dual_mov_b32 v22, v17 :: v_dual_mov_b32 v23, v17
	v_dual_mov_b32 v24, v17 :: v_dual_mov_b32 v25, v17
	;; [unrolled: 1-line block ×3, first 2 shown]
	s_delay_alu instid0(VALU_DEP_4) | instskip(SKIP_3) | instid1(VALU_DEP_4)
	v_mad_co_u64_u32 v[19:20], null, s27, v69, v[19:20]
	v_dual_mov_b32 v20, v17 :: v_dual_mov_b32 v21, v17
	v_dual_mov_b32 v30, v17 :: v_dual_mov_b32 v31, v17
	v_mov_b32_e32 v32, v17
	v_lshlrev_b64_e32 v[18:19], 3, v[18:19]
	s_delay_alu instid0(VALU_DEP_1) | instskip(SKIP_1) | instid1(VALU_DEP_2)
	v_add_co_u32 v18, vcc_lo, s30, v18
	s_wait_alu 0xfffd
	v_add_co_ci_u32_e64 v19, null, s31, v19, vcc_lo
	global_load_b64 v[27:28], v[18:19], off
	v_dual_mov_b32 v18, v17 :: v_dual_mov_b32 v19, v17
	s_or_b32 exec_lo, exec_lo, s0
	s_and_saveexec_b32 s0, s3
	s_cbranch_execz .LBB155_36
.LBB155_71:
	s_wait_kmcnt 0x0
	v_mad_co_u64_u32 v[17:18], null, s26, v34, 0
	s_delay_alu instid0(VALU_DEP_1) | instskip(NEXT) | instid1(VALU_DEP_1)
	v_mad_co_u64_u32 v[41:42], null, s27, v34, v[18:19]
	v_mov_b32_e32 v18, v41
	s_delay_alu instid0(VALU_DEP_1) | instskip(NEXT) | instid1(VALU_DEP_1)
	v_lshlrev_b64_e32 v[17:18], 3, v[17:18]
	v_add_co_u32 v17, vcc_lo, s30, v17
	s_wait_alu 0xfffd
	s_delay_alu instid0(VALU_DEP_2)
	v_add_co_ci_u32_e64 v18, null, s31, v18, vcc_lo
	global_load_b64 v[17:18], v[17:18], off
	s_or_b32 exec_lo, exec_lo, s0
	s_and_saveexec_b32 s0, s4
	s_cbranch_execz .LBB155_37
.LBB155_72:
	s_wait_kmcnt 0x0
	v_mad_co_u64_u32 v[19:20], null, s26, v35, 0
	s_delay_alu instid0(VALU_DEP_1) | instskip(NEXT) | instid1(VALU_DEP_1)
	v_mad_co_u64_u32 v[34:35], null, s27, v35, v[20:21]
	v_mov_b32_e32 v20, v34
	s_delay_alu instid0(VALU_DEP_1) | instskip(NEXT) | instid1(VALU_DEP_1)
	v_lshlrev_b64_e32 v[19:20], 3, v[19:20]
	v_add_co_u32 v19, vcc_lo, s30, v19
	s_wait_alu 0xfffd
	s_delay_alu instid0(VALU_DEP_2)
	v_add_co_ci_u32_e64 v20, null, s31, v20, vcc_lo
	global_load_b64 v[19:20], v[19:20], off
	s_or_b32 exec_lo, exec_lo, s0
	s_and_saveexec_b32 s0, s5
	s_cbranch_execz .LBB155_38
.LBB155_73:
	s_wait_kmcnt 0x0
	v_mad_co_u64_u32 v[21:22], null, s26, v36, 0
	s_delay_alu instid0(VALU_DEP_1) | instskip(NEXT) | instid1(VALU_DEP_1)
	v_mad_co_u64_u32 v[34:35], null, s27, v36, v[22:23]
	v_mov_b32_e32 v22, v34
	s_delay_alu instid0(VALU_DEP_1) | instskip(NEXT) | instid1(VALU_DEP_1)
	v_lshlrev_b64_e32 v[21:22], 3, v[21:22]
	v_add_co_u32 v21, vcc_lo, s30, v21
	s_wait_alu 0xfffd
	s_delay_alu instid0(VALU_DEP_2)
	v_add_co_ci_u32_e64 v22, null, s31, v22, vcc_lo
	global_load_b64 v[21:22], v[21:22], off
	s_or_b32 exec_lo, exec_lo, s0
	s_and_saveexec_b32 s0, s6
	s_cbranch_execz .LBB155_39
.LBB155_74:
	s_wait_kmcnt 0x0
	v_mad_co_u64_u32 v[23:24], null, s26, v37, 0
	s_delay_alu instid0(VALU_DEP_1) | instskip(NEXT) | instid1(VALU_DEP_1)
	v_mad_co_u64_u32 v[34:35], null, s27, v37, v[24:25]
	v_mov_b32_e32 v24, v34
	s_delay_alu instid0(VALU_DEP_1) | instskip(NEXT) | instid1(VALU_DEP_1)
	v_lshlrev_b64_e32 v[23:24], 3, v[23:24]
	v_add_co_u32 v23, vcc_lo, s30, v23
	s_wait_alu 0xfffd
	s_delay_alu instid0(VALU_DEP_2)
	v_add_co_ci_u32_e64 v24, null, s31, v24, vcc_lo
	global_load_b64 v[23:24], v[23:24], off
	s_or_b32 exec_lo, exec_lo, s0
	s_and_saveexec_b32 s0, s7
	s_cbranch_execz .LBB155_40
.LBB155_75:
	s_wait_kmcnt 0x0
	v_mad_co_u64_u32 v[25:26], null, s26, v38, 0
	s_wait_loadcnt 0x0
	s_delay_alu instid0(VALU_DEP_1) | instskip(NEXT) | instid1(VALU_DEP_1)
	v_mad_co_u64_u32 v[34:35], null, s27, v38, v[26:27]
	v_mov_b32_e32 v26, v34
	s_delay_alu instid0(VALU_DEP_1) | instskip(NEXT) | instid1(VALU_DEP_1)
	v_lshlrev_b64_e32 v[25:26], 3, v[25:26]
	v_add_co_u32 v25, vcc_lo, s30, v25
	s_wait_alu 0xfffd
	s_delay_alu instid0(VALU_DEP_2)
	v_add_co_ci_u32_e64 v26, null, s31, v26, vcc_lo
	global_load_b64 v[25:26], v[25:26], off
	s_or_b32 exec_lo, exec_lo, s0
	s_and_saveexec_b32 s0, s8
	s_cbranch_execz .LBB155_41
.LBB155_76:
	s_wait_kmcnt 0x0
	v_mad_co_u64_u32 v[29:30], null, s26, v39, 0
	s_delay_alu instid0(VALU_DEP_1) | instskip(NEXT) | instid1(VALU_DEP_1)
	v_mad_co_u64_u32 v[34:35], null, s27, v39, v[30:31]
	v_mov_b32_e32 v30, v34
	s_delay_alu instid0(VALU_DEP_1) | instskip(NEXT) | instid1(VALU_DEP_1)
	v_lshlrev_b64_e32 v[29:30], 3, v[29:30]
	v_add_co_u32 v29, vcc_lo, s30, v29
	s_wait_alu 0xfffd
	s_delay_alu instid0(VALU_DEP_2)
	v_add_co_ci_u32_e64 v30, null, s31, v30, vcc_lo
	global_load_b64 v[29:30], v[29:30], off
	s_or_b32 exec_lo, exec_lo, s0
	s_xor_b32 s0, s23, -1
	s_and_saveexec_b32 s1, s9
	s_cbranch_execnz .LBB155_42
	s_branch .LBB155_43
.LBB155_77:
	v_lshlrev_b32_e32 v33, 3, v137
	v_lshlrev_b32_e32 v36, 3, v134
	;; [unrolled: 1-line block ×9, first 2 shown]
	s_wait_loadcnt 0x0
	s_barrier_signal -1
	s_barrier_wait -1
	global_inv scope:SCOPE_SE
	ds_store_b64 v33, v[72:73]
	ds_store_b64 v34, v[102:103]
	ds_store_b64 v35, v[100:101]
	ds_store_b64 v36, v[98:99]
	ds_store_b64 v37, v[96:97]
	ds_store_b64 v38, v[78:79]
	ds_store_b64 v39, v[76:77]
	ds_store_b64 v40, v[74:75]
	s_wait_loadcnt_dscnt 0x0
	s_barrier_signal -1
	s_barrier_wait -1
	global_inv scope:SCOPE_SE
	ds_load_b128 v[49:52], v65
	ds_load_b128 v[53:56], v65 offset:16
	ds_load_b128 v[57:60], v65 offset:32
	ds_load_b128 v[61:64], v65 offset:48
	s_wait_loadcnt_dscnt 0x0
	s_barrier_signal -1
	s_barrier_wait -1
	global_inv scope:SCOPE_SE
	ds_store_b64 v33, v[94:95]
	ds_store_b64 v34, v[92:93]
	;; [unrolled: 1-line block ×8, first 2 shown]
	s_wait_loadcnt_dscnt 0x0
	s_barrier_signal -1
	s_barrier_wait -1
	global_inv scope:SCOPE_SE
	ds_load_b128 v[45:48], v65
	ds_load_b128 v[41:44], v65 offset:16
	ds_load_b128 v[37:40], v65 offset:32
	;; [unrolled: 1-line block ×3, first 2 shown]
	s_mov_b32 s11, 0
	v_xor_b32_e32 v50, 0x80000000, v50
	v_xor_b32_e32 v52, 0x80000000, v52
	;; [unrolled: 1-line block ×8, first 2 shown]
.LBB155_78:
	s_wait_alu 0xfffe
	s_and_b32 vcc_lo, exec_lo, s11
	s_wait_alu 0xfffe
	s_cbranch_vccz .LBB155_106
; %bb.79:
	v_xor_b32_e32 v14, 0x7fffffff, v14
	v_xor_b32_e32 v13, -1, v13
	v_xor_b32_e32 v16, 0x7fffffff, v16
	v_xor_b32_e32 v15, -1, v15
	v_xor_b32_e32 v10, 0x7fffffff, v10
	v_xor_b32_e32 v9, -1, v9
	v_xor_b32_e32 v12, 0x7fffffff, v12
	v_xor_b32_e32 v11, -1, v11
	v_xor_b32_e32 v6, 0x7fffffff, v6
	v_xor_b32_e32 v5, -1, v5
	v_xor_b32_e32 v8, 0x7fffffff, v8
	v_xor_b32_e32 v7, -1, v7
	v_xor_b32_e32 v2, 0x7fffffff, v2
	v_xor_b32_e32 v1, -1, v1
	v_xor_b32_e32 v4, 0x7fffffff, v4
	v_xor_b32_e32 v3, -1, v3
	ds_store_b128 v124, v[13:16]
	ds_store_b128 v124, v[9:12] offset:16
	ds_store_b128 v124, v[5:8] offset:32
	;; [unrolled: 1-line block ×3, first 2 shown]
	; wave barrier
	ds_load_2addr_b64 v[4:7], v123 offset1:32
	ds_load_2addr_b64 v[8:11], v123 offset0:64 offset1:96
	ds_load_2addr_b64 v[12:15], v123 offset0:128 offset1:160
	s_wait_dscnt 0x7
	ds_load_2addr_b64 v[33:36], v123 offset0:192 offset1:224
	; wave barrier
	ds_store_b128 v124, v[21:24]
	ds_store_b128 v124, v[17:20] offset:16
	ds_store_b128 v124, v[29:32] offset:32
	;; [unrolled: 1-line block ×3, first 2 shown]
	; wave barrier
	ds_load_2addr_b64 v[16:19], v123 offset1:32
	ds_load_2addr_b64 v[20:23], v123 offset0:64 offset1:96
	ds_load_2addr_b64 v[24:27], v123 offset0:128 offset1:160
	;; [unrolled: 1-line block ×3, first 2 shown]
	s_wait_loadcnt_dscnt 0x0
	s_barrier_signal -1
	s_barrier_wait -1
	global_inv scope:SCOPE_SE
	s_load_b32 s10, s[34:35], 0xc
	s_getpc_b64 s[0:1]
	s_sext_i32_i16 s1, s1
	s_add_co_u32 s0, s0, _ZN7rocprim17ROCPRIM_400000_NS16block_radix_sortIlLj512ELj8ElLj1ELj1ELj0ELNS0_26block_radix_rank_algorithmE1ELNS0_18block_padding_hintE2ELNS0_4arch9wavefront6targetE0EE19radix_bits_per_passE@rel32@lo+8
	s_add_co_ci_u32 s1, s1, _ZN7rocprim17ROCPRIM_400000_NS16block_radix_sortIlLj512ELj8ElLj1ELj1ELj0ELNS0_26block_radix_rank_algorithmE1ELNS0_18block_padding_hintE2ELNS0_4arch9wavefront6targetE0EE19radix_bits_per_passE@rel32@hi+16
	v_or_b32_e32 v3, 31, v120
	s_load_b32 s19, s[0:1], 0x0
	s_mov_b32 s20, 0
	v_lshl_add_u32 v73, v116, 3, v0
	s_wait_alu 0xfffe
	s_mov_b32 s21, s20
	s_mov_b32 s22, s20
	;; [unrolled: 1-line block ×3, first 2 shown]
	v_cmp_eq_u32_e64 s14, v69, v3
	v_cmp_lt_u32_e64 s1, 1, v118
	v_cmp_lt_u32_e64 s12, 7, v118
	v_mov_b32_e32 v37, 0
	v_cmp_eq_u32_e64 s13, 0, v119
	v_cmp_gt_u32_e64 s15, 16, v69
	v_cmp_lt_u32_e64 s16, 31, v69
	v_cmp_eq_u32_e64 s17, 0, v69
	v_add_nc_u32_e32 v72, -4, v115
	v_dual_mov_b32 v38, 0 :: v_dual_add_nc_u32 v75, v114, v117
	s_wait_kmcnt 0x0
	s_lshr_b32 s11, s10, 16
	s_and_b32 s0, s10, 0xffff
	s_wait_alu 0xfffe
	v_mad_u32_u24 v1, v122, s11, v121
	v_cmp_lt_u32_e64 s11, 3, v118
	s_delay_alu instid0(VALU_DEP_2) | instskip(SKIP_2) | instid1(VALU_DEP_2)
	v_mad_co_u64_u32 v[1:2], null, v1, s0, v[69:70]
	v_sub_co_u32 v2, s10, v116, 1
	v_cmp_eq_u32_e64 s0, 0, v118
	v_cmp_gt_i32_e32 vcc_lo, 0, v2
	s_delay_alu instid0(VALU_DEP_4) | instskip(SKIP_2) | instid1(VALU_DEP_2)
	v_lshrrev_b32_e32 v1, 3, v1
	s_wait_alu 0xfffd
	v_cndmask_b32_e32 v2, v2, v116, vcc_lo
	v_and_b32_e32 v74, 0x1ffffffc, v1
	s_delay_alu instid0(VALU_DEP_2)
	v_lshlrev_b32_e32 v32, 2, v2
	v_dual_mov_b32 v0, s20 :: v_dual_mov_b32 v1, s21
	v_dual_mov_b32 v2, s22 :: v_dual_mov_b32 v3, s23
	s_mov_b32 s20, 64
	s_branch .LBB155_81
.LBB155_80:                             ;   in Loop: Header=BB155_81 Depth=1
	s_wait_alu 0xfffe
	s_and_not1_b32 vcc_lo, exec_lo, s18
	s_wait_alu 0xfffe
	s_cbranch_vccz .LBB155_105
.LBB155_81:                             ; =>This Inner Loop Header: Depth=1
	v_dual_mov_b32 v40, v5 :: v_dual_mov_b32 v39, v4
	s_wait_alu 0xfffe
	s_min_u32 s18, s19, s20
	v_mov_b32_e32 v52, v27
	s_wait_alu 0xfffe
	s_lshl_b32 s18, -1, s18
	v_mov_b32_e32 v60, v19
	v_lshrrev_b64 v[4:5], v37, v[39:40]
	s_wait_alu 0xfffe
	s_not_b32 s21, s18
	v_mov_b32_e32 v50, v29
	v_mov_b32_e32 v54, v25
	;; [unrolled: 1-line block ×3, first 2 shown]
	s_wait_alu 0xfffe
	v_dual_mov_b32 v42, v36 :: v_dual_and_b32 v5, s21, v4
	v_dual_mov_b32 v41, v35 :: v_dual_mov_b32 v44, v34
	v_dual_mov_b32 v43, v33 :: v_dual_mov_b32 v46, v15
	s_delay_alu instid0(VALU_DEP_3) | instskip(SKIP_3) | instid1(VALU_DEP_4)
	v_dual_mov_b32 v45, v14 :: v_dual_and_b32 v4, 1, v5
	v_lshlrev_b32_e32 v14, 30, v5
	v_dual_mov_b32 v64, v13 :: v_dual_lshlrev_b32 v15, 29, v5
	v_mov_b32_e32 v63, v12
	v_add_co_u32 v4, s18, v4, -1
	s_wait_alu 0xf1ff
	v_cndmask_b32_e64 v34, 0, 1, s18
	v_not_b32_e32 v48, v14
	v_dual_mov_b32 v66, v11 :: v_dual_lshlrev_b32 v33, 28, v5
	v_cmp_gt_i32_e64 s18, 0, v14
	s_delay_alu instid0(VALU_DEP_4)
	v_cmp_ne_u32_e32 vcc_lo, 0, v34
	v_not_b32_e32 v14, v15
	v_ashrrev_i32_e32 v48, 31, v48
	v_dual_mov_b32 v68, v9 :: v_dual_lshlrev_b32 v35, 27, v5
	s_wait_alu 0xfffd
	v_xor_b32_e32 v4, vcc_lo, v4
	v_cmp_gt_i32_e32 vcc_lo, 0, v15
	v_not_b32_e32 v15, v33
	v_ashrrev_i32_e32 v14, 31, v14
	s_wait_alu 0xf1ff
	v_xor_b32_e32 v48, s18, v48
	v_dual_mov_b32 v71, v7 :: v_dual_and_b32 v4, exec_lo, v4
	v_dual_mov_b32 v65, v10 :: v_dual_lshlrev_b32 v36, 26, v5
	v_cmp_gt_i32_e64 s18, 0, v33
	v_not_b32_e32 v33, v35
	v_ashrrev_i32_e32 v15, 31, v15
	s_wait_alu 0xfffd
	v_xor_b32_e32 v14, vcc_lo, v14
	v_and_b32_e32 v4, v4, v48
	v_dual_mov_b32 v70, v6 :: v_dual_lshlrev_b32 v47, 25, v5
	v_cmp_gt_i32_e32 vcc_lo, 0, v35
	v_not_b32_e32 v35, v36
	v_ashrrev_i32_e32 v33, 31, v33
	s_wait_alu 0xf1ff
	v_xor_b32_e32 v15, s18, v15
	v_dual_mov_b32 v51, v26 :: v_dual_and_b32 v4, v4, v14
	v_dual_mov_b32 v67, v8 :: v_dual_lshlrev_b32 v34, 24, v5
	v_cmp_gt_i32_e64 s18, 0, v36
	v_not_b32_e32 v14, v47
	v_ashrrev_i32_e32 v35, 31, v35
	s_wait_alu 0xfffd
	v_xor_b32_e32 v33, vcc_lo, v33
	v_and_b32_e32 v4, v4, v15
	v_dual_mov_b32 v56, v23 :: v_dual_lshlrev_b32 v5, 6, v5
	v_cmp_gt_i32_e32 vcc_lo, 0, v47
	v_not_b32_e32 v15, v34
	v_ashrrev_i32_e32 v14, 31, v14
	s_wait_alu 0xf1ff
	v_xor_b32_e32 v35, s18, v35
	v_dual_mov_b32 v55, v22 :: v_dual_and_b32 v4, v4, v33
	v_mov_b32_e32 v59, v18
	v_cmp_gt_i32_e64 s18, 0, v34
	v_ashrrev_i32_e32 v12, 31, v15
	s_wait_alu 0xfffd
	v_xor_b32_e32 v13, vcc_lo, v14
	v_and_b32_e32 v4, v4, v35
	v_dual_mov_b32 v48, v31 :: v_dual_mov_b32 v49, v28
	s_wait_alu 0xf1ff
	v_xor_b32_e32 v6, s18, v12
	v_mov_b32_e32 v58, v21
	v_dual_mov_b32 v47, v30 :: v_dual_and_b32 v4, v4, v13
	v_mov_b32_e32 v53, v24
	v_mov_b32_e32 v57, v20
	;; [unrolled: 1-line block ×3, first 2 shown]
	s_delay_alu instid0(VALU_DEP_4)
	v_and_b32_e32 v4, v4, v6
	v_add_nc_u32_e32 v13, v74, v5
	ds_store_b128 v114, v[0:3] offset:64
	ds_store_b128 v114, v[0:3] offset:80
	s_wait_loadcnt_dscnt 0x0
	s_barrier_signal -1
	v_mbcnt_lo_u32_b32 v12, v4, 0
	v_cmp_ne_u32_e64 s18, 0, v4
	s_barrier_wait -1
	global_inv scope:SCOPE_SE
	v_cmp_eq_u32_e32 vcc_lo, 0, v12
	; wave barrier
	s_and_b32 s22, s18, vcc_lo
	s_wait_alu 0xfffe
	s_and_saveexec_b32 s18, s22
; %bb.82:                               ;   in Loop: Header=BB155_81 Depth=1
	v_bcnt_u32_b32 v4, v4, 0
	ds_store_b32 v13, v4 offset:64
; %bb.83:                               ;   in Loop: Header=BB155_81 Depth=1
	s_wait_alu 0xfffe
	s_or_b32 exec_lo, exec_lo, s18
	v_lshrrev_b64 v[4:5], v37, v[70:71]
	; wave barrier
	s_delay_alu instid0(VALU_DEP_1) | instskip(NEXT) | instid1(VALU_DEP_1)
	v_and_b32_e32 v4, s21, v4
	v_and_b32_e32 v5, 1, v4
	v_lshlrev_b32_e32 v6, 30, v4
	v_lshlrev_b32_e32 v7, 29, v4
	;; [unrolled: 1-line block ×4, first 2 shown]
	v_add_co_u32 v5, s18, v5, -1
	s_wait_alu 0xf1ff
	v_cndmask_b32_e64 v9, 0, 1, s18
	v_not_b32_e32 v15, v6
	v_cmp_gt_i32_e64 s18, 0, v6
	v_not_b32_e32 v6, v7
	v_lshlrev_b32_e32 v11, 26, v4
	v_cmp_ne_u32_e32 vcc_lo, 0, v9
	v_ashrrev_i32_e32 v15, 31, v15
	v_lshlrev_b32_e32 v14, 25, v4
	v_ashrrev_i32_e32 v6, 31, v6
	v_lshlrev_b32_e32 v9, 24, v4
	s_wait_alu 0xfffd
	v_xor_b32_e32 v5, vcc_lo, v5
	v_cmp_gt_i32_e32 vcc_lo, 0, v7
	v_not_b32_e32 v7, v8
	s_wait_alu 0xf1ff
	v_xor_b32_e32 v15, s18, v15
	v_cmp_gt_i32_e64 s18, 0, v8
	v_and_b32_e32 v5, exec_lo, v5
	v_not_b32_e32 v8, v10
	v_ashrrev_i32_e32 v7, 31, v7
	s_wait_alu 0xfffd
	v_xor_b32_e32 v6, vcc_lo, v6
	v_cmp_gt_i32_e32 vcc_lo, 0, v10
	v_and_b32_e32 v5, v5, v15
	v_not_b32_e32 v10, v11
	v_ashrrev_i32_e32 v8, 31, v8
	s_wait_alu 0xf1ff
	v_xor_b32_e32 v7, s18, v7
	v_cmp_gt_i32_e64 s18, 0, v11
	v_and_b32_e32 v5, v5, v6
	v_not_b32_e32 v6, v14
	v_ashrrev_i32_e32 v10, 31, v10
	s_wait_alu 0xfffd
	v_xor_b32_e32 v8, vcc_lo, v8
	v_cmp_gt_i32_e32 vcc_lo, 0, v14
	v_and_b32_e32 v5, v5, v7
	v_not_b32_e32 v7, v9
	v_ashrrev_i32_e32 v6, 31, v6
	s_wait_alu 0xf1ff
	v_xor_b32_e32 v10, s18, v10
	v_lshlrev_b32_e32 v4, 6, v4
	v_and_b32_e32 v5, v5, v8
	v_cmp_gt_i32_e64 s18, 0, v9
	v_ashrrev_i32_e32 v7, 31, v7
	s_wait_alu 0xfffd
	v_xor_b32_e32 v6, vcc_lo, v6
	v_add_nc_u32_e32 v16, v74, v4
	v_and_b32_e32 v5, v5, v10
	s_wait_alu 0xf1ff
	v_xor_b32_e32 v4, s18, v7
	ds_load_b32 v14, v16 offset:64
	v_and_b32_e32 v5, v5, v6
	; wave barrier
	s_delay_alu instid0(VALU_DEP_1) | instskip(NEXT) | instid1(VALU_DEP_1)
	v_and_b32_e32 v4, v5, v4
	v_mbcnt_lo_u32_b32 v15, v4, 0
	v_cmp_ne_u32_e64 s18, 0, v4
	s_delay_alu instid0(VALU_DEP_2)
	v_cmp_eq_u32_e32 vcc_lo, 0, v15
	s_and_b32 s22, s18, vcc_lo
	s_wait_alu 0xfffe
	s_and_saveexec_b32 s18, s22
	s_cbranch_execz .LBB155_85
; %bb.84:                               ;   in Loop: Header=BB155_81 Depth=1
	s_wait_dscnt 0x0
	v_bcnt_u32_b32 v4, v4, v14
	ds_store_b32 v16, v4 offset:64
.LBB155_85:                             ;   in Loop: Header=BB155_81 Depth=1
	s_wait_alu 0xfffe
	s_or_b32 exec_lo, exec_lo, s18
	v_lshrrev_b64 v[4:5], v37, v[67:68]
	; wave barrier
	s_delay_alu instid0(VALU_DEP_1) | instskip(NEXT) | instid1(VALU_DEP_1)
	v_and_b32_e32 v4, s21, v4
	v_and_b32_e32 v5, 1, v4
	v_lshlrev_b32_e32 v6, 30, v4
	v_lshlrev_b32_e32 v7, 29, v4
	;; [unrolled: 1-line block ×4, first 2 shown]
	v_add_co_u32 v5, s18, v5, -1
	s_wait_alu 0xf1ff
	v_cndmask_b32_e64 v9, 0, 1, s18
	v_not_b32_e32 v18, v6
	v_cmp_gt_i32_e64 s18, 0, v6
	v_not_b32_e32 v6, v7
	v_lshlrev_b32_e32 v11, 26, v4
	v_cmp_ne_u32_e32 vcc_lo, 0, v9
	v_ashrrev_i32_e32 v18, 31, v18
	v_lshlrev_b32_e32 v17, 25, v4
	v_ashrrev_i32_e32 v6, 31, v6
	v_lshlrev_b32_e32 v9, 24, v4
	s_wait_alu 0xfffd
	v_xor_b32_e32 v5, vcc_lo, v5
	v_cmp_gt_i32_e32 vcc_lo, 0, v7
	v_not_b32_e32 v7, v8
	s_wait_alu 0xf1ff
	v_xor_b32_e32 v18, s18, v18
	v_cmp_gt_i32_e64 s18, 0, v8
	v_and_b32_e32 v5, exec_lo, v5
	v_not_b32_e32 v8, v10
	v_ashrrev_i32_e32 v7, 31, v7
	s_wait_alu 0xfffd
	v_xor_b32_e32 v6, vcc_lo, v6
	v_cmp_gt_i32_e32 vcc_lo, 0, v10
	v_and_b32_e32 v5, v5, v18
	v_not_b32_e32 v10, v11
	v_ashrrev_i32_e32 v8, 31, v8
	s_wait_alu 0xf1ff
	v_xor_b32_e32 v7, s18, v7
	v_cmp_gt_i32_e64 s18, 0, v11
	v_and_b32_e32 v5, v5, v6
	v_not_b32_e32 v6, v17
	v_ashrrev_i32_e32 v10, 31, v10
	s_wait_alu 0xfffd
	v_xor_b32_e32 v8, vcc_lo, v8
	v_cmp_gt_i32_e32 vcc_lo, 0, v17
	v_and_b32_e32 v5, v5, v7
	v_not_b32_e32 v7, v9
	v_ashrrev_i32_e32 v6, 31, v6
	s_wait_alu 0xf1ff
	v_xor_b32_e32 v10, s18, v10
	v_lshlrev_b32_e32 v4, 6, v4
	v_and_b32_e32 v5, v5, v8
	v_cmp_gt_i32_e64 s18, 0, v9
	v_ashrrev_i32_e32 v7, 31, v7
	s_wait_alu 0xfffd
	v_xor_b32_e32 v6, vcc_lo, v6
	v_add_nc_u32_e32 v19, v74, v4
	v_and_b32_e32 v5, v5, v10
	s_wait_alu 0xf1ff
	v_xor_b32_e32 v4, s18, v7
	ds_load_b32 v17, v19 offset:64
	v_and_b32_e32 v5, v5, v6
	; wave barrier
	s_delay_alu instid0(VALU_DEP_1) | instskip(NEXT) | instid1(VALU_DEP_1)
	v_and_b32_e32 v4, v5, v4
	v_mbcnt_lo_u32_b32 v18, v4, 0
	v_cmp_ne_u32_e64 s18, 0, v4
	s_delay_alu instid0(VALU_DEP_2)
	v_cmp_eq_u32_e32 vcc_lo, 0, v18
	s_and_b32 s22, s18, vcc_lo
	s_wait_alu 0xfffe
	s_and_saveexec_b32 s18, s22
	s_cbranch_execz .LBB155_87
; %bb.86:                               ;   in Loop: Header=BB155_81 Depth=1
	s_wait_dscnt 0x0
	v_bcnt_u32_b32 v4, v4, v17
	ds_store_b32 v19, v4 offset:64
.LBB155_87:                             ;   in Loop: Header=BB155_81 Depth=1
	s_wait_alu 0xfffe
	s_or_b32 exec_lo, exec_lo, s18
	v_lshrrev_b64 v[4:5], v37, v[65:66]
	; wave barrier
	s_delay_alu instid0(VALU_DEP_1) | instskip(NEXT) | instid1(VALU_DEP_1)
	v_and_b32_e32 v4, s21, v4
	v_and_b32_e32 v5, 1, v4
	v_lshlrev_b32_e32 v6, 30, v4
	v_lshlrev_b32_e32 v7, 29, v4
	;; [unrolled: 1-line block ×4, first 2 shown]
	v_add_co_u32 v5, s18, v5, -1
	s_wait_alu 0xf1ff
	v_cndmask_b32_e64 v9, 0, 1, s18
	v_not_b32_e32 v21, v6
	v_cmp_gt_i32_e64 s18, 0, v6
	v_not_b32_e32 v6, v7
	v_lshlrev_b32_e32 v11, 26, v4
	v_cmp_ne_u32_e32 vcc_lo, 0, v9
	v_ashrrev_i32_e32 v21, 31, v21
	v_lshlrev_b32_e32 v20, 25, v4
	v_ashrrev_i32_e32 v6, 31, v6
	v_lshlrev_b32_e32 v9, 24, v4
	s_wait_alu 0xfffd
	v_xor_b32_e32 v5, vcc_lo, v5
	v_cmp_gt_i32_e32 vcc_lo, 0, v7
	v_not_b32_e32 v7, v8
	s_wait_alu 0xf1ff
	v_xor_b32_e32 v21, s18, v21
	v_cmp_gt_i32_e64 s18, 0, v8
	v_and_b32_e32 v5, exec_lo, v5
	v_not_b32_e32 v8, v10
	v_ashrrev_i32_e32 v7, 31, v7
	s_wait_alu 0xfffd
	v_xor_b32_e32 v6, vcc_lo, v6
	v_cmp_gt_i32_e32 vcc_lo, 0, v10
	v_and_b32_e32 v5, v5, v21
	v_not_b32_e32 v10, v11
	v_ashrrev_i32_e32 v8, 31, v8
	s_wait_alu 0xf1ff
	v_xor_b32_e32 v7, s18, v7
	v_cmp_gt_i32_e64 s18, 0, v11
	v_and_b32_e32 v5, v5, v6
	v_not_b32_e32 v6, v20
	v_ashrrev_i32_e32 v10, 31, v10
	s_wait_alu 0xfffd
	v_xor_b32_e32 v8, vcc_lo, v8
	v_cmp_gt_i32_e32 vcc_lo, 0, v20
	v_and_b32_e32 v5, v5, v7
	v_not_b32_e32 v7, v9
	v_ashrrev_i32_e32 v6, 31, v6
	s_wait_alu 0xf1ff
	v_xor_b32_e32 v10, s18, v10
	v_lshlrev_b32_e32 v4, 6, v4
	v_and_b32_e32 v5, v5, v8
	v_cmp_gt_i32_e64 s18, 0, v9
	v_ashrrev_i32_e32 v7, 31, v7
	s_wait_alu 0xfffd
	v_xor_b32_e32 v6, vcc_lo, v6
	v_add_nc_u32_e32 v22, v74, v4
	v_and_b32_e32 v5, v5, v10
	s_wait_alu 0xf1ff
	v_xor_b32_e32 v4, s18, v7
	ds_load_b32 v20, v22 offset:64
	v_and_b32_e32 v5, v5, v6
	; wave barrier
	s_delay_alu instid0(VALU_DEP_1) | instskip(NEXT) | instid1(VALU_DEP_1)
	v_and_b32_e32 v4, v5, v4
	v_mbcnt_lo_u32_b32 v21, v4, 0
	v_cmp_ne_u32_e64 s18, 0, v4
	s_delay_alu instid0(VALU_DEP_2)
	v_cmp_eq_u32_e32 vcc_lo, 0, v21
	s_and_b32 s22, s18, vcc_lo
	s_wait_alu 0xfffe
	s_and_saveexec_b32 s18, s22
	s_cbranch_execz .LBB155_89
; %bb.88:                               ;   in Loop: Header=BB155_81 Depth=1
	s_wait_dscnt 0x0
	v_bcnt_u32_b32 v4, v4, v20
	ds_store_b32 v22, v4 offset:64
.LBB155_89:                             ;   in Loop: Header=BB155_81 Depth=1
	s_wait_alu 0xfffe
	s_or_b32 exec_lo, exec_lo, s18
	v_lshrrev_b64 v[4:5], v37, v[63:64]
	; wave barrier
	s_delay_alu instid0(VALU_DEP_1) | instskip(NEXT) | instid1(VALU_DEP_1)
	v_and_b32_e32 v4, s21, v4
	v_and_b32_e32 v5, 1, v4
	v_lshlrev_b32_e32 v6, 30, v4
	v_lshlrev_b32_e32 v7, 29, v4
	;; [unrolled: 1-line block ×4, first 2 shown]
	v_add_co_u32 v5, s18, v5, -1
	s_wait_alu 0xf1ff
	v_cndmask_b32_e64 v9, 0, 1, s18
	v_not_b32_e32 v24, v6
	v_cmp_gt_i32_e64 s18, 0, v6
	v_not_b32_e32 v6, v7
	v_lshlrev_b32_e32 v11, 26, v4
	v_cmp_ne_u32_e32 vcc_lo, 0, v9
	v_ashrrev_i32_e32 v24, 31, v24
	v_lshlrev_b32_e32 v23, 25, v4
	v_ashrrev_i32_e32 v6, 31, v6
	v_lshlrev_b32_e32 v9, 24, v4
	s_wait_alu 0xfffd
	v_xor_b32_e32 v5, vcc_lo, v5
	v_cmp_gt_i32_e32 vcc_lo, 0, v7
	v_not_b32_e32 v7, v8
	s_wait_alu 0xf1ff
	v_xor_b32_e32 v24, s18, v24
	v_cmp_gt_i32_e64 s18, 0, v8
	v_and_b32_e32 v5, exec_lo, v5
	v_not_b32_e32 v8, v10
	v_ashrrev_i32_e32 v7, 31, v7
	s_wait_alu 0xfffd
	v_xor_b32_e32 v6, vcc_lo, v6
	v_cmp_gt_i32_e32 vcc_lo, 0, v10
	v_and_b32_e32 v5, v5, v24
	v_not_b32_e32 v10, v11
	v_ashrrev_i32_e32 v8, 31, v8
	s_wait_alu 0xf1ff
	v_xor_b32_e32 v7, s18, v7
	v_cmp_gt_i32_e64 s18, 0, v11
	v_and_b32_e32 v5, v5, v6
	v_not_b32_e32 v6, v23
	v_ashrrev_i32_e32 v10, 31, v10
	s_wait_alu 0xfffd
	v_xor_b32_e32 v8, vcc_lo, v8
	v_cmp_gt_i32_e32 vcc_lo, 0, v23
	v_and_b32_e32 v5, v5, v7
	v_not_b32_e32 v7, v9
	v_ashrrev_i32_e32 v6, 31, v6
	s_wait_alu 0xf1ff
	v_xor_b32_e32 v10, s18, v10
	v_lshlrev_b32_e32 v4, 6, v4
	v_and_b32_e32 v5, v5, v8
	v_cmp_gt_i32_e64 s18, 0, v9
	v_ashrrev_i32_e32 v7, 31, v7
	s_wait_alu 0xfffd
	v_xor_b32_e32 v6, vcc_lo, v6
	v_add_nc_u32_e32 v25, v74, v4
	v_and_b32_e32 v5, v5, v10
	s_wait_alu 0xf1ff
	v_xor_b32_e32 v4, s18, v7
	ds_load_b32 v23, v25 offset:64
	v_and_b32_e32 v5, v5, v6
	; wave barrier
	s_delay_alu instid0(VALU_DEP_1) | instskip(NEXT) | instid1(VALU_DEP_1)
	v_and_b32_e32 v4, v5, v4
	v_mbcnt_lo_u32_b32 v24, v4, 0
	v_cmp_ne_u32_e64 s18, 0, v4
	s_delay_alu instid0(VALU_DEP_2)
	v_cmp_eq_u32_e32 vcc_lo, 0, v24
	s_and_b32 s22, s18, vcc_lo
	s_wait_alu 0xfffe
	s_and_saveexec_b32 s18, s22
	s_cbranch_execz .LBB155_91
; %bb.90:                               ;   in Loop: Header=BB155_81 Depth=1
	s_wait_dscnt 0x0
	v_bcnt_u32_b32 v4, v4, v23
	ds_store_b32 v25, v4 offset:64
.LBB155_91:                             ;   in Loop: Header=BB155_81 Depth=1
	s_wait_alu 0xfffe
	s_or_b32 exec_lo, exec_lo, s18
	v_lshrrev_b64 v[4:5], v37, v[45:46]
	; wave barrier
	s_delay_alu instid0(VALU_DEP_1) | instskip(NEXT) | instid1(VALU_DEP_1)
	v_and_b32_e32 v4, s21, v4
	v_and_b32_e32 v5, 1, v4
	v_lshlrev_b32_e32 v6, 30, v4
	v_lshlrev_b32_e32 v7, 29, v4
	;; [unrolled: 1-line block ×4, first 2 shown]
	v_add_co_u32 v5, s18, v5, -1
	s_wait_alu 0xf1ff
	v_cndmask_b32_e64 v9, 0, 1, s18
	v_not_b32_e32 v27, v6
	v_cmp_gt_i32_e64 s18, 0, v6
	v_not_b32_e32 v6, v7
	v_lshlrev_b32_e32 v11, 26, v4
	v_cmp_ne_u32_e32 vcc_lo, 0, v9
	v_ashrrev_i32_e32 v27, 31, v27
	v_lshlrev_b32_e32 v26, 25, v4
	v_ashrrev_i32_e32 v6, 31, v6
	v_lshlrev_b32_e32 v9, 24, v4
	s_wait_alu 0xfffd
	v_xor_b32_e32 v5, vcc_lo, v5
	v_cmp_gt_i32_e32 vcc_lo, 0, v7
	v_not_b32_e32 v7, v8
	s_wait_alu 0xf1ff
	v_xor_b32_e32 v27, s18, v27
	v_cmp_gt_i32_e64 s18, 0, v8
	v_and_b32_e32 v5, exec_lo, v5
	v_not_b32_e32 v8, v10
	v_ashrrev_i32_e32 v7, 31, v7
	s_wait_alu 0xfffd
	v_xor_b32_e32 v6, vcc_lo, v6
	v_cmp_gt_i32_e32 vcc_lo, 0, v10
	v_and_b32_e32 v5, v5, v27
	v_not_b32_e32 v10, v11
	v_ashrrev_i32_e32 v8, 31, v8
	s_wait_alu 0xf1ff
	v_xor_b32_e32 v7, s18, v7
	v_cmp_gt_i32_e64 s18, 0, v11
	v_and_b32_e32 v5, v5, v6
	v_not_b32_e32 v6, v26
	v_ashrrev_i32_e32 v10, 31, v10
	s_wait_alu 0xfffd
	v_xor_b32_e32 v8, vcc_lo, v8
	v_cmp_gt_i32_e32 vcc_lo, 0, v26
	v_and_b32_e32 v5, v5, v7
	v_not_b32_e32 v7, v9
	v_ashrrev_i32_e32 v6, 31, v6
	s_wait_alu 0xf1ff
	v_xor_b32_e32 v10, s18, v10
	v_lshlrev_b32_e32 v4, 6, v4
	v_and_b32_e32 v5, v5, v8
	v_cmp_gt_i32_e64 s18, 0, v9
	v_ashrrev_i32_e32 v7, 31, v7
	s_wait_alu 0xfffd
	v_xor_b32_e32 v6, vcc_lo, v6
	v_add_nc_u32_e32 v28, v74, v4
	v_and_b32_e32 v5, v5, v10
	s_wait_alu 0xf1ff
	v_xor_b32_e32 v4, s18, v7
	ds_load_b32 v26, v28 offset:64
	v_and_b32_e32 v5, v5, v6
	; wave barrier
	s_delay_alu instid0(VALU_DEP_1) | instskip(NEXT) | instid1(VALU_DEP_1)
	v_and_b32_e32 v4, v5, v4
	v_mbcnt_lo_u32_b32 v27, v4, 0
	v_cmp_ne_u32_e64 s18, 0, v4
	s_delay_alu instid0(VALU_DEP_2)
	v_cmp_eq_u32_e32 vcc_lo, 0, v27
	s_and_b32 s22, s18, vcc_lo
	s_wait_alu 0xfffe
	s_and_saveexec_b32 s18, s22
	s_cbranch_execz .LBB155_93
; %bb.92:                               ;   in Loop: Header=BB155_81 Depth=1
	s_wait_dscnt 0x0
	v_bcnt_u32_b32 v4, v4, v26
	ds_store_b32 v28, v4 offset:64
.LBB155_93:                             ;   in Loop: Header=BB155_81 Depth=1
	s_wait_alu 0xfffe
	s_or_b32 exec_lo, exec_lo, s18
	v_lshrrev_b64 v[4:5], v37, v[43:44]
	; wave barrier
	s_delay_alu instid0(VALU_DEP_1) | instskip(NEXT) | instid1(VALU_DEP_1)
	v_and_b32_e32 v4, s21, v4
	v_and_b32_e32 v5, 1, v4
	v_lshlrev_b32_e32 v6, 30, v4
	v_lshlrev_b32_e32 v7, 29, v4
	;; [unrolled: 1-line block ×4, first 2 shown]
	v_add_co_u32 v5, s18, v5, -1
	s_wait_alu 0xf1ff
	v_cndmask_b32_e64 v9, 0, 1, s18
	v_not_b32_e32 v30, v6
	v_cmp_gt_i32_e64 s18, 0, v6
	v_not_b32_e32 v6, v7
	v_lshlrev_b32_e32 v11, 26, v4
	v_cmp_ne_u32_e32 vcc_lo, 0, v9
	v_ashrrev_i32_e32 v30, 31, v30
	v_lshlrev_b32_e32 v29, 25, v4
	v_ashrrev_i32_e32 v6, 31, v6
	v_lshlrev_b32_e32 v9, 24, v4
	s_wait_alu 0xfffd
	v_xor_b32_e32 v5, vcc_lo, v5
	v_cmp_gt_i32_e32 vcc_lo, 0, v7
	v_not_b32_e32 v7, v8
	s_wait_alu 0xf1ff
	v_xor_b32_e32 v30, s18, v30
	v_cmp_gt_i32_e64 s18, 0, v8
	v_and_b32_e32 v5, exec_lo, v5
	v_not_b32_e32 v8, v10
	v_ashrrev_i32_e32 v7, 31, v7
	s_wait_alu 0xfffd
	v_xor_b32_e32 v6, vcc_lo, v6
	v_cmp_gt_i32_e32 vcc_lo, 0, v10
	v_and_b32_e32 v5, v5, v30
	v_not_b32_e32 v10, v11
	v_ashrrev_i32_e32 v8, 31, v8
	s_wait_alu 0xf1ff
	v_xor_b32_e32 v7, s18, v7
	v_cmp_gt_i32_e64 s18, 0, v11
	v_and_b32_e32 v5, v5, v6
	v_not_b32_e32 v6, v29
	v_ashrrev_i32_e32 v10, 31, v10
	s_wait_alu 0xfffd
	v_xor_b32_e32 v8, vcc_lo, v8
	v_cmp_gt_i32_e32 vcc_lo, 0, v29
	v_and_b32_e32 v5, v5, v7
	v_not_b32_e32 v7, v9
	v_ashrrev_i32_e32 v6, 31, v6
	s_wait_alu 0xf1ff
	v_xor_b32_e32 v10, s18, v10
	v_lshlrev_b32_e32 v4, 6, v4
	v_and_b32_e32 v5, v5, v8
	v_cmp_gt_i32_e64 s18, 0, v9
	v_ashrrev_i32_e32 v7, 31, v7
	s_wait_alu 0xfffd
	v_xor_b32_e32 v6, vcc_lo, v6
	v_add_nc_u32_e32 v31, v74, v4
	v_and_b32_e32 v5, v5, v10
	s_wait_alu 0xf1ff
	v_xor_b32_e32 v4, s18, v7
	ds_load_b32 v29, v31 offset:64
	v_and_b32_e32 v5, v5, v6
	; wave barrier
	s_delay_alu instid0(VALU_DEP_1) | instskip(NEXT) | instid1(VALU_DEP_1)
	v_and_b32_e32 v4, v5, v4
	v_mbcnt_lo_u32_b32 v30, v4, 0
	v_cmp_ne_u32_e64 s18, 0, v4
	s_delay_alu instid0(VALU_DEP_2)
	v_cmp_eq_u32_e32 vcc_lo, 0, v30
	s_and_b32 s22, s18, vcc_lo
	s_wait_alu 0xfffe
	s_and_saveexec_b32 s18, s22
	s_cbranch_execz .LBB155_95
; %bb.94:                               ;   in Loop: Header=BB155_81 Depth=1
	s_wait_dscnt 0x0
	v_bcnt_u32_b32 v4, v4, v29
	ds_store_b32 v31, v4 offset:64
.LBB155_95:                             ;   in Loop: Header=BB155_81 Depth=1
	s_wait_alu 0xfffe
	s_or_b32 exec_lo, exec_lo, s18
	v_lshrrev_b64 v[4:5], v37, v[41:42]
	; wave barrier
	s_delay_alu instid0(VALU_DEP_1) | instskip(NEXT) | instid1(VALU_DEP_1)
	v_and_b32_e32 v4, s21, v4
	v_and_b32_e32 v5, 1, v4
	v_lshlrev_b32_e32 v6, 30, v4
	v_lshlrev_b32_e32 v7, 29, v4
	v_lshlrev_b32_e32 v8, 28, v4
	v_lshlrev_b32_e32 v10, 27, v4
	v_add_co_u32 v5, s18, v5, -1
	s_wait_alu 0xf1ff
	v_cndmask_b32_e64 v9, 0, 1, s18
	v_not_b32_e32 v34, v6
	v_cmp_gt_i32_e64 s18, 0, v6
	v_not_b32_e32 v6, v7
	v_lshlrev_b32_e32 v11, 26, v4
	v_cmp_ne_u32_e32 vcc_lo, 0, v9
	v_ashrrev_i32_e32 v34, 31, v34
	v_lshlrev_b32_e32 v33, 25, v4
	v_ashrrev_i32_e32 v6, 31, v6
	v_lshlrev_b32_e32 v9, 24, v4
	s_wait_alu 0xfffd
	v_xor_b32_e32 v5, vcc_lo, v5
	v_cmp_gt_i32_e32 vcc_lo, 0, v7
	v_not_b32_e32 v7, v8
	s_wait_alu 0xf1ff
	v_xor_b32_e32 v34, s18, v34
	v_cmp_gt_i32_e64 s18, 0, v8
	v_and_b32_e32 v5, exec_lo, v5
	v_not_b32_e32 v8, v10
	v_ashrrev_i32_e32 v7, 31, v7
	s_wait_alu 0xfffd
	v_xor_b32_e32 v6, vcc_lo, v6
	v_cmp_gt_i32_e32 vcc_lo, 0, v10
	v_and_b32_e32 v5, v5, v34
	v_not_b32_e32 v10, v11
	v_ashrrev_i32_e32 v8, 31, v8
	s_wait_alu 0xf1ff
	v_xor_b32_e32 v7, s18, v7
	v_cmp_gt_i32_e64 s18, 0, v11
	v_and_b32_e32 v5, v5, v6
	v_not_b32_e32 v6, v33
	v_ashrrev_i32_e32 v10, 31, v10
	s_wait_alu 0xfffd
	v_xor_b32_e32 v8, vcc_lo, v8
	v_cmp_gt_i32_e32 vcc_lo, 0, v33
	v_and_b32_e32 v5, v5, v7
	v_not_b32_e32 v7, v9
	v_ashrrev_i32_e32 v6, 31, v6
	s_wait_alu 0xf1ff
	v_xor_b32_e32 v10, s18, v10
	v_lshlrev_b32_e32 v4, 6, v4
	v_and_b32_e32 v5, v5, v8
	v_cmp_gt_i32_e64 s18, 0, v9
	v_ashrrev_i32_e32 v7, 31, v7
	s_wait_alu 0xfffd
	v_xor_b32_e32 v6, vcc_lo, v6
	v_add_nc_u32_e32 v35, v74, v4
	v_and_b32_e32 v5, v5, v10
	s_wait_alu 0xf1ff
	v_xor_b32_e32 v4, s18, v7
	ds_load_b32 v33, v35 offset:64
	v_and_b32_e32 v5, v5, v6
	; wave barrier
	s_delay_alu instid0(VALU_DEP_1) | instskip(NEXT) | instid1(VALU_DEP_1)
	v_and_b32_e32 v4, v5, v4
	v_mbcnt_lo_u32_b32 v34, v4, 0
	v_cmp_ne_u32_e64 s18, 0, v4
	s_delay_alu instid0(VALU_DEP_2)
	v_cmp_eq_u32_e32 vcc_lo, 0, v34
	s_and_b32 s21, s18, vcc_lo
	s_wait_alu 0xfffe
	s_and_saveexec_b32 s18, s21
	s_cbranch_execz .LBB155_97
; %bb.96:                               ;   in Loop: Header=BB155_81 Depth=1
	s_wait_dscnt 0x0
	v_bcnt_u32_b32 v4, v4, v33
	ds_store_b32 v35, v4 offset:64
.LBB155_97:                             ;   in Loop: Header=BB155_81 Depth=1
	s_wait_alu 0xfffe
	s_or_b32 exec_lo, exec_lo, s18
	; wave barrier
	s_wait_loadcnt_dscnt 0x0
	s_barrier_signal -1
	s_barrier_wait -1
	global_inv scope:SCOPE_SE
	ds_load_b128 v[8:11], v114 offset:64
	ds_load_b128 v[4:7], v114 offset:80
	s_wait_dscnt 0x1
	v_add_nc_u32_e32 v36, v9, v8
	s_delay_alu instid0(VALU_DEP_1) | instskip(SKIP_1) | instid1(VALU_DEP_1)
	v_add3_u32 v36, v36, v10, v11
	s_wait_dscnt 0x0
	v_add3_u32 v36, v36, v4, v5
	s_delay_alu instid0(VALU_DEP_1) | instskip(NEXT) | instid1(VALU_DEP_1)
	v_add3_u32 v7, v36, v6, v7
	v_mov_b32_dpp v36, v7 row_shr:1 row_mask:0xf bank_mask:0xf
	s_delay_alu instid0(VALU_DEP_1) | instskip(NEXT) | instid1(VALU_DEP_1)
	v_cndmask_b32_e64 v36, v36, 0, s0
	v_add_nc_u32_e32 v7, v36, v7
	s_delay_alu instid0(VALU_DEP_1) | instskip(NEXT) | instid1(VALU_DEP_1)
	v_mov_b32_dpp v36, v7 row_shr:2 row_mask:0xf bank_mask:0xf
	v_cndmask_b32_e64 v36, 0, v36, s1
	s_delay_alu instid0(VALU_DEP_1) | instskip(NEXT) | instid1(VALU_DEP_1)
	v_add_nc_u32_e32 v7, v7, v36
	v_mov_b32_dpp v36, v7 row_shr:4 row_mask:0xf bank_mask:0xf
	s_delay_alu instid0(VALU_DEP_1) | instskip(NEXT) | instid1(VALU_DEP_1)
	v_cndmask_b32_e64 v36, 0, v36, s11
	v_add_nc_u32_e32 v7, v7, v36
	s_delay_alu instid0(VALU_DEP_1) | instskip(NEXT) | instid1(VALU_DEP_1)
	v_mov_b32_dpp v36, v7 row_shr:8 row_mask:0xf bank_mask:0xf
	v_cndmask_b32_e64 v36, 0, v36, s12
	s_delay_alu instid0(VALU_DEP_1) | instskip(SKIP_3) | instid1(VALU_DEP_1)
	v_add_nc_u32_e32 v7, v7, v36
	ds_swizzle_b32 v36, v7 offset:swizzle(BROADCAST,32,15)
	s_wait_dscnt 0x0
	v_cndmask_b32_e64 v36, v36, 0, s13
	v_add_nc_u32_e32 v7, v7, v36
	s_and_saveexec_b32 s18, s14
; %bb.98:                               ;   in Loop: Header=BB155_81 Depth=1
	ds_store_b32 v115, v7
; %bb.99:                               ;   in Loop: Header=BB155_81 Depth=1
	s_wait_alu 0xfffe
	s_or_b32 exec_lo, exec_lo, s18
	s_wait_loadcnt_dscnt 0x0
	s_barrier_signal -1
	s_barrier_wait -1
	global_inv scope:SCOPE_SE
	s_and_saveexec_b32 s18, s15
	s_cbranch_execz .LBB155_101
; %bb.100:                              ;   in Loop: Header=BB155_81 Depth=1
	ds_load_b32 v36, v75
	s_wait_dscnt 0x0
	v_mov_b32_dpp v76, v36 row_shr:1 row_mask:0xf bank_mask:0xf
	s_delay_alu instid0(VALU_DEP_1) | instskip(NEXT) | instid1(VALU_DEP_1)
	v_cndmask_b32_e64 v76, v76, 0, s0
	v_add_nc_u32_e32 v36, v76, v36
	s_delay_alu instid0(VALU_DEP_1) | instskip(NEXT) | instid1(VALU_DEP_1)
	v_mov_b32_dpp v76, v36 row_shr:2 row_mask:0xf bank_mask:0xf
	v_cndmask_b32_e64 v76, 0, v76, s1
	s_delay_alu instid0(VALU_DEP_1) | instskip(NEXT) | instid1(VALU_DEP_1)
	v_add_nc_u32_e32 v36, v36, v76
	v_mov_b32_dpp v76, v36 row_shr:4 row_mask:0xf bank_mask:0xf
	s_delay_alu instid0(VALU_DEP_1) | instskip(NEXT) | instid1(VALU_DEP_1)
	v_cndmask_b32_e64 v76, 0, v76, s11
	v_add_nc_u32_e32 v36, v36, v76
	s_delay_alu instid0(VALU_DEP_1) | instskip(NEXT) | instid1(VALU_DEP_1)
	v_mov_b32_dpp v76, v36 row_shr:8 row_mask:0xf bank_mask:0xf
	v_cndmask_b32_e64 v76, 0, v76, s12
	s_delay_alu instid0(VALU_DEP_1)
	v_add_nc_u32_e32 v36, v36, v76
	ds_store_b32 v75, v36
.LBB155_101:                            ;   in Loop: Header=BB155_81 Depth=1
	s_wait_alu 0xfffe
	s_or_b32 exec_lo, exec_lo, s18
	v_mov_b32_e32 v36, 0
	s_wait_loadcnt_dscnt 0x0
	s_barrier_signal -1
	s_barrier_wait -1
	global_inv scope:SCOPE_SE
	s_and_saveexec_b32 s18, s16
; %bb.102:                              ;   in Loop: Header=BB155_81 Depth=1
	ds_load_b32 v36, v72
; %bb.103:                              ;   in Loop: Header=BB155_81 Depth=1
	s_wait_alu 0xfffe
	s_or_b32 exec_lo, exec_lo, s18
	s_wait_dscnt 0x0
	v_add_nc_u32_e32 v7, v36, v7
	v_cmp_lt_u32_e32 vcc_lo, 55, v37
	s_mov_b32 s18, -1
	ds_bpermute_b32 v7, v32, v7
	s_and_b32 vcc_lo, exec_lo, vcc_lo
	s_wait_dscnt 0x0
	v_cndmask_b32_e64 v7, v7, v36, s10
	s_delay_alu instid0(VALU_DEP_1) | instskip(NEXT) | instid1(VALU_DEP_1)
	v_cndmask_b32_e64 v7, v7, 0, s17
	v_add_nc_u32_e32 v8, v7, v8
	s_delay_alu instid0(VALU_DEP_1) | instskip(NEXT) | instid1(VALU_DEP_1)
	v_add_nc_u32_e32 v9, v8, v9
	v_add_nc_u32_e32 v10, v9, v10
	s_delay_alu instid0(VALU_DEP_1) | instskip(NEXT) | instid1(VALU_DEP_1)
	v_add_nc_u32_e32 v76, v10, v11
	;; [unrolled: 3-line block ×3, first 2 shown]
	v_add_nc_u32_e32 v79, v78, v6
	ds_store_b128 v114, v[7:10] offset:64
	ds_store_b128 v114, v[76:79] offset:80
	s_wait_loadcnt_dscnt 0x0
	s_barrier_signal -1
	s_barrier_wait -1
	global_inv scope:SCOPE_SE
	ds_load_b32 v4, v13 offset:64
	ds_load_b32 v5, v16 offset:64
	;; [unrolled: 1-line block ×8, first 2 shown]
	s_wait_dscnt 0x7
	v_add_nc_u32_e32 v83, v4, v12
	s_wait_dscnt 0x6
	v_add3_u32 v82, v15, v14, v5
	s_wait_dscnt 0x5
	v_add3_u32 v81, v18, v17, v6
	;; [unrolled: 2-line block ×7, first 2 shown]
                                        ; implicit-def: $vgpr35_vgpr36
                                        ; implicit-def: $vgpr14_vgpr15
                                        ; implicit-def: $vgpr10_vgpr11
                                        ; implicit-def: $vgpr6_vgpr7
                                        ; implicit-def: $vgpr30_vgpr31
                                        ; implicit-def: $vgpr26_vgpr27
                                        ; implicit-def: $vgpr22_vgpr23
                                        ; implicit-def: $vgpr18_vgpr19
	s_wait_alu 0xfffe
	s_cbranch_vccnz .LBB155_80
; %bb.104:                              ;   in Loop: Header=BB155_81 Depth=1
	v_lshlrev_b32_e32 v16, 3, v83
	v_lshlrev_b32_e32 v19, 3, v80
	;; [unrolled: 1-line block ×8, first 2 shown]
	s_wait_loadcnt 0x0
	s_barrier_signal -1
	s_barrier_wait -1
	global_inv scope:SCOPE_SE
	ds_store_b64 v16, v[39:40]
	ds_store_b64 v17, v[70:71]
	;; [unrolled: 1-line block ×8, first 2 shown]
	s_wait_loadcnt_dscnt 0x0
	s_barrier_signal -1
	s_barrier_wait -1
	global_inv scope:SCOPE_SE
	ds_load_2addr_b64 v[4:7], v73 offset1:32
	ds_load_2addr_b64 v[8:11], v73 offset0:64 offset1:96
	ds_load_2addr_b64 v[12:15], v73 offset0:128 offset1:160
	;; [unrolled: 1-line block ×3, first 2 shown]
	s_wait_loadcnt_dscnt 0x0
	s_barrier_signal -1
	s_barrier_wait -1
	global_inv scope:SCOPE_SE
	ds_store_b64 v16, v[61:62]
	ds_store_b64 v17, v[59:60]
	;; [unrolled: 1-line block ×8, first 2 shown]
	s_wait_loadcnt_dscnt 0x0
	s_barrier_signal -1
	s_barrier_wait -1
	global_inv scope:SCOPE_SE
	ds_load_2addr_b64 v[16:19], v73 offset1:32
	ds_load_2addr_b64 v[20:23], v73 offset0:64 offset1:96
	ds_load_2addr_b64 v[24:27], v73 offset0:128 offset1:160
	;; [unrolled: 1-line block ×3, first 2 shown]
	v_add_co_u32 v37, vcc_lo, v37, 8
	s_wait_alu 0xfffd
	v_add_co_ci_u32_e64 v38, null, 0, v38, vcc_lo
	s_add_co_i32 s20, s20, -8
	s_mov_b32 s18, 0
	s_wait_loadcnt_dscnt 0x0
	s_barrier_signal -1
	s_barrier_wait -1
	global_inv scope:SCOPE_SE
	s_branch .LBB155_80
.LBB155_105:
	v_lshlrev_b32_e32 v16, 3, v83
	v_lshlrev_b32_e32 v19, 3, v80
	;; [unrolled: 1-line block ×9, first 2 shown]
	s_wait_loadcnt 0x0
	s_barrier_signal -1
	s_barrier_wait -1
	global_inv scope:SCOPE_SE
	ds_store_b64 v16, v[39:40]
	ds_store_b64 v17, v[70:71]
	;; [unrolled: 1-line block ×8, first 2 shown]
	s_wait_loadcnt_dscnt 0x0
	s_barrier_signal -1
	s_barrier_wait -1
	global_inv scope:SCOPE_SE
	ds_load_b128 v[0:3], v24
	ds_load_b128 v[4:7], v24 offset:16
	ds_load_b128 v[8:11], v24 offset:32
	;; [unrolled: 1-line block ×3, first 2 shown]
	s_wait_loadcnt_dscnt 0x0
	s_barrier_signal -1
	s_barrier_wait -1
	global_inv scope:SCOPE_SE
	ds_store_b64 v16, v[61:62]
	ds_store_b64 v17, v[59:60]
	;; [unrolled: 1-line block ×8, first 2 shown]
	s_wait_loadcnt_dscnt 0x0
	s_barrier_signal -1
	s_barrier_wait -1
	global_inv scope:SCOPE_SE
	ds_load_b128 v[45:48], v24
	ds_load_b128 v[41:44], v24 offset:16
	ds_load_b128 v[37:40], v24 offset:32
	;; [unrolled: 1-line block ×3, first 2 shown]
	v_xor_b32_e32 v50, 0x7fffffff, v1
	v_xor_b32_e32 v49, -1, v0
	v_xor_b32_e32 v52, 0x7fffffff, v3
	v_xor_b32_e32 v51, -1, v2
	;; [unrolled: 2-line block ×8, first 2 shown]
.LBB155_106:
	v_mad_co_u64_u32 v[2:3], null, s24, v69, 0
	s_wait_loadcnt_dscnt 0x0
	s_barrier_signal -1
	s_barrier_wait -1
	global_inv scope:SCOPE_SE
	ds_store_2addr_b64 v112, v[49:50], v[51:52] offset1:1
	ds_store_2addr_b64 v112, v[53:54], v[55:56] offset0:2 offset1:3
	ds_store_2addr_b64 v112, v[57:58], v[59:60] offset0:4 offset1:5
	ds_store_2addr_b64 v112, v[61:62], v[63:64] offset0:6 offset1:7
	s_wait_loadcnt_dscnt 0x0
	v_mov_b32_e32 v0, v3
	s_barrier_signal -1
	s_barrier_wait -1
	global_inv scope:SCOPE_SE
	v_mad_co_u64_u32 v[3:4], null, s25, v69, v[0:1]
	ds_load_b64 v[14:15], v105 offset:4096
	ds_load_b64 v[12:13], v106 offset:8192
	;; [unrolled: 1-line block ×7, first 2 shown]
	v_lshlrev_b64_e32 v[2:3], 3, v[2:3]
	s_delay_alu instid0(VALU_DEP_1) | instskip(SKIP_1) | instid1(VALU_DEP_2)
	v_add_co_u32 v2, vcc_lo, s28, v2
	s_wait_alu 0xfffd
	v_add_co_ci_u32_e64 v3, null, s29, v3, vcc_lo
	s_and_saveexec_b32 s0, s2
	s_cbranch_execnz .LBB155_125
; %bb.107:
	s_wait_alu 0xfffe
	s_or_b32 exec_lo, exec_lo, s0
	s_and_saveexec_b32 s0, s3
	s_cbranch_execnz .LBB155_126
.LBB155_108:
	s_wait_alu 0xfffe
	s_or_b32 exec_lo, exec_lo, s0
	s_and_saveexec_b32 s0, s4
	s_cbranch_execnz .LBB155_127
.LBB155_109:
	s_wait_alu 0xfffe
	s_or_b32 exec_lo, exec_lo, s0
	s_and_saveexec_b32 s0, s5
	s_cbranch_execnz .LBB155_128
.LBB155_110:
	s_wait_alu 0xfffe
	s_or_b32 exec_lo, exec_lo, s0
	s_and_saveexec_b32 s0, s6
	s_cbranch_execnz .LBB155_129
.LBB155_111:
	s_wait_alu 0xfffe
	s_or_b32 exec_lo, exec_lo, s0
	s_and_saveexec_b32 s0, s7
	s_cbranch_execnz .LBB155_130
.LBB155_112:
	s_wait_alu 0xfffe
	s_or_b32 exec_lo, exec_lo, s0
	s_and_saveexec_b32 s0, s8
	s_cbranch_execnz .LBB155_131
.LBB155_113:
	s_wait_alu 0xfffe
	s_or_b32 exec_lo, exec_lo, s0
	s_and_saveexec_b32 s0, s9
	s_cbranch_execz .LBB155_115
.LBB155_114:
	v_mad_co_u64_u32 v[2:3], null, 0x7000, s24, v[2:3]
	s_wait_dscnt 0x1
	s_delay_alu instid0(VALU_DEP_1)
	v_mad_co_u64_u32 v[3:4], null, 0x7000, s25, v[3:4]
	s_wait_dscnt 0x0
	global_store_b64 v[2:3], v[0:1], off
.LBB155_115:
	s_wait_alu 0xfffe
	s_or_b32 exec_lo, exec_lo, s0
	s_wait_kmcnt 0x0
	v_mad_co_u64_u32 v[2:3], null, s26, v69, 0
	s_wait_storecnt 0x0
	s_wait_loadcnt_dscnt 0x0
	s_barrier_signal -1
	s_barrier_wait -1
	global_inv scope:SCOPE_SE
	ds_store_2addr_b64 v112, v[45:46], v[47:48] offset1:1
	ds_store_2addr_b64 v112, v[41:42], v[43:44] offset0:2 offset1:3
	ds_store_2addr_b64 v112, v[37:38], v[39:40] offset0:4 offset1:5
	;; [unrolled: 1-line block ×3, first 2 shown]
	s_wait_loadcnt_dscnt 0x0
	v_mov_b32_e32 v0, v3
	s_barrier_signal -1
	s_barrier_wait -1
	global_inv scope:SCOPE_SE
	v_mad_co_u64_u32 v[3:4], null, s27, v69, v[0:1]
	ds_load_b64 v[14:15], v105 offset:4096
	ds_load_b64 v[12:13], v106 offset:8192
	;; [unrolled: 1-line block ×7, first 2 shown]
	v_lshlrev_b64_e32 v[2:3], 3, v[2:3]
	s_delay_alu instid0(VALU_DEP_1) | instskip(SKIP_1) | instid1(VALU_DEP_2)
	v_add_co_u32 v2, vcc_lo, s30, v2
	s_wait_alu 0xfffd
	v_add_co_ci_u32_e64 v3, null, s31, v3, vcc_lo
	s_and_saveexec_b32 s0, s2
	s_cbranch_execnz .LBB155_132
; %bb.116:
	s_wait_alu 0xfffe
	s_or_b32 exec_lo, exec_lo, s0
	s_and_saveexec_b32 s0, s3
	s_cbranch_execnz .LBB155_133
.LBB155_117:
	s_wait_alu 0xfffe
	s_or_b32 exec_lo, exec_lo, s0
	s_and_saveexec_b32 s0, s4
	s_cbranch_execnz .LBB155_134
.LBB155_118:
	s_wait_alu 0xfffe
	s_or_b32 exec_lo, exec_lo, s0
	s_and_saveexec_b32 s0, s5
	s_cbranch_execnz .LBB155_135
.LBB155_119:
	s_wait_alu 0xfffe
	s_or_b32 exec_lo, exec_lo, s0
	s_and_saveexec_b32 s0, s6
	s_cbranch_execnz .LBB155_136
.LBB155_120:
	s_wait_alu 0xfffe
	s_or_b32 exec_lo, exec_lo, s0
	s_and_saveexec_b32 s0, s7
	s_cbranch_execnz .LBB155_137
.LBB155_121:
	s_wait_alu 0xfffe
	s_or_b32 exec_lo, exec_lo, s0
	s_and_saveexec_b32 s0, s8
	s_cbranch_execnz .LBB155_138
.LBB155_122:
	s_wait_alu 0xfffe
	s_or_b32 exec_lo, exec_lo, s0
	s_and_saveexec_b32 s0, s9
	s_cbranch_execz .LBB155_124
.LBB155_123:
	v_mad_co_u64_u32 v[2:3], null, 0x7000, s26, v[2:3]
	s_wait_dscnt 0x1
	s_delay_alu instid0(VALU_DEP_1)
	v_mad_co_u64_u32 v[3:4], null, 0x7000, s27, v[3:4]
	s_wait_dscnt 0x0
	global_store_b64 v[2:3], v[0:1], off
.LBB155_124:
	s_nop 0
	s_sendmsg sendmsg(MSG_DEALLOC_VGPRS)
	s_endpgm
.LBB155_125:
	ds_load_b64 v[16:17], v104
	s_wait_dscnt 0x0
	global_store_b64 v[2:3], v[16:17], off
	s_wait_alu 0xfffe
	s_or_b32 exec_lo, exec_lo, s0
	s_and_saveexec_b32 s0, s3
	s_cbranch_execz .LBB155_108
.LBB155_126:
	s_lshl_b64 s[10:11], s[24:25], 12
	s_wait_alu 0xfffe
	v_add_co_u32 v16, vcc_lo, v2, s10
	s_wait_alu 0xfffd
	v_add_co_ci_u32_e64 v17, null, s11, v3, vcc_lo
	s_wait_dscnt 0x6
	global_store_b64 v[16:17], v[14:15], off
	s_or_b32 exec_lo, exec_lo, s0
	s_and_saveexec_b32 s0, s4
	s_cbranch_execz .LBB155_109
.LBB155_127:
	s_lshl_b64 s[10:11], s[24:25], 13
	s_wait_dscnt 0x6
	s_wait_alu 0xfffe
	v_add_co_u32 v14, vcc_lo, v2, s10
	s_wait_alu 0xfffd
	v_add_co_ci_u32_e64 v15, null, s11, v3, vcc_lo
	s_wait_dscnt 0x5
	global_store_b64 v[14:15], v[12:13], off
	s_or_b32 exec_lo, exec_lo, s0
	s_and_saveexec_b32 s0, s5
	s_cbranch_execz .LBB155_110
.LBB155_128:
	s_wait_dscnt 0x5
	v_mad_co_u64_u32 v[12:13], null, 0x3000, s24, v[2:3]
	s_delay_alu instid0(VALU_DEP_1)
	v_mad_co_u64_u32 v[13:14], null, 0x3000, s25, v[13:14]
	s_wait_dscnt 0x4
	global_store_b64 v[12:13], v[10:11], off
	s_wait_alu 0xfffe
	s_or_b32 exec_lo, exec_lo, s0
	s_and_saveexec_b32 s0, s6
	s_cbranch_execz .LBB155_111
.LBB155_129:
	s_lshl_b64 s[10:11], s[24:25], 14
	s_wait_dscnt 0x4
	s_wait_alu 0xfffe
	v_add_co_u32 v10, vcc_lo, v2, s10
	s_wait_alu 0xfffd
	v_add_co_ci_u32_e64 v11, null, s11, v3, vcc_lo
	s_wait_dscnt 0x3
	global_store_b64 v[10:11], v[8:9], off
	s_or_b32 exec_lo, exec_lo, s0
	s_and_saveexec_b32 s0, s7
	s_cbranch_execz .LBB155_112
.LBB155_130:
	s_wait_dscnt 0x3
	v_mad_co_u64_u32 v[8:9], null, 0x5000, s24, v[2:3]
	s_delay_alu instid0(VALU_DEP_1)
	v_mad_co_u64_u32 v[9:10], null, 0x5000, s25, v[9:10]
	s_wait_dscnt 0x2
	global_store_b64 v[8:9], v[6:7], off
	s_wait_alu 0xfffe
	s_or_b32 exec_lo, exec_lo, s0
	s_and_saveexec_b32 s0, s8
	s_cbranch_execz .LBB155_113
.LBB155_131:
	s_wait_dscnt 0x2
	v_mad_co_u64_u32 v[6:7], null, 0x6000, s24, v[2:3]
	s_delay_alu instid0(VALU_DEP_1)
	v_mad_co_u64_u32 v[7:8], null, 0x6000, s25, v[7:8]
	s_wait_dscnt 0x1
	global_store_b64 v[6:7], v[4:5], off
	s_wait_alu 0xfffe
	s_or_b32 exec_lo, exec_lo, s0
	s_and_saveexec_b32 s0, s9
	s_cbranch_execnz .LBB155_114
	s_branch .LBB155_115
.LBB155_132:
	ds_load_b64 v[16:17], v104
	s_wait_dscnt 0x0
	global_store_b64 v[2:3], v[16:17], off
	s_wait_alu 0xfffe
	s_or_b32 exec_lo, exec_lo, s0
	s_and_saveexec_b32 s0, s3
	s_cbranch_execz .LBB155_117
.LBB155_133:
	s_lshl_b64 s[2:3], s[26:27], 12
	s_delay_alu instid0(SALU_CYCLE_1)
	v_add_co_u32 v16, vcc_lo, v2, s2
	s_wait_alu 0xfffd
	v_add_co_ci_u32_e64 v17, null, s3, v3, vcc_lo
	s_wait_dscnt 0x6
	global_store_b64 v[16:17], v[14:15], off
	s_wait_alu 0xfffe
	s_or_b32 exec_lo, exec_lo, s0
	s_and_saveexec_b32 s0, s4
	s_cbranch_execz .LBB155_118
.LBB155_134:
	s_lshl_b64 s[2:3], s[26:27], 13
	s_wait_dscnt 0x6
	s_wait_alu 0xfffe
	v_add_co_u32 v14, vcc_lo, v2, s2
	s_wait_alu 0xfffd
	v_add_co_ci_u32_e64 v15, null, s3, v3, vcc_lo
	s_wait_dscnt 0x5
	global_store_b64 v[14:15], v[12:13], off
	s_or_b32 exec_lo, exec_lo, s0
	s_and_saveexec_b32 s0, s5
	s_cbranch_execz .LBB155_119
.LBB155_135:
	s_wait_dscnt 0x5
	v_mad_co_u64_u32 v[12:13], null, 0x3000, s26, v[2:3]
	s_delay_alu instid0(VALU_DEP_1)
	v_mad_co_u64_u32 v[13:14], null, 0x3000, s27, v[13:14]
	s_wait_dscnt 0x4
	global_store_b64 v[12:13], v[10:11], off
	s_wait_alu 0xfffe
	s_or_b32 exec_lo, exec_lo, s0
	s_and_saveexec_b32 s0, s6
	s_cbranch_execz .LBB155_120
.LBB155_136:
	s_lshl_b64 s[2:3], s[26:27], 14
	s_wait_dscnt 0x4
	s_wait_alu 0xfffe
	v_add_co_u32 v10, vcc_lo, v2, s2
	s_wait_alu 0xfffd
	v_add_co_ci_u32_e64 v11, null, s3, v3, vcc_lo
	s_wait_dscnt 0x3
	global_store_b64 v[10:11], v[8:9], off
	s_or_b32 exec_lo, exec_lo, s0
	s_and_saveexec_b32 s0, s7
	s_cbranch_execz .LBB155_121
.LBB155_137:
	s_wait_dscnt 0x3
	v_mad_co_u64_u32 v[8:9], null, 0x5000, s26, v[2:3]
	s_delay_alu instid0(VALU_DEP_1)
	v_mad_co_u64_u32 v[9:10], null, 0x5000, s27, v[9:10]
	s_wait_dscnt 0x2
	global_store_b64 v[8:9], v[6:7], off
	s_wait_alu 0xfffe
	s_or_b32 exec_lo, exec_lo, s0
	s_and_saveexec_b32 s0, s8
	s_cbranch_execz .LBB155_122
.LBB155_138:
	s_wait_dscnt 0x2
	v_mad_co_u64_u32 v[6:7], null, 0x6000, s26, v[2:3]
	s_delay_alu instid0(VALU_DEP_1)
	v_mad_co_u64_u32 v[7:8], null, 0x6000, s27, v[7:8]
	s_wait_dscnt 0x1
	global_store_b64 v[6:7], v[4:5], off
	s_wait_alu 0xfffe
	s_or_b32 exec_lo, exec_lo, s0
	s_and_saveexec_b32 s0, s9
	s_cbranch_execnz .LBB155_123
	s_branch .LBB155_124
	.section	.rodata,"a",@progbits
	.p2align	6, 0x0
	.amdhsa_kernel _ZN2at6native18radixSortKVInPlaceILin1ELin1ELi512ELi8EllmEEvNS_4cuda6detail10TensorInfoIT3_T5_EES6_S6_S6_NS4_IT4_S6_EES6_b
		.amdhsa_group_segment_fixed_size 33792
		.amdhsa_private_segment_fixed_size 0
		.amdhsa_kernarg_size 1128
		.amdhsa_user_sgpr_count 2
		.amdhsa_user_sgpr_dispatch_ptr 0
		.amdhsa_user_sgpr_queue_ptr 0
		.amdhsa_user_sgpr_kernarg_segment_ptr 1
		.amdhsa_user_sgpr_dispatch_id 0
		.amdhsa_user_sgpr_private_segment_size 0
		.amdhsa_wavefront_size32 1
		.amdhsa_uses_dynamic_stack 0
		.amdhsa_enable_private_segment 0
		.amdhsa_system_sgpr_workgroup_id_x 1
		.amdhsa_system_sgpr_workgroup_id_y 1
		.amdhsa_system_sgpr_workgroup_id_z 1
		.amdhsa_system_sgpr_workgroup_info 0
		.amdhsa_system_vgpr_workitem_id 2
		.amdhsa_next_free_vgpr 138
		.amdhsa_next_free_sgpr 38
		.amdhsa_reserve_vcc 1
		.amdhsa_float_round_mode_32 0
		.amdhsa_float_round_mode_16_64 0
		.amdhsa_float_denorm_mode_32 3
		.amdhsa_float_denorm_mode_16_64 3
		.amdhsa_fp16_overflow 0
		.amdhsa_workgroup_processor_mode 1
		.amdhsa_memory_ordered 1
		.amdhsa_forward_progress 1
		.amdhsa_inst_pref_size 126
		.amdhsa_round_robin_scheduling 0
		.amdhsa_exception_fp_ieee_invalid_op 0
		.amdhsa_exception_fp_denorm_src 0
		.amdhsa_exception_fp_ieee_div_zero 0
		.amdhsa_exception_fp_ieee_overflow 0
		.amdhsa_exception_fp_ieee_underflow 0
		.amdhsa_exception_fp_ieee_inexact 0
		.amdhsa_exception_int_div_zero 0
	.end_amdhsa_kernel
	.section	.text._ZN2at6native18radixSortKVInPlaceILin1ELin1ELi512ELi8EllmEEvNS_4cuda6detail10TensorInfoIT3_T5_EES6_S6_S6_NS4_IT4_S6_EES6_b,"axG",@progbits,_ZN2at6native18radixSortKVInPlaceILin1ELin1ELi512ELi8EllmEEvNS_4cuda6detail10TensorInfoIT3_T5_EES6_S6_S6_NS4_IT4_S6_EES6_b,comdat
.Lfunc_end155:
	.size	_ZN2at6native18radixSortKVInPlaceILin1ELin1ELi512ELi8EllmEEvNS_4cuda6detail10TensorInfoIT3_T5_EES6_S6_S6_NS4_IT4_S6_EES6_b, .Lfunc_end155-_ZN2at6native18radixSortKVInPlaceILin1ELin1ELi512ELi8EllmEEvNS_4cuda6detail10TensorInfoIT3_T5_EES6_S6_S6_NS4_IT4_S6_EES6_b
                                        ; -- End function
	.set _ZN2at6native18radixSortKVInPlaceILin1ELin1ELi512ELi8EllmEEvNS_4cuda6detail10TensorInfoIT3_T5_EES6_S6_S6_NS4_IT4_S6_EES6_b.num_vgpr, 138
	.set _ZN2at6native18radixSortKVInPlaceILin1ELin1ELi512ELi8EllmEEvNS_4cuda6detail10TensorInfoIT3_T5_EES6_S6_S6_NS4_IT4_S6_EES6_b.num_agpr, 0
	.set _ZN2at6native18radixSortKVInPlaceILin1ELin1ELi512ELi8EllmEEvNS_4cuda6detail10TensorInfoIT3_T5_EES6_S6_S6_NS4_IT4_S6_EES6_b.numbered_sgpr, 38
	.set _ZN2at6native18radixSortKVInPlaceILin1ELin1ELi512ELi8EllmEEvNS_4cuda6detail10TensorInfoIT3_T5_EES6_S6_S6_NS4_IT4_S6_EES6_b.num_named_barrier, 0
	.set _ZN2at6native18radixSortKVInPlaceILin1ELin1ELi512ELi8EllmEEvNS_4cuda6detail10TensorInfoIT3_T5_EES6_S6_S6_NS4_IT4_S6_EES6_b.private_seg_size, 0
	.set _ZN2at6native18radixSortKVInPlaceILin1ELin1ELi512ELi8EllmEEvNS_4cuda6detail10TensorInfoIT3_T5_EES6_S6_S6_NS4_IT4_S6_EES6_b.uses_vcc, 1
	.set _ZN2at6native18radixSortKVInPlaceILin1ELin1ELi512ELi8EllmEEvNS_4cuda6detail10TensorInfoIT3_T5_EES6_S6_S6_NS4_IT4_S6_EES6_b.uses_flat_scratch, 0
	.set _ZN2at6native18radixSortKVInPlaceILin1ELin1ELi512ELi8EllmEEvNS_4cuda6detail10TensorInfoIT3_T5_EES6_S6_S6_NS4_IT4_S6_EES6_b.has_dyn_sized_stack, 0
	.set _ZN2at6native18radixSortKVInPlaceILin1ELin1ELi512ELi8EllmEEvNS_4cuda6detail10TensorInfoIT3_T5_EES6_S6_S6_NS4_IT4_S6_EES6_b.has_recursion, 0
	.set _ZN2at6native18radixSortKVInPlaceILin1ELin1ELi512ELi8EllmEEvNS_4cuda6detail10TensorInfoIT3_T5_EES6_S6_S6_NS4_IT4_S6_EES6_b.has_indirect_call, 0
	.section	.AMDGPU.csdata,"",@progbits
; Kernel info:
; codeLenInByte = 16092
; TotalNumSgprs: 40
; NumVgprs: 138
; ScratchSize: 0
; MemoryBound: 0
; FloatMode: 240
; IeeeMode: 1
; LDSByteSize: 33792 bytes/workgroup (compile time only)
; SGPRBlocks: 0
; VGPRBlocks: 17
; NumSGPRsForWavesPerEU: 40
; NumVGPRsForWavesPerEU: 138
; Occupancy: 10
; WaveLimiterHint : 1
; COMPUTE_PGM_RSRC2:SCRATCH_EN: 0
; COMPUTE_PGM_RSRC2:USER_SGPR: 2
; COMPUTE_PGM_RSRC2:TRAP_HANDLER: 0
; COMPUTE_PGM_RSRC2:TGID_X_EN: 1
; COMPUTE_PGM_RSRC2:TGID_Y_EN: 1
; COMPUTE_PGM_RSRC2:TGID_Z_EN: 1
; COMPUTE_PGM_RSRC2:TIDIG_COMP_CNT: 2
	.section	.text._ZN2at6native18radixSortKVInPlaceILin1ELin1ELi256ELi8EllmEEvNS_4cuda6detail10TensorInfoIT3_T5_EES6_S6_S6_NS4_IT4_S6_EES6_b,"axG",@progbits,_ZN2at6native18radixSortKVInPlaceILin1ELin1ELi256ELi8EllmEEvNS_4cuda6detail10TensorInfoIT3_T5_EES6_S6_S6_NS4_IT4_S6_EES6_b,comdat
	.protected	_ZN2at6native18radixSortKVInPlaceILin1ELin1ELi256ELi8EllmEEvNS_4cuda6detail10TensorInfoIT3_T5_EES6_S6_S6_NS4_IT4_S6_EES6_b ; -- Begin function _ZN2at6native18radixSortKVInPlaceILin1ELin1ELi256ELi8EllmEEvNS_4cuda6detail10TensorInfoIT3_T5_EES6_S6_S6_NS4_IT4_S6_EES6_b
	.globl	_ZN2at6native18radixSortKVInPlaceILin1ELin1ELi256ELi8EllmEEvNS_4cuda6detail10TensorInfoIT3_T5_EES6_S6_S6_NS4_IT4_S6_EES6_b
	.p2align	8
	.type	_ZN2at6native18radixSortKVInPlaceILin1ELin1ELi256ELi8EllmEEvNS_4cuda6detail10TensorInfoIT3_T5_EES6_S6_S6_NS4_IT4_S6_EES6_b,@function
_ZN2at6native18radixSortKVInPlaceILin1ELin1ELi256ELi8EllmEEvNS_4cuda6detail10TensorInfoIT3_T5_EES6_S6_S6_NS4_IT4_S6_EES6_b: ; @_ZN2at6native18radixSortKVInPlaceILin1ELin1ELi256ELi8EllmEEvNS_4cuda6detail10TensorInfoIT3_T5_EES6_S6_S6_NS4_IT4_S6_EES6_b
; %bb.0:
	s_clause 0x1
	s_load_b64 s[2:3], s[0:1], 0x368
	s_load_b128 s[20:23], s[0:1], 0x1a0
	s_lshr_b32 s4, ttmp7, 16
	s_and_b32 s5, ttmp7, 0xffff
	s_wait_kmcnt 0x0
	s_mul_i32 s3, s3, s4
	s_delay_alu instid0(SALU_CYCLE_1) | instskip(SKIP_2) | instid1(SALU_CYCLE_1)
	s_add_co_i32 s3, s3, s5
	s_mov_b32 s5, 0
	s_mul_i32 s2, s3, s2
	s_add_co_i32 s4, s2, ttmp9
	s_delay_alu instid0(SALU_CYCLE_1)
	v_cmp_le_u64_e64 s2, s[20:21], s[4:5]
	s_and_b32 vcc_lo, exec_lo, s2
	s_cbranch_vccnz .LBB156_124
; %bb.1:
	s_clause 0x1
	s_load_b32 s9, s[0:1], 0x198
	s_load_b64 s[28:29], s[0:1], 0x1b0
	s_mov_b64 s[2:3], 0
	s_mov_b64 s[6:7], s[4:5]
	s_wait_kmcnt 0x0
	s_cmp_lt_i32 s9, 2
	s_cbranch_scc1 .LBB156_9
; %bb.2:
	s_mov_b32 s8, 0
	s_add_co_i32 s2, s9, -1
	s_mov_b32 s3, s8
	s_add_co_i32 s16, s9, 1
	s_lshl_b64 s[2:3], s[2:3], 3
	s_mov_b64 s[12:13], s[4:5]
	s_add_nc_u64 s[6:7], s[0:1], s[2:3]
	s_mov_b64 s[2:3], 0
	s_add_nc_u64 s[10:11], s[6:7], 8
.LBB156_3:                              ; =>This Inner Loop Header: Depth=1
	s_load_b64 s[14:15], s[10:11], 0x0
	s_wait_kmcnt 0x0
	s_or_b64 s[6:7], s[12:13], s[14:15]
	s_wait_alu 0xfffe
	s_mov_b32 s9, s7
                                        ; implicit-def: $sgpr6_sgpr7
	s_delay_alu instid0(SALU_CYCLE_1)
	s_cmp_lg_u64 s[8:9], 0
	s_mov_b32 s9, -1
	s_cbranch_scc0 .LBB156_5
; %bb.4:                                ;   in Loop: Header=BB156_3 Depth=1
	s_cvt_f32_u32 s6, s14
	s_cvt_f32_u32 s7, s15
	s_sub_nc_u64 s[18:19], 0, s[14:15]
	s_mov_b32 s21, s8
	s_mov_b32 s27, s8
	s_wait_alu 0xfffe
	s_fmamk_f32 s6, s7, 0x4f800000, s6
	s_wait_alu 0xfffe
	s_delay_alu instid0(SALU_CYCLE_2) | instskip(NEXT) | instid1(TRANS32_DEP_1)
	v_s_rcp_f32 s6, s6
	s_mul_f32 s6, s6, 0x5f7ffffc
	s_wait_alu 0xfffe
	s_delay_alu instid0(SALU_CYCLE_2) | instskip(SKIP_1) | instid1(SALU_CYCLE_2)
	s_mul_f32 s7, s6, 0x2f800000
	s_wait_alu 0xfffe
	s_trunc_f32 s7, s7
	s_wait_alu 0xfffe
	s_delay_alu instid0(SALU_CYCLE_2) | instskip(SKIP_2) | instid1(SALU_CYCLE_1)
	s_fmamk_f32 s6, s7, 0xcf800000, s6
	s_cvt_u32_f32 s7, s7
	s_wait_alu 0xfffe
	s_cvt_u32_f32 s6, s6
	s_wait_alu 0xfffe
	s_delay_alu instid0(SALU_CYCLE_2) | instskip(NEXT) | instid1(SALU_CYCLE_1)
	s_mul_u64 s[24:25], s[18:19], s[6:7]
	s_mul_hi_u32 s31, s6, s25
	s_mul_i32 s30, s6, s25
	s_mul_hi_u32 s20, s6, s24
	s_mul_i32 s17, s7, s24
	s_wait_alu 0xfffe
	s_add_nc_u64 s[20:21], s[20:21], s[30:31]
	s_mul_hi_u32 s9, s7, s24
	s_mul_hi_u32 s23, s7, s25
	s_wait_alu 0xfffe
	s_add_co_u32 s17, s20, s17
	s_add_co_ci_u32 s26, s21, s9
	s_mul_i32 s24, s7, s25
	s_add_co_ci_u32 s25, s23, 0
	s_delay_alu instid0(SALU_CYCLE_1) | instskip(SKIP_4) | instid1(SALU_CYCLE_1)
	s_add_nc_u64 s[20:21], s[26:27], s[24:25]
	s_mov_b32 s25, s8
	s_wait_alu 0xfffe
	s_add_co_u32 s6, s6, s20
	s_cselect_b32 s9, -1, 0
	s_cmp_lg_u32 s9, 0
	s_add_co_ci_u32 s7, s7, s21
	s_mov_b32 s21, s8
	s_wait_alu 0xfffe
	s_mul_u64 s[18:19], s[18:19], s[6:7]
	s_delay_alu instid0(SALU_CYCLE_1)
	s_mul_hi_u32 s27, s6, s19
	s_mul_i32 s26, s6, s19
	s_mul_hi_u32 s20, s6, s18
	s_mul_i32 s17, s7, s18
	s_wait_alu 0xfffe
	s_add_nc_u64 s[20:21], s[20:21], s[26:27]
	s_mul_hi_u32 s9, s7, s18
	s_mul_hi_u32 s23, s7, s19
	s_wait_alu 0xfffe
	s_add_co_u32 s17, s20, s17
	s_add_co_ci_u32 s24, s21, s9
	s_mul_i32 s18, s7, s19
	s_add_co_ci_u32 s19, s23, 0
	s_mov_b32 s21, s8
	s_add_nc_u64 s[18:19], s[24:25], s[18:19]
	s_delay_alu instid0(SALU_CYCLE_1)
	s_add_co_u32 s6, s6, s18
	s_cselect_b32 s9, -1, 0
	s_wait_alu 0xfffe
	s_mul_hi_u32 s20, s12, s6
	s_cmp_lg_u32 s9, 0
	s_mul_hi_u32 s9, s13, s6
	s_add_co_ci_u32 s17, s7, s19
	s_mul_i32 s19, s13, s6
	s_mul_hi_u32 s7, s12, s17
	s_mul_i32 s6, s12, s17
	s_mul_hi_u32 s23, s13, s17
	s_wait_alu 0xfffe
	s_add_nc_u64 s[6:7], s[20:21], s[6:7]
	s_mul_i32 s18, s13, s17
	s_wait_alu 0xfffe
	s_add_co_u32 s6, s6, s19
	s_add_co_ci_u32 s24, s7, s9
	s_add_co_ci_u32 s19, s23, 0
	s_delay_alu instid0(SALU_CYCLE_1) | instskip(SKIP_2) | instid1(SALU_CYCLE_1)
	s_add_nc_u64 s[6:7], s[24:25], s[18:19]
	s_wait_alu 0xfffe
	s_mul_u64 s[18:19], s[14:15], s[6:7]
	s_sub_co_u32 s9, s12, s18
	s_cselect_b32 s17, -1, 0
	s_sub_co_i32 s18, s13, s19
	s_cmp_lg_u32 s17, 0
	s_sub_co_ci_u32 s18, s18, s15
	s_sub_co_u32 s20, s9, s14
	s_cselect_b32 s21, -1, 0
	s_wait_alu 0xfffe
	s_cmp_lg_u32 s21, 0
	s_sub_co_ci_u32 s18, s18, 0
	s_delay_alu instid0(SALU_CYCLE_1)
	s_cmp_ge_u32 s18, s15
	s_cselect_b32 s23, -1, 0
	s_cmp_ge_u32 s20, s14
	s_add_nc_u64 s[20:21], s[6:7], 1
	s_cselect_b32 s24, -1, 0
	s_cmp_eq_u32 s18, s15
	s_cselect_b32 s18, s24, s23
	s_add_nc_u64 s[24:25], s[6:7], 2
	s_cmp_lg_u32 s18, 0
	s_wait_alu 0xfffe
	s_cselect_b32 s18, s24, s20
	s_cselect_b32 s20, s25, s21
	s_cmp_lg_u32 s17, 0
	s_sub_co_ci_u32 s17, s13, s19
	s_delay_alu instid0(SALU_CYCLE_1)
	s_cmp_ge_u32 s17, s15
	s_cselect_b32 s19, -1, 0
	s_cmp_ge_u32 s9, s14
	s_cselect_b32 s9, -1, 0
	s_cmp_eq_u32 s17, s15
	s_cselect_b32 s9, s9, s19
	s_delay_alu instid0(SALU_CYCLE_1)
	s_cmp_lg_u32 s9, 0
	s_mov_b32 s9, 0
	s_wait_alu 0xfffe
	s_cselect_b32 s7, s20, s7
	s_cselect_b32 s6, s18, s6
.LBB156_5:                              ;   in Loop: Header=BB156_3 Depth=1
	s_and_not1_b32 vcc_lo, exec_lo, s9
	s_cbranch_vccnz .LBB156_7
; %bb.6:                                ;   in Loop: Header=BB156_3 Depth=1
	v_cvt_f32_u32_e32 v1, s14
	s_sub_co_i32 s7, 0, s14
	s_delay_alu instid0(VALU_DEP_1) | instskip(NEXT) | instid1(TRANS32_DEP_1)
	v_rcp_iflag_f32_e32 v1, v1
	v_mul_f32_e32 v1, 0x4f7ffffe, v1
	s_delay_alu instid0(VALU_DEP_1) | instskip(NEXT) | instid1(VALU_DEP_1)
	v_cvt_u32_f32_e32 v1, v1
	v_readfirstlane_b32 s6, v1
	s_wait_alu 0xfffe
	s_mul_i32 s7, s7, s6
	s_wait_alu 0xfffe
	s_mul_hi_u32 s7, s6, s7
	s_wait_alu 0xfffe
	s_add_co_i32 s6, s6, s7
	s_wait_alu 0xfffe
	s_mul_hi_u32 s6, s12, s6
	s_wait_alu 0xfffe
	s_mul_i32 s7, s6, s14
	s_add_co_i32 s9, s6, 1
	s_wait_alu 0xfffe
	s_sub_co_i32 s7, s12, s7
	s_wait_alu 0xfffe
	s_sub_co_i32 s17, s7, s14
	s_cmp_ge_u32 s7, s14
	s_cselect_b32 s6, s9, s6
	s_cselect_b32 s7, s17, s7
	s_wait_alu 0xfffe
	s_add_co_i32 s9, s6, 1
	s_cmp_ge_u32 s7, s14
	s_mov_b32 s7, s8
	s_cselect_b32 s6, s9, s6
.LBB156_7:                              ;   in Loop: Header=BB156_3 Depth=1
	s_load_b64 s[18:19], s[10:11], 0xc8
	s_mul_u64 s[14:15], s[6:7], s[14:15]
	s_add_co_i32 s16, s16, -1
	s_wait_alu 0xfffe
	s_sub_nc_u64 s[12:13], s[12:13], s[14:15]
	s_cmp_gt_u32 s16, 2
	s_add_nc_u64 s[10:11], s[10:11], -8
	s_wait_kmcnt 0x0
	s_mul_u64 s[12:13], s[18:19], s[12:13]
	s_delay_alu instid0(SALU_CYCLE_1)
	s_add_nc_u64 s[2:3], s[12:13], s[2:3]
	s_cbranch_scc0 .LBB156_9
; %bb.8:                                ;   in Loop: Header=BB156_3 Depth=1
	s_mov_b64 s[12:13], s[6:7]
	s_branch .LBB156_3
.LBB156_9:
	s_load_b32 s9, s[0:1], 0x350
	s_add_nc_u64 s[36:37], s[0:1], 0x368
	s_mov_b64 s[20:21], 0
	s_wait_kmcnt 0x0
	s_cmp_lt_i32 s9, 2
	s_cbranch_scc1 .LBB156_17
; %bb.10:
	s_mov_b32 s8, 0
	s_add_co_i32 s10, s9, -1
	s_mov_b32 s11, s8
	s_add_co_i32 s14, s9, 1
	s_lshl_b64 s[10:11], s[10:11], 3
	s_delay_alu instid0(SALU_CYCLE_1) | instskip(NEXT) | instid1(SALU_CYCLE_1)
	s_add_nc_u64 s[10:11], s[0:1], s[10:11]
	s_add_nc_u64 s[10:11], s[10:11], 0x1c0
.LBB156_11:                             ; =>This Inner Loop Header: Depth=1
	s_load_b64 s[12:13], s[10:11], 0x0
                                        ; implicit-def: $sgpr24_sgpr25
	s_wait_kmcnt 0x0
	s_or_b64 s[16:17], s[4:5], s[12:13]
	s_delay_alu instid0(SALU_CYCLE_1)
	s_mov_b32 s9, s17
	s_wait_alu 0xfffe
	s_cmp_lg_u64 s[8:9], 0
	s_mov_b32 s9, -1
	s_cbranch_scc0 .LBB156_13
; %bb.12:                               ;   in Loop: Header=BB156_11 Depth=1
	s_cvt_f32_u32 s9, s12
	s_cvt_f32_u32 s15, s13
	s_sub_nc_u64 s[18:19], 0, s[12:13]
	s_mov_b32 s25, s8
	s_mov_b32 s31, s8
	s_wait_alu 0xfffe
	s_fmamk_f32 s9, s15, 0x4f800000, s9
	s_wait_alu 0xfffe
	s_delay_alu instid0(SALU_CYCLE_2) | instskip(NEXT) | instid1(TRANS32_DEP_1)
	v_s_rcp_f32 s9, s9
	s_mul_f32 s9, s9, 0x5f7ffffc
	s_wait_alu 0xfffe
	s_delay_alu instid0(SALU_CYCLE_2) | instskip(SKIP_1) | instid1(SALU_CYCLE_2)
	s_mul_f32 s15, s9, 0x2f800000
	s_wait_alu 0xfffe
	s_trunc_f32 s15, s15
	s_wait_alu 0xfffe
	s_delay_alu instid0(SALU_CYCLE_2) | instskip(SKIP_2) | instid1(SALU_CYCLE_1)
	s_fmamk_f32 s9, s15, 0xcf800000, s9
	s_cvt_u32_f32 s17, s15
	s_wait_alu 0xfffe
	s_cvt_u32_f32 s16, s9
	s_delay_alu instid0(SALU_CYCLE_3) | instskip(NEXT) | instid1(SALU_CYCLE_1)
	s_mul_u64 s[26:27], s[18:19], s[16:17]
	s_mul_hi_u32 s35, s16, s27
	s_mul_i32 s34, s16, s27
	s_mul_hi_u32 s24, s16, s26
	s_mul_i32 s15, s17, s26
	s_add_nc_u64 s[24:25], s[24:25], s[34:35]
	s_mul_hi_u32 s9, s17, s26
	s_mul_hi_u32 s23, s17, s27
	s_wait_alu 0xfffe
	s_add_co_u32 s15, s24, s15
	s_add_co_ci_u32 s30, s25, s9
	s_mul_i32 s26, s17, s27
	s_add_co_ci_u32 s27, s23, 0
	s_delay_alu instid0(SALU_CYCLE_1)
	s_add_nc_u64 s[24:25], s[30:31], s[26:27]
	s_mov_b32 s27, s8
	s_add_co_u32 s16, s16, s24
	s_cselect_b32 s9, -1, 0
	s_wait_alu 0xfffe
	s_cmp_lg_u32 s9, 0
	s_add_co_ci_u32 s17, s17, s25
	s_mov_b32 s25, s8
	s_mul_u64 s[18:19], s[18:19], s[16:17]
	s_delay_alu instid0(SALU_CYCLE_1)
	s_mul_hi_u32 s31, s16, s19
	s_mul_i32 s30, s16, s19
	s_mul_hi_u32 s24, s16, s18
	s_mul_i32 s15, s17, s18
	s_add_nc_u64 s[24:25], s[24:25], s[30:31]
	s_mul_hi_u32 s9, s17, s18
	s_mul_hi_u32 s23, s17, s19
	s_wait_alu 0xfffe
	s_add_co_u32 s15, s24, s15
	s_add_co_ci_u32 s26, s25, s9
	s_mul_i32 s18, s17, s19
	s_add_co_ci_u32 s19, s23, 0
	s_mov_b32 s25, s8
	s_add_nc_u64 s[18:19], s[26:27], s[18:19]
	s_delay_alu instid0(SALU_CYCLE_1)
	s_add_co_u32 s9, s16, s18
	s_cselect_b32 s15, -1, 0
	s_wait_alu 0xfffe
	s_mul_hi_u32 s24, s4, s9
	s_cmp_lg_u32 s15, 0
	s_mul_hi_u32 s15, s5, s9
	s_add_co_ci_u32 s18, s17, s19
	s_mul_i32 s9, s5, s9
	s_mul_hi_u32 s17, s4, s18
	s_mul_i32 s16, s4, s18
	s_mul_hi_u32 s19, s5, s18
	s_add_nc_u64 s[16:17], s[24:25], s[16:17]
	s_mul_i32 s18, s5, s18
	s_wait_alu 0xfffe
	s_add_co_u32 s9, s16, s9
	s_add_co_ci_u32 s26, s17, s15
	s_add_co_ci_u32 s19, s19, 0
	s_delay_alu instid0(SALU_CYCLE_1) | instskip(NEXT) | instid1(SALU_CYCLE_1)
	s_add_nc_u64 s[16:17], s[26:27], s[18:19]
	s_mul_u64 s[18:19], s[12:13], s[16:17]
	s_delay_alu instid0(SALU_CYCLE_1)
	s_sub_co_u32 s9, s4, s18
	s_cselect_b32 s15, -1, 0
	s_sub_co_i32 s18, s5, s19
	s_wait_alu 0xfffe
	s_cmp_lg_u32 s15, 0
	s_sub_co_ci_u32 s18, s18, s13
	s_sub_co_u32 s23, s9, s12
	s_cselect_b32 s24, -1, 0
	s_delay_alu instid0(SALU_CYCLE_1) | instskip(SKIP_2) | instid1(SALU_CYCLE_1)
	s_cmp_lg_u32 s24, 0
	s_add_nc_u64 s[24:25], s[16:17], 1
	s_sub_co_ci_u32 s18, s18, 0
	s_cmp_ge_u32 s18, s13
	s_cselect_b32 s26, -1, 0
	s_cmp_ge_u32 s23, s12
	s_cselect_b32 s23, -1, 0
	s_cmp_eq_u32 s18, s13
	s_cselect_b32 s18, s23, s26
	s_add_nc_u64 s[26:27], s[16:17], 2
	s_cmp_lg_u32 s18, 0
	s_cselect_b32 s18, s26, s24
	s_cselect_b32 s23, s27, s25
	s_cmp_lg_u32 s15, 0
	s_sub_co_ci_u32 s15, s5, s19
	s_wait_alu 0xfffe
	s_cmp_ge_u32 s15, s13
	s_cselect_b32 s19, -1, 0
	s_cmp_ge_u32 s9, s12
	s_cselect_b32 s9, -1, 0
	s_cmp_eq_u32 s15, s13
	s_wait_alu 0xfffe
	s_cselect_b32 s9, s9, s19
	s_wait_alu 0xfffe
	s_cmp_lg_u32 s9, 0
	s_mov_b32 s9, 0
	s_cselect_b32 s25, s23, s17
	s_cselect_b32 s24, s18, s16
.LBB156_13:                             ;   in Loop: Header=BB156_11 Depth=1
	s_wait_alu 0xfffe
	s_and_not1_b32 vcc_lo, exec_lo, s9
	s_cbranch_vccnz .LBB156_15
; %bb.14:                               ;   in Loop: Header=BB156_11 Depth=1
	v_cvt_f32_u32_e32 v1, s12
	s_sub_co_i32 s15, 0, s12
	s_mov_b32 s25, s8
	s_delay_alu instid0(VALU_DEP_1) | instskip(NEXT) | instid1(TRANS32_DEP_1)
	v_rcp_iflag_f32_e32 v1, v1
	v_mul_f32_e32 v1, 0x4f7ffffe, v1
	s_delay_alu instid0(VALU_DEP_1) | instskip(NEXT) | instid1(VALU_DEP_1)
	v_cvt_u32_f32_e32 v1, v1
	v_readfirstlane_b32 s9, v1
	s_wait_alu 0xfffe
	s_mul_i32 s15, s15, s9
	s_wait_alu 0xfffe
	s_mul_hi_u32 s15, s9, s15
	s_wait_alu 0xfffe
	s_add_co_i32 s9, s9, s15
	s_wait_alu 0xfffe
	s_mul_hi_u32 s9, s4, s9
	s_wait_alu 0xfffe
	s_mul_i32 s15, s9, s12
	s_add_co_i32 s16, s9, 1
	s_wait_alu 0xfffe
	s_sub_co_i32 s15, s4, s15
	s_wait_alu 0xfffe
	s_sub_co_i32 s17, s15, s12
	s_cmp_ge_u32 s15, s12
	s_cselect_b32 s9, s16, s9
	s_cselect_b32 s15, s17, s15
	s_wait_alu 0xfffe
	s_add_co_i32 s16, s9, 1
	s_cmp_ge_u32 s15, s12
	s_cselect_b32 s24, s16, s9
.LBB156_15:                             ;   in Loop: Header=BB156_11 Depth=1
	s_load_b64 s[16:17], s[10:11], 0xc8
	s_mul_u64 s[12:13], s[24:25], s[12:13]
	s_add_co_i32 s14, s14, -1
	s_wait_alu 0xfffe
	s_sub_nc_u64 s[4:5], s[4:5], s[12:13]
	s_cmp_gt_u32 s14, 2
	s_add_nc_u64 s[10:11], s[10:11], -8
	s_wait_kmcnt 0x0
	s_wait_alu 0xfffe
	s_mul_u64 s[4:5], s[16:17], s[4:5]
	s_wait_alu 0xfffe
	s_add_nc_u64 s[20:21], s[4:5], s[20:21]
	s_cbranch_scc0 .LBB156_18
; %bb.16:                               ;   in Loop: Header=BB156_11 Depth=1
	s_mov_b64 s[4:5], s[24:25]
	s_branch .LBB156_11
.LBB156_17:
	s_mov_b64 s[24:25], s[4:5]
.LBB156_18:
	s_clause 0x2
	s_load_b64 s[4:5], s[0:1], 0xd0
	s_load_b32 s8, s[0:1], 0x360
	s_load_b64 s[30:31], s[0:1], 0x0
	s_wait_kmcnt 0x0
	s_mul_u64 s[4:5], s[4:5], s[6:7]
	s_bitcmp1_b32 s8, 0
	s_brev_b32 s6, 1
	s_cselect_b32 s26, -1, 0
	s_wait_alu 0xfffe
	s_lshl_b64 s[34:35], s[4:5], 3
	s_lshl_b64 s[38:39], s[2:3], 3
	s_and_b32 s2, s26, exec_lo
	s_cselect_b32 s4, 0, -1
	s_cselect_b32 s5, s6, 0x7fffffff
	s_wait_alu 0xfffe
	s_mov_b32 s6, s4
	s_mov_b32 s7, s5
	;; [unrolled: 1-line block ×14, first 2 shown]
	v_and_b32_e32 v69, 0x3ff, v0
	s_wait_alu 0xfffe
	v_dual_mov_b32 v1, s4 :: v_dual_mov_b32 v4, s7
	v_dual_mov_b32 v15, s18 :: v_dual_mov_b32 v18, s5
	v_mov_b32_e32 v2, s5
	v_cmp_gt_u32_e64 s2, s22, v69
	v_dual_mov_b32 v3, s6 :: v_dual_mov_b32 v6, s9
	v_dual_mov_b32 v5, s8 :: v_dual_mov_b32 v8, s11
	;; [unrolled: 1-line block ×6, first 2 shown]
	v_mov_b32_e32 v17, s4
	s_add_nc_u64 s[30:31], s[30:31], s[34:35]
	s_delay_alu instid0(SALU_CYCLE_1)
	s_add_nc_u64 s[30:31], s[30:31], s[38:39]
	s_and_saveexec_b32 s3, s2
	s_cbranch_execz .LBB156_20
; %bb.19:
	v_mad_co_u64_u32 v[1:2], null, s28, v69, 0
	s_delay_alu instid0(VALU_DEP_1) | instskip(NEXT) | instid1(VALU_DEP_1)
	v_mad_co_u64_u32 v[2:3], null, s29, v69, v[2:3]
	v_lshlrev_b64_e32 v[1:2], 3, v[1:2]
	s_delay_alu instid0(VALU_DEP_1) | instskip(NEXT) | instid1(VALU_DEP_1)
	v_add_co_u32 v1, vcc_lo, s30, v1
	v_add_co_ci_u32_e64 v2, null, s31, v2, vcc_lo
	global_load_b64 v[17:18], v[1:2], off
	v_dual_mov_b32 v1, s4 :: v_dual_mov_b32 v2, s5
	v_dual_mov_b32 v3, s6 :: v_dual_mov_b32 v4, s7
	;; [unrolled: 1-line block ×8, first 2 shown]
.LBB156_20:
	s_or_b32 exec_lo, exec_lo, s3
	v_add_nc_u32_e32 v34, 0x100, v69
	s_delay_alu instid0(VALU_DEP_1)
	v_cmp_gt_u32_e64 s3, s22, v34
	s_and_saveexec_b32 s4, s3
	s_cbranch_execz .LBB156_22
; %bb.21:
	v_mad_co_u64_u32 v[1:2], null, s28, v34, 0
	s_delay_alu instid0(VALU_DEP_1) | instskip(NEXT) | instid1(VALU_DEP_1)
	v_mad_co_u64_u32 v[2:3], null, s29, v34, v[2:3]
	v_lshlrev_b64_e32 v[1:2], 3, v[1:2]
	s_delay_alu instid0(VALU_DEP_1) | instskip(SKIP_1) | instid1(VALU_DEP_2)
	v_add_co_u32 v1, vcc_lo, s30, v1
	s_wait_alu 0xfffd
	v_add_co_ci_u32_e64 v2, null, s31, v2, vcc_lo
	global_load_b64 v[3:4], v[1:2], off
.LBB156_22:
	s_wait_alu 0xfffe
	s_or_b32 exec_lo, exec_lo, s4
	v_add_nc_u32_e32 v35, 0x200, v69
	s_delay_alu instid0(VALU_DEP_1)
	v_cmp_gt_u32_e64 s4, s22, v35
	s_and_saveexec_b32 s5, s4
	s_cbranch_execz .LBB156_24
; %bb.23:
	v_mad_co_u64_u32 v[1:2], null, s28, v35, 0
	s_wait_loadcnt 0x0
	s_delay_alu instid0(VALU_DEP_1) | instskip(NEXT) | instid1(VALU_DEP_1)
	v_mad_co_u64_u32 v[5:6], null, s29, v35, v[2:3]
	v_mov_b32_e32 v2, v5
	s_delay_alu instid0(VALU_DEP_1) | instskip(NEXT) | instid1(VALU_DEP_1)
	v_lshlrev_b64_e32 v[1:2], 3, v[1:2]
	v_add_co_u32 v1, vcc_lo, s30, v1
	s_wait_alu 0xfffd
	s_delay_alu instid0(VALU_DEP_2)
	v_add_co_ci_u32_e64 v2, null, s31, v2, vcc_lo
	global_load_b64 v[5:6], v[1:2], off
.LBB156_24:
	s_wait_alu 0xfffe
	s_or_b32 exec_lo, exec_lo, s5
	v_add_nc_u32_e32 v36, 0x300, v69
	s_delay_alu instid0(VALU_DEP_1)
	v_cmp_gt_u32_e64 s5, s22, v36
	s_and_saveexec_b32 s6, s5
	s_cbranch_execz .LBB156_26
; %bb.25:
	v_mad_co_u64_u32 v[1:2], null, s28, v36, 0
	s_wait_loadcnt 0x0
	s_delay_alu instid0(VALU_DEP_1) | instskip(NEXT) | instid1(VALU_DEP_1)
	v_mad_co_u64_u32 v[7:8], null, s29, v36, v[2:3]
	v_mov_b32_e32 v2, v7
	s_delay_alu instid0(VALU_DEP_1) | instskip(NEXT) | instid1(VALU_DEP_1)
	v_lshlrev_b64_e32 v[1:2], 3, v[1:2]
	v_add_co_u32 v1, vcc_lo, s30, v1
	s_wait_alu 0xfffd
	s_delay_alu instid0(VALU_DEP_2)
	v_add_co_ci_u32_e64 v2, null, s31, v2, vcc_lo
	global_load_b64 v[7:8], v[1:2], off
.LBB156_26:
	s_wait_alu 0xfffe
	s_or_b32 exec_lo, exec_lo, s6
	v_or_b32_e32 v37, 0x400, v69
	s_delay_alu instid0(VALU_DEP_1)
	v_cmp_gt_u32_e64 s6, s22, v37
	s_and_saveexec_b32 s7, s6
	s_cbranch_execz .LBB156_28
; %bb.27:
	v_mad_co_u64_u32 v[1:2], null, s28, v37, 0
	s_wait_loadcnt 0x0
	s_delay_alu instid0(VALU_DEP_1) | instskip(NEXT) | instid1(VALU_DEP_1)
	v_mad_co_u64_u32 v[9:10], null, s29, v37, v[2:3]
	v_mov_b32_e32 v2, v9
	s_delay_alu instid0(VALU_DEP_1) | instskip(NEXT) | instid1(VALU_DEP_1)
	v_lshlrev_b64_e32 v[1:2], 3, v[1:2]
	v_add_co_u32 v1, vcc_lo, s30, v1
	s_wait_alu 0xfffd
	s_delay_alu instid0(VALU_DEP_2)
	v_add_co_ci_u32_e64 v2, null, s31, v2, vcc_lo
	global_load_b64 v[9:10], v[1:2], off
.LBB156_28:
	s_wait_alu 0xfffe
	s_or_b32 exec_lo, exec_lo, s7
	v_add_nc_u32_e32 v38, 0x500, v69
	s_delay_alu instid0(VALU_DEP_1)
	v_cmp_gt_u32_e64 s7, s22, v38
	s_and_saveexec_b32 s8, s7
	s_cbranch_execz .LBB156_30
; %bb.29:
	v_mad_co_u64_u32 v[1:2], null, s28, v38, 0
	s_wait_loadcnt 0x0
	s_delay_alu instid0(VALU_DEP_1) | instskip(NEXT) | instid1(VALU_DEP_1)
	v_mad_co_u64_u32 v[11:12], null, s29, v38, v[2:3]
	v_mov_b32_e32 v2, v11
	s_delay_alu instid0(VALU_DEP_1) | instskip(NEXT) | instid1(VALU_DEP_1)
	v_lshlrev_b64_e32 v[1:2], 3, v[1:2]
	v_add_co_u32 v1, vcc_lo, s30, v1
	s_wait_alu 0xfffd
	s_delay_alu instid0(VALU_DEP_2)
	v_add_co_ci_u32_e64 v2, null, s31, v2, vcc_lo
	global_load_b64 v[11:12], v[1:2], off
.LBB156_30:
	s_wait_alu 0xfffe
	s_or_b32 exec_lo, exec_lo, s8
	v_add_nc_u32_e32 v39, 0x600, v69
	s_delay_alu instid0(VALU_DEP_1)
	v_cmp_gt_u32_e64 s8, s22, v39
	s_and_saveexec_b32 s9, s8
	s_cbranch_execz .LBB156_32
; %bb.31:
	v_mad_co_u64_u32 v[1:2], null, s28, v39, 0
	s_wait_loadcnt 0x0
	s_delay_alu instid0(VALU_DEP_1) | instskip(NEXT) | instid1(VALU_DEP_1)
	v_mad_co_u64_u32 v[13:14], null, s29, v39, v[2:3]
	v_mov_b32_e32 v2, v13
	s_delay_alu instid0(VALU_DEP_1) | instskip(NEXT) | instid1(VALU_DEP_1)
	v_lshlrev_b64_e32 v[1:2], 3, v[1:2]
	v_add_co_u32 v1, vcc_lo, s30, v1
	s_wait_alu 0xfffd
	s_delay_alu instid0(VALU_DEP_2)
	v_add_co_ci_u32_e64 v2, null, s31, v2, vcc_lo
	global_load_b64 v[13:14], v[1:2], off
.LBB156_32:
	s_wait_alu 0xfffe
	s_or_b32 exec_lo, exec_lo, s9
	s_clause 0x1
	s_load_b64 s[12:13], s[0:1], 0x288
	s_load_b64 s[10:11], s[0:1], 0x1b8
	v_add_nc_u32_e32 v40, 0x700, v69
	s_delay_alu instid0(VALU_DEP_1)
	v_cmp_gt_u32_e64 s9, s22, v40
	s_and_saveexec_b32 s14, s9
	s_cbranch_execz .LBB156_34
; %bb.33:
	v_mad_co_u64_u32 v[1:2], null, s28, v40, 0
	s_wait_loadcnt 0x0
	s_delay_alu instid0(VALU_DEP_1) | instskip(NEXT) | instid1(VALU_DEP_1)
	v_mad_co_u64_u32 v[15:16], null, s29, v40, v[2:3]
	v_mov_b32_e32 v2, v15
	s_delay_alu instid0(VALU_DEP_1) | instskip(NEXT) | instid1(VALU_DEP_1)
	v_lshlrev_b64_e32 v[1:2], 3, v[1:2]
	v_add_co_u32 v1, vcc_lo, s30, v1
	s_wait_alu 0xfffd
	s_delay_alu instid0(VALU_DEP_2)
	v_add_co_ci_u32_e64 v2, null, s31, v2, vcc_lo
	global_load_b64 v[15:16], v[1:2], off
.LBB156_34:
	s_wait_alu 0xfffe
	s_or_b32 exec_lo, exec_lo, s14
	v_lshrrev_b32_e32 v1, 2, v34
	v_lshrrev_b32_e32 v2, 2, v35
	;; [unrolled: 1-line block ×4, first 2 shown]
	v_lshlrev_b32_e32 v113, 3, v69
	v_and_b32_e32 v1, 0x1f8, v1
	v_and_b32_e32 v2, 0x1f8, v2
	;; [unrolled: 1-line block ×3, first 2 shown]
	v_mov_b32_e32 v27, 0
	v_lshl_add_u32 v104, v33, 3, v113
	v_dual_mov_b32 v28, 0 :: v_dual_add_nc_u32 v105, v1, v113
	v_lshrrev_b32_e32 v1, 2, v37
	v_add_nc_u32_e32 v106, v2, v113
	v_add_nc_u32_e32 v107, v19, v113
	s_wait_loadcnt 0x0
	ds_store_b64 v104, v[17:18]
	ds_store_b64 v105, v[3:4] offset:2048
	ds_store_b64 v106, v[5:6] offset:4096
	;; [unrolled: 1-line block ×3, first 2 shown]
	v_mov_b32_e32 v17, 0
	v_and_b32_e32 v1, 0x1f8, v1
	v_lshlrev_b32_e32 v5, 1, v69
	v_lshrrev_b32_e32 v2, 2, v38
	v_lshrrev_b32_e32 v19, 2, v39
	;; [unrolled: 1-line block ×3, first 2 shown]
	v_mov_b32_e32 v18, v17
	v_mov_b32_e32 v26, v17
	v_add_nc_u32_e32 v108, v1, v113
	v_dual_mov_b32 v32, v17 :: v_dual_and_b32 v1, 0x7f8, v5
	v_dual_mov_b32 v21, v17 :: v_dual_and_b32 v2, 0x3f8, v2
	;; [unrolled: 1-line block ×4, first 2 shown]
	s_delay_alu instid0(VALU_DEP_4) | instskip(NEXT) | instid1(VALU_DEP_4)
	v_lshl_add_u32 v112, v69, 6, v1
	v_add_nc_u32_e32 v109, v2, v113
	s_delay_alu instid0(VALU_DEP_4) | instskip(NEXT) | instid1(VALU_DEP_4)
	v_dual_mov_b32 v25, v17 :: v_dual_add_nc_u32 v110, v3, v113
	v_add_nc_u32_e32 v111, v4, v113
	ds_store_b64 v108, v[9:10] offset:8192
	ds_store_b64 v109, v[11:12] offset:10240
	;; [unrolled: 1-line block ×4, first 2 shown]
	s_wait_dscnt 0x0
	s_barrier_signal -1
	s_barrier_wait -1
	global_inv scope:SCOPE_SE
	ds_load_2addr_b64 v[13:16], v112 offset1:1
	ds_load_2addr_b64 v[9:12], v112 offset0:2 offset1:3
	ds_load_2addr_b64 v[5:8], v112 offset0:4 offset1:5
	;; [unrolled: 1-line block ×3, first 2 shown]
	s_load_b64 s[22:23], s[0:1], 0x358
	s_wait_kmcnt 0x0
	s_mul_u64 s[12:13], s[12:13], s[24:25]
	v_mov_b32_e32 v19, v17
	s_wait_alu 0xfffe
	s_lshl_b64 s[12:13], s[12:13], 3
	v_mov_b32_e32 v20, v17
	v_mov_b32_e32 v22, v17
	v_dual_mov_b32 v24, v17 :: v_dual_mov_b32 v29, v17
	v_mov_b32_e32 v31, v17
	s_lshl_b64 s[14:15], s[20:21], 3
	s_wait_alu 0xfffe
	s_add_nc_u64 s[10:11], s[10:11], s[12:13]
	s_wait_loadcnt_dscnt 0x0
	s_wait_alu 0xfffe
	s_add_nc_u64 s[34:35], s[10:11], s[14:15]
	s_barrier_signal -1
	s_barrier_wait -1
	global_inv scope:SCOPE_SE
	s_and_saveexec_b32 s0, s2
	s_cbranch_execnz .LBB156_70
; %bb.35:
	s_or_b32 exec_lo, exec_lo, s0
	s_and_saveexec_b32 s0, s3
	s_cbranch_execnz .LBB156_71
.LBB156_36:
	s_or_b32 exec_lo, exec_lo, s0
	s_and_saveexec_b32 s0, s4
	s_cbranch_execnz .LBB156_72
.LBB156_37:
	s_or_b32 exec_lo, exec_lo, s0
	s_and_saveexec_b32 s0, s5
	s_cbranch_execnz .LBB156_73
.LBB156_38:
	s_or_b32 exec_lo, exec_lo, s0
	s_and_saveexec_b32 s0, s6
	s_cbranch_execnz .LBB156_74
.LBB156_39:
	s_or_b32 exec_lo, exec_lo, s0
	s_and_saveexec_b32 s0, s7
	s_cbranch_execnz .LBB156_75
.LBB156_40:
	s_or_b32 exec_lo, exec_lo, s0
	s_and_saveexec_b32 s0, s8
	s_cbranch_execnz .LBB156_76
.LBB156_41:
	s_or_b32 exec_lo, exec_lo, s0
	s_xor_b32 s0, s26, -1
	s_and_saveexec_b32 s1, s9
	s_cbranch_execz .LBB156_43
.LBB156_42:
	v_mad_co_u64_u32 v[31:32], null, s22, v40, 0
	s_delay_alu instid0(VALU_DEP_1) | instskip(NEXT) | instid1(VALU_DEP_1)
	v_mad_co_u64_u32 v[34:35], null, s23, v40, v[32:33]
	v_mov_b32_e32 v32, v34
	s_delay_alu instid0(VALU_DEP_1) | instskip(NEXT) | instid1(VALU_DEP_1)
	v_lshlrev_b64_e32 v[31:32], 3, v[31:32]
	v_add_co_u32 v31, vcc_lo, s34, v31
	s_wait_alu 0xfffd
	s_delay_alu instid0(VALU_DEP_2)
	v_add_co_ci_u32_e64 v32, null, s35, v32, vcc_lo
	global_load_b64 v[31:32], v[31:32], off
.LBB156_43:
	s_or_b32 exec_lo, exec_lo, s1
	s_wait_loadcnt 0x0
	ds_store_b64 v104, v[27:28]
	ds_store_b64 v105, v[17:18] offset:2048
	ds_store_b64 v106, v[19:20] offset:4096
	;; [unrolled: 1-line block ×7, first 2 shown]
	s_wait_dscnt 0x0
	s_barrier_signal -1
	s_barrier_wait -1
	global_inv scope:SCOPE_SE
	ds_load_2addr_b64 v[21:24], v112 offset1:1
	ds_load_2addr_b64 v[17:20], v112 offset0:2 offset1:3
	ds_load_2addr_b64 v[29:32], v112 offset0:4 offset1:5
	;; [unrolled: 1-line block ×3, first 2 shown]
	v_mbcnt_lo_u32_b32 v116, -1, 0
	v_and_b32_e32 v34, 0x3e0, v69
	v_and_b32_e32 v35, 0x1f00, v113
	s_and_b32 vcc_lo, exec_lo, s0
	v_bfe_u32 v122, v0, 10, 10
	v_bfe_u32 v123, v0, 20, 10
	v_or_b32_e32 v36, v116, v34
	v_or_b32_e32 v37, v116, v35
	v_lshlrev_b32_e32 v114, 2, v113
	v_and_b32_e32 v120, 15, v116
	v_and_b32_e32 v119, 16, v116
	v_lshlrev_b32_e32 v125, 6, v36
	v_lshlrev_b32_e32 v124, 3, v37
	v_min_u32_e32 v121, 0xe0, v34
	v_cmp_gt_u32_e64 s0, 8, v69
	v_cmp_lt_u32_e64 s1, 31, v69
	v_cmp_eq_u32_e64 s10, 0, v69
	v_lshlrev_b32_e32 v115, 2, v33
	v_mul_i32_i24_e32 v117, 0xffffffe4, v69
	v_and_b32_e32 v118, 7, v116
	v_lshlrev_b32_e32 v0, 3, v35
	s_mov_b32 s24, 0
	s_mov_b32 s11, -1
	s_wait_loadcnt_dscnt 0x0
	s_barrier_signal -1
	s_barrier_wait -1
	global_inv scope:SCOPE_SE
                                        ; implicit-def: $vgpr63_vgpr64
                                        ; implicit-def: $vgpr59_vgpr60
                                        ; implicit-def: $vgpr55_vgpr56
                                        ; implicit-def: $vgpr51_vgpr52
                                        ; implicit-def: $vgpr35_vgpr36
                                        ; implicit-def: $vgpr39_vgpr40
                                        ; implicit-def: $vgpr43_vgpr44
                                        ; implicit-def: $vgpr47_vgpr48
	s_wait_alu 0xfffe
	s_cbranch_vccz .LBB156_78
; %bb.44:
	v_xor_b32_e32 v34, 0x80000000, v14
	v_xor_b32_e32 v36, 0x80000000, v16
	v_mov_b32_e32 v33, v13
	v_mov_b32_e32 v35, v15
	v_xor_b32_e32 v38, 0x80000000, v10
	v_xor_b32_e32 v40, 0x80000000, v12
	s_mov_b32 s25, s24
	s_mov_b32 s26, s24
	;; [unrolled: 1-line block ×3, first 2 shown]
	v_mov_b32_e32 v37, v9
	v_mov_b32_e32 v39, v11
	v_xor_b32_e32 v42, 0x80000000, v6
	v_xor_b32_e32 v44, 0x80000000, v8
	v_dual_mov_b32 v41, v5 :: v_dual_add_nc_u32 v130, v114, v117
	v_mov_b32_e32 v43, v7
	v_xor_b32_e32 v46, 0x80000000, v2
	v_xor_b32_e32 v48, 0x80000000, v4
	v_mov_b32_e32 v45, v1
	v_mov_b32_e32 v47, v3
	ds_store_b128 v125, v[33:36]
	ds_store_b128 v125, v[37:40] offset:16
	ds_store_b128 v125, v[41:44] offset:32
	;; [unrolled: 1-line block ×3, first 2 shown]
	; wave barrier
	ds_load_2addr_b64 v[37:40], v124 offset1:32
	ds_load_2addr_b64 v[41:44], v124 offset0:64 offset1:96
	ds_load_2addr_b64 v[45:48], v124 offset0:128 offset1:160
	;; [unrolled: 1-line block ×3, first 2 shown]
	; wave barrier
	ds_store_b128 v125, v[21:24]
	ds_store_b128 v125, v[17:20] offset:16
	ds_store_b128 v125, v[29:32] offset:32
	;; [unrolled: 1-line block ×3, first 2 shown]
	; wave barrier
	ds_load_2addr_b64 v[49:52], v124 offset1:32
	ds_load_2addr_b64 v[53:56], v124 offset0:64 offset1:96
	ds_load_2addr_b64 v[57:60], v124 offset0:128 offset1:160
	;; [unrolled: 1-line block ×3, first 2 shown]
	s_wait_loadcnt_dscnt 0x0
	s_barrier_signal -1
	s_barrier_wait -1
	global_inv scope:SCOPE_SE
	s_load_b32 s11, s[36:37], 0xc
	s_getpc_b64 s[12:13]
	s_wait_alu 0xfffe
	s_sext_i32_i16 s13, s13
	s_add_co_u32 s12, s12, _ZN7rocprim17ROCPRIM_400000_NS16block_radix_sortIlLj256ELj8ElLj1ELj1ELj0ELNS0_26block_radix_rank_algorithmE1ELNS0_18block_padding_hintE2ELNS0_4arch9wavefront6targetE0EE19radix_bits_per_passE@rel32@lo+12
	s_wait_alu 0xfffe
	s_add_co_ci_u32 s13, s13, _ZN7rocprim17ROCPRIM_400000_NS16block_radix_sortIlLj256ELj8ElLj1ELj1ELj0ELNS0_26block_radix_rank_algorithmE1ELNS0_18block_padding_hintE2ELNS0_4arch9wavefront6targetE0EE19radix_bits_per_passE@rel32@hi+24
	v_cmp_lt_u32_e64 s15, 7, v120
	s_load_b32 s33, s[12:13], 0x0
	v_cmp_lt_u32_e64 s13, 1, v120
	v_cmp_eq_u32_e64 s16, 0, v119
	v_cmp_eq_u32_e64 s18, 0, v118
	v_cmp_lt_u32_e64 s19, 1, v118
	v_cmp_lt_u32_e64 s20, 3, v118
	v_add_nc_u32_e32 v127, -4, v115
	v_lshl_add_u32 v128, v116, 3, v0
	s_wait_kmcnt 0x0
	s_lshr_b32 s14, s11, 16
	s_and_b32 s12, s11, 0xffff
	s_wait_alu 0xfffe
	v_mad_u32_u24 v33, v123, s14, v122
	v_sub_co_u32 v35, s11, v116, 1
	v_cmp_lt_u32_e64 s14, 3, v120
	s_delay_alu instid0(VALU_DEP_3) | instskip(NEXT) | instid1(VALU_DEP_3)
	v_mad_co_u64_u32 v[33:34], null, v33, s12, v[69:70]
	v_cmp_gt_i32_e32 vcc_lo, 0, v35
	v_or_b32_e32 v34, 31, v121
	v_mov_b32_e32 v70, 0
	v_cmp_eq_u32_e64 s12, 0, v120
	v_mov_b32_e32 v71, 0
	s_wait_alu 0xfffd
	v_cndmask_b32_e32 v35, v35, v116, vcc_lo
	v_lshrrev_b32_e32 v33, 3, v33
	v_cmp_eq_u32_e64 s17, v69, v34
	s_delay_alu instid0(VALU_DEP_3) | instskip(NEXT) | instid1(VALU_DEP_3)
	v_lshlrev_b32_e32 v126, 2, v35
	v_dual_mov_b32 v36, s27 :: v_dual_and_b32 v129, 0x1ffffffc, v33
	v_dual_mov_b32 v35, s26 :: v_dual_mov_b32 v34, s25
	v_mov_b32_e32 v33, s24
	s_mov_b32 s24, 64
	s_branch .LBB156_46
.LBB156_45:                             ;   in Loop: Header=BB156_46 Depth=1
	s_wait_alu 0xfffe
	s_and_not1_b32 vcc_lo, exec_lo, s21
	s_wait_alu 0xfffe
	s_cbranch_vccz .LBB156_77
.LBB156_46:                             ; =>This Inner Loop Header: Depth=1
	v_dual_mov_b32 v73, v38 :: v_dual_mov_b32 v72, v37
	s_wait_alu 0xfffe
	s_min_u32 s21, s33, s24
	v_mov_b32_e32 v85, v60
	s_wait_alu 0xfffe
	s_lshl_b32 s21, -1, s21
	v_mov_b32_e32 v93, v52
	v_lshrrev_b64 v[37:38], v70, v[72:73]
	s_wait_alu 0xfffe
	s_not_b32 s25, s21
	v_mov_b32_e32 v83, v62
	v_mov_b32_e32 v87, v58
	;; [unrolled: 1-line block ×3, first 2 shown]
	s_wait_alu 0xfffe
	v_dual_mov_b32 v75, v68 :: v_dual_and_b32 v38, s25, v37
	v_dual_mov_b32 v74, v67 :: v_dual_mov_b32 v77, v66
	v_dual_mov_b32 v76, v65 :: v_dual_mov_b32 v79, v48
	s_delay_alu instid0(VALU_DEP_3) | instskip(SKIP_3) | instid1(VALU_DEP_4)
	v_dual_mov_b32 v78, v47 :: v_dual_and_b32 v37, 1, v38
	v_lshlrev_b32_e32 v47, 30, v38
	v_dual_mov_b32 v97, v46 :: v_dual_lshlrev_b32 v48, 29, v38
	v_mov_b32_e32 v96, v45
	v_add_co_u32 v37, s21, v37, -1
	s_wait_alu 0xf1ff
	v_cndmask_b32_e64 v66, 0, 1, s21
	v_not_b32_e32 v81, v47
	v_lshlrev_b32_e32 v65, 28, v38
	v_cmp_gt_i32_e64 s21, 0, v47
	v_not_b32_e32 v47, v48
	v_cmp_ne_u32_e32 vcc_lo, 0, v66
	v_ashrrev_i32_e32 v81, 31, v81
	v_dual_mov_b32 v99, v44 :: v_dual_lshlrev_b32 v68, 26, v38
	v_lshlrev_b32_e32 v67, 27, v38
	s_wait_alu 0xfffd
	v_xor_b32_e32 v37, vcc_lo, v37
	v_cmp_gt_i32_e32 vcc_lo, 0, v48
	v_ashrrev_i32_e32 v47, 31, v47
	s_wait_alu 0xf1ff
	v_xor_b32_e32 v81, s21, v81
	v_mov_b32_e32 v98, v43
	v_not_b32_e32 v48, v65
	v_and_b32_e32 v37, exec_lo, v37
	v_dual_mov_b32 v101, v42 :: v_dual_lshlrev_b32 v80, 25, v38
	v_dual_mov_b32 v103, v40 :: v_dual_lshlrev_b32 v66, 24, v38
	v_cmp_gt_i32_e64 s21, 0, v65
	v_ashrrev_i32_e32 v48, 31, v48
	s_wait_alu 0xfffd
	v_xor_b32_e32 v47, vcc_lo, v47
	v_mov_b32_e32 v100, v41
	v_not_b32_e32 v65, v67
	v_dual_mov_b32 v102, v39 :: v_dual_and_b32 v37, v37, v81
	v_cmp_gt_i32_e32 vcc_lo, 0, v67
	v_not_b32_e32 v67, v68
	s_delay_alu instid0(VALU_DEP_4)
	v_ashrrev_i32_e32 v65, 31, v65
	s_wait_alu 0xf1ff
	v_xor_b32_e32 v48, s21, v48
	v_dual_mov_b32 v84, v59 :: v_dual_and_b32 v37, v37, v47
	v_cmp_gt_i32_e64 s21, 0, v68
	v_not_b32_e32 v47, v80
	v_ashrrev_i32_e32 v67, 31, v67
	s_wait_alu 0xfffd
	v_xor_b32_e32 v65, vcc_lo, v65
	v_and_b32_e32 v37, v37, v48
	v_dual_mov_b32 v89, v56 :: v_dual_lshlrev_b32 v38, 5, v38
	v_cmp_gt_i32_e32 vcc_lo, 0, v80
	v_not_b32_e32 v48, v66
	v_ashrrev_i32_e32 v47, 31, v47
	s_wait_alu 0xf1ff
	v_xor_b32_e32 v67, s21, v67
	v_dual_mov_b32 v88, v55 :: v_dual_and_b32 v37, v37, v65
	v_mov_b32_e32 v92, v51
	v_cmp_gt_i32_e64 s21, 0, v66
	v_ashrrev_i32_e32 v45, 31, v48
	s_wait_alu 0xfffd
	v_xor_b32_e32 v46, vcc_lo, v47
	v_and_b32_e32 v37, v37, v67
	v_dual_mov_b32 v81, v64 :: v_dual_mov_b32 v82, v61
	s_wait_alu 0xf1ff
	v_xor_b32_e32 v39, s21, v45
	v_mov_b32_e32 v91, v54
	v_dual_mov_b32 v80, v63 :: v_dual_and_b32 v37, v37, v46
	v_mov_b32_e32 v86, v57
	v_mov_b32_e32 v90, v53
	;; [unrolled: 1-line block ×3, first 2 shown]
	s_delay_alu instid0(VALU_DEP_4)
	v_and_b32_e32 v37, v37, v39
	v_add_nc_u32_e32 v46, v129, v38
	ds_store_b128 v114, v[33:36] offset:32
	ds_store_b128 v114, v[33:36] offset:48
	s_wait_loadcnt_dscnt 0x0
	s_barrier_signal -1
	v_mbcnt_lo_u32_b32 v45, v37, 0
	v_cmp_ne_u32_e64 s21, 0, v37
	s_barrier_wait -1
	global_inv scope:SCOPE_SE
	v_cmp_eq_u32_e32 vcc_lo, 0, v45
	; wave barrier
	s_and_b32 s26, s21, vcc_lo
	s_wait_alu 0xfffe
	s_and_saveexec_b32 s21, s26
; %bb.47:                               ;   in Loop: Header=BB156_46 Depth=1
	v_bcnt_u32_b32 v37, v37, 0
	ds_store_b32 v46, v37 offset:32
; %bb.48:                               ;   in Loop: Header=BB156_46 Depth=1
	s_wait_alu 0xfffe
	s_or_b32 exec_lo, exec_lo, s21
	v_lshrrev_b64 v[37:38], v70, v[102:103]
	; wave barrier
	s_delay_alu instid0(VALU_DEP_1) | instskip(NEXT) | instid1(VALU_DEP_1)
	v_and_b32_e32 v37, s25, v37
	v_and_b32_e32 v38, 1, v37
	v_lshlrev_b32_e32 v39, 30, v37
	v_lshlrev_b32_e32 v40, 29, v37
	;; [unrolled: 1-line block ×4, first 2 shown]
	v_add_co_u32 v38, s21, v38, -1
	s_wait_alu 0xf1ff
	v_cndmask_b32_e64 v42, 0, 1, s21
	v_not_b32_e32 v48, v39
	v_cmp_gt_i32_e64 s21, 0, v39
	v_not_b32_e32 v39, v40
	v_lshlrev_b32_e32 v44, 26, v37
	v_cmp_ne_u32_e32 vcc_lo, 0, v42
	v_ashrrev_i32_e32 v48, 31, v48
	v_lshlrev_b32_e32 v47, 25, v37
	v_ashrrev_i32_e32 v39, 31, v39
	v_lshlrev_b32_e32 v42, 24, v37
	s_wait_alu 0xfffd
	v_xor_b32_e32 v38, vcc_lo, v38
	v_cmp_gt_i32_e32 vcc_lo, 0, v40
	v_not_b32_e32 v40, v41
	s_wait_alu 0xf1ff
	v_xor_b32_e32 v48, s21, v48
	v_cmp_gt_i32_e64 s21, 0, v41
	v_and_b32_e32 v38, exec_lo, v38
	v_not_b32_e32 v41, v43
	v_ashrrev_i32_e32 v40, 31, v40
	s_wait_alu 0xfffd
	v_xor_b32_e32 v39, vcc_lo, v39
	v_cmp_gt_i32_e32 vcc_lo, 0, v43
	v_and_b32_e32 v38, v38, v48
	v_not_b32_e32 v43, v44
	v_ashrrev_i32_e32 v41, 31, v41
	s_wait_alu 0xf1ff
	v_xor_b32_e32 v40, s21, v40
	v_cmp_gt_i32_e64 s21, 0, v44
	v_and_b32_e32 v38, v38, v39
	v_not_b32_e32 v39, v47
	v_ashrrev_i32_e32 v43, 31, v43
	s_wait_alu 0xfffd
	v_xor_b32_e32 v41, vcc_lo, v41
	v_cmp_gt_i32_e32 vcc_lo, 0, v47
	v_and_b32_e32 v38, v38, v40
	v_not_b32_e32 v40, v42
	v_ashrrev_i32_e32 v39, 31, v39
	s_wait_alu 0xf1ff
	v_xor_b32_e32 v43, s21, v43
	v_lshlrev_b32_e32 v37, 5, v37
	v_and_b32_e32 v38, v38, v41
	v_cmp_gt_i32_e64 s21, 0, v42
	v_ashrrev_i32_e32 v40, 31, v40
	s_wait_alu 0xfffd
	v_xor_b32_e32 v39, vcc_lo, v39
	v_add_nc_u32_e32 v49, v129, v37
	v_and_b32_e32 v38, v38, v43
	s_wait_alu 0xf1ff
	v_xor_b32_e32 v37, s21, v40
	ds_load_b32 v47, v49 offset:32
	v_and_b32_e32 v38, v38, v39
	; wave barrier
	s_delay_alu instid0(VALU_DEP_1) | instskip(NEXT) | instid1(VALU_DEP_1)
	v_and_b32_e32 v37, v38, v37
	v_mbcnt_lo_u32_b32 v48, v37, 0
	v_cmp_ne_u32_e64 s21, 0, v37
	s_delay_alu instid0(VALU_DEP_2)
	v_cmp_eq_u32_e32 vcc_lo, 0, v48
	s_and_b32 s26, s21, vcc_lo
	s_wait_alu 0xfffe
	s_and_saveexec_b32 s21, s26
	s_cbranch_execz .LBB156_50
; %bb.49:                               ;   in Loop: Header=BB156_46 Depth=1
	s_wait_dscnt 0x0
	v_bcnt_u32_b32 v37, v37, v47
	ds_store_b32 v49, v37 offset:32
.LBB156_50:                             ;   in Loop: Header=BB156_46 Depth=1
	s_wait_alu 0xfffe
	s_or_b32 exec_lo, exec_lo, s21
	v_lshrrev_b64 v[37:38], v70, v[100:101]
	; wave barrier
	s_delay_alu instid0(VALU_DEP_1) | instskip(NEXT) | instid1(VALU_DEP_1)
	v_and_b32_e32 v37, s25, v37
	v_and_b32_e32 v38, 1, v37
	v_lshlrev_b32_e32 v39, 30, v37
	v_lshlrev_b32_e32 v40, 29, v37
	;; [unrolled: 1-line block ×4, first 2 shown]
	v_add_co_u32 v38, s21, v38, -1
	s_wait_alu 0xf1ff
	v_cndmask_b32_e64 v42, 0, 1, s21
	v_not_b32_e32 v51, v39
	v_cmp_gt_i32_e64 s21, 0, v39
	v_not_b32_e32 v39, v40
	v_lshlrev_b32_e32 v44, 26, v37
	v_cmp_ne_u32_e32 vcc_lo, 0, v42
	v_ashrrev_i32_e32 v51, 31, v51
	v_lshlrev_b32_e32 v50, 25, v37
	v_ashrrev_i32_e32 v39, 31, v39
	v_lshlrev_b32_e32 v42, 24, v37
	s_wait_alu 0xfffd
	v_xor_b32_e32 v38, vcc_lo, v38
	v_cmp_gt_i32_e32 vcc_lo, 0, v40
	v_not_b32_e32 v40, v41
	s_wait_alu 0xf1ff
	v_xor_b32_e32 v51, s21, v51
	v_cmp_gt_i32_e64 s21, 0, v41
	v_and_b32_e32 v38, exec_lo, v38
	v_not_b32_e32 v41, v43
	v_ashrrev_i32_e32 v40, 31, v40
	s_wait_alu 0xfffd
	v_xor_b32_e32 v39, vcc_lo, v39
	v_cmp_gt_i32_e32 vcc_lo, 0, v43
	v_and_b32_e32 v38, v38, v51
	v_not_b32_e32 v43, v44
	v_ashrrev_i32_e32 v41, 31, v41
	s_wait_alu 0xf1ff
	v_xor_b32_e32 v40, s21, v40
	v_cmp_gt_i32_e64 s21, 0, v44
	v_and_b32_e32 v38, v38, v39
	v_not_b32_e32 v39, v50
	v_ashrrev_i32_e32 v43, 31, v43
	s_wait_alu 0xfffd
	v_xor_b32_e32 v41, vcc_lo, v41
	v_cmp_gt_i32_e32 vcc_lo, 0, v50
	v_and_b32_e32 v38, v38, v40
	v_not_b32_e32 v40, v42
	v_ashrrev_i32_e32 v39, 31, v39
	s_wait_alu 0xf1ff
	v_xor_b32_e32 v43, s21, v43
	v_lshlrev_b32_e32 v37, 5, v37
	v_and_b32_e32 v38, v38, v41
	v_cmp_gt_i32_e64 s21, 0, v42
	v_ashrrev_i32_e32 v40, 31, v40
	s_wait_alu 0xfffd
	v_xor_b32_e32 v39, vcc_lo, v39
	v_add_nc_u32_e32 v52, v129, v37
	v_and_b32_e32 v38, v38, v43
	s_wait_alu 0xf1ff
	v_xor_b32_e32 v37, s21, v40
	ds_load_b32 v50, v52 offset:32
	v_and_b32_e32 v38, v38, v39
	; wave barrier
	s_delay_alu instid0(VALU_DEP_1) | instskip(NEXT) | instid1(VALU_DEP_1)
	v_and_b32_e32 v37, v38, v37
	v_mbcnt_lo_u32_b32 v51, v37, 0
	v_cmp_ne_u32_e64 s21, 0, v37
	s_delay_alu instid0(VALU_DEP_2)
	v_cmp_eq_u32_e32 vcc_lo, 0, v51
	s_and_b32 s26, s21, vcc_lo
	s_wait_alu 0xfffe
	s_and_saveexec_b32 s21, s26
	s_cbranch_execz .LBB156_52
; %bb.51:                               ;   in Loop: Header=BB156_46 Depth=1
	s_wait_dscnt 0x0
	v_bcnt_u32_b32 v37, v37, v50
	ds_store_b32 v52, v37 offset:32
.LBB156_52:                             ;   in Loop: Header=BB156_46 Depth=1
	s_wait_alu 0xfffe
	s_or_b32 exec_lo, exec_lo, s21
	v_lshrrev_b64 v[37:38], v70, v[98:99]
	; wave barrier
	s_delay_alu instid0(VALU_DEP_1) | instskip(NEXT) | instid1(VALU_DEP_1)
	v_and_b32_e32 v37, s25, v37
	v_and_b32_e32 v38, 1, v37
	v_lshlrev_b32_e32 v39, 30, v37
	v_lshlrev_b32_e32 v40, 29, v37
	;; [unrolled: 1-line block ×4, first 2 shown]
	v_add_co_u32 v38, s21, v38, -1
	s_wait_alu 0xf1ff
	v_cndmask_b32_e64 v42, 0, 1, s21
	v_not_b32_e32 v54, v39
	v_cmp_gt_i32_e64 s21, 0, v39
	v_not_b32_e32 v39, v40
	v_lshlrev_b32_e32 v44, 26, v37
	v_cmp_ne_u32_e32 vcc_lo, 0, v42
	v_ashrrev_i32_e32 v54, 31, v54
	v_lshlrev_b32_e32 v53, 25, v37
	v_ashrrev_i32_e32 v39, 31, v39
	v_lshlrev_b32_e32 v42, 24, v37
	s_wait_alu 0xfffd
	v_xor_b32_e32 v38, vcc_lo, v38
	v_cmp_gt_i32_e32 vcc_lo, 0, v40
	v_not_b32_e32 v40, v41
	s_wait_alu 0xf1ff
	v_xor_b32_e32 v54, s21, v54
	v_cmp_gt_i32_e64 s21, 0, v41
	v_and_b32_e32 v38, exec_lo, v38
	v_not_b32_e32 v41, v43
	v_ashrrev_i32_e32 v40, 31, v40
	s_wait_alu 0xfffd
	v_xor_b32_e32 v39, vcc_lo, v39
	v_cmp_gt_i32_e32 vcc_lo, 0, v43
	v_and_b32_e32 v38, v38, v54
	v_not_b32_e32 v43, v44
	v_ashrrev_i32_e32 v41, 31, v41
	s_wait_alu 0xf1ff
	v_xor_b32_e32 v40, s21, v40
	v_cmp_gt_i32_e64 s21, 0, v44
	v_and_b32_e32 v38, v38, v39
	v_not_b32_e32 v39, v53
	v_ashrrev_i32_e32 v43, 31, v43
	s_wait_alu 0xfffd
	v_xor_b32_e32 v41, vcc_lo, v41
	v_cmp_gt_i32_e32 vcc_lo, 0, v53
	v_and_b32_e32 v38, v38, v40
	v_not_b32_e32 v40, v42
	v_ashrrev_i32_e32 v39, 31, v39
	s_wait_alu 0xf1ff
	v_xor_b32_e32 v43, s21, v43
	v_lshlrev_b32_e32 v37, 5, v37
	v_and_b32_e32 v38, v38, v41
	v_cmp_gt_i32_e64 s21, 0, v42
	v_ashrrev_i32_e32 v40, 31, v40
	s_wait_alu 0xfffd
	v_xor_b32_e32 v39, vcc_lo, v39
	v_add_nc_u32_e32 v55, v129, v37
	v_and_b32_e32 v38, v38, v43
	s_wait_alu 0xf1ff
	v_xor_b32_e32 v37, s21, v40
	ds_load_b32 v53, v55 offset:32
	v_and_b32_e32 v38, v38, v39
	; wave barrier
	s_delay_alu instid0(VALU_DEP_1) | instskip(NEXT) | instid1(VALU_DEP_1)
	v_and_b32_e32 v37, v38, v37
	v_mbcnt_lo_u32_b32 v54, v37, 0
	v_cmp_ne_u32_e64 s21, 0, v37
	s_delay_alu instid0(VALU_DEP_2)
	v_cmp_eq_u32_e32 vcc_lo, 0, v54
	s_and_b32 s26, s21, vcc_lo
	s_wait_alu 0xfffe
	s_and_saveexec_b32 s21, s26
	s_cbranch_execz .LBB156_54
; %bb.53:                               ;   in Loop: Header=BB156_46 Depth=1
	s_wait_dscnt 0x0
	v_bcnt_u32_b32 v37, v37, v53
	ds_store_b32 v55, v37 offset:32
.LBB156_54:                             ;   in Loop: Header=BB156_46 Depth=1
	s_wait_alu 0xfffe
	s_or_b32 exec_lo, exec_lo, s21
	v_lshrrev_b64 v[37:38], v70, v[96:97]
	; wave barrier
	s_delay_alu instid0(VALU_DEP_1) | instskip(NEXT) | instid1(VALU_DEP_1)
	v_and_b32_e32 v37, s25, v37
	v_and_b32_e32 v38, 1, v37
	v_lshlrev_b32_e32 v39, 30, v37
	v_lshlrev_b32_e32 v40, 29, v37
	;; [unrolled: 1-line block ×4, first 2 shown]
	v_add_co_u32 v38, s21, v38, -1
	s_wait_alu 0xf1ff
	v_cndmask_b32_e64 v42, 0, 1, s21
	v_not_b32_e32 v57, v39
	v_cmp_gt_i32_e64 s21, 0, v39
	v_not_b32_e32 v39, v40
	v_lshlrev_b32_e32 v44, 26, v37
	v_cmp_ne_u32_e32 vcc_lo, 0, v42
	v_ashrrev_i32_e32 v57, 31, v57
	v_lshlrev_b32_e32 v56, 25, v37
	v_ashrrev_i32_e32 v39, 31, v39
	v_lshlrev_b32_e32 v42, 24, v37
	s_wait_alu 0xfffd
	v_xor_b32_e32 v38, vcc_lo, v38
	v_cmp_gt_i32_e32 vcc_lo, 0, v40
	v_not_b32_e32 v40, v41
	s_wait_alu 0xf1ff
	v_xor_b32_e32 v57, s21, v57
	v_cmp_gt_i32_e64 s21, 0, v41
	v_and_b32_e32 v38, exec_lo, v38
	v_not_b32_e32 v41, v43
	v_ashrrev_i32_e32 v40, 31, v40
	s_wait_alu 0xfffd
	v_xor_b32_e32 v39, vcc_lo, v39
	v_cmp_gt_i32_e32 vcc_lo, 0, v43
	v_and_b32_e32 v38, v38, v57
	v_not_b32_e32 v43, v44
	v_ashrrev_i32_e32 v41, 31, v41
	s_wait_alu 0xf1ff
	v_xor_b32_e32 v40, s21, v40
	v_cmp_gt_i32_e64 s21, 0, v44
	v_and_b32_e32 v38, v38, v39
	v_not_b32_e32 v39, v56
	v_ashrrev_i32_e32 v43, 31, v43
	s_wait_alu 0xfffd
	v_xor_b32_e32 v41, vcc_lo, v41
	v_cmp_gt_i32_e32 vcc_lo, 0, v56
	v_and_b32_e32 v38, v38, v40
	v_not_b32_e32 v40, v42
	v_ashrrev_i32_e32 v39, 31, v39
	s_wait_alu 0xf1ff
	v_xor_b32_e32 v43, s21, v43
	v_lshlrev_b32_e32 v37, 5, v37
	v_and_b32_e32 v38, v38, v41
	v_cmp_gt_i32_e64 s21, 0, v42
	v_ashrrev_i32_e32 v40, 31, v40
	s_wait_alu 0xfffd
	v_xor_b32_e32 v39, vcc_lo, v39
	v_add_nc_u32_e32 v58, v129, v37
	v_and_b32_e32 v38, v38, v43
	s_wait_alu 0xf1ff
	v_xor_b32_e32 v37, s21, v40
	ds_load_b32 v56, v58 offset:32
	v_and_b32_e32 v38, v38, v39
	; wave barrier
	s_delay_alu instid0(VALU_DEP_1) | instskip(NEXT) | instid1(VALU_DEP_1)
	v_and_b32_e32 v37, v38, v37
	v_mbcnt_lo_u32_b32 v57, v37, 0
	v_cmp_ne_u32_e64 s21, 0, v37
	s_delay_alu instid0(VALU_DEP_2)
	v_cmp_eq_u32_e32 vcc_lo, 0, v57
	s_and_b32 s26, s21, vcc_lo
	s_wait_alu 0xfffe
	s_and_saveexec_b32 s21, s26
	s_cbranch_execz .LBB156_56
; %bb.55:                               ;   in Loop: Header=BB156_46 Depth=1
	s_wait_dscnt 0x0
	v_bcnt_u32_b32 v37, v37, v56
	ds_store_b32 v58, v37 offset:32
.LBB156_56:                             ;   in Loop: Header=BB156_46 Depth=1
	s_wait_alu 0xfffe
	s_or_b32 exec_lo, exec_lo, s21
	v_lshrrev_b64 v[37:38], v70, v[78:79]
	; wave barrier
	s_delay_alu instid0(VALU_DEP_1) | instskip(NEXT) | instid1(VALU_DEP_1)
	v_and_b32_e32 v37, s25, v37
	v_and_b32_e32 v38, 1, v37
	v_lshlrev_b32_e32 v39, 30, v37
	v_lshlrev_b32_e32 v40, 29, v37
	;; [unrolled: 1-line block ×4, first 2 shown]
	v_add_co_u32 v38, s21, v38, -1
	s_wait_alu 0xf1ff
	v_cndmask_b32_e64 v42, 0, 1, s21
	v_not_b32_e32 v60, v39
	v_cmp_gt_i32_e64 s21, 0, v39
	v_not_b32_e32 v39, v40
	v_lshlrev_b32_e32 v44, 26, v37
	v_cmp_ne_u32_e32 vcc_lo, 0, v42
	v_ashrrev_i32_e32 v60, 31, v60
	v_lshlrev_b32_e32 v59, 25, v37
	v_ashrrev_i32_e32 v39, 31, v39
	v_lshlrev_b32_e32 v42, 24, v37
	s_wait_alu 0xfffd
	v_xor_b32_e32 v38, vcc_lo, v38
	v_cmp_gt_i32_e32 vcc_lo, 0, v40
	v_not_b32_e32 v40, v41
	s_wait_alu 0xf1ff
	v_xor_b32_e32 v60, s21, v60
	v_cmp_gt_i32_e64 s21, 0, v41
	v_and_b32_e32 v38, exec_lo, v38
	v_not_b32_e32 v41, v43
	v_ashrrev_i32_e32 v40, 31, v40
	s_wait_alu 0xfffd
	v_xor_b32_e32 v39, vcc_lo, v39
	v_cmp_gt_i32_e32 vcc_lo, 0, v43
	v_and_b32_e32 v38, v38, v60
	v_not_b32_e32 v43, v44
	v_ashrrev_i32_e32 v41, 31, v41
	s_wait_alu 0xf1ff
	v_xor_b32_e32 v40, s21, v40
	v_cmp_gt_i32_e64 s21, 0, v44
	v_and_b32_e32 v38, v38, v39
	v_not_b32_e32 v39, v59
	v_ashrrev_i32_e32 v43, 31, v43
	s_wait_alu 0xfffd
	v_xor_b32_e32 v41, vcc_lo, v41
	v_cmp_gt_i32_e32 vcc_lo, 0, v59
	v_and_b32_e32 v38, v38, v40
	v_not_b32_e32 v40, v42
	v_ashrrev_i32_e32 v39, 31, v39
	s_wait_alu 0xf1ff
	v_xor_b32_e32 v43, s21, v43
	v_lshlrev_b32_e32 v37, 5, v37
	v_and_b32_e32 v38, v38, v41
	v_cmp_gt_i32_e64 s21, 0, v42
	v_ashrrev_i32_e32 v40, 31, v40
	s_wait_alu 0xfffd
	v_xor_b32_e32 v39, vcc_lo, v39
	v_add_nc_u32_e32 v61, v129, v37
	v_and_b32_e32 v38, v38, v43
	s_wait_alu 0xf1ff
	v_xor_b32_e32 v37, s21, v40
	ds_load_b32 v59, v61 offset:32
	v_and_b32_e32 v38, v38, v39
	; wave barrier
	s_delay_alu instid0(VALU_DEP_1) | instskip(NEXT) | instid1(VALU_DEP_1)
	v_and_b32_e32 v37, v38, v37
	v_mbcnt_lo_u32_b32 v60, v37, 0
	v_cmp_ne_u32_e64 s21, 0, v37
	s_delay_alu instid0(VALU_DEP_2)
	v_cmp_eq_u32_e32 vcc_lo, 0, v60
	s_and_b32 s26, s21, vcc_lo
	s_wait_alu 0xfffe
	s_and_saveexec_b32 s21, s26
	s_cbranch_execz .LBB156_58
; %bb.57:                               ;   in Loop: Header=BB156_46 Depth=1
	s_wait_dscnt 0x0
	v_bcnt_u32_b32 v37, v37, v59
	ds_store_b32 v61, v37 offset:32
.LBB156_58:                             ;   in Loop: Header=BB156_46 Depth=1
	s_wait_alu 0xfffe
	s_or_b32 exec_lo, exec_lo, s21
	v_lshrrev_b64 v[37:38], v70, v[76:77]
	; wave barrier
	s_delay_alu instid0(VALU_DEP_1) | instskip(NEXT) | instid1(VALU_DEP_1)
	v_and_b32_e32 v37, s25, v37
	v_and_b32_e32 v38, 1, v37
	v_lshlrev_b32_e32 v39, 30, v37
	v_lshlrev_b32_e32 v40, 29, v37
	;; [unrolled: 1-line block ×4, first 2 shown]
	v_add_co_u32 v38, s21, v38, -1
	s_wait_alu 0xf1ff
	v_cndmask_b32_e64 v42, 0, 1, s21
	v_not_b32_e32 v63, v39
	v_cmp_gt_i32_e64 s21, 0, v39
	v_not_b32_e32 v39, v40
	v_lshlrev_b32_e32 v44, 26, v37
	v_cmp_ne_u32_e32 vcc_lo, 0, v42
	v_ashrrev_i32_e32 v63, 31, v63
	v_lshlrev_b32_e32 v62, 25, v37
	v_ashrrev_i32_e32 v39, 31, v39
	v_lshlrev_b32_e32 v42, 24, v37
	s_wait_alu 0xfffd
	v_xor_b32_e32 v38, vcc_lo, v38
	v_cmp_gt_i32_e32 vcc_lo, 0, v40
	v_not_b32_e32 v40, v41
	s_wait_alu 0xf1ff
	v_xor_b32_e32 v63, s21, v63
	v_cmp_gt_i32_e64 s21, 0, v41
	v_and_b32_e32 v38, exec_lo, v38
	v_not_b32_e32 v41, v43
	v_ashrrev_i32_e32 v40, 31, v40
	s_wait_alu 0xfffd
	v_xor_b32_e32 v39, vcc_lo, v39
	v_cmp_gt_i32_e32 vcc_lo, 0, v43
	v_and_b32_e32 v38, v38, v63
	v_not_b32_e32 v43, v44
	v_ashrrev_i32_e32 v41, 31, v41
	s_wait_alu 0xf1ff
	v_xor_b32_e32 v40, s21, v40
	v_cmp_gt_i32_e64 s21, 0, v44
	v_and_b32_e32 v38, v38, v39
	v_not_b32_e32 v39, v62
	v_ashrrev_i32_e32 v43, 31, v43
	s_wait_alu 0xfffd
	v_xor_b32_e32 v41, vcc_lo, v41
	v_cmp_gt_i32_e32 vcc_lo, 0, v62
	v_and_b32_e32 v38, v38, v40
	v_not_b32_e32 v40, v42
	v_ashrrev_i32_e32 v39, 31, v39
	s_wait_alu 0xf1ff
	v_xor_b32_e32 v43, s21, v43
	v_lshlrev_b32_e32 v37, 5, v37
	v_and_b32_e32 v38, v38, v41
	v_cmp_gt_i32_e64 s21, 0, v42
	v_ashrrev_i32_e32 v40, 31, v40
	s_wait_alu 0xfffd
	v_xor_b32_e32 v39, vcc_lo, v39
	v_add_nc_u32_e32 v64, v129, v37
	v_and_b32_e32 v38, v38, v43
	s_wait_alu 0xf1ff
	v_xor_b32_e32 v37, s21, v40
	ds_load_b32 v62, v64 offset:32
	v_and_b32_e32 v38, v38, v39
	; wave barrier
	s_delay_alu instid0(VALU_DEP_1) | instskip(NEXT) | instid1(VALU_DEP_1)
	v_and_b32_e32 v37, v38, v37
	v_mbcnt_lo_u32_b32 v63, v37, 0
	v_cmp_ne_u32_e64 s21, 0, v37
	s_delay_alu instid0(VALU_DEP_2)
	v_cmp_eq_u32_e32 vcc_lo, 0, v63
	s_and_b32 s26, s21, vcc_lo
	s_wait_alu 0xfffe
	s_and_saveexec_b32 s21, s26
	s_cbranch_execz .LBB156_60
; %bb.59:                               ;   in Loop: Header=BB156_46 Depth=1
	s_wait_dscnt 0x0
	v_bcnt_u32_b32 v37, v37, v62
	ds_store_b32 v64, v37 offset:32
.LBB156_60:                             ;   in Loop: Header=BB156_46 Depth=1
	s_wait_alu 0xfffe
	s_or_b32 exec_lo, exec_lo, s21
	v_lshrrev_b64 v[37:38], v70, v[74:75]
	; wave barrier
	s_delay_alu instid0(VALU_DEP_1) | instskip(NEXT) | instid1(VALU_DEP_1)
	v_and_b32_e32 v37, s25, v37
	v_and_b32_e32 v38, 1, v37
	v_lshlrev_b32_e32 v39, 30, v37
	v_lshlrev_b32_e32 v40, 29, v37
	;; [unrolled: 1-line block ×4, first 2 shown]
	v_add_co_u32 v38, s21, v38, -1
	s_wait_alu 0xf1ff
	v_cndmask_b32_e64 v42, 0, 1, s21
	v_not_b32_e32 v66, v39
	v_cmp_gt_i32_e64 s21, 0, v39
	v_not_b32_e32 v39, v40
	v_lshlrev_b32_e32 v44, 26, v37
	v_cmp_ne_u32_e32 vcc_lo, 0, v42
	v_ashrrev_i32_e32 v66, 31, v66
	v_lshlrev_b32_e32 v65, 25, v37
	v_ashrrev_i32_e32 v39, 31, v39
	v_lshlrev_b32_e32 v42, 24, v37
	s_wait_alu 0xfffd
	v_xor_b32_e32 v38, vcc_lo, v38
	v_cmp_gt_i32_e32 vcc_lo, 0, v40
	v_not_b32_e32 v40, v41
	s_wait_alu 0xf1ff
	v_xor_b32_e32 v66, s21, v66
	v_cmp_gt_i32_e64 s21, 0, v41
	v_and_b32_e32 v38, exec_lo, v38
	v_not_b32_e32 v41, v43
	v_ashrrev_i32_e32 v40, 31, v40
	s_wait_alu 0xfffd
	v_xor_b32_e32 v39, vcc_lo, v39
	v_cmp_gt_i32_e32 vcc_lo, 0, v43
	v_and_b32_e32 v38, v38, v66
	v_not_b32_e32 v43, v44
	v_ashrrev_i32_e32 v41, 31, v41
	s_wait_alu 0xf1ff
	v_xor_b32_e32 v40, s21, v40
	v_cmp_gt_i32_e64 s21, 0, v44
	v_and_b32_e32 v38, v38, v39
	v_not_b32_e32 v39, v65
	v_ashrrev_i32_e32 v43, 31, v43
	s_wait_alu 0xfffd
	v_xor_b32_e32 v41, vcc_lo, v41
	v_cmp_gt_i32_e32 vcc_lo, 0, v65
	v_and_b32_e32 v38, v38, v40
	v_not_b32_e32 v40, v42
	v_ashrrev_i32_e32 v39, 31, v39
	s_wait_alu 0xf1ff
	v_xor_b32_e32 v43, s21, v43
	v_lshlrev_b32_e32 v37, 5, v37
	v_and_b32_e32 v38, v38, v41
	v_cmp_gt_i32_e64 s21, 0, v42
	v_ashrrev_i32_e32 v40, 31, v40
	s_wait_alu 0xfffd
	v_xor_b32_e32 v39, vcc_lo, v39
	v_add_nc_u32_e32 v67, v129, v37
	v_and_b32_e32 v38, v38, v43
	s_wait_alu 0xf1ff
	v_xor_b32_e32 v37, s21, v40
	ds_load_b32 v65, v67 offset:32
	v_and_b32_e32 v38, v38, v39
	; wave barrier
	s_delay_alu instid0(VALU_DEP_1) | instskip(NEXT) | instid1(VALU_DEP_1)
	v_and_b32_e32 v37, v38, v37
	v_mbcnt_lo_u32_b32 v66, v37, 0
	v_cmp_ne_u32_e64 s21, 0, v37
	s_delay_alu instid0(VALU_DEP_2)
	v_cmp_eq_u32_e32 vcc_lo, 0, v66
	s_and_b32 s25, s21, vcc_lo
	s_wait_alu 0xfffe
	s_and_saveexec_b32 s21, s25
	s_cbranch_execz .LBB156_62
; %bb.61:                               ;   in Loop: Header=BB156_46 Depth=1
	s_wait_dscnt 0x0
	v_bcnt_u32_b32 v37, v37, v65
	ds_store_b32 v67, v37 offset:32
.LBB156_62:                             ;   in Loop: Header=BB156_46 Depth=1
	s_wait_alu 0xfffe
	s_or_b32 exec_lo, exec_lo, s21
	; wave barrier
	s_wait_loadcnt_dscnt 0x0
	s_barrier_signal -1
	s_barrier_wait -1
	global_inv scope:SCOPE_SE
	ds_load_b128 v[41:44], v114 offset:32
	ds_load_b128 v[37:40], v114 offset:48
	s_wait_dscnt 0x1
	v_add_nc_u32_e32 v68, v42, v41
	s_delay_alu instid0(VALU_DEP_1) | instskip(SKIP_1) | instid1(VALU_DEP_1)
	v_add3_u32 v68, v68, v43, v44
	s_wait_dscnt 0x0
	v_add3_u32 v68, v68, v37, v38
	s_delay_alu instid0(VALU_DEP_1) | instskip(NEXT) | instid1(VALU_DEP_1)
	v_add3_u32 v40, v68, v39, v40
	v_mov_b32_dpp v68, v40 row_shr:1 row_mask:0xf bank_mask:0xf
	s_delay_alu instid0(VALU_DEP_1) | instskip(NEXT) | instid1(VALU_DEP_1)
	v_cndmask_b32_e64 v68, v68, 0, s12
	v_add_nc_u32_e32 v40, v68, v40
	s_delay_alu instid0(VALU_DEP_1) | instskip(NEXT) | instid1(VALU_DEP_1)
	v_mov_b32_dpp v68, v40 row_shr:2 row_mask:0xf bank_mask:0xf
	v_cndmask_b32_e64 v68, 0, v68, s13
	s_delay_alu instid0(VALU_DEP_1) | instskip(NEXT) | instid1(VALU_DEP_1)
	v_add_nc_u32_e32 v40, v40, v68
	v_mov_b32_dpp v68, v40 row_shr:4 row_mask:0xf bank_mask:0xf
	s_delay_alu instid0(VALU_DEP_1) | instskip(NEXT) | instid1(VALU_DEP_1)
	v_cndmask_b32_e64 v68, 0, v68, s14
	v_add_nc_u32_e32 v40, v40, v68
	s_delay_alu instid0(VALU_DEP_1) | instskip(NEXT) | instid1(VALU_DEP_1)
	v_mov_b32_dpp v68, v40 row_shr:8 row_mask:0xf bank_mask:0xf
	v_cndmask_b32_e64 v68, 0, v68, s15
	s_delay_alu instid0(VALU_DEP_1) | instskip(SKIP_3) | instid1(VALU_DEP_1)
	v_add_nc_u32_e32 v40, v40, v68
	ds_swizzle_b32 v68, v40 offset:swizzle(BROADCAST,32,15)
	s_wait_dscnt 0x0
	v_cndmask_b32_e64 v68, v68, 0, s16
	v_add_nc_u32_e32 v40, v40, v68
	s_and_saveexec_b32 s21, s17
; %bb.63:                               ;   in Loop: Header=BB156_46 Depth=1
	ds_store_b32 v115, v40
; %bb.64:                               ;   in Loop: Header=BB156_46 Depth=1
	s_wait_alu 0xfffe
	s_or_b32 exec_lo, exec_lo, s21
	s_wait_loadcnt_dscnt 0x0
	s_barrier_signal -1
	s_barrier_wait -1
	global_inv scope:SCOPE_SE
	s_and_saveexec_b32 s21, s0
	s_cbranch_execz .LBB156_66
; %bb.65:                               ;   in Loop: Header=BB156_46 Depth=1
	ds_load_b32 v68, v130
	s_wait_dscnt 0x0
	v_mov_b32_dpp v131, v68 row_shr:1 row_mask:0xf bank_mask:0xf
	s_delay_alu instid0(VALU_DEP_1) | instskip(NEXT) | instid1(VALU_DEP_1)
	v_cndmask_b32_e64 v131, v131, 0, s18
	v_add_nc_u32_e32 v68, v131, v68
	s_delay_alu instid0(VALU_DEP_1) | instskip(NEXT) | instid1(VALU_DEP_1)
	v_mov_b32_dpp v131, v68 row_shr:2 row_mask:0xf bank_mask:0xf
	v_cndmask_b32_e64 v131, 0, v131, s19
	s_delay_alu instid0(VALU_DEP_1) | instskip(NEXT) | instid1(VALU_DEP_1)
	v_add_nc_u32_e32 v68, v68, v131
	v_mov_b32_dpp v131, v68 row_shr:4 row_mask:0xf bank_mask:0xf
	s_delay_alu instid0(VALU_DEP_1) | instskip(NEXT) | instid1(VALU_DEP_1)
	v_cndmask_b32_e64 v131, 0, v131, s20
	v_add_nc_u32_e32 v68, v68, v131
	ds_store_b32 v130, v68
.LBB156_66:                             ;   in Loop: Header=BB156_46 Depth=1
	s_wait_alu 0xfffe
	s_or_b32 exec_lo, exec_lo, s21
	v_mov_b32_e32 v68, 0
	s_wait_loadcnt_dscnt 0x0
	s_barrier_signal -1
	s_barrier_wait -1
	global_inv scope:SCOPE_SE
	s_and_saveexec_b32 s21, s1
; %bb.67:                               ;   in Loop: Header=BB156_46 Depth=1
	ds_load_b32 v68, v127
; %bb.68:                               ;   in Loop: Header=BB156_46 Depth=1
	s_wait_alu 0xfffe
	s_or_b32 exec_lo, exec_lo, s21
	s_wait_dscnt 0x0
	v_add_nc_u32_e32 v40, v68, v40
	v_cmp_lt_u32_e32 vcc_lo, 55, v70
	s_mov_b32 s21, -1
	ds_bpermute_b32 v40, v126, v40
	s_and_b32 vcc_lo, exec_lo, vcc_lo
	s_wait_dscnt 0x0
	v_cndmask_b32_e64 v40, v40, v68, s11
	s_delay_alu instid0(VALU_DEP_1) | instskip(NEXT) | instid1(VALU_DEP_1)
	v_cndmask_b32_e64 v40, v40, 0, s10
	v_add_nc_u32_e32 v41, v40, v41
	s_delay_alu instid0(VALU_DEP_1) | instskip(NEXT) | instid1(VALU_DEP_1)
	v_add_nc_u32_e32 v42, v41, v42
	v_add_nc_u32_e32 v43, v42, v43
	s_delay_alu instid0(VALU_DEP_1) | instskip(NEXT) | instid1(VALU_DEP_1)
	v_add_nc_u32_e32 v131, v43, v44
	;; [unrolled: 3-line block ×3, first 2 shown]
	v_add_nc_u32_e32 v134, v133, v39
	ds_store_b128 v114, v[40:43] offset:32
	ds_store_b128 v114, v[131:134] offset:48
	s_wait_loadcnt_dscnt 0x0
	s_barrier_signal -1
	s_barrier_wait -1
	global_inv scope:SCOPE_SE
	ds_load_b32 v37, v46 offset:32
	ds_load_b32 v38, v49 offset:32
	;; [unrolled: 1-line block ×8, first 2 shown]
	s_wait_dscnt 0x7
	v_add_nc_u32_e32 v138, v37, v45
	s_wait_dscnt 0x6
	v_add3_u32 v137, v48, v47, v38
	s_wait_dscnt 0x5
	v_add3_u32 v136, v51, v50, v39
	s_wait_dscnt 0x4
	v_add3_u32 v135, v54, v53, v40
	s_wait_dscnt 0x3
	v_add3_u32 v134, v57, v56, v41
	s_wait_dscnt 0x2
	v_add3_u32 v133, v60, v59, v42
	s_wait_dscnt 0x1
	v_add3_u32 v132, v63, v62, v43
	s_wait_dscnt 0x0
	v_add3_u32 v131, v66, v65, v44
                                        ; implicit-def: $vgpr67_vgpr68
                                        ; implicit-def: $vgpr47_vgpr48
                                        ; implicit-def: $vgpr43_vgpr44
                                        ; implicit-def: $vgpr39_vgpr40
                                        ; implicit-def: $vgpr63_vgpr64
                                        ; implicit-def: $vgpr59_vgpr60
                                        ; implicit-def: $vgpr55_vgpr56
                                        ; implicit-def: $vgpr51_vgpr52
	s_wait_alu 0xfffe
	s_cbranch_vccnz .LBB156_45
; %bb.69:                               ;   in Loop: Header=BB156_46 Depth=1
	v_lshlrev_b32_e32 v49, 3, v138
	v_lshlrev_b32_e32 v52, 3, v135
	;; [unrolled: 1-line block ×8, first 2 shown]
	s_wait_loadcnt 0x0
	s_barrier_signal -1
	s_barrier_wait -1
	global_inv scope:SCOPE_SE
	ds_store_b64 v49, v[72:73]
	ds_store_b64 v50, v[102:103]
	;; [unrolled: 1-line block ×8, first 2 shown]
	s_wait_loadcnt_dscnt 0x0
	s_barrier_signal -1
	s_barrier_wait -1
	global_inv scope:SCOPE_SE
	ds_load_2addr_b64 v[37:40], v128 offset1:32
	ds_load_2addr_b64 v[41:44], v128 offset0:64 offset1:96
	ds_load_2addr_b64 v[45:48], v128 offset0:128 offset1:160
	;; [unrolled: 1-line block ×3, first 2 shown]
	s_wait_loadcnt_dscnt 0x0
	s_barrier_signal -1
	s_barrier_wait -1
	global_inv scope:SCOPE_SE
	ds_store_b64 v49, v[94:95]
	ds_store_b64 v50, v[92:93]
	;; [unrolled: 1-line block ×8, first 2 shown]
	s_wait_loadcnt_dscnt 0x0
	s_barrier_signal -1
	s_barrier_wait -1
	global_inv scope:SCOPE_SE
	ds_load_2addr_b64 v[49:52], v128 offset1:32
	ds_load_2addr_b64 v[53:56], v128 offset0:64 offset1:96
	ds_load_2addr_b64 v[57:60], v128 offset0:128 offset1:160
	;; [unrolled: 1-line block ×3, first 2 shown]
	v_add_co_u32 v70, vcc_lo, v70, 8
	s_wait_alu 0xfffd
	v_add_co_ci_u32_e64 v71, null, 0, v71, vcc_lo
	s_add_co_i32 s24, s24, -8
	s_mov_b32 s21, 0
	s_wait_loadcnt_dscnt 0x0
	s_barrier_signal -1
	s_barrier_wait -1
	global_inv scope:SCOPE_SE
	s_branch .LBB156_45
.LBB156_70:
	v_mad_co_u64_u32 v[18:19], null, s22, v69, 0
	v_dual_mov_b32 v22, v17 :: v_dual_mov_b32 v23, v17
	v_dual_mov_b32 v24, v17 :: v_dual_mov_b32 v25, v17
	;; [unrolled: 1-line block ×3, first 2 shown]
	s_delay_alu instid0(VALU_DEP_4) | instskip(SKIP_3) | instid1(VALU_DEP_4)
	v_mad_co_u64_u32 v[19:20], null, s23, v69, v[19:20]
	v_dual_mov_b32 v20, v17 :: v_dual_mov_b32 v21, v17
	v_dual_mov_b32 v30, v17 :: v_dual_mov_b32 v31, v17
	v_mov_b32_e32 v32, v17
	v_lshlrev_b64_e32 v[18:19], 3, v[18:19]
	s_delay_alu instid0(VALU_DEP_1) | instskip(SKIP_1) | instid1(VALU_DEP_2)
	v_add_co_u32 v18, vcc_lo, s34, v18
	s_wait_alu 0xfffd
	v_add_co_ci_u32_e64 v19, null, s35, v19, vcc_lo
	global_load_b64 v[27:28], v[18:19], off
	v_dual_mov_b32 v18, v17 :: v_dual_mov_b32 v19, v17
	s_or_b32 exec_lo, exec_lo, s0
	s_and_saveexec_b32 s0, s3
	s_cbranch_execz .LBB156_36
.LBB156_71:
	v_mad_co_u64_u32 v[17:18], null, s22, v34, 0
	s_delay_alu instid0(VALU_DEP_1) | instskip(NEXT) | instid1(VALU_DEP_1)
	v_mad_co_u64_u32 v[41:42], null, s23, v34, v[18:19]
	v_mov_b32_e32 v18, v41
	s_delay_alu instid0(VALU_DEP_1) | instskip(NEXT) | instid1(VALU_DEP_1)
	v_lshlrev_b64_e32 v[17:18], 3, v[17:18]
	v_add_co_u32 v17, vcc_lo, s34, v17
	s_wait_alu 0xfffd
	s_delay_alu instid0(VALU_DEP_2)
	v_add_co_ci_u32_e64 v18, null, s35, v18, vcc_lo
	global_load_b64 v[17:18], v[17:18], off
	s_or_b32 exec_lo, exec_lo, s0
	s_and_saveexec_b32 s0, s4
	s_cbranch_execz .LBB156_37
.LBB156_72:
	v_mad_co_u64_u32 v[19:20], null, s22, v35, 0
	s_delay_alu instid0(VALU_DEP_1) | instskip(NEXT) | instid1(VALU_DEP_1)
	v_mad_co_u64_u32 v[34:35], null, s23, v35, v[20:21]
	v_mov_b32_e32 v20, v34
	s_delay_alu instid0(VALU_DEP_1) | instskip(NEXT) | instid1(VALU_DEP_1)
	v_lshlrev_b64_e32 v[19:20], 3, v[19:20]
	v_add_co_u32 v19, vcc_lo, s34, v19
	s_wait_alu 0xfffd
	s_delay_alu instid0(VALU_DEP_2)
	v_add_co_ci_u32_e64 v20, null, s35, v20, vcc_lo
	global_load_b64 v[19:20], v[19:20], off
	s_or_b32 exec_lo, exec_lo, s0
	s_and_saveexec_b32 s0, s5
	s_cbranch_execz .LBB156_38
.LBB156_73:
	v_mad_co_u64_u32 v[21:22], null, s22, v36, 0
	s_delay_alu instid0(VALU_DEP_1) | instskip(NEXT) | instid1(VALU_DEP_1)
	v_mad_co_u64_u32 v[34:35], null, s23, v36, v[22:23]
	v_mov_b32_e32 v22, v34
	s_delay_alu instid0(VALU_DEP_1) | instskip(NEXT) | instid1(VALU_DEP_1)
	v_lshlrev_b64_e32 v[21:22], 3, v[21:22]
	v_add_co_u32 v21, vcc_lo, s34, v21
	s_wait_alu 0xfffd
	s_delay_alu instid0(VALU_DEP_2)
	v_add_co_ci_u32_e64 v22, null, s35, v22, vcc_lo
	global_load_b64 v[21:22], v[21:22], off
	s_or_b32 exec_lo, exec_lo, s0
	s_and_saveexec_b32 s0, s6
	s_cbranch_execz .LBB156_39
.LBB156_74:
	v_mad_co_u64_u32 v[23:24], null, s22, v37, 0
	s_delay_alu instid0(VALU_DEP_1) | instskip(NEXT) | instid1(VALU_DEP_1)
	v_mad_co_u64_u32 v[34:35], null, s23, v37, v[24:25]
	v_mov_b32_e32 v24, v34
	s_delay_alu instid0(VALU_DEP_1) | instskip(NEXT) | instid1(VALU_DEP_1)
	v_lshlrev_b64_e32 v[23:24], 3, v[23:24]
	v_add_co_u32 v23, vcc_lo, s34, v23
	s_wait_alu 0xfffd
	s_delay_alu instid0(VALU_DEP_2)
	v_add_co_ci_u32_e64 v24, null, s35, v24, vcc_lo
	global_load_b64 v[23:24], v[23:24], off
	s_or_b32 exec_lo, exec_lo, s0
	s_and_saveexec_b32 s0, s7
	s_cbranch_execz .LBB156_40
.LBB156_75:
	v_mad_co_u64_u32 v[25:26], null, s22, v38, 0
	s_wait_loadcnt 0x0
	s_delay_alu instid0(VALU_DEP_1) | instskip(NEXT) | instid1(VALU_DEP_1)
	v_mad_co_u64_u32 v[34:35], null, s23, v38, v[26:27]
	v_mov_b32_e32 v26, v34
	s_delay_alu instid0(VALU_DEP_1) | instskip(NEXT) | instid1(VALU_DEP_1)
	v_lshlrev_b64_e32 v[25:26], 3, v[25:26]
	v_add_co_u32 v25, vcc_lo, s34, v25
	s_wait_alu 0xfffd
	s_delay_alu instid0(VALU_DEP_2)
	v_add_co_ci_u32_e64 v26, null, s35, v26, vcc_lo
	global_load_b64 v[25:26], v[25:26], off
	s_or_b32 exec_lo, exec_lo, s0
	s_and_saveexec_b32 s0, s8
	s_cbranch_execz .LBB156_41
.LBB156_76:
	v_mad_co_u64_u32 v[29:30], null, s22, v39, 0
	s_delay_alu instid0(VALU_DEP_1) | instskip(NEXT) | instid1(VALU_DEP_1)
	v_mad_co_u64_u32 v[34:35], null, s23, v39, v[30:31]
	v_mov_b32_e32 v30, v34
	s_delay_alu instid0(VALU_DEP_1) | instskip(NEXT) | instid1(VALU_DEP_1)
	v_lshlrev_b64_e32 v[29:30], 3, v[29:30]
	v_add_co_u32 v29, vcc_lo, s34, v29
	s_wait_alu 0xfffd
	s_delay_alu instid0(VALU_DEP_2)
	v_add_co_ci_u32_e64 v30, null, s35, v30, vcc_lo
	global_load_b64 v[29:30], v[29:30], off
	s_or_b32 exec_lo, exec_lo, s0
	s_xor_b32 s0, s26, -1
	s_and_saveexec_b32 s1, s9
	s_cbranch_execnz .LBB156_42
	s_branch .LBB156_43
.LBB156_77:
	v_lshlrev_b32_e32 v33, 3, v138
	v_lshlrev_b32_e32 v36, 3, v135
	;; [unrolled: 1-line block ×9, first 2 shown]
	s_wait_loadcnt 0x0
	s_barrier_signal -1
	s_barrier_wait -1
	global_inv scope:SCOPE_SE
	ds_store_b64 v33, v[72:73]
	ds_store_b64 v34, v[102:103]
	;; [unrolled: 1-line block ×8, first 2 shown]
	s_wait_loadcnt_dscnt 0x0
	s_barrier_signal -1
	s_barrier_wait -1
	global_inv scope:SCOPE_SE
	ds_load_b128 v[49:52], v65
	ds_load_b128 v[53:56], v65 offset:16
	ds_load_b128 v[57:60], v65 offset:32
	;; [unrolled: 1-line block ×3, first 2 shown]
	s_wait_loadcnt_dscnt 0x0
	s_barrier_signal -1
	s_barrier_wait -1
	global_inv scope:SCOPE_SE
	ds_store_b64 v33, v[94:95]
	ds_store_b64 v34, v[92:93]
	ds_store_b64 v35, v[90:91]
	ds_store_b64 v36, v[88:89]
	ds_store_b64 v37, v[86:87]
	ds_store_b64 v38, v[84:85]
	ds_store_b64 v39, v[82:83]
	ds_store_b64 v40, v[80:81]
	s_wait_loadcnt_dscnt 0x0
	s_barrier_signal -1
	s_barrier_wait -1
	global_inv scope:SCOPE_SE
	ds_load_b128 v[45:48], v65
	ds_load_b128 v[41:44], v65 offset:16
	ds_load_b128 v[37:40], v65 offset:32
	;; [unrolled: 1-line block ×3, first 2 shown]
	s_mov_b32 s11, 0
	v_xor_b32_e32 v50, 0x80000000, v50
	v_xor_b32_e32 v52, 0x80000000, v52
	;; [unrolled: 1-line block ×8, first 2 shown]
.LBB156_78:
	s_wait_alu 0xfffe
	s_and_b32 vcc_lo, exec_lo, s11
	s_wait_alu 0xfffe
	s_cbranch_vccz .LBB156_106
; %bb.79:
	v_xor_b32_e32 v14, 0x7fffffff, v14
	v_xor_b32_e32 v13, -1, v13
	v_xor_b32_e32 v16, 0x7fffffff, v16
	v_xor_b32_e32 v15, -1, v15
	v_xor_b32_e32 v10, 0x7fffffff, v10
	v_xor_b32_e32 v9, -1, v9
	v_xor_b32_e32 v12, 0x7fffffff, v12
	v_xor_b32_e32 v11, -1, v11
	v_xor_b32_e32 v6, 0x7fffffff, v6
	v_xor_b32_e32 v5, -1, v5
	v_xor_b32_e32 v8, 0x7fffffff, v8
	v_xor_b32_e32 v7, -1, v7
	v_xor_b32_e32 v2, 0x7fffffff, v2
	v_xor_b32_e32 v1, -1, v1
	v_xor_b32_e32 v4, 0x7fffffff, v4
	v_xor_b32_e32 v3, -1, v3
	ds_store_b128 v125, v[13:16]
	ds_store_b128 v125, v[9:12] offset:16
	ds_store_b128 v125, v[5:8] offset:32
	;; [unrolled: 1-line block ×3, first 2 shown]
	; wave barrier
	ds_load_2addr_b64 v[4:7], v124 offset1:32
	ds_load_2addr_b64 v[8:11], v124 offset0:64 offset1:96
	ds_load_2addr_b64 v[12:15], v124 offset0:128 offset1:160
	s_wait_dscnt 0x7
	ds_load_2addr_b64 v[33:36], v124 offset0:192 offset1:224
	; wave barrier
	ds_store_b128 v125, v[21:24]
	ds_store_b128 v125, v[17:20] offset:16
	ds_store_b128 v125, v[29:32] offset:32
	;; [unrolled: 1-line block ×3, first 2 shown]
	; wave barrier
	ds_load_2addr_b64 v[16:19], v124 offset1:32
	ds_load_2addr_b64 v[20:23], v124 offset0:64 offset1:96
	ds_load_2addr_b64 v[24:27], v124 offset0:128 offset1:160
	;; [unrolled: 1-line block ×3, first 2 shown]
	s_wait_loadcnt_dscnt 0x0
	s_barrier_signal -1
	s_barrier_wait -1
	global_inv scope:SCOPE_SE
	s_load_b32 s10, s[36:37], 0xc
	s_getpc_b64 s[0:1]
	s_sext_i32_i16 s1, s1
	s_add_co_u32 s0, s0, _ZN7rocprim17ROCPRIM_400000_NS16block_radix_sortIlLj256ELj8ElLj1ELj1ELj0ELNS0_26block_radix_rank_algorithmE1ELNS0_18block_padding_hintE2ELNS0_4arch9wavefront6targetE0EE19radix_bits_per_passE@rel32@lo+8
	s_add_co_ci_u32 s1, s1, _ZN7rocprim17ROCPRIM_400000_NS16block_radix_sortIlLj256ELj8ElLj1ELj1ELj0ELNS0_26block_radix_rank_algorithmE1ELNS0_18block_padding_hintE2ELNS0_4arch9wavefront6targetE0EE19radix_bits_per_passE@rel32@hi+16
	v_or_b32_e32 v3, 31, v121
	s_load_b32 s24, s[0:1], 0x0
	s_mov_b32 s36, 0
	v_lshl_add_u32 v73, v116, 3, v0
	s_mov_b32 s37, s36
	s_mov_b32 s38, s36
	;; [unrolled: 1-line block ×3, first 2 shown]
	v_cmp_eq_u32_e64 s14, v69, v3
	v_cmp_lt_u32_e64 s12, 7, v120
	v_cmp_eq_u32_e64 s13, 0, v119
	v_mov_b32_e32 v37, 0
	v_cmp_gt_u32_e64 s15, 8, v69
	v_cmp_lt_u32_e64 s16, 31, v69
	v_cmp_eq_u32_e64 s17, 0, v69
	v_cmp_eq_u32_e64 s18, 0, v118
	v_cmp_lt_u32_e64 s19, 1, v118
	v_cmp_lt_u32_e64 s20, 3, v118
	v_add_nc_u32_e32 v72, -4, v115
	s_wait_kmcnt 0x0
	s_lshr_b32 s11, s10, 16
	s_and_b32 s0, s10, 0xffff
	s_wait_alu 0xfffe
	v_mad_u32_u24 v1, v123, s11, v122
	v_cmp_lt_u32_e64 s10, 1, v120
	v_cmp_lt_u32_e64 s11, 3, v120
	v_dual_mov_b32 v38, 0 :: v_dual_add_nc_u32 v75, v114, v117
	s_delay_alu instid0(VALU_DEP_4)
	v_mad_co_u64_u32 v[1:2], null, v1, s0, v[69:70]
	v_sub_co_u32 v2, s1, v116, 1
	v_cmp_eq_u32_e64 s0, 0, v120
	s_mov_b32 s25, 64
	v_cmp_gt_i32_e32 vcc_lo, 0, v2
	v_lshrrev_b32_e32 v1, 3, v1
	s_wait_alu 0xfffd
	v_cndmask_b32_e32 v2, v2, v116, vcc_lo
	s_delay_alu instid0(VALU_DEP_2) | instskip(NEXT) | instid1(VALU_DEP_2)
	v_and_b32_e32 v74, 0x1ffffffc, v1
	v_lshlrev_b32_e32 v32, 2, v2
	v_dual_mov_b32 v0, s36 :: v_dual_mov_b32 v1, s37
	v_dual_mov_b32 v2, s38 :: v_dual_mov_b32 v3, s39
	s_branch .LBB156_81
.LBB156_80:                             ;   in Loop: Header=BB156_81 Depth=1
	s_wait_alu 0xfffe
	s_and_not1_b32 vcc_lo, exec_lo, s21
	s_wait_alu 0xfffe
	s_cbranch_vccz .LBB156_105
.LBB156_81:                             ; =>This Inner Loop Header: Depth=1
	v_dual_mov_b32 v40, v5 :: v_dual_mov_b32 v39, v4
	s_wait_alu 0xfffe
	s_min_u32 s21, s24, s25
	v_mov_b32_e32 v52, v27
	s_wait_alu 0xfffe
	s_lshl_b32 s21, -1, s21
	v_mov_b32_e32 v60, v19
	v_lshrrev_b64 v[4:5], v37, v[39:40]
	s_wait_alu 0xfffe
	s_not_b32 s26, s21
	v_mov_b32_e32 v50, v29
	v_mov_b32_e32 v54, v25
	;; [unrolled: 1-line block ×3, first 2 shown]
	s_wait_alu 0xfffe
	v_dual_mov_b32 v42, v36 :: v_dual_and_b32 v5, s26, v4
	v_dual_mov_b32 v41, v35 :: v_dual_mov_b32 v44, v34
	v_dual_mov_b32 v43, v33 :: v_dual_mov_b32 v46, v15
	s_delay_alu instid0(VALU_DEP_3) | instskip(SKIP_3) | instid1(VALU_DEP_4)
	v_dual_mov_b32 v45, v14 :: v_dual_and_b32 v4, 1, v5
	v_lshlrev_b32_e32 v14, 30, v5
	v_dual_mov_b32 v64, v13 :: v_dual_lshlrev_b32 v15, 29, v5
	v_mov_b32_e32 v63, v12
	v_add_co_u32 v4, s21, v4, -1
	s_wait_alu 0xf1ff
	v_cndmask_b32_e64 v34, 0, 1, s21
	v_not_b32_e32 v48, v14
	v_dual_mov_b32 v66, v11 :: v_dual_lshlrev_b32 v33, 28, v5
	v_cmp_gt_i32_e64 s21, 0, v14
	s_delay_alu instid0(VALU_DEP_4)
	v_cmp_ne_u32_e32 vcc_lo, 0, v34
	v_not_b32_e32 v14, v15
	v_ashrrev_i32_e32 v48, 31, v48
	v_dual_mov_b32 v68, v9 :: v_dual_lshlrev_b32 v35, 27, v5
	s_wait_alu 0xfffd
	v_xor_b32_e32 v4, vcc_lo, v4
	v_cmp_gt_i32_e32 vcc_lo, 0, v15
	v_not_b32_e32 v15, v33
	v_ashrrev_i32_e32 v14, 31, v14
	s_wait_alu 0xf1ff
	v_xor_b32_e32 v48, s21, v48
	v_dual_mov_b32 v71, v7 :: v_dual_and_b32 v4, exec_lo, v4
	v_dual_mov_b32 v65, v10 :: v_dual_lshlrev_b32 v36, 26, v5
	v_cmp_gt_i32_e64 s21, 0, v33
	v_not_b32_e32 v33, v35
	v_ashrrev_i32_e32 v15, 31, v15
	s_wait_alu 0xfffd
	v_xor_b32_e32 v14, vcc_lo, v14
	v_and_b32_e32 v4, v4, v48
	v_dual_mov_b32 v70, v6 :: v_dual_lshlrev_b32 v47, 25, v5
	v_cmp_gt_i32_e32 vcc_lo, 0, v35
	v_not_b32_e32 v35, v36
	v_ashrrev_i32_e32 v33, 31, v33
	s_wait_alu 0xf1ff
	v_xor_b32_e32 v15, s21, v15
	v_dual_mov_b32 v51, v26 :: v_dual_and_b32 v4, v4, v14
	v_dual_mov_b32 v67, v8 :: v_dual_lshlrev_b32 v34, 24, v5
	v_cmp_gt_i32_e64 s21, 0, v36
	v_not_b32_e32 v14, v47
	v_ashrrev_i32_e32 v35, 31, v35
	s_wait_alu 0xfffd
	v_xor_b32_e32 v33, vcc_lo, v33
	v_and_b32_e32 v4, v4, v15
	v_dual_mov_b32 v56, v23 :: v_dual_lshlrev_b32 v5, 5, v5
	v_cmp_gt_i32_e32 vcc_lo, 0, v47
	v_not_b32_e32 v15, v34
	v_ashrrev_i32_e32 v14, 31, v14
	s_wait_alu 0xf1ff
	v_xor_b32_e32 v35, s21, v35
	v_dual_mov_b32 v55, v22 :: v_dual_and_b32 v4, v4, v33
	v_mov_b32_e32 v59, v18
	v_cmp_gt_i32_e64 s21, 0, v34
	v_ashrrev_i32_e32 v12, 31, v15
	s_wait_alu 0xfffd
	v_xor_b32_e32 v13, vcc_lo, v14
	v_and_b32_e32 v4, v4, v35
	v_dual_mov_b32 v48, v31 :: v_dual_mov_b32 v49, v28
	s_wait_alu 0xf1ff
	v_xor_b32_e32 v6, s21, v12
	v_mov_b32_e32 v58, v21
	v_dual_mov_b32 v47, v30 :: v_dual_and_b32 v4, v4, v13
	v_mov_b32_e32 v53, v24
	v_mov_b32_e32 v57, v20
	;; [unrolled: 1-line block ×3, first 2 shown]
	s_delay_alu instid0(VALU_DEP_4)
	v_and_b32_e32 v4, v4, v6
	v_add_nc_u32_e32 v13, v74, v5
	ds_store_b128 v114, v[0:3] offset:32
	ds_store_b128 v114, v[0:3] offset:48
	s_wait_loadcnt_dscnt 0x0
	s_barrier_signal -1
	v_mbcnt_lo_u32_b32 v12, v4, 0
	v_cmp_ne_u32_e64 s21, 0, v4
	s_barrier_wait -1
	global_inv scope:SCOPE_SE
	v_cmp_eq_u32_e32 vcc_lo, 0, v12
	; wave barrier
	s_and_b32 s27, s21, vcc_lo
	s_wait_alu 0xfffe
	s_and_saveexec_b32 s21, s27
; %bb.82:                               ;   in Loop: Header=BB156_81 Depth=1
	v_bcnt_u32_b32 v4, v4, 0
	ds_store_b32 v13, v4 offset:32
; %bb.83:                               ;   in Loop: Header=BB156_81 Depth=1
	s_wait_alu 0xfffe
	s_or_b32 exec_lo, exec_lo, s21
	v_lshrrev_b64 v[4:5], v37, v[70:71]
	; wave barrier
	s_delay_alu instid0(VALU_DEP_1) | instskip(NEXT) | instid1(VALU_DEP_1)
	v_and_b32_e32 v4, s26, v4
	v_and_b32_e32 v5, 1, v4
	v_lshlrev_b32_e32 v6, 30, v4
	v_lshlrev_b32_e32 v7, 29, v4
	;; [unrolled: 1-line block ×4, first 2 shown]
	v_add_co_u32 v5, s21, v5, -1
	s_wait_alu 0xf1ff
	v_cndmask_b32_e64 v9, 0, 1, s21
	v_not_b32_e32 v15, v6
	v_cmp_gt_i32_e64 s21, 0, v6
	v_not_b32_e32 v6, v7
	v_lshlrev_b32_e32 v11, 26, v4
	v_cmp_ne_u32_e32 vcc_lo, 0, v9
	v_ashrrev_i32_e32 v15, 31, v15
	v_lshlrev_b32_e32 v14, 25, v4
	v_ashrrev_i32_e32 v6, 31, v6
	v_lshlrev_b32_e32 v9, 24, v4
	s_wait_alu 0xfffd
	v_xor_b32_e32 v5, vcc_lo, v5
	v_cmp_gt_i32_e32 vcc_lo, 0, v7
	v_not_b32_e32 v7, v8
	s_wait_alu 0xf1ff
	v_xor_b32_e32 v15, s21, v15
	v_cmp_gt_i32_e64 s21, 0, v8
	v_and_b32_e32 v5, exec_lo, v5
	v_not_b32_e32 v8, v10
	v_ashrrev_i32_e32 v7, 31, v7
	s_wait_alu 0xfffd
	v_xor_b32_e32 v6, vcc_lo, v6
	v_cmp_gt_i32_e32 vcc_lo, 0, v10
	v_and_b32_e32 v5, v5, v15
	v_not_b32_e32 v10, v11
	v_ashrrev_i32_e32 v8, 31, v8
	s_wait_alu 0xf1ff
	v_xor_b32_e32 v7, s21, v7
	v_cmp_gt_i32_e64 s21, 0, v11
	v_and_b32_e32 v5, v5, v6
	v_not_b32_e32 v6, v14
	v_ashrrev_i32_e32 v10, 31, v10
	s_wait_alu 0xfffd
	v_xor_b32_e32 v8, vcc_lo, v8
	v_cmp_gt_i32_e32 vcc_lo, 0, v14
	v_and_b32_e32 v5, v5, v7
	v_not_b32_e32 v7, v9
	v_ashrrev_i32_e32 v6, 31, v6
	s_wait_alu 0xf1ff
	v_xor_b32_e32 v10, s21, v10
	v_lshlrev_b32_e32 v4, 5, v4
	v_and_b32_e32 v5, v5, v8
	v_cmp_gt_i32_e64 s21, 0, v9
	v_ashrrev_i32_e32 v7, 31, v7
	s_wait_alu 0xfffd
	v_xor_b32_e32 v6, vcc_lo, v6
	v_add_nc_u32_e32 v16, v74, v4
	v_and_b32_e32 v5, v5, v10
	s_wait_alu 0xf1ff
	v_xor_b32_e32 v4, s21, v7
	ds_load_b32 v14, v16 offset:32
	v_and_b32_e32 v5, v5, v6
	; wave barrier
	s_delay_alu instid0(VALU_DEP_1) | instskip(NEXT) | instid1(VALU_DEP_1)
	v_and_b32_e32 v4, v5, v4
	v_mbcnt_lo_u32_b32 v15, v4, 0
	v_cmp_ne_u32_e64 s21, 0, v4
	s_delay_alu instid0(VALU_DEP_2)
	v_cmp_eq_u32_e32 vcc_lo, 0, v15
	s_and_b32 s27, s21, vcc_lo
	s_wait_alu 0xfffe
	s_and_saveexec_b32 s21, s27
	s_cbranch_execz .LBB156_85
; %bb.84:                               ;   in Loop: Header=BB156_81 Depth=1
	s_wait_dscnt 0x0
	v_bcnt_u32_b32 v4, v4, v14
	ds_store_b32 v16, v4 offset:32
.LBB156_85:                             ;   in Loop: Header=BB156_81 Depth=1
	s_wait_alu 0xfffe
	s_or_b32 exec_lo, exec_lo, s21
	v_lshrrev_b64 v[4:5], v37, v[67:68]
	; wave barrier
	s_delay_alu instid0(VALU_DEP_1) | instskip(NEXT) | instid1(VALU_DEP_1)
	v_and_b32_e32 v4, s26, v4
	v_and_b32_e32 v5, 1, v4
	v_lshlrev_b32_e32 v6, 30, v4
	v_lshlrev_b32_e32 v7, 29, v4
	;; [unrolled: 1-line block ×4, first 2 shown]
	v_add_co_u32 v5, s21, v5, -1
	s_wait_alu 0xf1ff
	v_cndmask_b32_e64 v9, 0, 1, s21
	v_not_b32_e32 v18, v6
	v_cmp_gt_i32_e64 s21, 0, v6
	v_not_b32_e32 v6, v7
	v_lshlrev_b32_e32 v11, 26, v4
	v_cmp_ne_u32_e32 vcc_lo, 0, v9
	v_ashrrev_i32_e32 v18, 31, v18
	v_lshlrev_b32_e32 v17, 25, v4
	v_ashrrev_i32_e32 v6, 31, v6
	v_lshlrev_b32_e32 v9, 24, v4
	s_wait_alu 0xfffd
	v_xor_b32_e32 v5, vcc_lo, v5
	v_cmp_gt_i32_e32 vcc_lo, 0, v7
	v_not_b32_e32 v7, v8
	s_wait_alu 0xf1ff
	v_xor_b32_e32 v18, s21, v18
	v_cmp_gt_i32_e64 s21, 0, v8
	v_and_b32_e32 v5, exec_lo, v5
	v_not_b32_e32 v8, v10
	v_ashrrev_i32_e32 v7, 31, v7
	s_wait_alu 0xfffd
	v_xor_b32_e32 v6, vcc_lo, v6
	v_cmp_gt_i32_e32 vcc_lo, 0, v10
	v_and_b32_e32 v5, v5, v18
	v_not_b32_e32 v10, v11
	v_ashrrev_i32_e32 v8, 31, v8
	s_wait_alu 0xf1ff
	v_xor_b32_e32 v7, s21, v7
	v_cmp_gt_i32_e64 s21, 0, v11
	v_and_b32_e32 v5, v5, v6
	v_not_b32_e32 v6, v17
	v_ashrrev_i32_e32 v10, 31, v10
	s_wait_alu 0xfffd
	v_xor_b32_e32 v8, vcc_lo, v8
	v_cmp_gt_i32_e32 vcc_lo, 0, v17
	v_and_b32_e32 v5, v5, v7
	v_not_b32_e32 v7, v9
	v_ashrrev_i32_e32 v6, 31, v6
	s_wait_alu 0xf1ff
	v_xor_b32_e32 v10, s21, v10
	v_lshlrev_b32_e32 v4, 5, v4
	v_and_b32_e32 v5, v5, v8
	v_cmp_gt_i32_e64 s21, 0, v9
	v_ashrrev_i32_e32 v7, 31, v7
	s_wait_alu 0xfffd
	v_xor_b32_e32 v6, vcc_lo, v6
	v_add_nc_u32_e32 v19, v74, v4
	v_and_b32_e32 v5, v5, v10
	s_wait_alu 0xf1ff
	v_xor_b32_e32 v4, s21, v7
	ds_load_b32 v17, v19 offset:32
	v_and_b32_e32 v5, v5, v6
	; wave barrier
	s_delay_alu instid0(VALU_DEP_1) | instskip(NEXT) | instid1(VALU_DEP_1)
	v_and_b32_e32 v4, v5, v4
	v_mbcnt_lo_u32_b32 v18, v4, 0
	v_cmp_ne_u32_e64 s21, 0, v4
	s_delay_alu instid0(VALU_DEP_2)
	v_cmp_eq_u32_e32 vcc_lo, 0, v18
	s_and_b32 s27, s21, vcc_lo
	s_wait_alu 0xfffe
	s_and_saveexec_b32 s21, s27
	s_cbranch_execz .LBB156_87
; %bb.86:                               ;   in Loop: Header=BB156_81 Depth=1
	s_wait_dscnt 0x0
	v_bcnt_u32_b32 v4, v4, v17
	ds_store_b32 v19, v4 offset:32
.LBB156_87:                             ;   in Loop: Header=BB156_81 Depth=1
	s_wait_alu 0xfffe
	s_or_b32 exec_lo, exec_lo, s21
	v_lshrrev_b64 v[4:5], v37, v[65:66]
	; wave barrier
	s_delay_alu instid0(VALU_DEP_1) | instskip(NEXT) | instid1(VALU_DEP_1)
	v_and_b32_e32 v4, s26, v4
	v_and_b32_e32 v5, 1, v4
	v_lshlrev_b32_e32 v6, 30, v4
	v_lshlrev_b32_e32 v7, 29, v4
	;; [unrolled: 1-line block ×4, first 2 shown]
	v_add_co_u32 v5, s21, v5, -1
	s_wait_alu 0xf1ff
	v_cndmask_b32_e64 v9, 0, 1, s21
	v_not_b32_e32 v21, v6
	v_cmp_gt_i32_e64 s21, 0, v6
	v_not_b32_e32 v6, v7
	v_lshlrev_b32_e32 v11, 26, v4
	v_cmp_ne_u32_e32 vcc_lo, 0, v9
	v_ashrrev_i32_e32 v21, 31, v21
	v_lshlrev_b32_e32 v20, 25, v4
	v_ashrrev_i32_e32 v6, 31, v6
	v_lshlrev_b32_e32 v9, 24, v4
	s_wait_alu 0xfffd
	v_xor_b32_e32 v5, vcc_lo, v5
	v_cmp_gt_i32_e32 vcc_lo, 0, v7
	v_not_b32_e32 v7, v8
	s_wait_alu 0xf1ff
	v_xor_b32_e32 v21, s21, v21
	v_cmp_gt_i32_e64 s21, 0, v8
	v_and_b32_e32 v5, exec_lo, v5
	v_not_b32_e32 v8, v10
	v_ashrrev_i32_e32 v7, 31, v7
	s_wait_alu 0xfffd
	v_xor_b32_e32 v6, vcc_lo, v6
	v_cmp_gt_i32_e32 vcc_lo, 0, v10
	v_and_b32_e32 v5, v5, v21
	v_not_b32_e32 v10, v11
	v_ashrrev_i32_e32 v8, 31, v8
	s_wait_alu 0xf1ff
	v_xor_b32_e32 v7, s21, v7
	v_cmp_gt_i32_e64 s21, 0, v11
	v_and_b32_e32 v5, v5, v6
	v_not_b32_e32 v6, v20
	v_ashrrev_i32_e32 v10, 31, v10
	s_wait_alu 0xfffd
	v_xor_b32_e32 v8, vcc_lo, v8
	v_cmp_gt_i32_e32 vcc_lo, 0, v20
	v_and_b32_e32 v5, v5, v7
	v_not_b32_e32 v7, v9
	v_ashrrev_i32_e32 v6, 31, v6
	s_wait_alu 0xf1ff
	v_xor_b32_e32 v10, s21, v10
	v_lshlrev_b32_e32 v4, 5, v4
	v_and_b32_e32 v5, v5, v8
	v_cmp_gt_i32_e64 s21, 0, v9
	v_ashrrev_i32_e32 v7, 31, v7
	s_wait_alu 0xfffd
	v_xor_b32_e32 v6, vcc_lo, v6
	v_add_nc_u32_e32 v22, v74, v4
	v_and_b32_e32 v5, v5, v10
	s_wait_alu 0xf1ff
	v_xor_b32_e32 v4, s21, v7
	ds_load_b32 v20, v22 offset:32
	v_and_b32_e32 v5, v5, v6
	; wave barrier
	s_delay_alu instid0(VALU_DEP_1) | instskip(NEXT) | instid1(VALU_DEP_1)
	v_and_b32_e32 v4, v5, v4
	v_mbcnt_lo_u32_b32 v21, v4, 0
	v_cmp_ne_u32_e64 s21, 0, v4
	s_delay_alu instid0(VALU_DEP_2)
	v_cmp_eq_u32_e32 vcc_lo, 0, v21
	s_and_b32 s27, s21, vcc_lo
	s_wait_alu 0xfffe
	s_and_saveexec_b32 s21, s27
	s_cbranch_execz .LBB156_89
; %bb.88:                               ;   in Loop: Header=BB156_81 Depth=1
	s_wait_dscnt 0x0
	v_bcnt_u32_b32 v4, v4, v20
	ds_store_b32 v22, v4 offset:32
.LBB156_89:                             ;   in Loop: Header=BB156_81 Depth=1
	s_wait_alu 0xfffe
	s_or_b32 exec_lo, exec_lo, s21
	v_lshrrev_b64 v[4:5], v37, v[63:64]
	; wave barrier
	s_delay_alu instid0(VALU_DEP_1) | instskip(NEXT) | instid1(VALU_DEP_1)
	v_and_b32_e32 v4, s26, v4
	v_and_b32_e32 v5, 1, v4
	v_lshlrev_b32_e32 v6, 30, v4
	v_lshlrev_b32_e32 v7, 29, v4
	;; [unrolled: 1-line block ×4, first 2 shown]
	v_add_co_u32 v5, s21, v5, -1
	s_wait_alu 0xf1ff
	v_cndmask_b32_e64 v9, 0, 1, s21
	v_not_b32_e32 v24, v6
	v_cmp_gt_i32_e64 s21, 0, v6
	v_not_b32_e32 v6, v7
	v_lshlrev_b32_e32 v11, 26, v4
	v_cmp_ne_u32_e32 vcc_lo, 0, v9
	v_ashrrev_i32_e32 v24, 31, v24
	v_lshlrev_b32_e32 v23, 25, v4
	v_ashrrev_i32_e32 v6, 31, v6
	v_lshlrev_b32_e32 v9, 24, v4
	s_wait_alu 0xfffd
	v_xor_b32_e32 v5, vcc_lo, v5
	v_cmp_gt_i32_e32 vcc_lo, 0, v7
	v_not_b32_e32 v7, v8
	s_wait_alu 0xf1ff
	v_xor_b32_e32 v24, s21, v24
	v_cmp_gt_i32_e64 s21, 0, v8
	v_and_b32_e32 v5, exec_lo, v5
	v_not_b32_e32 v8, v10
	v_ashrrev_i32_e32 v7, 31, v7
	s_wait_alu 0xfffd
	v_xor_b32_e32 v6, vcc_lo, v6
	v_cmp_gt_i32_e32 vcc_lo, 0, v10
	v_and_b32_e32 v5, v5, v24
	v_not_b32_e32 v10, v11
	v_ashrrev_i32_e32 v8, 31, v8
	s_wait_alu 0xf1ff
	v_xor_b32_e32 v7, s21, v7
	v_cmp_gt_i32_e64 s21, 0, v11
	v_and_b32_e32 v5, v5, v6
	v_not_b32_e32 v6, v23
	v_ashrrev_i32_e32 v10, 31, v10
	s_wait_alu 0xfffd
	v_xor_b32_e32 v8, vcc_lo, v8
	v_cmp_gt_i32_e32 vcc_lo, 0, v23
	v_and_b32_e32 v5, v5, v7
	v_not_b32_e32 v7, v9
	v_ashrrev_i32_e32 v6, 31, v6
	s_wait_alu 0xf1ff
	v_xor_b32_e32 v10, s21, v10
	v_lshlrev_b32_e32 v4, 5, v4
	v_and_b32_e32 v5, v5, v8
	v_cmp_gt_i32_e64 s21, 0, v9
	v_ashrrev_i32_e32 v7, 31, v7
	s_wait_alu 0xfffd
	v_xor_b32_e32 v6, vcc_lo, v6
	v_add_nc_u32_e32 v25, v74, v4
	v_and_b32_e32 v5, v5, v10
	s_wait_alu 0xf1ff
	v_xor_b32_e32 v4, s21, v7
	ds_load_b32 v23, v25 offset:32
	v_and_b32_e32 v5, v5, v6
	; wave barrier
	s_delay_alu instid0(VALU_DEP_1) | instskip(NEXT) | instid1(VALU_DEP_1)
	v_and_b32_e32 v4, v5, v4
	v_mbcnt_lo_u32_b32 v24, v4, 0
	v_cmp_ne_u32_e64 s21, 0, v4
	s_delay_alu instid0(VALU_DEP_2)
	v_cmp_eq_u32_e32 vcc_lo, 0, v24
	s_and_b32 s27, s21, vcc_lo
	s_wait_alu 0xfffe
	s_and_saveexec_b32 s21, s27
	s_cbranch_execz .LBB156_91
; %bb.90:                               ;   in Loop: Header=BB156_81 Depth=1
	s_wait_dscnt 0x0
	v_bcnt_u32_b32 v4, v4, v23
	ds_store_b32 v25, v4 offset:32
.LBB156_91:                             ;   in Loop: Header=BB156_81 Depth=1
	s_wait_alu 0xfffe
	s_or_b32 exec_lo, exec_lo, s21
	v_lshrrev_b64 v[4:5], v37, v[45:46]
	; wave barrier
	s_delay_alu instid0(VALU_DEP_1) | instskip(NEXT) | instid1(VALU_DEP_1)
	v_and_b32_e32 v4, s26, v4
	v_and_b32_e32 v5, 1, v4
	v_lshlrev_b32_e32 v6, 30, v4
	v_lshlrev_b32_e32 v7, 29, v4
	;; [unrolled: 1-line block ×4, first 2 shown]
	v_add_co_u32 v5, s21, v5, -1
	s_wait_alu 0xf1ff
	v_cndmask_b32_e64 v9, 0, 1, s21
	v_not_b32_e32 v27, v6
	v_cmp_gt_i32_e64 s21, 0, v6
	v_not_b32_e32 v6, v7
	v_lshlrev_b32_e32 v11, 26, v4
	v_cmp_ne_u32_e32 vcc_lo, 0, v9
	v_ashrrev_i32_e32 v27, 31, v27
	v_lshlrev_b32_e32 v26, 25, v4
	v_ashrrev_i32_e32 v6, 31, v6
	v_lshlrev_b32_e32 v9, 24, v4
	s_wait_alu 0xfffd
	v_xor_b32_e32 v5, vcc_lo, v5
	v_cmp_gt_i32_e32 vcc_lo, 0, v7
	v_not_b32_e32 v7, v8
	s_wait_alu 0xf1ff
	v_xor_b32_e32 v27, s21, v27
	v_cmp_gt_i32_e64 s21, 0, v8
	v_and_b32_e32 v5, exec_lo, v5
	v_not_b32_e32 v8, v10
	v_ashrrev_i32_e32 v7, 31, v7
	s_wait_alu 0xfffd
	v_xor_b32_e32 v6, vcc_lo, v6
	v_cmp_gt_i32_e32 vcc_lo, 0, v10
	v_and_b32_e32 v5, v5, v27
	v_not_b32_e32 v10, v11
	v_ashrrev_i32_e32 v8, 31, v8
	s_wait_alu 0xf1ff
	v_xor_b32_e32 v7, s21, v7
	v_cmp_gt_i32_e64 s21, 0, v11
	v_and_b32_e32 v5, v5, v6
	v_not_b32_e32 v6, v26
	v_ashrrev_i32_e32 v10, 31, v10
	s_wait_alu 0xfffd
	v_xor_b32_e32 v8, vcc_lo, v8
	v_cmp_gt_i32_e32 vcc_lo, 0, v26
	v_and_b32_e32 v5, v5, v7
	v_not_b32_e32 v7, v9
	v_ashrrev_i32_e32 v6, 31, v6
	s_wait_alu 0xf1ff
	v_xor_b32_e32 v10, s21, v10
	v_lshlrev_b32_e32 v4, 5, v4
	v_and_b32_e32 v5, v5, v8
	v_cmp_gt_i32_e64 s21, 0, v9
	v_ashrrev_i32_e32 v7, 31, v7
	s_wait_alu 0xfffd
	v_xor_b32_e32 v6, vcc_lo, v6
	v_add_nc_u32_e32 v28, v74, v4
	v_and_b32_e32 v5, v5, v10
	s_wait_alu 0xf1ff
	v_xor_b32_e32 v4, s21, v7
	ds_load_b32 v26, v28 offset:32
	v_and_b32_e32 v5, v5, v6
	; wave barrier
	s_delay_alu instid0(VALU_DEP_1) | instskip(NEXT) | instid1(VALU_DEP_1)
	v_and_b32_e32 v4, v5, v4
	v_mbcnt_lo_u32_b32 v27, v4, 0
	v_cmp_ne_u32_e64 s21, 0, v4
	s_delay_alu instid0(VALU_DEP_2)
	v_cmp_eq_u32_e32 vcc_lo, 0, v27
	s_and_b32 s27, s21, vcc_lo
	s_wait_alu 0xfffe
	s_and_saveexec_b32 s21, s27
	s_cbranch_execz .LBB156_93
; %bb.92:                               ;   in Loop: Header=BB156_81 Depth=1
	s_wait_dscnt 0x0
	v_bcnt_u32_b32 v4, v4, v26
	ds_store_b32 v28, v4 offset:32
.LBB156_93:                             ;   in Loop: Header=BB156_81 Depth=1
	s_wait_alu 0xfffe
	s_or_b32 exec_lo, exec_lo, s21
	v_lshrrev_b64 v[4:5], v37, v[43:44]
	; wave barrier
	s_delay_alu instid0(VALU_DEP_1) | instskip(NEXT) | instid1(VALU_DEP_1)
	v_and_b32_e32 v4, s26, v4
	v_and_b32_e32 v5, 1, v4
	v_lshlrev_b32_e32 v6, 30, v4
	v_lshlrev_b32_e32 v7, 29, v4
	;; [unrolled: 1-line block ×4, first 2 shown]
	v_add_co_u32 v5, s21, v5, -1
	s_wait_alu 0xf1ff
	v_cndmask_b32_e64 v9, 0, 1, s21
	v_not_b32_e32 v30, v6
	v_cmp_gt_i32_e64 s21, 0, v6
	v_not_b32_e32 v6, v7
	v_lshlrev_b32_e32 v11, 26, v4
	v_cmp_ne_u32_e32 vcc_lo, 0, v9
	v_ashrrev_i32_e32 v30, 31, v30
	v_lshlrev_b32_e32 v29, 25, v4
	v_ashrrev_i32_e32 v6, 31, v6
	v_lshlrev_b32_e32 v9, 24, v4
	s_wait_alu 0xfffd
	v_xor_b32_e32 v5, vcc_lo, v5
	v_cmp_gt_i32_e32 vcc_lo, 0, v7
	v_not_b32_e32 v7, v8
	s_wait_alu 0xf1ff
	v_xor_b32_e32 v30, s21, v30
	v_cmp_gt_i32_e64 s21, 0, v8
	v_and_b32_e32 v5, exec_lo, v5
	v_not_b32_e32 v8, v10
	v_ashrrev_i32_e32 v7, 31, v7
	s_wait_alu 0xfffd
	v_xor_b32_e32 v6, vcc_lo, v6
	v_cmp_gt_i32_e32 vcc_lo, 0, v10
	v_and_b32_e32 v5, v5, v30
	v_not_b32_e32 v10, v11
	v_ashrrev_i32_e32 v8, 31, v8
	s_wait_alu 0xf1ff
	v_xor_b32_e32 v7, s21, v7
	v_cmp_gt_i32_e64 s21, 0, v11
	v_and_b32_e32 v5, v5, v6
	v_not_b32_e32 v6, v29
	v_ashrrev_i32_e32 v10, 31, v10
	s_wait_alu 0xfffd
	v_xor_b32_e32 v8, vcc_lo, v8
	v_cmp_gt_i32_e32 vcc_lo, 0, v29
	v_and_b32_e32 v5, v5, v7
	v_not_b32_e32 v7, v9
	v_ashrrev_i32_e32 v6, 31, v6
	s_wait_alu 0xf1ff
	v_xor_b32_e32 v10, s21, v10
	v_lshlrev_b32_e32 v4, 5, v4
	v_and_b32_e32 v5, v5, v8
	v_cmp_gt_i32_e64 s21, 0, v9
	v_ashrrev_i32_e32 v7, 31, v7
	s_wait_alu 0xfffd
	v_xor_b32_e32 v6, vcc_lo, v6
	v_add_nc_u32_e32 v31, v74, v4
	v_and_b32_e32 v5, v5, v10
	s_wait_alu 0xf1ff
	v_xor_b32_e32 v4, s21, v7
	ds_load_b32 v29, v31 offset:32
	v_and_b32_e32 v5, v5, v6
	; wave barrier
	s_delay_alu instid0(VALU_DEP_1) | instskip(NEXT) | instid1(VALU_DEP_1)
	v_and_b32_e32 v4, v5, v4
	v_mbcnt_lo_u32_b32 v30, v4, 0
	v_cmp_ne_u32_e64 s21, 0, v4
	s_delay_alu instid0(VALU_DEP_2)
	v_cmp_eq_u32_e32 vcc_lo, 0, v30
	s_and_b32 s27, s21, vcc_lo
	s_wait_alu 0xfffe
	s_and_saveexec_b32 s21, s27
	s_cbranch_execz .LBB156_95
; %bb.94:                               ;   in Loop: Header=BB156_81 Depth=1
	s_wait_dscnt 0x0
	v_bcnt_u32_b32 v4, v4, v29
	ds_store_b32 v31, v4 offset:32
.LBB156_95:                             ;   in Loop: Header=BB156_81 Depth=1
	s_wait_alu 0xfffe
	s_or_b32 exec_lo, exec_lo, s21
	v_lshrrev_b64 v[4:5], v37, v[41:42]
	; wave barrier
	s_delay_alu instid0(VALU_DEP_1) | instskip(NEXT) | instid1(VALU_DEP_1)
	v_and_b32_e32 v4, s26, v4
	v_and_b32_e32 v5, 1, v4
	v_lshlrev_b32_e32 v6, 30, v4
	v_lshlrev_b32_e32 v7, 29, v4
	;; [unrolled: 1-line block ×4, first 2 shown]
	v_add_co_u32 v5, s21, v5, -1
	s_wait_alu 0xf1ff
	v_cndmask_b32_e64 v9, 0, 1, s21
	v_not_b32_e32 v34, v6
	v_cmp_gt_i32_e64 s21, 0, v6
	v_not_b32_e32 v6, v7
	v_lshlrev_b32_e32 v11, 26, v4
	v_cmp_ne_u32_e32 vcc_lo, 0, v9
	v_ashrrev_i32_e32 v34, 31, v34
	v_lshlrev_b32_e32 v33, 25, v4
	v_ashrrev_i32_e32 v6, 31, v6
	v_lshlrev_b32_e32 v9, 24, v4
	s_wait_alu 0xfffd
	v_xor_b32_e32 v5, vcc_lo, v5
	v_cmp_gt_i32_e32 vcc_lo, 0, v7
	v_not_b32_e32 v7, v8
	s_wait_alu 0xf1ff
	v_xor_b32_e32 v34, s21, v34
	v_cmp_gt_i32_e64 s21, 0, v8
	v_and_b32_e32 v5, exec_lo, v5
	v_not_b32_e32 v8, v10
	v_ashrrev_i32_e32 v7, 31, v7
	s_wait_alu 0xfffd
	v_xor_b32_e32 v6, vcc_lo, v6
	v_cmp_gt_i32_e32 vcc_lo, 0, v10
	v_and_b32_e32 v5, v5, v34
	v_not_b32_e32 v10, v11
	v_ashrrev_i32_e32 v8, 31, v8
	s_wait_alu 0xf1ff
	v_xor_b32_e32 v7, s21, v7
	v_cmp_gt_i32_e64 s21, 0, v11
	v_and_b32_e32 v5, v5, v6
	v_not_b32_e32 v6, v33
	v_ashrrev_i32_e32 v10, 31, v10
	s_wait_alu 0xfffd
	v_xor_b32_e32 v8, vcc_lo, v8
	v_cmp_gt_i32_e32 vcc_lo, 0, v33
	v_and_b32_e32 v5, v5, v7
	v_not_b32_e32 v7, v9
	v_ashrrev_i32_e32 v6, 31, v6
	s_wait_alu 0xf1ff
	v_xor_b32_e32 v10, s21, v10
	v_lshlrev_b32_e32 v4, 5, v4
	v_and_b32_e32 v5, v5, v8
	v_cmp_gt_i32_e64 s21, 0, v9
	v_ashrrev_i32_e32 v7, 31, v7
	s_wait_alu 0xfffd
	v_xor_b32_e32 v6, vcc_lo, v6
	v_add_nc_u32_e32 v35, v74, v4
	v_and_b32_e32 v5, v5, v10
	s_wait_alu 0xf1ff
	v_xor_b32_e32 v4, s21, v7
	ds_load_b32 v33, v35 offset:32
	v_and_b32_e32 v5, v5, v6
	; wave barrier
	s_delay_alu instid0(VALU_DEP_1) | instskip(NEXT) | instid1(VALU_DEP_1)
	v_and_b32_e32 v4, v5, v4
	v_mbcnt_lo_u32_b32 v34, v4, 0
	v_cmp_ne_u32_e64 s21, 0, v4
	s_delay_alu instid0(VALU_DEP_2)
	v_cmp_eq_u32_e32 vcc_lo, 0, v34
	s_and_b32 s26, s21, vcc_lo
	s_wait_alu 0xfffe
	s_and_saveexec_b32 s21, s26
	s_cbranch_execz .LBB156_97
; %bb.96:                               ;   in Loop: Header=BB156_81 Depth=1
	s_wait_dscnt 0x0
	v_bcnt_u32_b32 v4, v4, v33
	ds_store_b32 v35, v4 offset:32
.LBB156_97:                             ;   in Loop: Header=BB156_81 Depth=1
	s_wait_alu 0xfffe
	s_or_b32 exec_lo, exec_lo, s21
	; wave barrier
	s_wait_loadcnt_dscnt 0x0
	s_barrier_signal -1
	s_barrier_wait -1
	global_inv scope:SCOPE_SE
	ds_load_b128 v[8:11], v114 offset:32
	ds_load_b128 v[4:7], v114 offset:48
	s_wait_dscnt 0x1
	v_add_nc_u32_e32 v36, v9, v8
	s_delay_alu instid0(VALU_DEP_1) | instskip(SKIP_1) | instid1(VALU_DEP_1)
	v_add3_u32 v36, v36, v10, v11
	s_wait_dscnt 0x0
	v_add3_u32 v36, v36, v4, v5
	s_delay_alu instid0(VALU_DEP_1) | instskip(NEXT) | instid1(VALU_DEP_1)
	v_add3_u32 v7, v36, v6, v7
	v_mov_b32_dpp v36, v7 row_shr:1 row_mask:0xf bank_mask:0xf
	s_delay_alu instid0(VALU_DEP_1) | instskip(NEXT) | instid1(VALU_DEP_1)
	v_cndmask_b32_e64 v36, v36, 0, s0
	v_add_nc_u32_e32 v7, v36, v7
	s_delay_alu instid0(VALU_DEP_1) | instskip(NEXT) | instid1(VALU_DEP_1)
	v_mov_b32_dpp v36, v7 row_shr:2 row_mask:0xf bank_mask:0xf
	v_cndmask_b32_e64 v36, 0, v36, s10
	s_delay_alu instid0(VALU_DEP_1) | instskip(NEXT) | instid1(VALU_DEP_1)
	v_add_nc_u32_e32 v7, v7, v36
	v_mov_b32_dpp v36, v7 row_shr:4 row_mask:0xf bank_mask:0xf
	s_delay_alu instid0(VALU_DEP_1) | instskip(NEXT) | instid1(VALU_DEP_1)
	v_cndmask_b32_e64 v36, 0, v36, s11
	v_add_nc_u32_e32 v7, v7, v36
	s_delay_alu instid0(VALU_DEP_1) | instskip(NEXT) | instid1(VALU_DEP_1)
	v_mov_b32_dpp v36, v7 row_shr:8 row_mask:0xf bank_mask:0xf
	v_cndmask_b32_e64 v36, 0, v36, s12
	s_delay_alu instid0(VALU_DEP_1) | instskip(SKIP_3) | instid1(VALU_DEP_1)
	v_add_nc_u32_e32 v7, v7, v36
	ds_swizzle_b32 v36, v7 offset:swizzle(BROADCAST,32,15)
	s_wait_dscnt 0x0
	v_cndmask_b32_e64 v36, v36, 0, s13
	v_add_nc_u32_e32 v7, v7, v36
	s_and_saveexec_b32 s21, s14
; %bb.98:                               ;   in Loop: Header=BB156_81 Depth=1
	ds_store_b32 v115, v7
; %bb.99:                               ;   in Loop: Header=BB156_81 Depth=1
	s_wait_alu 0xfffe
	s_or_b32 exec_lo, exec_lo, s21
	s_wait_loadcnt_dscnt 0x0
	s_barrier_signal -1
	s_barrier_wait -1
	global_inv scope:SCOPE_SE
	s_and_saveexec_b32 s21, s15
	s_cbranch_execz .LBB156_101
; %bb.100:                              ;   in Loop: Header=BB156_81 Depth=1
	ds_load_b32 v36, v75
	s_wait_dscnt 0x0
	v_mov_b32_dpp v76, v36 row_shr:1 row_mask:0xf bank_mask:0xf
	s_delay_alu instid0(VALU_DEP_1) | instskip(NEXT) | instid1(VALU_DEP_1)
	v_cndmask_b32_e64 v76, v76, 0, s18
	v_add_nc_u32_e32 v36, v76, v36
	s_delay_alu instid0(VALU_DEP_1) | instskip(NEXT) | instid1(VALU_DEP_1)
	v_mov_b32_dpp v76, v36 row_shr:2 row_mask:0xf bank_mask:0xf
	v_cndmask_b32_e64 v76, 0, v76, s19
	s_delay_alu instid0(VALU_DEP_1) | instskip(NEXT) | instid1(VALU_DEP_1)
	v_add_nc_u32_e32 v36, v36, v76
	v_mov_b32_dpp v76, v36 row_shr:4 row_mask:0xf bank_mask:0xf
	s_delay_alu instid0(VALU_DEP_1) | instskip(NEXT) | instid1(VALU_DEP_1)
	v_cndmask_b32_e64 v76, 0, v76, s20
	v_add_nc_u32_e32 v36, v36, v76
	ds_store_b32 v75, v36
.LBB156_101:                            ;   in Loop: Header=BB156_81 Depth=1
	s_wait_alu 0xfffe
	s_or_b32 exec_lo, exec_lo, s21
	v_mov_b32_e32 v36, 0
	s_wait_loadcnt_dscnt 0x0
	s_barrier_signal -1
	s_barrier_wait -1
	global_inv scope:SCOPE_SE
	s_and_saveexec_b32 s21, s16
; %bb.102:                              ;   in Loop: Header=BB156_81 Depth=1
	ds_load_b32 v36, v72
; %bb.103:                              ;   in Loop: Header=BB156_81 Depth=1
	s_wait_alu 0xfffe
	s_or_b32 exec_lo, exec_lo, s21
	s_wait_dscnt 0x0
	v_add_nc_u32_e32 v7, v36, v7
	v_cmp_lt_u32_e32 vcc_lo, 55, v37
	s_mov_b32 s21, -1
	ds_bpermute_b32 v7, v32, v7
	s_and_b32 vcc_lo, exec_lo, vcc_lo
	s_wait_dscnt 0x0
	v_cndmask_b32_e64 v7, v7, v36, s1
	s_delay_alu instid0(VALU_DEP_1) | instskip(NEXT) | instid1(VALU_DEP_1)
	v_cndmask_b32_e64 v7, v7, 0, s17
	v_add_nc_u32_e32 v8, v7, v8
	s_delay_alu instid0(VALU_DEP_1) | instskip(NEXT) | instid1(VALU_DEP_1)
	v_add_nc_u32_e32 v9, v8, v9
	v_add_nc_u32_e32 v10, v9, v10
	s_delay_alu instid0(VALU_DEP_1) | instskip(NEXT) | instid1(VALU_DEP_1)
	v_add_nc_u32_e32 v76, v10, v11
	;; [unrolled: 3-line block ×3, first 2 shown]
	v_add_nc_u32_e32 v79, v78, v6
	ds_store_b128 v114, v[7:10] offset:32
	ds_store_b128 v114, v[76:79] offset:48
	s_wait_loadcnt_dscnt 0x0
	s_barrier_signal -1
	s_barrier_wait -1
	global_inv scope:SCOPE_SE
	ds_load_b32 v4, v13 offset:32
	ds_load_b32 v5, v16 offset:32
	;; [unrolled: 1-line block ×8, first 2 shown]
	s_wait_dscnt 0x7
	v_add_nc_u32_e32 v83, v4, v12
	s_wait_dscnt 0x6
	v_add3_u32 v82, v15, v14, v5
	s_wait_dscnt 0x5
	v_add3_u32 v81, v18, v17, v6
	;; [unrolled: 2-line block ×7, first 2 shown]
                                        ; implicit-def: $vgpr35_vgpr36
                                        ; implicit-def: $vgpr14_vgpr15
                                        ; implicit-def: $vgpr10_vgpr11
                                        ; implicit-def: $vgpr6_vgpr7
                                        ; implicit-def: $vgpr30_vgpr31
                                        ; implicit-def: $vgpr26_vgpr27
                                        ; implicit-def: $vgpr22_vgpr23
                                        ; implicit-def: $vgpr18_vgpr19
	s_wait_alu 0xfffe
	s_cbranch_vccnz .LBB156_80
; %bb.104:                              ;   in Loop: Header=BB156_81 Depth=1
	v_lshlrev_b32_e32 v16, 3, v83
	v_lshlrev_b32_e32 v19, 3, v80
	;; [unrolled: 1-line block ×8, first 2 shown]
	s_wait_loadcnt 0x0
	s_barrier_signal -1
	s_barrier_wait -1
	global_inv scope:SCOPE_SE
	ds_store_b64 v16, v[39:40]
	ds_store_b64 v17, v[70:71]
	;; [unrolled: 1-line block ×8, first 2 shown]
	s_wait_loadcnt_dscnt 0x0
	s_barrier_signal -1
	s_barrier_wait -1
	global_inv scope:SCOPE_SE
	ds_load_2addr_b64 v[4:7], v73 offset1:32
	ds_load_2addr_b64 v[8:11], v73 offset0:64 offset1:96
	ds_load_2addr_b64 v[12:15], v73 offset0:128 offset1:160
	;; [unrolled: 1-line block ×3, first 2 shown]
	s_wait_loadcnt_dscnt 0x0
	s_barrier_signal -1
	s_barrier_wait -1
	global_inv scope:SCOPE_SE
	ds_store_b64 v16, v[61:62]
	ds_store_b64 v17, v[59:60]
	;; [unrolled: 1-line block ×8, first 2 shown]
	s_wait_loadcnt_dscnt 0x0
	s_barrier_signal -1
	s_barrier_wait -1
	global_inv scope:SCOPE_SE
	ds_load_2addr_b64 v[16:19], v73 offset1:32
	ds_load_2addr_b64 v[20:23], v73 offset0:64 offset1:96
	ds_load_2addr_b64 v[24:27], v73 offset0:128 offset1:160
	;; [unrolled: 1-line block ×3, first 2 shown]
	v_add_co_u32 v37, vcc_lo, v37, 8
	s_wait_alu 0xfffd
	v_add_co_ci_u32_e64 v38, null, 0, v38, vcc_lo
	s_add_co_i32 s25, s25, -8
	s_mov_b32 s21, 0
	s_wait_loadcnt_dscnt 0x0
	s_barrier_signal -1
	s_barrier_wait -1
	global_inv scope:SCOPE_SE
	s_branch .LBB156_80
.LBB156_105:
	v_lshlrev_b32_e32 v16, 3, v83
	v_lshlrev_b32_e32 v19, 3, v80
	;; [unrolled: 1-line block ×9, first 2 shown]
	s_wait_loadcnt 0x0
	s_barrier_signal -1
	s_barrier_wait -1
	global_inv scope:SCOPE_SE
	ds_store_b64 v16, v[39:40]
	ds_store_b64 v17, v[70:71]
	;; [unrolled: 1-line block ×8, first 2 shown]
	s_wait_loadcnt_dscnt 0x0
	s_barrier_signal -1
	s_barrier_wait -1
	global_inv scope:SCOPE_SE
	ds_load_b128 v[0:3], v24
	ds_load_b128 v[4:7], v24 offset:16
	ds_load_b128 v[8:11], v24 offset:32
	;; [unrolled: 1-line block ×3, first 2 shown]
	s_wait_loadcnt_dscnt 0x0
	s_barrier_signal -1
	s_barrier_wait -1
	global_inv scope:SCOPE_SE
	ds_store_b64 v16, v[61:62]
	ds_store_b64 v17, v[59:60]
	;; [unrolled: 1-line block ×8, first 2 shown]
	s_wait_loadcnt_dscnt 0x0
	s_barrier_signal -1
	s_barrier_wait -1
	global_inv scope:SCOPE_SE
	ds_load_b128 v[45:48], v24
	ds_load_b128 v[41:44], v24 offset:16
	ds_load_b128 v[37:40], v24 offset:32
	;; [unrolled: 1-line block ×3, first 2 shown]
	v_xor_b32_e32 v50, 0x7fffffff, v1
	v_xor_b32_e32 v49, -1, v0
	v_xor_b32_e32 v52, 0x7fffffff, v3
	v_xor_b32_e32 v51, -1, v2
	v_xor_b32_e32 v54, 0x7fffffff, v5
	v_xor_b32_e32 v53, -1, v4
	v_xor_b32_e32 v56, 0x7fffffff, v7
	v_xor_b32_e32 v55, -1, v6
	v_xor_b32_e32 v58, 0x7fffffff, v9
	v_xor_b32_e32 v57, -1, v8
	v_xor_b32_e32 v60, 0x7fffffff, v11
	v_xor_b32_e32 v59, -1, v10
	v_xor_b32_e32 v62, 0x7fffffff, v13
	v_xor_b32_e32 v61, -1, v12
	v_xor_b32_e32 v64, 0x7fffffff, v15
	v_xor_b32_e32 v63, -1, v14
.LBB156_106:
	v_mad_co_u64_u32 v[2:3], null, s28, v69, 0
	s_wait_loadcnt_dscnt 0x0
	s_barrier_signal -1
	s_barrier_wait -1
	global_inv scope:SCOPE_SE
	ds_store_2addr_b64 v112, v[49:50], v[51:52] offset1:1
	ds_store_2addr_b64 v112, v[53:54], v[55:56] offset0:2 offset1:3
	ds_store_2addr_b64 v112, v[57:58], v[59:60] offset0:4 offset1:5
	;; [unrolled: 1-line block ×3, first 2 shown]
	s_wait_loadcnt_dscnt 0x0
	v_mov_b32_e32 v0, v3
	s_barrier_signal -1
	s_barrier_wait -1
	global_inv scope:SCOPE_SE
	v_mad_co_u64_u32 v[3:4], null, s29, v69, v[0:1]
	ds_load_b64 v[14:15], v105 offset:2048
	ds_load_b64 v[12:13], v106 offset:4096
	;; [unrolled: 1-line block ×7, first 2 shown]
	v_lshlrev_b64_e32 v[2:3], 3, v[2:3]
	s_delay_alu instid0(VALU_DEP_1) | instskip(SKIP_1) | instid1(VALU_DEP_2)
	v_add_co_u32 v2, vcc_lo, s30, v2
	s_wait_alu 0xfffd
	v_add_co_ci_u32_e64 v3, null, s31, v3, vcc_lo
	s_and_saveexec_b32 s0, s2
	s_cbranch_execnz .LBB156_125
; %bb.107:
	s_wait_alu 0xfffe
	s_or_b32 exec_lo, exec_lo, s0
	s_and_saveexec_b32 s0, s3
	s_cbranch_execnz .LBB156_126
.LBB156_108:
	s_wait_alu 0xfffe
	s_or_b32 exec_lo, exec_lo, s0
	s_and_saveexec_b32 s0, s4
	s_cbranch_execnz .LBB156_127
.LBB156_109:
	s_wait_alu 0xfffe
	s_or_b32 exec_lo, exec_lo, s0
	s_and_saveexec_b32 s0, s5
	s_cbranch_execnz .LBB156_128
.LBB156_110:
	s_wait_alu 0xfffe
	s_or_b32 exec_lo, exec_lo, s0
	s_and_saveexec_b32 s0, s6
	s_cbranch_execnz .LBB156_129
.LBB156_111:
	s_wait_alu 0xfffe
	s_or_b32 exec_lo, exec_lo, s0
	s_and_saveexec_b32 s0, s7
	s_cbranch_execnz .LBB156_130
.LBB156_112:
	s_wait_alu 0xfffe
	s_or_b32 exec_lo, exec_lo, s0
	s_and_saveexec_b32 s0, s8
	s_cbranch_execnz .LBB156_131
.LBB156_113:
	s_wait_alu 0xfffe
	s_or_b32 exec_lo, exec_lo, s0
	s_and_saveexec_b32 s0, s9
	s_cbranch_execz .LBB156_115
.LBB156_114:
	v_mad_co_u64_u32 v[2:3], null, 0x3800, s28, v[2:3]
	s_wait_dscnt 0x1
	s_delay_alu instid0(VALU_DEP_1)
	v_mad_co_u64_u32 v[3:4], null, 0x3800, s29, v[3:4]
	s_wait_dscnt 0x0
	global_store_b64 v[2:3], v[0:1], off
.LBB156_115:
	s_wait_alu 0xfffe
	s_or_b32 exec_lo, exec_lo, s0
	v_mad_co_u64_u32 v[2:3], null, s22, v69, 0
	s_wait_storecnt 0x0
	s_wait_loadcnt_dscnt 0x0
	s_barrier_signal -1
	s_barrier_wait -1
	global_inv scope:SCOPE_SE
	ds_store_2addr_b64 v112, v[45:46], v[47:48] offset1:1
	ds_store_2addr_b64 v112, v[41:42], v[43:44] offset0:2 offset1:3
	ds_store_2addr_b64 v112, v[37:38], v[39:40] offset0:4 offset1:5
	;; [unrolled: 1-line block ×3, first 2 shown]
	s_wait_loadcnt_dscnt 0x0
	v_mov_b32_e32 v0, v3
	s_barrier_signal -1
	s_barrier_wait -1
	global_inv scope:SCOPE_SE
	v_mad_co_u64_u32 v[3:4], null, s23, v69, v[0:1]
	ds_load_b64 v[14:15], v105 offset:2048
	ds_load_b64 v[12:13], v106 offset:4096
	;; [unrolled: 1-line block ×7, first 2 shown]
	v_lshlrev_b64_e32 v[2:3], 3, v[2:3]
	s_delay_alu instid0(VALU_DEP_1) | instskip(SKIP_1) | instid1(VALU_DEP_2)
	v_add_co_u32 v2, vcc_lo, s34, v2
	s_wait_alu 0xfffd
	v_add_co_ci_u32_e64 v3, null, s35, v3, vcc_lo
	s_and_saveexec_b32 s0, s2
	s_cbranch_execnz .LBB156_132
; %bb.116:
	s_wait_alu 0xfffe
	s_or_b32 exec_lo, exec_lo, s0
	s_and_saveexec_b32 s0, s3
	s_cbranch_execnz .LBB156_133
.LBB156_117:
	s_wait_alu 0xfffe
	s_or_b32 exec_lo, exec_lo, s0
	s_and_saveexec_b32 s0, s4
	s_cbranch_execnz .LBB156_134
.LBB156_118:
	s_wait_alu 0xfffe
	s_or_b32 exec_lo, exec_lo, s0
	s_and_saveexec_b32 s0, s5
	s_cbranch_execnz .LBB156_135
.LBB156_119:
	s_wait_alu 0xfffe
	s_or_b32 exec_lo, exec_lo, s0
	s_and_saveexec_b32 s0, s6
	s_cbranch_execnz .LBB156_136
.LBB156_120:
	s_wait_alu 0xfffe
	s_or_b32 exec_lo, exec_lo, s0
	s_and_saveexec_b32 s0, s7
	s_cbranch_execnz .LBB156_137
.LBB156_121:
	s_wait_alu 0xfffe
	s_or_b32 exec_lo, exec_lo, s0
	s_and_saveexec_b32 s0, s8
	s_cbranch_execnz .LBB156_138
.LBB156_122:
	s_wait_alu 0xfffe
	s_or_b32 exec_lo, exec_lo, s0
	s_and_saveexec_b32 s0, s9
	s_cbranch_execz .LBB156_124
.LBB156_123:
	v_mad_co_u64_u32 v[2:3], null, 0x3800, s22, v[2:3]
	s_wait_dscnt 0x1
	s_delay_alu instid0(VALU_DEP_1)
	v_mad_co_u64_u32 v[3:4], null, 0x3800, s23, v[3:4]
	s_wait_dscnt 0x0
	global_store_b64 v[2:3], v[0:1], off
.LBB156_124:
	s_nop 0
	s_sendmsg sendmsg(MSG_DEALLOC_VGPRS)
	s_endpgm
.LBB156_125:
	ds_load_b64 v[16:17], v104
	s_wait_dscnt 0x0
	global_store_b64 v[2:3], v[16:17], off
	s_wait_alu 0xfffe
	s_or_b32 exec_lo, exec_lo, s0
	s_and_saveexec_b32 s0, s3
	s_cbranch_execz .LBB156_108
.LBB156_126:
	s_lshl_b64 s[10:11], s[28:29], 11
	s_wait_alu 0xfffe
	v_add_co_u32 v16, vcc_lo, v2, s10
	s_wait_alu 0xfffd
	v_add_co_ci_u32_e64 v17, null, s11, v3, vcc_lo
	s_wait_dscnt 0x6
	global_store_b64 v[16:17], v[14:15], off
	s_or_b32 exec_lo, exec_lo, s0
	s_and_saveexec_b32 s0, s4
	s_cbranch_execz .LBB156_109
.LBB156_127:
	s_lshl_b64 s[10:11], s[28:29], 12
	s_wait_dscnt 0x6
	s_wait_alu 0xfffe
	v_add_co_u32 v14, vcc_lo, v2, s10
	s_wait_alu 0xfffd
	v_add_co_ci_u32_e64 v15, null, s11, v3, vcc_lo
	s_wait_dscnt 0x5
	global_store_b64 v[14:15], v[12:13], off
	s_or_b32 exec_lo, exec_lo, s0
	s_and_saveexec_b32 s0, s5
	s_cbranch_execz .LBB156_110
.LBB156_128:
	s_wait_dscnt 0x5
	v_mad_co_u64_u32 v[12:13], null, 0x1800, s28, v[2:3]
	s_delay_alu instid0(VALU_DEP_1)
	v_mad_co_u64_u32 v[13:14], null, 0x1800, s29, v[13:14]
	s_wait_dscnt 0x4
	global_store_b64 v[12:13], v[10:11], off
	s_wait_alu 0xfffe
	s_or_b32 exec_lo, exec_lo, s0
	s_and_saveexec_b32 s0, s6
	s_cbranch_execz .LBB156_111
.LBB156_129:
	s_lshl_b64 s[10:11], s[28:29], 13
	s_wait_dscnt 0x4
	s_wait_alu 0xfffe
	v_add_co_u32 v10, vcc_lo, v2, s10
	s_wait_alu 0xfffd
	v_add_co_ci_u32_e64 v11, null, s11, v3, vcc_lo
	s_wait_dscnt 0x3
	global_store_b64 v[10:11], v[8:9], off
	s_or_b32 exec_lo, exec_lo, s0
	s_and_saveexec_b32 s0, s7
	s_cbranch_execz .LBB156_112
.LBB156_130:
	s_wait_dscnt 0x3
	v_mad_co_u64_u32 v[8:9], null, 0x2800, s28, v[2:3]
	s_delay_alu instid0(VALU_DEP_1)
	v_mad_co_u64_u32 v[9:10], null, 0x2800, s29, v[9:10]
	s_wait_dscnt 0x2
	global_store_b64 v[8:9], v[6:7], off
	s_wait_alu 0xfffe
	s_or_b32 exec_lo, exec_lo, s0
	s_and_saveexec_b32 s0, s8
	s_cbranch_execz .LBB156_113
.LBB156_131:
	s_wait_dscnt 0x2
	v_mad_co_u64_u32 v[6:7], null, 0x3000, s28, v[2:3]
	s_delay_alu instid0(VALU_DEP_1)
	v_mad_co_u64_u32 v[7:8], null, 0x3000, s29, v[7:8]
	s_wait_dscnt 0x1
	global_store_b64 v[6:7], v[4:5], off
	s_wait_alu 0xfffe
	s_or_b32 exec_lo, exec_lo, s0
	s_and_saveexec_b32 s0, s9
	s_cbranch_execnz .LBB156_114
	s_branch .LBB156_115
.LBB156_132:
	ds_load_b64 v[16:17], v104
	s_wait_dscnt 0x0
	global_store_b64 v[2:3], v[16:17], off
	s_wait_alu 0xfffe
	s_or_b32 exec_lo, exec_lo, s0
	s_and_saveexec_b32 s0, s3
	s_cbranch_execz .LBB156_117
.LBB156_133:
	s_lshl_b64 s[2:3], s[22:23], 11
	s_delay_alu instid0(SALU_CYCLE_1)
	v_add_co_u32 v16, vcc_lo, v2, s2
	s_wait_alu 0xfffd
	v_add_co_ci_u32_e64 v17, null, s3, v3, vcc_lo
	s_wait_dscnt 0x6
	global_store_b64 v[16:17], v[14:15], off
	s_wait_alu 0xfffe
	s_or_b32 exec_lo, exec_lo, s0
	s_and_saveexec_b32 s0, s4
	s_cbranch_execz .LBB156_118
.LBB156_134:
	s_lshl_b64 s[2:3], s[22:23], 12
	s_wait_dscnt 0x6
	s_wait_alu 0xfffe
	v_add_co_u32 v14, vcc_lo, v2, s2
	s_wait_alu 0xfffd
	v_add_co_ci_u32_e64 v15, null, s3, v3, vcc_lo
	s_wait_dscnt 0x5
	global_store_b64 v[14:15], v[12:13], off
	s_or_b32 exec_lo, exec_lo, s0
	s_and_saveexec_b32 s0, s5
	s_cbranch_execz .LBB156_119
.LBB156_135:
	s_wait_dscnt 0x5
	v_mad_co_u64_u32 v[12:13], null, 0x1800, s22, v[2:3]
	s_delay_alu instid0(VALU_DEP_1)
	v_mad_co_u64_u32 v[13:14], null, 0x1800, s23, v[13:14]
	s_wait_dscnt 0x4
	global_store_b64 v[12:13], v[10:11], off
	s_wait_alu 0xfffe
	s_or_b32 exec_lo, exec_lo, s0
	s_and_saveexec_b32 s0, s6
	s_cbranch_execz .LBB156_120
.LBB156_136:
	s_lshl_b64 s[2:3], s[22:23], 13
	s_wait_dscnt 0x4
	s_wait_alu 0xfffe
	v_add_co_u32 v10, vcc_lo, v2, s2
	s_wait_alu 0xfffd
	v_add_co_ci_u32_e64 v11, null, s3, v3, vcc_lo
	s_wait_dscnt 0x3
	global_store_b64 v[10:11], v[8:9], off
	s_or_b32 exec_lo, exec_lo, s0
	s_and_saveexec_b32 s0, s7
	s_cbranch_execz .LBB156_121
.LBB156_137:
	s_wait_dscnt 0x3
	v_mad_co_u64_u32 v[8:9], null, 0x2800, s22, v[2:3]
	s_delay_alu instid0(VALU_DEP_1)
	v_mad_co_u64_u32 v[9:10], null, 0x2800, s23, v[9:10]
	s_wait_dscnt 0x2
	global_store_b64 v[8:9], v[6:7], off
	s_wait_alu 0xfffe
	s_or_b32 exec_lo, exec_lo, s0
	s_and_saveexec_b32 s0, s8
	s_cbranch_execz .LBB156_122
.LBB156_138:
	s_wait_dscnt 0x2
	v_mad_co_u64_u32 v[6:7], null, 0x3000, s22, v[2:3]
	s_delay_alu instid0(VALU_DEP_1)
	v_mad_co_u64_u32 v[7:8], null, 0x3000, s23, v[7:8]
	s_wait_dscnt 0x1
	global_store_b64 v[6:7], v[4:5], off
	s_wait_alu 0xfffe
	s_or_b32 exec_lo, exec_lo, s0
	s_and_saveexec_b32 s0, s9
	s_cbranch_execnz .LBB156_123
	s_branch .LBB156_124
	.section	.rodata,"a",@progbits
	.p2align	6, 0x0
	.amdhsa_kernel _ZN2at6native18radixSortKVInPlaceILin1ELin1ELi256ELi8EllmEEvNS_4cuda6detail10TensorInfoIT3_T5_EES6_S6_S6_NS4_IT4_S6_EES6_b
		.amdhsa_group_segment_fixed_size 16896
		.amdhsa_private_segment_fixed_size 0
		.amdhsa_kernarg_size 1128
		.amdhsa_user_sgpr_count 2
		.amdhsa_user_sgpr_dispatch_ptr 0
		.amdhsa_user_sgpr_queue_ptr 0
		.amdhsa_user_sgpr_kernarg_segment_ptr 1
		.amdhsa_user_sgpr_dispatch_id 0
		.amdhsa_user_sgpr_private_segment_size 0
		.amdhsa_wavefront_size32 1
		.amdhsa_uses_dynamic_stack 0
		.amdhsa_enable_private_segment 0
		.amdhsa_system_sgpr_workgroup_id_x 1
		.amdhsa_system_sgpr_workgroup_id_y 1
		.amdhsa_system_sgpr_workgroup_id_z 1
		.amdhsa_system_sgpr_workgroup_info 0
		.amdhsa_system_vgpr_workitem_id 2
		.amdhsa_next_free_vgpr 139
		.amdhsa_next_free_sgpr 40
		.amdhsa_reserve_vcc 1
		.amdhsa_float_round_mode_32 0
		.amdhsa_float_round_mode_16_64 0
		.amdhsa_float_denorm_mode_32 3
		.amdhsa_float_denorm_mode_16_64 3
		.amdhsa_fp16_overflow 0
		.amdhsa_workgroup_processor_mode 1
		.amdhsa_memory_ordered 1
		.amdhsa_forward_progress 1
		.amdhsa_inst_pref_size 126
		.amdhsa_round_robin_scheduling 0
		.amdhsa_exception_fp_ieee_invalid_op 0
		.amdhsa_exception_fp_denorm_src 0
		.amdhsa_exception_fp_ieee_div_zero 0
		.amdhsa_exception_fp_ieee_overflow 0
		.amdhsa_exception_fp_ieee_underflow 0
		.amdhsa_exception_fp_ieee_inexact 0
		.amdhsa_exception_int_div_zero 0
	.end_amdhsa_kernel
	.section	.text._ZN2at6native18radixSortKVInPlaceILin1ELin1ELi256ELi8EllmEEvNS_4cuda6detail10TensorInfoIT3_T5_EES6_S6_S6_NS4_IT4_S6_EES6_b,"axG",@progbits,_ZN2at6native18radixSortKVInPlaceILin1ELin1ELi256ELi8EllmEEvNS_4cuda6detail10TensorInfoIT3_T5_EES6_S6_S6_NS4_IT4_S6_EES6_b,comdat
.Lfunc_end156:
	.size	_ZN2at6native18radixSortKVInPlaceILin1ELin1ELi256ELi8EllmEEvNS_4cuda6detail10TensorInfoIT3_T5_EES6_S6_S6_NS4_IT4_S6_EES6_b, .Lfunc_end156-_ZN2at6native18radixSortKVInPlaceILin1ELin1ELi256ELi8EllmEEvNS_4cuda6detail10TensorInfoIT3_T5_EES6_S6_S6_NS4_IT4_S6_EES6_b
                                        ; -- End function
	.set _ZN2at6native18radixSortKVInPlaceILin1ELin1ELi256ELi8EllmEEvNS_4cuda6detail10TensorInfoIT3_T5_EES6_S6_S6_NS4_IT4_S6_EES6_b.num_vgpr, 139
	.set _ZN2at6native18radixSortKVInPlaceILin1ELin1ELi256ELi8EllmEEvNS_4cuda6detail10TensorInfoIT3_T5_EES6_S6_S6_NS4_IT4_S6_EES6_b.num_agpr, 0
	.set _ZN2at6native18radixSortKVInPlaceILin1ELin1ELi256ELi8EllmEEvNS_4cuda6detail10TensorInfoIT3_T5_EES6_S6_S6_NS4_IT4_S6_EES6_b.numbered_sgpr, 40
	.set _ZN2at6native18radixSortKVInPlaceILin1ELin1ELi256ELi8EllmEEvNS_4cuda6detail10TensorInfoIT3_T5_EES6_S6_S6_NS4_IT4_S6_EES6_b.num_named_barrier, 0
	.set _ZN2at6native18radixSortKVInPlaceILin1ELin1ELi256ELi8EllmEEvNS_4cuda6detail10TensorInfoIT3_T5_EES6_S6_S6_NS4_IT4_S6_EES6_b.private_seg_size, 0
	.set _ZN2at6native18radixSortKVInPlaceILin1ELin1ELi256ELi8EllmEEvNS_4cuda6detail10TensorInfoIT3_T5_EES6_S6_S6_NS4_IT4_S6_EES6_b.uses_vcc, 1
	.set _ZN2at6native18radixSortKVInPlaceILin1ELin1ELi256ELi8EllmEEvNS_4cuda6detail10TensorInfoIT3_T5_EES6_S6_S6_NS4_IT4_S6_EES6_b.uses_flat_scratch, 0
	.set _ZN2at6native18radixSortKVInPlaceILin1ELin1ELi256ELi8EllmEEvNS_4cuda6detail10TensorInfoIT3_T5_EES6_S6_S6_NS4_IT4_S6_EES6_b.has_dyn_sized_stack, 0
	.set _ZN2at6native18radixSortKVInPlaceILin1ELin1ELi256ELi8EllmEEvNS_4cuda6detail10TensorInfoIT3_T5_EES6_S6_S6_NS4_IT4_S6_EES6_b.has_recursion, 0
	.set _ZN2at6native18radixSortKVInPlaceILin1ELin1ELi256ELi8EllmEEvNS_4cuda6detail10TensorInfoIT3_T5_EES6_S6_S6_NS4_IT4_S6_EES6_b.has_indirect_call, 0
	.section	.AMDGPU.csdata,"",@progbits
; Kernel info:
; codeLenInByte = 16048
; TotalNumSgprs: 42
; NumVgprs: 139
; ScratchSize: 0
; MemoryBound: 0
; FloatMode: 240
; IeeeMode: 1
; LDSByteSize: 16896 bytes/workgroup (compile time only)
; SGPRBlocks: 0
; VGPRBlocks: 17
; NumSGPRsForWavesPerEU: 42
; NumVGPRsForWavesPerEU: 139
; Occupancy: 10
; WaveLimiterHint : 1
; COMPUTE_PGM_RSRC2:SCRATCH_EN: 0
; COMPUTE_PGM_RSRC2:USER_SGPR: 2
; COMPUTE_PGM_RSRC2:TRAP_HANDLER: 0
; COMPUTE_PGM_RSRC2:TGID_X_EN: 1
; COMPUTE_PGM_RSRC2:TGID_Y_EN: 1
; COMPUTE_PGM_RSRC2:TGID_Z_EN: 1
; COMPUTE_PGM_RSRC2:TIDIG_COMP_CNT: 2
	.section	.text._ZN2at6native18radixSortKVInPlaceILin1ELin1ELi128ELi8EllmEEvNS_4cuda6detail10TensorInfoIT3_T5_EES6_S6_S6_NS4_IT4_S6_EES6_b,"axG",@progbits,_ZN2at6native18radixSortKVInPlaceILin1ELin1ELi128ELi8EllmEEvNS_4cuda6detail10TensorInfoIT3_T5_EES6_S6_S6_NS4_IT4_S6_EES6_b,comdat
	.protected	_ZN2at6native18radixSortKVInPlaceILin1ELin1ELi128ELi8EllmEEvNS_4cuda6detail10TensorInfoIT3_T5_EES6_S6_S6_NS4_IT4_S6_EES6_b ; -- Begin function _ZN2at6native18radixSortKVInPlaceILin1ELin1ELi128ELi8EllmEEvNS_4cuda6detail10TensorInfoIT3_T5_EES6_S6_S6_NS4_IT4_S6_EES6_b
	.globl	_ZN2at6native18radixSortKVInPlaceILin1ELin1ELi128ELi8EllmEEvNS_4cuda6detail10TensorInfoIT3_T5_EES6_S6_S6_NS4_IT4_S6_EES6_b
	.p2align	8
	.type	_ZN2at6native18radixSortKVInPlaceILin1ELin1ELi128ELi8EllmEEvNS_4cuda6detail10TensorInfoIT3_T5_EES6_S6_S6_NS4_IT4_S6_EES6_b,@function
_ZN2at6native18radixSortKVInPlaceILin1ELin1ELi128ELi8EllmEEvNS_4cuda6detail10TensorInfoIT3_T5_EES6_S6_S6_NS4_IT4_S6_EES6_b: ; @_ZN2at6native18radixSortKVInPlaceILin1ELin1ELi128ELi8EllmEEvNS_4cuda6detail10TensorInfoIT3_T5_EES6_S6_S6_NS4_IT4_S6_EES6_b
; %bb.0:
	s_clause 0x1
	s_load_b64 s[2:3], s[0:1], 0x368
	s_load_b128 s[20:23], s[0:1], 0x1a0
	s_lshr_b32 s4, ttmp7, 16
	s_and_b32 s5, ttmp7, 0xffff
	s_wait_kmcnt 0x0
	s_mul_i32 s3, s3, s4
	s_delay_alu instid0(SALU_CYCLE_1) | instskip(SKIP_2) | instid1(SALU_CYCLE_1)
	s_add_co_i32 s3, s3, s5
	s_mov_b32 s5, 0
	s_mul_i32 s2, s3, s2
	s_add_co_i32 s4, s2, ttmp9
	s_delay_alu instid0(SALU_CYCLE_1)
	v_cmp_le_u64_e64 s2, s[20:21], s[4:5]
	s_and_b32 vcc_lo, exec_lo, s2
	s_cbranch_vccnz .LBB157_124
; %bb.1:
	s_clause 0x1
	s_load_b32 s9, s[0:1], 0x198
	s_load_b64 s[24:25], s[0:1], 0x1b0
	s_mov_b64 s[2:3], 0
	s_mov_b64 s[6:7], s[4:5]
	s_wait_kmcnt 0x0
	s_cmp_lt_i32 s9, 2
	s_cbranch_scc1 .LBB157_9
; %bb.2:
	s_mov_b32 s8, 0
	s_add_co_i32 s2, s9, -1
	s_mov_b32 s3, s8
	s_add_co_i32 s16, s9, 1
	s_lshl_b64 s[2:3], s[2:3], 3
	s_mov_b64 s[12:13], s[4:5]
	s_add_nc_u64 s[6:7], s[0:1], s[2:3]
	s_mov_b64 s[2:3], 0
	s_add_nc_u64 s[10:11], s[6:7], 8
.LBB157_3:                              ; =>This Inner Loop Header: Depth=1
	s_load_b64 s[14:15], s[10:11], 0x0
	s_wait_kmcnt 0x0
	s_or_b64 s[6:7], s[12:13], s[14:15]
	s_wait_alu 0xfffe
	s_mov_b32 s9, s7
                                        ; implicit-def: $sgpr6_sgpr7
	s_delay_alu instid0(SALU_CYCLE_1)
	s_cmp_lg_u64 s[8:9], 0
	s_mov_b32 s9, -1
	s_cbranch_scc0 .LBB157_5
; %bb.4:                                ;   in Loop: Header=BB157_3 Depth=1
	s_cvt_f32_u32 s6, s14
	s_cvt_f32_u32 s7, s15
	s_sub_nc_u64 s[18:19], 0, s[14:15]
	s_mov_b32 s21, s8
	s_mov_b32 s29, s8
	s_wait_alu 0xfffe
	s_fmamk_f32 s6, s7, 0x4f800000, s6
	s_wait_alu 0xfffe
	s_delay_alu instid0(SALU_CYCLE_2) | instskip(NEXT) | instid1(TRANS32_DEP_1)
	v_s_rcp_f32 s6, s6
	s_mul_f32 s6, s6, 0x5f7ffffc
	s_wait_alu 0xfffe
	s_delay_alu instid0(SALU_CYCLE_2) | instskip(SKIP_1) | instid1(SALU_CYCLE_2)
	s_mul_f32 s7, s6, 0x2f800000
	s_wait_alu 0xfffe
	s_trunc_f32 s7, s7
	s_wait_alu 0xfffe
	s_delay_alu instid0(SALU_CYCLE_2) | instskip(SKIP_2) | instid1(SALU_CYCLE_1)
	s_fmamk_f32 s6, s7, 0xcf800000, s6
	s_cvt_u32_f32 s7, s7
	s_wait_alu 0xfffe
	s_cvt_u32_f32 s6, s6
	s_wait_alu 0xfffe
	s_delay_alu instid0(SALU_CYCLE_2) | instskip(NEXT) | instid1(SALU_CYCLE_1)
	s_mul_u64 s[26:27], s[18:19], s[6:7]
	s_mul_hi_u32 s31, s6, s27
	s_mul_i32 s30, s6, s27
	s_mul_hi_u32 s20, s6, s26
	s_mul_i32 s17, s7, s26
	s_wait_alu 0xfffe
	s_add_nc_u64 s[20:21], s[20:21], s[30:31]
	s_mul_hi_u32 s9, s7, s26
	s_mul_hi_u32 s23, s7, s27
	s_wait_alu 0xfffe
	s_add_co_u32 s17, s20, s17
	s_add_co_ci_u32 s28, s21, s9
	s_mul_i32 s26, s7, s27
	s_add_co_ci_u32 s27, s23, 0
	s_delay_alu instid0(SALU_CYCLE_1) | instskip(SKIP_4) | instid1(SALU_CYCLE_1)
	s_add_nc_u64 s[20:21], s[28:29], s[26:27]
	s_mov_b32 s27, s8
	s_wait_alu 0xfffe
	s_add_co_u32 s6, s6, s20
	s_cselect_b32 s9, -1, 0
	s_cmp_lg_u32 s9, 0
	s_add_co_ci_u32 s7, s7, s21
	s_mov_b32 s21, s8
	s_wait_alu 0xfffe
	s_mul_u64 s[18:19], s[18:19], s[6:7]
	s_delay_alu instid0(SALU_CYCLE_1)
	s_mul_hi_u32 s29, s6, s19
	s_mul_i32 s28, s6, s19
	s_mul_hi_u32 s20, s6, s18
	s_mul_i32 s17, s7, s18
	s_wait_alu 0xfffe
	s_add_nc_u64 s[20:21], s[20:21], s[28:29]
	s_mul_hi_u32 s9, s7, s18
	s_mul_hi_u32 s23, s7, s19
	s_wait_alu 0xfffe
	s_add_co_u32 s17, s20, s17
	s_add_co_ci_u32 s26, s21, s9
	s_mul_i32 s18, s7, s19
	s_add_co_ci_u32 s19, s23, 0
	s_mov_b32 s21, s8
	s_add_nc_u64 s[18:19], s[26:27], s[18:19]
	s_delay_alu instid0(SALU_CYCLE_1)
	s_add_co_u32 s6, s6, s18
	s_cselect_b32 s9, -1, 0
	s_wait_alu 0xfffe
	s_mul_hi_u32 s20, s12, s6
	s_cmp_lg_u32 s9, 0
	s_mul_hi_u32 s9, s13, s6
	s_add_co_ci_u32 s17, s7, s19
	s_mul_i32 s19, s13, s6
	s_mul_hi_u32 s7, s12, s17
	s_mul_i32 s6, s12, s17
	s_mul_hi_u32 s23, s13, s17
	s_wait_alu 0xfffe
	s_add_nc_u64 s[6:7], s[20:21], s[6:7]
	s_mul_i32 s18, s13, s17
	s_wait_alu 0xfffe
	s_add_co_u32 s6, s6, s19
	s_add_co_ci_u32 s26, s7, s9
	s_add_co_ci_u32 s19, s23, 0
	s_delay_alu instid0(SALU_CYCLE_1) | instskip(SKIP_2) | instid1(SALU_CYCLE_1)
	s_add_nc_u64 s[6:7], s[26:27], s[18:19]
	s_wait_alu 0xfffe
	s_mul_u64 s[18:19], s[14:15], s[6:7]
	s_sub_co_u32 s9, s12, s18
	s_cselect_b32 s17, -1, 0
	s_sub_co_i32 s18, s13, s19
	s_cmp_lg_u32 s17, 0
	s_sub_co_ci_u32 s18, s18, s15
	s_sub_co_u32 s20, s9, s14
	s_cselect_b32 s21, -1, 0
	s_wait_alu 0xfffe
	s_cmp_lg_u32 s21, 0
	s_sub_co_ci_u32 s18, s18, 0
	s_delay_alu instid0(SALU_CYCLE_1)
	s_cmp_ge_u32 s18, s15
	s_cselect_b32 s23, -1, 0
	s_cmp_ge_u32 s20, s14
	s_add_nc_u64 s[20:21], s[6:7], 1
	s_cselect_b32 s26, -1, 0
	s_cmp_eq_u32 s18, s15
	s_cselect_b32 s18, s26, s23
	s_add_nc_u64 s[26:27], s[6:7], 2
	s_cmp_lg_u32 s18, 0
	s_wait_alu 0xfffe
	s_cselect_b32 s18, s26, s20
	s_cselect_b32 s20, s27, s21
	s_cmp_lg_u32 s17, 0
	s_sub_co_ci_u32 s17, s13, s19
	s_delay_alu instid0(SALU_CYCLE_1)
	s_cmp_ge_u32 s17, s15
	s_cselect_b32 s19, -1, 0
	s_cmp_ge_u32 s9, s14
	s_cselect_b32 s9, -1, 0
	s_cmp_eq_u32 s17, s15
	s_cselect_b32 s9, s9, s19
	s_delay_alu instid0(SALU_CYCLE_1)
	s_cmp_lg_u32 s9, 0
	s_mov_b32 s9, 0
	s_wait_alu 0xfffe
	s_cselect_b32 s7, s20, s7
	s_cselect_b32 s6, s18, s6
.LBB157_5:                              ;   in Loop: Header=BB157_3 Depth=1
	s_and_not1_b32 vcc_lo, exec_lo, s9
	s_cbranch_vccnz .LBB157_7
; %bb.6:                                ;   in Loop: Header=BB157_3 Depth=1
	v_cvt_f32_u32_e32 v1, s14
	s_sub_co_i32 s7, 0, s14
	s_delay_alu instid0(VALU_DEP_1) | instskip(NEXT) | instid1(TRANS32_DEP_1)
	v_rcp_iflag_f32_e32 v1, v1
	v_mul_f32_e32 v1, 0x4f7ffffe, v1
	s_delay_alu instid0(VALU_DEP_1) | instskip(NEXT) | instid1(VALU_DEP_1)
	v_cvt_u32_f32_e32 v1, v1
	v_readfirstlane_b32 s6, v1
	s_wait_alu 0xfffe
	s_mul_i32 s7, s7, s6
	s_wait_alu 0xfffe
	s_mul_hi_u32 s7, s6, s7
	s_wait_alu 0xfffe
	s_add_co_i32 s6, s6, s7
	s_wait_alu 0xfffe
	s_mul_hi_u32 s6, s12, s6
	s_wait_alu 0xfffe
	s_mul_i32 s7, s6, s14
	s_add_co_i32 s9, s6, 1
	s_wait_alu 0xfffe
	s_sub_co_i32 s7, s12, s7
	s_wait_alu 0xfffe
	s_sub_co_i32 s17, s7, s14
	s_cmp_ge_u32 s7, s14
	s_cselect_b32 s6, s9, s6
	s_cselect_b32 s7, s17, s7
	s_wait_alu 0xfffe
	s_add_co_i32 s9, s6, 1
	s_cmp_ge_u32 s7, s14
	s_mov_b32 s7, s8
	s_cselect_b32 s6, s9, s6
.LBB157_7:                              ;   in Loop: Header=BB157_3 Depth=1
	s_load_b64 s[18:19], s[10:11], 0xc8
	s_mul_u64 s[14:15], s[6:7], s[14:15]
	s_add_co_i32 s16, s16, -1
	s_wait_alu 0xfffe
	s_sub_nc_u64 s[12:13], s[12:13], s[14:15]
	s_cmp_gt_u32 s16, 2
	s_add_nc_u64 s[10:11], s[10:11], -8
	s_wait_kmcnt 0x0
	s_mul_u64 s[12:13], s[18:19], s[12:13]
	s_delay_alu instid0(SALU_CYCLE_1)
	s_add_nc_u64 s[2:3], s[12:13], s[2:3]
	s_cbranch_scc0 .LBB157_9
; %bb.8:                                ;   in Loop: Header=BB157_3 Depth=1
	s_mov_b64 s[12:13], s[6:7]
	s_branch .LBB157_3
.LBB157_9:
	s_load_b32 s9, s[0:1], 0x350
	s_add_nc_u64 s[34:35], s[0:1], 0x368
	s_mov_b64 s[20:21], 0
	s_wait_kmcnt 0x0
	s_cmp_lt_i32 s9, 2
	s_cbranch_scc1 .LBB157_17
; %bb.10:
	s_mov_b32 s8, 0
	s_add_co_i32 s10, s9, -1
	s_mov_b32 s11, s8
	s_add_co_i32 s14, s9, 1
	s_lshl_b64 s[10:11], s[10:11], 3
	s_delay_alu instid0(SALU_CYCLE_1) | instskip(NEXT) | instid1(SALU_CYCLE_1)
	s_add_nc_u64 s[10:11], s[0:1], s[10:11]
	s_add_nc_u64 s[10:11], s[10:11], 0x1c0
.LBB157_11:                             ; =>This Inner Loop Header: Depth=1
	s_load_b64 s[12:13], s[10:11], 0x0
                                        ; implicit-def: $sgpr26_sgpr27
	s_wait_kmcnt 0x0
	s_or_b64 s[16:17], s[4:5], s[12:13]
	s_delay_alu instid0(SALU_CYCLE_1)
	s_mov_b32 s9, s17
	s_wait_alu 0xfffe
	s_cmp_lg_u64 s[8:9], 0
	s_mov_b32 s9, -1
	s_cbranch_scc0 .LBB157_13
; %bb.12:                               ;   in Loop: Header=BB157_11 Depth=1
	s_cvt_f32_u32 s9, s12
	s_cvt_f32_u32 s15, s13
	s_sub_nc_u64 s[18:19], 0, s[12:13]
	s_mov_b32 s27, s8
	s_mov_b32 s31, s8
	s_wait_alu 0xfffe
	s_fmamk_f32 s9, s15, 0x4f800000, s9
	s_wait_alu 0xfffe
	s_delay_alu instid0(SALU_CYCLE_2) | instskip(NEXT) | instid1(TRANS32_DEP_1)
	v_s_rcp_f32 s9, s9
	s_mul_f32 s9, s9, 0x5f7ffffc
	s_wait_alu 0xfffe
	s_delay_alu instid0(SALU_CYCLE_2) | instskip(SKIP_1) | instid1(SALU_CYCLE_2)
	s_mul_f32 s15, s9, 0x2f800000
	s_wait_alu 0xfffe
	s_trunc_f32 s15, s15
	s_wait_alu 0xfffe
	s_delay_alu instid0(SALU_CYCLE_2) | instskip(SKIP_2) | instid1(SALU_CYCLE_1)
	s_fmamk_f32 s9, s15, 0xcf800000, s9
	s_cvt_u32_f32 s17, s15
	s_wait_alu 0xfffe
	s_cvt_u32_f32 s16, s9
	s_delay_alu instid0(SALU_CYCLE_3) | instskip(NEXT) | instid1(SALU_CYCLE_1)
	s_mul_u64 s[28:29], s[18:19], s[16:17]
	s_mul_hi_u32 s37, s16, s29
	s_mul_i32 s36, s16, s29
	s_mul_hi_u32 s26, s16, s28
	s_mul_i32 s15, s17, s28
	s_add_nc_u64 s[26:27], s[26:27], s[36:37]
	s_mul_hi_u32 s9, s17, s28
	s_mul_hi_u32 s23, s17, s29
	s_wait_alu 0xfffe
	s_add_co_u32 s15, s26, s15
	s_add_co_ci_u32 s30, s27, s9
	s_mul_i32 s28, s17, s29
	s_add_co_ci_u32 s29, s23, 0
	s_delay_alu instid0(SALU_CYCLE_1)
	s_add_nc_u64 s[26:27], s[30:31], s[28:29]
	s_mov_b32 s29, s8
	s_add_co_u32 s16, s16, s26
	s_cselect_b32 s9, -1, 0
	s_wait_alu 0xfffe
	s_cmp_lg_u32 s9, 0
	s_add_co_ci_u32 s17, s17, s27
	s_mov_b32 s27, s8
	s_mul_u64 s[18:19], s[18:19], s[16:17]
	s_delay_alu instid0(SALU_CYCLE_1)
	s_mul_hi_u32 s31, s16, s19
	s_mul_i32 s30, s16, s19
	s_mul_hi_u32 s26, s16, s18
	s_mul_i32 s15, s17, s18
	s_add_nc_u64 s[26:27], s[26:27], s[30:31]
	s_mul_hi_u32 s9, s17, s18
	s_mul_hi_u32 s23, s17, s19
	s_wait_alu 0xfffe
	s_add_co_u32 s15, s26, s15
	s_add_co_ci_u32 s28, s27, s9
	s_mul_i32 s18, s17, s19
	s_add_co_ci_u32 s19, s23, 0
	s_mov_b32 s27, s8
	s_add_nc_u64 s[18:19], s[28:29], s[18:19]
	s_delay_alu instid0(SALU_CYCLE_1)
	s_add_co_u32 s9, s16, s18
	s_cselect_b32 s15, -1, 0
	s_wait_alu 0xfffe
	s_mul_hi_u32 s26, s4, s9
	s_cmp_lg_u32 s15, 0
	s_mul_hi_u32 s15, s5, s9
	s_add_co_ci_u32 s18, s17, s19
	s_mul_i32 s9, s5, s9
	s_mul_hi_u32 s17, s4, s18
	s_mul_i32 s16, s4, s18
	s_mul_hi_u32 s19, s5, s18
	s_add_nc_u64 s[16:17], s[26:27], s[16:17]
	s_mul_i32 s18, s5, s18
	s_wait_alu 0xfffe
	s_add_co_u32 s9, s16, s9
	s_add_co_ci_u32 s28, s17, s15
	s_add_co_ci_u32 s19, s19, 0
	s_delay_alu instid0(SALU_CYCLE_1) | instskip(NEXT) | instid1(SALU_CYCLE_1)
	s_add_nc_u64 s[16:17], s[28:29], s[18:19]
	s_mul_u64 s[18:19], s[12:13], s[16:17]
	s_delay_alu instid0(SALU_CYCLE_1)
	s_sub_co_u32 s9, s4, s18
	s_cselect_b32 s15, -1, 0
	s_sub_co_i32 s18, s5, s19
	s_wait_alu 0xfffe
	s_cmp_lg_u32 s15, 0
	s_sub_co_ci_u32 s18, s18, s13
	s_sub_co_u32 s23, s9, s12
	s_cselect_b32 s26, -1, 0
	s_delay_alu instid0(SALU_CYCLE_1) | instskip(SKIP_2) | instid1(SALU_CYCLE_1)
	s_cmp_lg_u32 s26, 0
	s_add_nc_u64 s[26:27], s[16:17], 1
	s_sub_co_ci_u32 s18, s18, 0
	s_cmp_ge_u32 s18, s13
	s_cselect_b32 s28, -1, 0
	s_cmp_ge_u32 s23, s12
	s_cselect_b32 s23, -1, 0
	s_cmp_eq_u32 s18, s13
	s_cselect_b32 s18, s23, s28
	s_add_nc_u64 s[28:29], s[16:17], 2
	s_cmp_lg_u32 s18, 0
	s_cselect_b32 s18, s28, s26
	s_cselect_b32 s23, s29, s27
	s_cmp_lg_u32 s15, 0
	s_sub_co_ci_u32 s15, s5, s19
	s_wait_alu 0xfffe
	s_cmp_ge_u32 s15, s13
	s_cselect_b32 s19, -1, 0
	s_cmp_ge_u32 s9, s12
	s_cselect_b32 s9, -1, 0
	s_cmp_eq_u32 s15, s13
	s_wait_alu 0xfffe
	s_cselect_b32 s9, s9, s19
	s_wait_alu 0xfffe
	s_cmp_lg_u32 s9, 0
	s_mov_b32 s9, 0
	s_cselect_b32 s27, s23, s17
	s_cselect_b32 s26, s18, s16
.LBB157_13:                             ;   in Loop: Header=BB157_11 Depth=1
	s_wait_alu 0xfffe
	s_and_not1_b32 vcc_lo, exec_lo, s9
	s_cbranch_vccnz .LBB157_15
; %bb.14:                               ;   in Loop: Header=BB157_11 Depth=1
	v_cvt_f32_u32_e32 v1, s12
	s_sub_co_i32 s15, 0, s12
	s_mov_b32 s27, s8
	s_delay_alu instid0(VALU_DEP_1) | instskip(NEXT) | instid1(TRANS32_DEP_1)
	v_rcp_iflag_f32_e32 v1, v1
	v_mul_f32_e32 v1, 0x4f7ffffe, v1
	s_delay_alu instid0(VALU_DEP_1) | instskip(NEXT) | instid1(VALU_DEP_1)
	v_cvt_u32_f32_e32 v1, v1
	v_readfirstlane_b32 s9, v1
	s_wait_alu 0xfffe
	s_mul_i32 s15, s15, s9
	s_wait_alu 0xfffe
	s_mul_hi_u32 s15, s9, s15
	s_wait_alu 0xfffe
	s_add_co_i32 s9, s9, s15
	s_wait_alu 0xfffe
	s_mul_hi_u32 s9, s4, s9
	s_wait_alu 0xfffe
	s_mul_i32 s15, s9, s12
	s_add_co_i32 s16, s9, 1
	s_wait_alu 0xfffe
	s_sub_co_i32 s15, s4, s15
	s_wait_alu 0xfffe
	s_sub_co_i32 s17, s15, s12
	s_cmp_ge_u32 s15, s12
	s_cselect_b32 s9, s16, s9
	s_cselect_b32 s15, s17, s15
	s_wait_alu 0xfffe
	s_add_co_i32 s16, s9, 1
	s_cmp_ge_u32 s15, s12
	s_cselect_b32 s26, s16, s9
.LBB157_15:                             ;   in Loop: Header=BB157_11 Depth=1
	s_load_b64 s[16:17], s[10:11], 0xc8
	s_mul_u64 s[12:13], s[26:27], s[12:13]
	s_add_co_i32 s14, s14, -1
	s_wait_alu 0xfffe
	s_sub_nc_u64 s[4:5], s[4:5], s[12:13]
	s_cmp_gt_u32 s14, 2
	s_add_nc_u64 s[10:11], s[10:11], -8
	s_wait_kmcnt 0x0
	s_wait_alu 0xfffe
	s_mul_u64 s[4:5], s[16:17], s[4:5]
	s_wait_alu 0xfffe
	s_add_nc_u64 s[20:21], s[4:5], s[20:21]
	s_cbranch_scc0 .LBB157_18
; %bb.16:                               ;   in Loop: Header=BB157_11 Depth=1
	s_mov_b64 s[4:5], s[26:27]
	s_branch .LBB157_11
.LBB157_17:
	s_mov_b64 s[26:27], s[4:5]
.LBB157_18:
	s_clause 0x2
	s_load_b64 s[4:5], s[0:1], 0xd0
	s_load_b32 s8, s[0:1], 0x360
	s_load_b64 s[28:29], s[0:1], 0x0
	s_wait_kmcnt 0x0
	s_mul_u64 s[4:5], s[4:5], s[6:7]
	s_bitcmp1_b32 s8, 0
	s_brev_b32 s6, 1
	s_cselect_b32 s23, -1, 0
	s_wait_alu 0xfffe
	s_lshl_b64 s[30:31], s[4:5], 3
	s_lshl_b64 s[36:37], s[2:3], 3
	s_and_b32 s2, s23, exec_lo
	s_cselect_b32 s4, 0, -1
	s_cselect_b32 s5, s6, 0x7fffffff
	s_wait_alu 0xfffe
	s_mov_b32 s6, s4
	s_mov_b32 s7, s5
	;; [unrolled: 1-line block ×14, first 2 shown]
	v_and_b32_e32 v69, 0x3ff, v0
	s_wait_alu 0xfffe
	v_dual_mov_b32 v1, s4 :: v_dual_mov_b32 v4, s7
	v_dual_mov_b32 v15, s18 :: v_dual_mov_b32 v18, s5
	v_mov_b32_e32 v2, s5
	v_cmp_gt_u32_e64 s2, s22, v69
	v_dual_mov_b32 v3, s6 :: v_dual_mov_b32 v6, s9
	v_dual_mov_b32 v5, s8 :: v_dual_mov_b32 v8, s11
	;; [unrolled: 1-line block ×6, first 2 shown]
	v_mov_b32_e32 v17, s4
	s_add_nc_u64 s[28:29], s[28:29], s[30:31]
	s_delay_alu instid0(SALU_CYCLE_1)
	s_add_nc_u64 s[28:29], s[28:29], s[36:37]
	s_and_saveexec_b32 s3, s2
	s_cbranch_execz .LBB157_20
; %bb.19:
	v_mad_co_u64_u32 v[1:2], null, s24, v69, 0
	s_delay_alu instid0(VALU_DEP_1) | instskip(NEXT) | instid1(VALU_DEP_1)
	v_mad_co_u64_u32 v[2:3], null, s25, v69, v[2:3]
	v_lshlrev_b64_e32 v[1:2], 3, v[1:2]
	s_delay_alu instid0(VALU_DEP_1) | instskip(NEXT) | instid1(VALU_DEP_1)
	v_add_co_u32 v1, vcc_lo, s28, v1
	v_add_co_ci_u32_e64 v2, null, s29, v2, vcc_lo
	global_load_b64 v[17:18], v[1:2], off
	v_dual_mov_b32 v1, s4 :: v_dual_mov_b32 v2, s5
	v_dual_mov_b32 v3, s6 :: v_dual_mov_b32 v4, s7
	;; [unrolled: 1-line block ×8, first 2 shown]
.LBB157_20:
	s_or_b32 exec_lo, exec_lo, s3
	v_add_nc_u32_e32 v34, 0x80, v69
	s_delay_alu instid0(VALU_DEP_1)
	v_cmp_gt_u32_e64 s3, s22, v34
	s_and_saveexec_b32 s4, s3
	s_cbranch_execz .LBB157_22
; %bb.21:
	v_mad_co_u64_u32 v[1:2], null, s24, v34, 0
	s_delay_alu instid0(VALU_DEP_1) | instskip(NEXT) | instid1(VALU_DEP_1)
	v_mad_co_u64_u32 v[2:3], null, s25, v34, v[2:3]
	v_lshlrev_b64_e32 v[1:2], 3, v[1:2]
	s_delay_alu instid0(VALU_DEP_1) | instskip(SKIP_1) | instid1(VALU_DEP_2)
	v_add_co_u32 v1, vcc_lo, s28, v1
	s_wait_alu 0xfffd
	v_add_co_ci_u32_e64 v2, null, s29, v2, vcc_lo
	global_load_b64 v[3:4], v[1:2], off
.LBB157_22:
	s_wait_alu 0xfffe
	s_or_b32 exec_lo, exec_lo, s4
	v_add_nc_u32_e32 v35, 0x100, v69
	s_delay_alu instid0(VALU_DEP_1)
	v_cmp_gt_u32_e64 s4, s22, v35
	s_and_saveexec_b32 s5, s4
	s_cbranch_execz .LBB157_24
; %bb.23:
	v_mad_co_u64_u32 v[1:2], null, s24, v35, 0
	s_wait_loadcnt 0x0
	s_delay_alu instid0(VALU_DEP_1) | instskip(NEXT) | instid1(VALU_DEP_1)
	v_mad_co_u64_u32 v[5:6], null, s25, v35, v[2:3]
	v_mov_b32_e32 v2, v5
	s_delay_alu instid0(VALU_DEP_1) | instskip(NEXT) | instid1(VALU_DEP_1)
	v_lshlrev_b64_e32 v[1:2], 3, v[1:2]
	v_add_co_u32 v1, vcc_lo, s28, v1
	s_wait_alu 0xfffd
	s_delay_alu instid0(VALU_DEP_2)
	v_add_co_ci_u32_e64 v2, null, s29, v2, vcc_lo
	global_load_b64 v[5:6], v[1:2], off
.LBB157_24:
	s_wait_alu 0xfffe
	s_or_b32 exec_lo, exec_lo, s5
	v_add_nc_u32_e32 v36, 0x180, v69
	s_delay_alu instid0(VALU_DEP_1)
	v_cmp_gt_u32_e64 s5, s22, v36
	s_and_saveexec_b32 s6, s5
	s_cbranch_execz .LBB157_26
; %bb.25:
	v_mad_co_u64_u32 v[1:2], null, s24, v36, 0
	s_wait_loadcnt 0x0
	s_delay_alu instid0(VALU_DEP_1) | instskip(NEXT) | instid1(VALU_DEP_1)
	v_mad_co_u64_u32 v[7:8], null, s25, v36, v[2:3]
	v_mov_b32_e32 v2, v7
	s_delay_alu instid0(VALU_DEP_1) | instskip(NEXT) | instid1(VALU_DEP_1)
	v_lshlrev_b64_e32 v[1:2], 3, v[1:2]
	v_add_co_u32 v1, vcc_lo, s28, v1
	s_wait_alu 0xfffd
	s_delay_alu instid0(VALU_DEP_2)
	v_add_co_ci_u32_e64 v2, null, s29, v2, vcc_lo
	global_load_b64 v[7:8], v[1:2], off
.LBB157_26:
	;; [unrolled: 21-line block ×5, first 2 shown]
	s_wait_alu 0xfffe
	s_or_b32 exec_lo, exec_lo, s9
	s_clause 0x1
	s_load_b64 s[12:13], s[0:1], 0x288
	s_load_b64 s[10:11], s[0:1], 0x1b8
	v_add_nc_u32_e32 v40, 0x380, v69
	s_delay_alu instid0(VALU_DEP_1)
	v_cmp_gt_u32_e64 s9, s22, v40
	s_and_saveexec_b32 s14, s9
	s_cbranch_execz .LBB157_34
; %bb.33:
	v_mad_co_u64_u32 v[1:2], null, s24, v40, 0
	s_wait_loadcnt 0x0
	s_delay_alu instid0(VALU_DEP_1) | instskip(NEXT) | instid1(VALU_DEP_1)
	v_mad_co_u64_u32 v[15:16], null, s25, v40, v[2:3]
	v_mov_b32_e32 v2, v15
	s_delay_alu instid0(VALU_DEP_1) | instskip(NEXT) | instid1(VALU_DEP_1)
	v_lshlrev_b64_e32 v[1:2], 3, v[1:2]
	v_add_co_u32 v1, vcc_lo, s28, v1
	s_wait_alu 0xfffd
	s_delay_alu instid0(VALU_DEP_2)
	v_add_co_ci_u32_e64 v2, null, s29, v2, vcc_lo
	global_load_b64 v[15:16], v[1:2], off
.LBB157_34:
	s_wait_alu 0xfffe
	s_or_b32 exec_lo, exec_lo, s14
	v_lshrrev_b32_e32 v1, 2, v34
	v_lshrrev_b32_e32 v2, 2, v35
	;; [unrolled: 1-line block ×4, first 2 shown]
	v_lshlrev_b32_e32 v113, 3, v69
	v_and_b32_e32 v1, 0x1f8, v1
	v_and_b32_e32 v2, 0x1f8, v2
	v_and_b32_e32 v19, 0x1f8, v19
	v_mov_b32_e32 v27, 0
	v_lshl_add_u32 v104, v33, 3, v113
	v_dual_mov_b32 v28, 0 :: v_dual_add_nc_u32 v105, v1, v113
	v_lshrrev_b32_e32 v1, 2, v37
	v_add_nc_u32_e32 v106, v2, v113
	v_add_nc_u32_e32 v107, v19, v113
	s_wait_loadcnt 0x0
	ds_store_b64 v104, v[17:18]
	ds_store_b64 v105, v[3:4] offset:1024
	ds_store_b64 v106, v[5:6] offset:2048
	;; [unrolled: 1-line block ×3, first 2 shown]
	v_mov_b32_e32 v17, 0
	v_and_b32_e32 v1, 0x1f8, v1
	v_lshlrev_b32_e32 v5, 1, v69
	v_lshrrev_b32_e32 v2, 2, v38
	v_lshrrev_b32_e32 v19, 2, v39
	;; [unrolled: 1-line block ×3, first 2 shown]
	v_mov_b32_e32 v18, v17
	v_mov_b32_e32 v26, v17
	v_add_nc_u32_e32 v108, v1, v113
	v_dual_mov_b32 v32, v17 :: v_dual_and_b32 v1, 0x7f8, v5
	v_dual_mov_b32 v21, v17 :: v_dual_and_b32 v2, 0x1f8, v2
	;; [unrolled: 1-line block ×4, first 2 shown]
	s_delay_alu instid0(VALU_DEP_4) | instskip(NEXT) | instid1(VALU_DEP_4)
	v_lshl_add_u32 v112, v69, 6, v1
	v_add_nc_u32_e32 v109, v2, v113
	s_delay_alu instid0(VALU_DEP_4) | instskip(NEXT) | instid1(VALU_DEP_4)
	v_dual_mov_b32 v25, v17 :: v_dual_add_nc_u32 v110, v3, v113
	v_add_nc_u32_e32 v111, v4, v113
	ds_store_b64 v108, v[9:10] offset:4096
	ds_store_b64 v109, v[11:12] offset:5120
	;; [unrolled: 1-line block ×4, first 2 shown]
	s_wait_dscnt 0x0
	s_barrier_signal -1
	s_barrier_wait -1
	global_inv scope:SCOPE_SE
	ds_load_2addr_b64 v[13:16], v112 offset1:1
	ds_load_2addr_b64 v[9:12], v112 offset0:2 offset1:3
	ds_load_2addr_b64 v[5:8], v112 offset0:4 offset1:5
	;; [unrolled: 1-line block ×3, first 2 shown]
	s_wait_kmcnt 0x0
	s_mul_u64 s[12:13], s[12:13], s[26:27]
	s_load_b64 s[26:27], s[0:1], 0x358
	s_lshl_b64 s[12:13], s[12:13], 3
	v_dual_mov_b32 v19, v17 :: v_dual_mov_b32 v20, v17
	v_mov_b32_e32 v22, v17
	v_dual_mov_b32 v24, v17 :: v_dual_mov_b32 v29, v17
	v_mov_b32_e32 v31, v17
	s_lshl_b64 s[14:15], s[20:21], 3
	s_wait_alu 0xfffe
	s_add_nc_u64 s[10:11], s[10:11], s[12:13]
	s_wait_loadcnt_dscnt 0x0
	s_wait_alu 0xfffe
	s_add_nc_u64 s[30:31], s[10:11], s[14:15]
	s_barrier_signal -1
	s_barrier_wait -1
	global_inv scope:SCOPE_SE
	s_and_saveexec_b32 s0, s2
	s_cbranch_execnz .LBB157_70
; %bb.35:
	s_or_b32 exec_lo, exec_lo, s0
	s_and_saveexec_b32 s0, s3
	s_cbranch_execnz .LBB157_71
.LBB157_36:
	s_or_b32 exec_lo, exec_lo, s0
	s_and_saveexec_b32 s0, s4
	s_cbranch_execnz .LBB157_72
.LBB157_37:
	s_or_b32 exec_lo, exec_lo, s0
	s_and_saveexec_b32 s0, s5
	s_cbranch_execnz .LBB157_73
.LBB157_38:
	s_or_b32 exec_lo, exec_lo, s0
	s_and_saveexec_b32 s0, s6
	s_cbranch_execnz .LBB157_74
.LBB157_39:
	s_or_b32 exec_lo, exec_lo, s0
	s_and_saveexec_b32 s0, s7
	s_cbranch_execnz .LBB157_75
.LBB157_40:
	s_or_b32 exec_lo, exec_lo, s0
	s_and_saveexec_b32 s0, s8
	s_cbranch_execnz .LBB157_76
.LBB157_41:
	s_or_b32 exec_lo, exec_lo, s0
	s_xor_b32 s0, s23, -1
	s_and_saveexec_b32 s1, s9
	s_cbranch_execz .LBB157_43
.LBB157_42:
	s_wait_kmcnt 0x0
	v_mad_co_u64_u32 v[31:32], null, s26, v40, 0
	s_delay_alu instid0(VALU_DEP_1) | instskip(NEXT) | instid1(VALU_DEP_1)
	v_mad_co_u64_u32 v[34:35], null, s27, v40, v[32:33]
	v_mov_b32_e32 v32, v34
	s_delay_alu instid0(VALU_DEP_1) | instskip(NEXT) | instid1(VALU_DEP_1)
	v_lshlrev_b64_e32 v[31:32], 3, v[31:32]
	v_add_co_u32 v31, vcc_lo, s30, v31
	s_wait_alu 0xfffd
	s_delay_alu instid0(VALU_DEP_2)
	v_add_co_ci_u32_e64 v32, null, s31, v32, vcc_lo
	global_load_b64 v[31:32], v[31:32], off
.LBB157_43:
	s_or_b32 exec_lo, exec_lo, s1
	s_wait_loadcnt 0x0
	ds_store_b64 v104, v[27:28]
	ds_store_b64 v105, v[17:18] offset:1024
	ds_store_b64 v106, v[19:20] offset:2048
	;; [unrolled: 1-line block ×7, first 2 shown]
	s_wait_dscnt 0x0
	s_barrier_signal -1
	s_barrier_wait -1
	global_inv scope:SCOPE_SE
	ds_load_2addr_b64 v[21:24], v112 offset1:1
	ds_load_2addr_b64 v[17:20], v112 offset0:2 offset1:3
	ds_load_2addr_b64 v[29:32], v112 offset0:4 offset1:5
	;; [unrolled: 1-line block ×3, first 2 shown]
	v_mbcnt_lo_u32_b32 v116, -1, 0
	v_and_b32_e32 v34, 0x3e0, v69
	v_and_b32_e32 v35, 0x1f00, v113
	s_and_b32 vcc_lo, exec_lo, s0
	v_bfe_u32 v122, v0, 10, 10
	v_bfe_u32 v123, v0, 20, 10
	v_or_b32_e32 v36, v116, v34
	v_or_b32_e32 v37, v116, v35
	v_lshlrev_b32_e32 v114, 2, v113
	v_and_b32_e32 v120, 15, v116
	v_and_b32_e32 v119, 16, v116
	v_lshlrev_b32_e32 v125, 6, v36
	v_lshlrev_b32_e32 v124, 3, v37
	v_min_u32_e32 v121, 0x60, v34
	v_cmp_gt_u32_e64 s0, 4, v69
	v_cmp_lt_u32_e64 s1, 31, v69
	v_cmp_eq_u32_e64 s10, 0, v69
	v_lshlrev_b32_e32 v115, 2, v33
	v_mul_i32_i24_e32 v117, 0xffffffe4, v69
	v_and_b32_e32 v118, 3, v116
	v_lshlrev_b32_e32 v0, 3, v35
	s_mov_b32 s20, 0
	s_mov_b32 s11, -1
	s_wait_loadcnt_dscnt 0x0
	s_barrier_signal -1
	s_barrier_wait -1
	global_inv scope:SCOPE_SE
                                        ; implicit-def: $vgpr63_vgpr64
                                        ; implicit-def: $vgpr59_vgpr60
                                        ; implicit-def: $vgpr55_vgpr56
                                        ; implicit-def: $vgpr51_vgpr52
                                        ; implicit-def: $vgpr35_vgpr36
                                        ; implicit-def: $vgpr39_vgpr40
                                        ; implicit-def: $vgpr43_vgpr44
                                        ; implicit-def: $vgpr47_vgpr48
	s_wait_alu 0xfffe
	s_cbranch_vccz .LBB157_78
; %bb.44:
	v_xor_b32_e32 v34, 0x80000000, v14
	v_xor_b32_e32 v36, 0x80000000, v16
	v_mov_b32_e32 v33, v13
	v_mov_b32_e32 v35, v15
	v_xor_b32_e32 v38, 0x80000000, v10
	v_xor_b32_e32 v40, 0x80000000, v12
	s_mov_b32 s21, s20
	s_mov_b32 s22, s20
	;; [unrolled: 1-line block ×3, first 2 shown]
	v_mov_b32_e32 v37, v9
	v_mov_b32_e32 v39, v11
	v_xor_b32_e32 v42, 0x80000000, v6
	v_xor_b32_e32 v44, 0x80000000, v8
	v_dual_mov_b32 v41, v5 :: v_dual_add_nc_u32 v130, v114, v117
	v_mov_b32_e32 v43, v7
	v_xor_b32_e32 v46, 0x80000000, v2
	v_xor_b32_e32 v48, 0x80000000, v4
	v_mov_b32_e32 v45, v1
	v_mov_b32_e32 v47, v3
	ds_store_b128 v125, v[33:36]
	ds_store_b128 v125, v[37:40] offset:16
	ds_store_b128 v125, v[41:44] offset:32
	;; [unrolled: 1-line block ×3, first 2 shown]
	; wave barrier
	ds_load_2addr_b64 v[37:40], v124 offset1:32
	ds_load_2addr_b64 v[41:44], v124 offset0:64 offset1:96
	ds_load_2addr_b64 v[45:48], v124 offset0:128 offset1:160
	ds_load_2addr_b64 v[65:68], v124 offset0:192 offset1:224
	; wave barrier
	ds_store_b128 v125, v[21:24]
	ds_store_b128 v125, v[17:20] offset:16
	ds_store_b128 v125, v[29:32] offset:32
	;; [unrolled: 1-line block ×3, first 2 shown]
	; wave barrier
	ds_load_2addr_b64 v[49:52], v124 offset1:32
	ds_load_2addr_b64 v[53:56], v124 offset0:64 offset1:96
	ds_load_2addr_b64 v[57:60], v124 offset0:128 offset1:160
	;; [unrolled: 1-line block ×3, first 2 shown]
	s_wait_loadcnt_dscnt 0x0
	s_barrier_signal -1
	s_barrier_wait -1
	global_inv scope:SCOPE_SE
	s_load_b32 s11, s[34:35], 0xc
	s_getpc_b64 s[12:13]
	s_wait_alu 0xfffe
	s_sext_i32_i16 s13, s13
	s_add_co_u32 s12, s12, _ZN7rocprim17ROCPRIM_400000_NS16block_radix_sortIlLj128ELj8ElLj1ELj1ELj0ELNS0_26block_radix_rank_algorithmE1ELNS0_18block_padding_hintE2ELNS0_4arch9wavefront6targetE0EE19radix_bits_per_passE@rel32@lo+12
	s_wait_alu 0xfffe
	s_add_co_ci_u32 s13, s13, _ZN7rocprim17ROCPRIM_400000_NS16block_radix_sortIlLj128ELj8ElLj1ELj1ELj0ELNS0_26block_radix_rank_algorithmE1ELNS0_18block_padding_hintE2ELNS0_4arch9wavefront6targetE0EE19radix_bits_per_passE@rel32@hi+24
	v_cmp_lt_u32_e64 s15, 7, v120
	s_load_b32 s33, s[12:13], 0x0
	v_cmp_lt_u32_e64 s13, 1, v120
	v_cmp_eq_u32_e64 s16, 0, v119
	v_cmp_eq_u32_e64 s18, 0, v118
	v_cmp_lt_u32_e64 s19, 1, v118
	v_add_nc_u32_e32 v127, -4, v115
	v_lshl_add_u32 v128, v116, 3, v0
	s_wait_kmcnt 0x0
	s_lshr_b32 s14, s11, 16
	s_and_b32 s12, s11, 0xffff
	s_wait_alu 0xfffe
	v_mad_u32_u24 v33, v123, s14, v122
	v_sub_co_u32 v35, s11, v116, 1
	v_cmp_lt_u32_e64 s14, 3, v120
	s_delay_alu instid0(VALU_DEP_3) | instskip(NEXT) | instid1(VALU_DEP_3)
	v_mad_co_u64_u32 v[33:34], null, v33, s12, v[69:70]
	v_cmp_gt_i32_e32 vcc_lo, 0, v35
	v_or_b32_e32 v34, 31, v121
	v_mov_b32_e32 v70, 0
	v_cmp_eq_u32_e64 s12, 0, v120
	v_mov_b32_e32 v71, 0
	s_wait_alu 0xfffd
	v_cndmask_b32_e32 v35, v35, v116, vcc_lo
	v_lshrrev_b32_e32 v33, 3, v33
	v_cmp_eq_u32_e64 s17, v69, v34
	s_delay_alu instid0(VALU_DEP_3) | instskip(NEXT) | instid1(VALU_DEP_3)
	v_lshlrev_b32_e32 v126, 2, v35
	v_dual_mov_b32 v36, s23 :: v_dual_and_b32 v129, 0x1ffffffc, v33
	v_dual_mov_b32 v35, s22 :: v_dual_mov_b32 v34, s21
	v_mov_b32_e32 v33, s20
	s_mov_b32 s21, 64
	s_branch .LBB157_46
.LBB157_45:                             ;   in Loop: Header=BB157_46 Depth=1
	s_wait_alu 0xfffe
	s_and_not1_b32 vcc_lo, exec_lo, s20
	s_wait_alu 0xfffe
	s_cbranch_vccz .LBB157_77
.LBB157_46:                             ; =>This Inner Loop Header: Depth=1
	v_dual_mov_b32 v73, v38 :: v_dual_mov_b32 v72, v37
	s_wait_alu 0xfffe
	s_min_u32 s20, s33, s21
	v_mov_b32_e32 v85, v60
	s_wait_alu 0xfffe
	s_lshl_b32 s20, -1, s20
	v_mov_b32_e32 v93, v52
	v_lshrrev_b64 v[37:38], v70, v[72:73]
	s_wait_alu 0xfffe
	s_not_b32 s22, s20
	v_mov_b32_e32 v83, v62
	v_mov_b32_e32 v87, v58
	;; [unrolled: 1-line block ×3, first 2 shown]
	s_wait_alu 0xfffe
	v_dual_mov_b32 v75, v68 :: v_dual_and_b32 v38, s22, v37
	v_dual_mov_b32 v74, v67 :: v_dual_mov_b32 v77, v66
	v_dual_mov_b32 v76, v65 :: v_dual_mov_b32 v79, v48
	s_delay_alu instid0(VALU_DEP_3) | instskip(SKIP_3) | instid1(VALU_DEP_4)
	v_dual_mov_b32 v78, v47 :: v_dual_and_b32 v37, 1, v38
	v_lshlrev_b32_e32 v47, 30, v38
	v_dual_mov_b32 v97, v46 :: v_dual_lshlrev_b32 v48, 29, v38
	v_mov_b32_e32 v96, v45
	v_add_co_u32 v37, s20, v37, -1
	s_wait_alu 0xf1ff
	v_cndmask_b32_e64 v66, 0, 1, s20
	v_not_b32_e32 v81, v47
	v_lshlrev_b32_e32 v65, 28, v38
	v_cmp_gt_i32_e64 s20, 0, v47
	v_not_b32_e32 v47, v48
	v_cmp_ne_u32_e32 vcc_lo, 0, v66
	v_ashrrev_i32_e32 v81, 31, v81
	v_dual_mov_b32 v99, v44 :: v_dual_lshlrev_b32 v68, 26, v38
	v_lshlrev_b32_e32 v67, 27, v38
	s_wait_alu 0xfffd
	v_xor_b32_e32 v37, vcc_lo, v37
	v_cmp_gt_i32_e32 vcc_lo, 0, v48
	v_ashrrev_i32_e32 v47, 31, v47
	s_wait_alu 0xf1ff
	v_xor_b32_e32 v81, s20, v81
	v_mov_b32_e32 v98, v43
	v_not_b32_e32 v48, v65
	v_and_b32_e32 v37, exec_lo, v37
	v_dual_mov_b32 v101, v42 :: v_dual_lshlrev_b32 v80, 25, v38
	v_dual_mov_b32 v103, v40 :: v_dual_lshlrev_b32 v66, 24, v38
	v_cmp_gt_i32_e64 s20, 0, v65
	v_ashrrev_i32_e32 v48, 31, v48
	s_wait_alu 0xfffd
	v_xor_b32_e32 v47, vcc_lo, v47
	v_mov_b32_e32 v100, v41
	v_not_b32_e32 v65, v67
	v_dual_mov_b32 v102, v39 :: v_dual_and_b32 v37, v37, v81
	v_cmp_gt_i32_e32 vcc_lo, 0, v67
	v_not_b32_e32 v67, v68
	s_delay_alu instid0(VALU_DEP_4)
	v_ashrrev_i32_e32 v65, 31, v65
	s_wait_alu 0xf1ff
	v_xor_b32_e32 v48, s20, v48
	v_dual_mov_b32 v84, v59 :: v_dual_and_b32 v37, v37, v47
	v_cmp_gt_i32_e64 s20, 0, v68
	v_not_b32_e32 v47, v80
	v_ashrrev_i32_e32 v67, 31, v67
	s_wait_alu 0xfffd
	v_xor_b32_e32 v65, vcc_lo, v65
	v_and_b32_e32 v37, v37, v48
	v_dual_mov_b32 v89, v56 :: v_dual_lshlrev_b32 v38, 4, v38
	v_cmp_gt_i32_e32 vcc_lo, 0, v80
	v_not_b32_e32 v48, v66
	v_ashrrev_i32_e32 v47, 31, v47
	s_wait_alu 0xf1ff
	v_xor_b32_e32 v67, s20, v67
	v_dual_mov_b32 v88, v55 :: v_dual_and_b32 v37, v37, v65
	v_mov_b32_e32 v92, v51
	v_cmp_gt_i32_e64 s20, 0, v66
	v_ashrrev_i32_e32 v45, 31, v48
	s_wait_alu 0xfffd
	v_xor_b32_e32 v46, vcc_lo, v47
	v_and_b32_e32 v37, v37, v67
	v_dual_mov_b32 v81, v64 :: v_dual_mov_b32 v82, v61
	s_wait_alu 0xf1ff
	v_xor_b32_e32 v39, s20, v45
	v_mov_b32_e32 v91, v54
	v_dual_mov_b32 v80, v63 :: v_dual_and_b32 v37, v37, v46
	v_mov_b32_e32 v86, v57
	v_mov_b32_e32 v90, v53
	;; [unrolled: 1-line block ×3, first 2 shown]
	s_delay_alu instid0(VALU_DEP_4)
	v_and_b32_e32 v37, v37, v39
	v_add_nc_u32_e32 v46, v129, v38
	ds_store_b128 v114, v[33:36] offset:16
	ds_store_b128 v114, v[33:36] offset:32
	s_wait_loadcnt_dscnt 0x0
	s_barrier_signal -1
	v_mbcnt_lo_u32_b32 v45, v37, 0
	v_cmp_ne_u32_e64 s20, 0, v37
	s_barrier_wait -1
	global_inv scope:SCOPE_SE
	v_cmp_eq_u32_e32 vcc_lo, 0, v45
	; wave barrier
	s_and_b32 s23, s20, vcc_lo
	s_wait_alu 0xfffe
	s_and_saveexec_b32 s20, s23
; %bb.47:                               ;   in Loop: Header=BB157_46 Depth=1
	v_bcnt_u32_b32 v37, v37, 0
	ds_store_b32 v46, v37 offset:16
; %bb.48:                               ;   in Loop: Header=BB157_46 Depth=1
	s_wait_alu 0xfffe
	s_or_b32 exec_lo, exec_lo, s20
	v_lshrrev_b64 v[37:38], v70, v[102:103]
	; wave barrier
	s_delay_alu instid0(VALU_DEP_1) | instskip(NEXT) | instid1(VALU_DEP_1)
	v_and_b32_e32 v37, s22, v37
	v_and_b32_e32 v38, 1, v37
	v_lshlrev_b32_e32 v39, 30, v37
	v_lshlrev_b32_e32 v40, 29, v37
	;; [unrolled: 1-line block ×4, first 2 shown]
	v_add_co_u32 v38, s20, v38, -1
	s_wait_alu 0xf1ff
	v_cndmask_b32_e64 v42, 0, 1, s20
	v_not_b32_e32 v48, v39
	v_cmp_gt_i32_e64 s20, 0, v39
	v_not_b32_e32 v39, v40
	v_lshlrev_b32_e32 v44, 26, v37
	v_cmp_ne_u32_e32 vcc_lo, 0, v42
	v_ashrrev_i32_e32 v48, 31, v48
	v_lshlrev_b32_e32 v47, 25, v37
	v_ashrrev_i32_e32 v39, 31, v39
	v_lshlrev_b32_e32 v42, 24, v37
	s_wait_alu 0xfffd
	v_xor_b32_e32 v38, vcc_lo, v38
	v_cmp_gt_i32_e32 vcc_lo, 0, v40
	v_not_b32_e32 v40, v41
	s_wait_alu 0xf1ff
	v_xor_b32_e32 v48, s20, v48
	v_cmp_gt_i32_e64 s20, 0, v41
	v_and_b32_e32 v38, exec_lo, v38
	v_not_b32_e32 v41, v43
	v_ashrrev_i32_e32 v40, 31, v40
	s_wait_alu 0xfffd
	v_xor_b32_e32 v39, vcc_lo, v39
	v_cmp_gt_i32_e32 vcc_lo, 0, v43
	v_and_b32_e32 v38, v38, v48
	v_not_b32_e32 v43, v44
	v_ashrrev_i32_e32 v41, 31, v41
	s_wait_alu 0xf1ff
	v_xor_b32_e32 v40, s20, v40
	v_cmp_gt_i32_e64 s20, 0, v44
	v_and_b32_e32 v38, v38, v39
	v_not_b32_e32 v39, v47
	v_ashrrev_i32_e32 v43, 31, v43
	s_wait_alu 0xfffd
	v_xor_b32_e32 v41, vcc_lo, v41
	v_cmp_gt_i32_e32 vcc_lo, 0, v47
	v_and_b32_e32 v38, v38, v40
	v_not_b32_e32 v40, v42
	v_ashrrev_i32_e32 v39, 31, v39
	s_wait_alu 0xf1ff
	v_xor_b32_e32 v43, s20, v43
	v_lshlrev_b32_e32 v37, 4, v37
	v_and_b32_e32 v38, v38, v41
	v_cmp_gt_i32_e64 s20, 0, v42
	v_ashrrev_i32_e32 v40, 31, v40
	s_wait_alu 0xfffd
	v_xor_b32_e32 v39, vcc_lo, v39
	v_add_nc_u32_e32 v49, v129, v37
	v_and_b32_e32 v38, v38, v43
	s_wait_alu 0xf1ff
	v_xor_b32_e32 v37, s20, v40
	ds_load_b32 v47, v49 offset:16
	v_and_b32_e32 v38, v38, v39
	; wave barrier
	s_delay_alu instid0(VALU_DEP_1) | instskip(NEXT) | instid1(VALU_DEP_1)
	v_and_b32_e32 v37, v38, v37
	v_mbcnt_lo_u32_b32 v48, v37, 0
	v_cmp_ne_u32_e64 s20, 0, v37
	s_delay_alu instid0(VALU_DEP_2)
	v_cmp_eq_u32_e32 vcc_lo, 0, v48
	s_and_b32 s23, s20, vcc_lo
	s_wait_alu 0xfffe
	s_and_saveexec_b32 s20, s23
	s_cbranch_execz .LBB157_50
; %bb.49:                               ;   in Loop: Header=BB157_46 Depth=1
	s_wait_dscnt 0x0
	v_bcnt_u32_b32 v37, v37, v47
	ds_store_b32 v49, v37 offset:16
.LBB157_50:                             ;   in Loop: Header=BB157_46 Depth=1
	s_wait_alu 0xfffe
	s_or_b32 exec_lo, exec_lo, s20
	v_lshrrev_b64 v[37:38], v70, v[100:101]
	; wave barrier
	s_delay_alu instid0(VALU_DEP_1) | instskip(NEXT) | instid1(VALU_DEP_1)
	v_and_b32_e32 v37, s22, v37
	v_and_b32_e32 v38, 1, v37
	v_lshlrev_b32_e32 v39, 30, v37
	v_lshlrev_b32_e32 v40, 29, v37
	;; [unrolled: 1-line block ×4, first 2 shown]
	v_add_co_u32 v38, s20, v38, -1
	s_wait_alu 0xf1ff
	v_cndmask_b32_e64 v42, 0, 1, s20
	v_not_b32_e32 v51, v39
	v_cmp_gt_i32_e64 s20, 0, v39
	v_not_b32_e32 v39, v40
	v_lshlrev_b32_e32 v44, 26, v37
	v_cmp_ne_u32_e32 vcc_lo, 0, v42
	v_ashrrev_i32_e32 v51, 31, v51
	v_lshlrev_b32_e32 v50, 25, v37
	v_ashrrev_i32_e32 v39, 31, v39
	v_lshlrev_b32_e32 v42, 24, v37
	s_wait_alu 0xfffd
	v_xor_b32_e32 v38, vcc_lo, v38
	v_cmp_gt_i32_e32 vcc_lo, 0, v40
	v_not_b32_e32 v40, v41
	s_wait_alu 0xf1ff
	v_xor_b32_e32 v51, s20, v51
	v_cmp_gt_i32_e64 s20, 0, v41
	v_and_b32_e32 v38, exec_lo, v38
	v_not_b32_e32 v41, v43
	v_ashrrev_i32_e32 v40, 31, v40
	s_wait_alu 0xfffd
	v_xor_b32_e32 v39, vcc_lo, v39
	v_cmp_gt_i32_e32 vcc_lo, 0, v43
	v_and_b32_e32 v38, v38, v51
	v_not_b32_e32 v43, v44
	v_ashrrev_i32_e32 v41, 31, v41
	s_wait_alu 0xf1ff
	v_xor_b32_e32 v40, s20, v40
	v_cmp_gt_i32_e64 s20, 0, v44
	v_and_b32_e32 v38, v38, v39
	v_not_b32_e32 v39, v50
	v_ashrrev_i32_e32 v43, 31, v43
	s_wait_alu 0xfffd
	v_xor_b32_e32 v41, vcc_lo, v41
	v_cmp_gt_i32_e32 vcc_lo, 0, v50
	v_and_b32_e32 v38, v38, v40
	v_not_b32_e32 v40, v42
	v_ashrrev_i32_e32 v39, 31, v39
	s_wait_alu 0xf1ff
	v_xor_b32_e32 v43, s20, v43
	v_lshlrev_b32_e32 v37, 4, v37
	v_and_b32_e32 v38, v38, v41
	v_cmp_gt_i32_e64 s20, 0, v42
	v_ashrrev_i32_e32 v40, 31, v40
	s_wait_alu 0xfffd
	v_xor_b32_e32 v39, vcc_lo, v39
	v_add_nc_u32_e32 v52, v129, v37
	v_and_b32_e32 v38, v38, v43
	s_wait_alu 0xf1ff
	v_xor_b32_e32 v37, s20, v40
	ds_load_b32 v50, v52 offset:16
	v_and_b32_e32 v38, v38, v39
	; wave barrier
	s_delay_alu instid0(VALU_DEP_1) | instskip(NEXT) | instid1(VALU_DEP_1)
	v_and_b32_e32 v37, v38, v37
	v_mbcnt_lo_u32_b32 v51, v37, 0
	v_cmp_ne_u32_e64 s20, 0, v37
	s_delay_alu instid0(VALU_DEP_2)
	v_cmp_eq_u32_e32 vcc_lo, 0, v51
	s_and_b32 s23, s20, vcc_lo
	s_wait_alu 0xfffe
	s_and_saveexec_b32 s20, s23
	s_cbranch_execz .LBB157_52
; %bb.51:                               ;   in Loop: Header=BB157_46 Depth=1
	s_wait_dscnt 0x0
	v_bcnt_u32_b32 v37, v37, v50
	ds_store_b32 v52, v37 offset:16
.LBB157_52:                             ;   in Loop: Header=BB157_46 Depth=1
	s_wait_alu 0xfffe
	s_or_b32 exec_lo, exec_lo, s20
	v_lshrrev_b64 v[37:38], v70, v[98:99]
	; wave barrier
	s_delay_alu instid0(VALU_DEP_1) | instskip(NEXT) | instid1(VALU_DEP_1)
	v_and_b32_e32 v37, s22, v37
	v_and_b32_e32 v38, 1, v37
	v_lshlrev_b32_e32 v39, 30, v37
	v_lshlrev_b32_e32 v40, 29, v37
	;; [unrolled: 1-line block ×4, first 2 shown]
	v_add_co_u32 v38, s20, v38, -1
	s_wait_alu 0xf1ff
	v_cndmask_b32_e64 v42, 0, 1, s20
	v_not_b32_e32 v54, v39
	v_cmp_gt_i32_e64 s20, 0, v39
	v_not_b32_e32 v39, v40
	v_lshlrev_b32_e32 v44, 26, v37
	v_cmp_ne_u32_e32 vcc_lo, 0, v42
	v_ashrrev_i32_e32 v54, 31, v54
	v_lshlrev_b32_e32 v53, 25, v37
	v_ashrrev_i32_e32 v39, 31, v39
	v_lshlrev_b32_e32 v42, 24, v37
	s_wait_alu 0xfffd
	v_xor_b32_e32 v38, vcc_lo, v38
	v_cmp_gt_i32_e32 vcc_lo, 0, v40
	v_not_b32_e32 v40, v41
	s_wait_alu 0xf1ff
	v_xor_b32_e32 v54, s20, v54
	v_cmp_gt_i32_e64 s20, 0, v41
	v_and_b32_e32 v38, exec_lo, v38
	v_not_b32_e32 v41, v43
	v_ashrrev_i32_e32 v40, 31, v40
	s_wait_alu 0xfffd
	v_xor_b32_e32 v39, vcc_lo, v39
	v_cmp_gt_i32_e32 vcc_lo, 0, v43
	v_and_b32_e32 v38, v38, v54
	v_not_b32_e32 v43, v44
	v_ashrrev_i32_e32 v41, 31, v41
	s_wait_alu 0xf1ff
	v_xor_b32_e32 v40, s20, v40
	v_cmp_gt_i32_e64 s20, 0, v44
	v_and_b32_e32 v38, v38, v39
	v_not_b32_e32 v39, v53
	v_ashrrev_i32_e32 v43, 31, v43
	s_wait_alu 0xfffd
	v_xor_b32_e32 v41, vcc_lo, v41
	v_cmp_gt_i32_e32 vcc_lo, 0, v53
	v_and_b32_e32 v38, v38, v40
	v_not_b32_e32 v40, v42
	v_ashrrev_i32_e32 v39, 31, v39
	s_wait_alu 0xf1ff
	v_xor_b32_e32 v43, s20, v43
	v_lshlrev_b32_e32 v37, 4, v37
	v_and_b32_e32 v38, v38, v41
	v_cmp_gt_i32_e64 s20, 0, v42
	v_ashrrev_i32_e32 v40, 31, v40
	s_wait_alu 0xfffd
	v_xor_b32_e32 v39, vcc_lo, v39
	v_add_nc_u32_e32 v55, v129, v37
	v_and_b32_e32 v38, v38, v43
	s_wait_alu 0xf1ff
	v_xor_b32_e32 v37, s20, v40
	ds_load_b32 v53, v55 offset:16
	v_and_b32_e32 v38, v38, v39
	; wave barrier
	s_delay_alu instid0(VALU_DEP_1) | instskip(NEXT) | instid1(VALU_DEP_1)
	v_and_b32_e32 v37, v38, v37
	v_mbcnt_lo_u32_b32 v54, v37, 0
	v_cmp_ne_u32_e64 s20, 0, v37
	s_delay_alu instid0(VALU_DEP_2)
	v_cmp_eq_u32_e32 vcc_lo, 0, v54
	s_and_b32 s23, s20, vcc_lo
	s_wait_alu 0xfffe
	s_and_saveexec_b32 s20, s23
	s_cbranch_execz .LBB157_54
; %bb.53:                               ;   in Loop: Header=BB157_46 Depth=1
	s_wait_dscnt 0x0
	v_bcnt_u32_b32 v37, v37, v53
	ds_store_b32 v55, v37 offset:16
.LBB157_54:                             ;   in Loop: Header=BB157_46 Depth=1
	s_wait_alu 0xfffe
	s_or_b32 exec_lo, exec_lo, s20
	v_lshrrev_b64 v[37:38], v70, v[96:97]
	; wave barrier
	s_delay_alu instid0(VALU_DEP_1) | instskip(NEXT) | instid1(VALU_DEP_1)
	v_and_b32_e32 v37, s22, v37
	v_and_b32_e32 v38, 1, v37
	v_lshlrev_b32_e32 v39, 30, v37
	v_lshlrev_b32_e32 v40, 29, v37
	;; [unrolled: 1-line block ×4, first 2 shown]
	v_add_co_u32 v38, s20, v38, -1
	s_wait_alu 0xf1ff
	v_cndmask_b32_e64 v42, 0, 1, s20
	v_not_b32_e32 v57, v39
	v_cmp_gt_i32_e64 s20, 0, v39
	v_not_b32_e32 v39, v40
	v_lshlrev_b32_e32 v44, 26, v37
	v_cmp_ne_u32_e32 vcc_lo, 0, v42
	v_ashrrev_i32_e32 v57, 31, v57
	v_lshlrev_b32_e32 v56, 25, v37
	v_ashrrev_i32_e32 v39, 31, v39
	v_lshlrev_b32_e32 v42, 24, v37
	s_wait_alu 0xfffd
	v_xor_b32_e32 v38, vcc_lo, v38
	v_cmp_gt_i32_e32 vcc_lo, 0, v40
	v_not_b32_e32 v40, v41
	s_wait_alu 0xf1ff
	v_xor_b32_e32 v57, s20, v57
	v_cmp_gt_i32_e64 s20, 0, v41
	v_and_b32_e32 v38, exec_lo, v38
	v_not_b32_e32 v41, v43
	v_ashrrev_i32_e32 v40, 31, v40
	s_wait_alu 0xfffd
	v_xor_b32_e32 v39, vcc_lo, v39
	v_cmp_gt_i32_e32 vcc_lo, 0, v43
	v_and_b32_e32 v38, v38, v57
	v_not_b32_e32 v43, v44
	v_ashrrev_i32_e32 v41, 31, v41
	s_wait_alu 0xf1ff
	v_xor_b32_e32 v40, s20, v40
	v_cmp_gt_i32_e64 s20, 0, v44
	v_and_b32_e32 v38, v38, v39
	v_not_b32_e32 v39, v56
	v_ashrrev_i32_e32 v43, 31, v43
	s_wait_alu 0xfffd
	v_xor_b32_e32 v41, vcc_lo, v41
	v_cmp_gt_i32_e32 vcc_lo, 0, v56
	v_and_b32_e32 v38, v38, v40
	v_not_b32_e32 v40, v42
	v_ashrrev_i32_e32 v39, 31, v39
	s_wait_alu 0xf1ff
	v_xor_b32_e32 v43, s20, v43
	v_lshlrev_b32_e32 v37, 4, v37
	v_and_b32_e32 v38, v38, v41
	v_cmp_gt_i32_e64 s20, 0, v42
	v_ashrrev_i32_e32 v40, 31, v40
	s_wait_alu 0xfffd
	v_xor_b32_e32 v39, vcc_lo, v39
	v_add_nc_u32_e32 v58, v129, v37
	v_and_b32_e32 v38, v38, v43
	s_wait_alu 0xf1ff
	v_xor_b32_e32 v37, s20, v40
	ds_load_b32 v56, v58 offset:16
	v_and_b32_e32 v38, v38, v39
	; wave barrier
	s_delay_alu instid0(VALU_DEP_1) | instskip(NEXT) | instid1(VALU_DEP_1)
	v_and_b32_e32 v37, v38, v37
	v_mbcnt_lo_u32_b32 v57, v37, 0
	v_cmp_ne_u32_e64 s20, 0, v37
	s_delay_alu instid0(VALU_DEP_2)
	v_cmp_eq_u32_e32 vcc_lo, 0, v57
	s_and_b32 s23, s20, vcc_lo
	s_wait_alu 0xfffe
	s_and_saveexec_b32 s20, s23
	s_cbranch_execz .LBB157_56
; %bb.55:                               ;   in Loop: Header=BB157_46 Depth=1
	s_wait_dscnt 0x0
	v_bcnt_u32_b32 v37, v37, v56
	ds_store_b32 v58, v37 offset:16
.LBB157_56:                             ;   in Loop: Header=BB157_46 Depth=1
	s_wait_alu 0xfffe
	s_or_b32 exec_lo, exec_lo, s20
	v_lshrrev_b64 v[37:38], v70, v[78:79]
	; wave barrier
	s_delay_alu instid0(VALU_DEP_1) | instskip(NEXT) | instid1(VALU_DEP_1)
	v_and_b32_e32 v37, s22, v37
	v_and_b32_e32 v38, 1, v37
	v_lshlrev_b32_e32 v39, 30, v37
	v_lshlrev_b32_e32 v40, 29, v37
	;; [unrolled: 1-line block ×4, first 2 shown]
	v_add_co_u32 v38, s20, v38, -1
	s_wait_alu 0xf1ff
	v_cndmask_b32_e64 v42, 0, 1, s20
	v_not_b32_e32 v60, v39
	v_cmp_gt_i32_e64 s20, 0, v39
	v_not_b32_e32 v39, v40
	v_lshlrev_b32_e32 v44, 26, v37
	v_cmp_ne_u32_e32 vcc_lo, 0, v42
	v_ashrrev_i32_e32 v60, 31, v60
	v_lshlrev_b32_e32 v59, 25, v37
	v_ashrrev_i32_e32 v39, 31, v39
	v_lshlrev_b32_e32 v42, 24, v37
	s_wait_alu 0xfffd
	v_xor_b32_e32 v38, vcc_lo, v38
	v_cmp_gt_i32_e32 vcc_lo, 0, v40
	v_not_b32_e32 v40, v41
	s_wait_alu 0xf1ff
	v_xor_b32_e32 v60, s20, v60
	v_cmp_gt_i32_e64 s20, 0, v41
	v_and_b32_e32 v38, exec_lo, v38
	v_not_b32_e32 v41, v43
	v_ashrrev_i32_e32 v40, 31, v40
	s_wait_alu 0xfffd
	v_xor_b32_e32 v39, vcc_lo, v39
	v_cmp_gt_i32_e32 vcc_lo, 0, v43
	v_and_b32_e32 v38, v38, v60
	v_not_b32_e32 v43, v44
	v_ashrrev_i32_e32 v41, 31, v41
	s_wait_alu 0xf1ff
	v_xor_b32_e32 v40, s20, v40
	v_cmp_gt_i32_e64 s20, 0, v44
	v_and_b32_e32 v38, v38, v39
	v_not_b32_e32 v39, v59
	v_ashrrev_i32_e32 v43, 31, v43
	s_wait_alu 0xfffd
	v_xor_b32_e32 v41, vcc_lo, v41
	v_cmp_gt_i32_e32 vcc_lo, 0, v59
	v_and_b32_e32 v38, v38, v40
	v_not_b32_e32 v40, v42
	v_ashrrev_i32_e32 v39, 31, v39
	s_wait_alu 0xf1ff
	v_xor_b32_e32 v43, s20, v43
	v_lshlrev_b32_e32 v37, 4, v37
	v_and_b32_e32 v38, v38, v41
	v_cmp_gt_i32_e64 s20, 0, v42
	v_ashrrev_i32_e32 v40, 31, v40
	s_wait_alu 0xfffd
	v_xor_b32_e32 v39, vcc_lo, v39
	v_add_nc_u32_e32 v61, v129, v37
	v_and_b32_e32 v38, v38, v43
	s_wait_alu 0xf1ff
	v_xor_b32_e32 v37, s20, v40
	ds_load_b32 v59, v61 offset:16
	v_and_b32_e32 v38, v38, v39
	; wave barrier
	s_delay_alu instid0(VALU_DEP_1) | instskip(NEXT) | instid1(VALU_DEP_1)
	v_and_b32_e32 v37, v38, v37
	v_mbcnt_lo_u32_b32 v60, v37, 0
	v_cmp_ne_u32_e64 s20, 0, v37
	s_delay_alu instid0(VALU_DEP_2)
	v_cmp_eq_u32_e32 vcc_lo, 0, v60
	s_and_b32 s23, s20, vcc_lo
	s_wait_alu 0xfffe
	s_and_saveexec_b32 s20, s23
	s_cbranch_execz .LBB157_58
; %bb.57:                               ;   in Loop: Header=BB157_46 Depth=1
	s_wait_dscnt 0x0
	v_bcnt_u32_b32 v37, v37, v59
	ds_store_b32 v61, v37 offset:16
.LBB157_58:                             ;   in Loop: Header=BB157_46 Depth=1
	s_wait_alu 0xfffe
	s_or_b32 exec_lo, exec_lo, s20
	v_lshrrev_b64 v[37:38], v70, v[76:77]
	; wave barrier
	s_delay_alu instid0(VALU_DEP_1) | instskip(NEXT) | instid1(VALU_DEP_1)
	v_and_b32_e32 v37, s22, v37
	v_and_b32_e32 v38, 1, v37
	v_lshlrev_b32_e32 v39, 30, v37
	v_lshlrev_b32_e32 v40, 29, v37
	;; [unrolled: 1-line block ×4, first 2 shown]
	v_add_co_u32 v38, s20, v38, -1
	s_wait_alu 0xf1ff
	v_cndmask_b32_e64 v42, 0, 1, s20
	v_not_b32_e32 v63, v39
	v_cmp_gt_i32_e64 s20, 0, v39
	v_not_b32_e32 v39, v40
	v_lshlrev_b32_e32 v44, 26, v37
	v_cmp_ne_u32_e32 vcc_lo, 0, v42
	v_ashrrev_i32_e32 v63, 31, v63
	v_lshlrev_b32_e32 v62, 25, v37
	v_ashrrev_i32_e32 v39, 31, v39
	v_lshlrev_b32_e32 v42, 24, v37
	s_wait_alu 0xfffd
	v_xor_b32_e32 v38, vcc_lo, v38
	v_cmp_gt_i32_e32 vcc_lo, 0, v40
	v_not_b32_e32 v40, v41
	s_wait_alu 0xf1ff
	v_xor_b32_e32 v63, s20, v63
	v_cmp_gt_i32_e64 s20, 0, v41
	v_and_b32_e32 v38, exec_lo, v38
	v_not_b32_e32 v41, v43
	v_ashrrev_i32_e32 v40, 31, v40
	s_wait_alu 0xfffd
	v_xor_b32_e32 v39, vcc_lo, v39
	v_cmp_gt_i32_e32 vcc_lo, 0, v43
	v_and_b32_e32 v38, v38, v63
	v_not_b32_e32 v43, v44
	v_ashrrev_i32_e32 v41, 31, v41
	s_wait_alu 0xf1ff
	v_xor_b32_e32 v40, s20, v40
	v_cmp_gt_i32_e64 s20, 0, v44
	v_and_b32_e32 v38, v38, v39
	v_not_b32_e32 v39, v62
	v_ashrrev_i32_e32 v43, 31, v43
	s_wait_alu 0xfffd
	v_xor_b32_e32 v41, vcc_lo, v41
	v_cmp_gt_i32_e32 vcc_lo, 0, v62
	v_and_b32_e32 v38, v38, v40
	v_not_b32_e32 v40, v42
	v_ashrrev_i32_e32 v39, 31, v39
	s_wait_alu 0xf1ff
	v_xor_b32_e32 v43, s20, v43
	v_lshlrev_b32_e32 v37, 4, v37
	v_and_b32_e32 v38, v38, v41
	v_cmp_gt_i32_e64 s20, 0, v42
	v_ashrrev_i32_e32 v40, 31, v40
	s_wait_alu 0xfffd
	v_xor_b32_e32 v39, vcc_lo, v39
	v_add_nc_u32_e32 v64, v129, v37
	v_and_b32_e32 v38, v38, v43
	s_wait_alu 0xf1ff
	v_xor_b32_e32 v37, s20, v40
	ds_load_b32 v62, v64 offset:16
	v_and_b32_e32 v38, v38, v39
	; wave barrier
	s_delay_alu instid0(VALU_DEP_1) | instskip(NEXT) | instid1(VALU_DEP_1)
	v_and_b32_e32 v37, v38, v37
	v_mbcnt_lo_u32_b32 v63, v37, 0
	v_cmp_ne_u32_e64 s20, 0, v37
	s_delay_alu instid0(VALU_DEP_2)
	v_cmp_eq_u32_e32 vcc_lo, 0, v63
	s_and_b32 s23, s20, vcc_lo
	s_wait_alu 0xfffe
	s_and_saveexec_b32 s20, s23
	s_cbranch_execz .LBB157_60
; %bb.59:                               ;   in Loop: Header=BB157_46 Depth=1
	s_wait_dscnt 0x0
	v_bcnt_u32_b32 v37, v37, v62
	ds_store_b32 v64, v37 offset:16
.LBB157_60:                             ;   in Loop: Header=BB157_46 Depth=1
	s_wait_alu 0xfffe
	s_or_b32 exec_lo, exec_lo, s20
	v_lshrrev_b64 v[37:38], v70, v[74:75]
	; wave barrier
	s_delay_alu instid0(VALU_DEP_1) | instskip(NEXT) | instid1(VALU_DEP_1)
	v_and_b32_e32 v37, s22, v37
	v_and_b32_e32 v38, 1, v37
	v_lshlrev_b32_e32 v39, 30, v37
	v_lshlrev_b32_e32 v40, 29, v37
	;; [unrolled: 1-line block ×4, first 2 shown]
	v_add_co_u32 v38, s20, v38, -1
	s_wait_alu 0xf1ff
	v_cndmask_b32_e64 v42, 0, 1, s20
	v_not_b32_e32 v66, v39
	v_cmp_gt_i32_e64 s20, 0, v39
	v_not_b32_e32 v39, v40
	v_lshlrev_b32_e32 v44, 26, v37
	v_cmp_ne_u32_e32 vcc_lo, 0, v42
	v_ashrrev_i32_e32 v66, 31, v66
	v_lshlrev_b32_e32 v65, 25, v37
	v_ashrrev_i32_e32 v39, 31, v39
	v_lshlrev_b32_e32 v42, 24, v37
	s_wait_alu 0xfffd
	v_xor_b32_e32 v38, vcc_lo, v38
	v_cmp_gt_i32_e32 vcc_lo, 0, v40
	v_not_b32_e32 v40, v41
	s_wait_alu 0xf1ff
	v_xor_b32_e32 v66, s20, v66
	v_cmp_gt_i32_e64 s20, 0, v41
	v_and_b32_e32 v38, exec_lo, v38
	v_not_b32_e32 v41, v43
	v_ashrrev_i32_e32 v40, 31, v40
	s_wait_alu 0xfffd
	v_xor_b32_e32 v39, vcc_lo, v39
	v_cmp_gt_i32_e32 vcc_lo, 0, v43
	v_and_b32_e32 v38, v38, v66
	v_not_b32_e32 v43, v44
	v_ashrrev_i32_e32 v41, 31, v41
	s_wait_alu 0xf1ff
	v_xor_b32_e32 v40, s20, v40
	v_cmp_gt_i32_e64 s20, 0, v44
	v_and_b32_e32 v38, v38, v39
	v_not_b32_e32 v39, v65
	v_ashrrev_i32_e32 v43, 31, v43
	s_wait_alu 0xfffd
	v_xor_b32_e32 v41, vcc_lo, v41
	v_cmp_gt_i32_e32 vcc_lo, 0, v65
	v_and_b32_e32 v38, v38, v40
	v_not_b32_e32 v40, v42
	v_ashrrev_i32_e32 v39, 31, v39
	s_wait_alu 0xf1ff
	v_xor_b32_e32 v43, s20, v43
	v_lshlrev_b32_e32 v37, 4, v37
	v_and_b32_e32 v38, v38, v41
	v_cmp_gt_i32_e64 s20, 0, v42
	v_ashrrev_i32_e32 v40, 31, v40
	s_wait_alu 0xfffd
	v_xor_b32_e32 v39, vcc_lo, v39
	v_add_nc_u32_e32 v67, v129, v37
	v_and_b32_e32 v38, v38, v43
	s_wait_alu 0xf1ff
	v_xor_b32_e32 v37, s20, v40
	ds_load_b32 v65, v67 offset:16
	v_and_b32_e32 v38, v38, v39
	; wave barrier
	s_delay_alu instid0(VALU_DEP_1) | instskip(NEXT) | instid1(VALU_DEP_1)
	v_and_b32_e32 v37, v38, v37
	v_mbcnt_lo_u32_b32 v66, v37, 0
	v_cmp_ne_u32_e64 s20, 0, v37
	s_delay_alu instid0(VALU_DEP_2)
	v_cmp_eq_u32_e32 vcc_lo, 0, v66
	s_and_b32 s22, s20, vcc_lo
	s_wait_alu 0xfffe
	s_and_saveexec_b32 s20, s22
	s_cbranch_execz .LBB157_62
; %bb.61:                               ;   in Loop: Header=BB157_46 Depth=1
	s_wait_dscnt 0x0
	v_bcnt_u32_b32 v37, v37, v65
	ds_store_b32 v67, v37 offset:16
.LBB157_62:                             ;   in Loop: Header=BB157_46 Depth=1
	s_wait_alu 0xfffe
	s_or_b32 exec_lo, exec_lo, s20
	; wave barrier
	s_wait_loadcnt_dscnt 0x0
	s_barrier_signal -1
	s_barrier_wait -1
	global_inv scope:SCOPE_SE
	ds_load_b128 v[41:44], v114 offset:16
	ds_load_b128 v[37:40], v114 offset:32
	s_wait_dscnt 0x1
	v_add_nc_u32_e32 v68, v42, v41
	s_delay_alu instid0(VALU_DEP_1) | instskip(SKIP_1) | instid1(VALU_DEP_1)
	v_add3_u32 v68, v68, v43, v44
	s_wait_dscnt 0x0
	v_add3_u32 v68, v68, v37, v38
	s_delay_alu instid0(VALU_DEP_1) | instskip(NEXT) | instid1(VALU_DEP_1)
	v_add3_u32 v40, v68, v39, v40
	v_mov_b32_dpp v68, v40 row_shr:1 row_mask:0xf bank_mask:0xf
	s_delay_alu instid0(VALU_DEP_1) | instskip(NEXT) | instid1(VALU_DEP_1)
	v_cndmask_b32_e64 v68, v68, 0, s12
	v_add_nc_u32_e32 v40, v68, v40
	s_delay_alu instid0(VALU_DEP_1) | instskip(NEXT) | instid1(VALU_DEP_1)
	v_mov_b32_dpp v68, v40 row_shr:2 row_mask:0xf bank_mask:0xf
	v_cndmask_b32_e64 v68, 0, v68, s13
	s_delay_alu instid0(VALU_DEP_1) | instskip(NEXT) | instid1(VALU_DEP_1)
	v_add_nc_u32_e32 v40, v40, v68
	v_mov_b32_dpp v68, v40 row_shr:4 row_mask:0xf bank_mask:0xf
	s_delay_alu instid0(VALU_DEP_1) | instskip(NEXT) | instid1(VALU_DEP_1)
	v_cndmask_b32_e64 v68, 0, v68, s14
	v_add_nc_u32_e32 v40, v40, v68
	s_delay_alu instid0(VALU_DEP_1) | instskip(NEXT) | instid1(VALU_DEP_1)
	v_mov_b32_dpp v68, v40 row_shr:8 row_mask:0xf bank_mask:0xf
	v_cndmask_b32_e64 v68, 0, v68, s15
	s_delay_alu instid0(VALU_DEP_1) | instskip(SKIP_3) | instid1(VALU_DEP_1)
	v_add_nc_u32_e32 v40, v40, v68
	ds_swizzle_b32 v68, v40 offset:swizzle(BROADCAST,32,15)
	s_wait_dscnt 0x0
	v_cndmask_b32_e64 v68, v68, 0, s16
	v_add_nc_u32_e32 v40, v40, v68
	s_and_saveexec_b32 s20, s17
; %bb.63:                               ;   in Loop: Header=BB157_46 Depth=1
	ds_store_b32 v115, v40
; %bb.64:                               ;   in Loop: Header=BB157_46 Depth=1
	s_wait_alu 0xfffe
	s_or_b32 exec_lo, exec_lo, s20
	s_wait_loadcnt_dscnt 0x0
	s_barrier_signal -1
	s_barrier_wait -1
	global_inv scope:SCOPE_SE
	s_and_saveexec_b32 s20, s0
	s_cbranch_execz .LBB157_66
; %bb.65:                               ;   in Loop: Header=BB157_46 Depth=1
	ds_load_b32 v68, v130
	s_wait_dscnt 0x0
	v_mov_b32_dpp v131, v68 row_shr:1 row_mask:0xf bank_mask:0xf
	s_delay_alu instid0(VALU_DEP_1) | instskip(NEXT) | instid1(VALU_DEP_1)
	v_cndmask_b32_e64 v131, v131, 0, s18
	v_add_nc_u32_e32 v68, v131, v68
	s_delay_alu instid0(VALU_DEP_1) | instskip(NEXT) | instid1(VALU_DEP_1)
	v_mov_b32_dpp v131, v68 row_shr:2 row_mask:0xf bank_mask:0xf
	v_cndmask_b32_e64 v131, 0, v131, s19
	s_delay_alu instid0(VALU_DEP_1)
	v_add_nc_u32_e32 v68, v68, v131
	ds_store_b32 v130, v68
.LBB157_66:                             ;   in Loop: Header=BB157_46 Depth=1
	s_wait_alu 0xfffe
	s_or_b32 exec_lo, exec_lo, s20
	v_mov_b32_e32 v68, 0
	s_wait_loadcnt_dscnt 0x0
	s_barrier_signal -1
	s_barrier_wait -1
	global_inv scope:SCOPE_SE
	s_and_saveexec_b32 s20, s1
; %bb.67:                               ;   in Loop: Header=BB157_46 Depth=1
	ds_load_b32 v68, v127
; %bb.68:                               ;   in Loop: Header=BB157_46 Depth=1
	s_wait_alu 0xfffe
	s_or_b32 exec_lo, exec_lo, s20
	s_wait_dscnt 0x0
	v_add_nc_u32_e32 v40, v68, v40
	v_cmp_lt_u32_e32 vcc_lo, 55, v70
	s_mov_b32 s20, -1
	ds_bpermute_b32 v40, v126, v40
	s_and_b32 vcc_lo, exec_lo, vcc_lo
	s_wait_dscnt 0x0
	v_cndmask_b32_e64 v40, v40, v68, s11
	s_delay_alu instid0(VALU_DEP_1) | instskip(NEXT) | instid1(VALU_DEP_1)
	v_cndmask_b32_e64 v40, v40, 0, s10
	v_add_nc_u32_e32 v41, v40, v41
	s_delay_alu instid0(VALU_DEP_1) | instskip(NEXT) | instid1(VALU_DEP_1)
	v_add_nc_u32_e32 v42, v41, v42
	v_add_nc_u32_e32 v43, v42, v43
	s_delay_alu instid0(VALU_DEP_1) | instskip(NEXT) | instid1(VALU_DEP_1)
	v_add_nc_u32_e32 v131, v43, v44
	;; [unrolled: 3-line block ×3, first 2 shown]
	v_add_nc_u32_e32 v134, v133, v39
	ds_store_b128 v114, v[40:43] offset:16
	ds_store_b128 v114, v[131:134] offset:32
	s_wait_loadcnt_dscnt 0x0
	s_barrier_signal -1
	s_barrier_wait -1
	global_inv scope:SCOPE_SE
	ds_load_b32 v37, v46 offset:16
	ds_load_b32 v38, v49 offset:16
	;; [unrolled: 1-line block ×8, first 2 shown]
	s_wait_dscnt 0x7
	v_add_nc_u32_e32 v138, v37, v45
	s_wait_dscnt 0x6
	v_add3_u32 v137, v48, v47, v38
	s_wait_dscnt 0x5
	v_add3_u32 v136, v51, v50, v39
	;; [unrolled: 2-line block ×7, first 2 shown]
                                        ; implicit-def: $vgpr67_vgpr68
                                        ; implicit-def: $vgpr47_vgpr48
                                        ; implicit-def: $vgpr43_vgpr44
                                        ; implicit-def: $vgpr39_vgpr40
                                        ; implicit-def: $vgpr63_vgpr64
                                        ; implicit-def: $vgpr59_vgpr60
                                        ; implicit-def: $vgpr55_vgpr56
                                        ; implicit-def: $vgpr51_vgpr52
	s_wait_alu 0xfffe
	s_cbranch_vccnz .LBB157_45
; %bb.69:                               ;   in Loop: Header=BB157_46 Depth=1
	v_lshlrev_b32_e32 v49, 3, v138
	v_lshlrev_b32_e32 v52, 3, v135
	;; [unrolled: 1-line block ×8, first 2 shown]
	s_wait_loadcnt 0x0
	s_barrier_signal -1
	s_barrier_wait -1
	global_inv scope:SCOPE_SE
	ds_store_b64 v49, v[72:73]
	ds_store_b64 v50, v[102:103]
	;; [unrolled: 1-line block ×8, first 2 shown]
	s_wait_loadcnt_dscnt 0x0
	s_barrier_signal -1
	s_barrier_wait -1
	global_inv scope:SCOPE_SE
	ds_load_2addr_b64 v[37:40], v128 offset1:32
	ds_load_2addr_b64 v[41:44], v128 offset0:64 offset1:96
	ds_load_2addr_b64 v[45:48], v128 offset0:128 offset1:160
	;; [unrolled: 1-line block ×3, first 2 shown]
	s_wait_loadcnt_dscnt 0x0
	s_barrier_signal -1
	s_barrier_wait -1
	global_inv scope:SCOPE_SE
	ds_store_b64 v49, v[94:95]
	ds_store_b64 v50, v[92:93]
	;; [unrolled: 1-line block ×8, first 2 shown]
	s_wait_loadcnt_dscnt 0x0
	s_barrier_signal -1
	s_barrier_wait -1
	global_inv scope:SCOPE_SE
	ds_load_2addr_b64 v[49:52], v128 offset1:32
	ds_load_2addr_b64 v[53:56], v128 offset0:64 offset1:96
	ds_load_2addr_b64 v[57:60], v128 offset0:128 offset1:160
	;; [unrolled: 1-line block ×3, first 2 shown]
	v_add_co_u32 v70, vcc_lo, v70, 8
	s_wait_alu 0xfffd
	v_add_co_ci_u32_e64 v71, null, 0, v71, vcc_lo
	s_add_co_i32 s21, s21, -8
	s_mov_b32 s20, 0
	s_wait_loadcnt_dscnt 0x0
	s_barrier_signal -1
	s_barrier_wait -1
	global_inv scope:SCOPE_SE
	s_branch .LBB157_45
.LBB157_70:
	s_wait_kmcnt 0x0
	v_mad_co_u64_u32 v[18:19], null, s26, v69, 0
	v_dual_mov_b32 v22, v17 :: v_dual_mov_b32 v23, v17
	v_dual_mov_b32 v24, v17 :: v_dual_mov_b32 v25, v17
	;; [unrolled: 1-line block ×3, first 2 shown]
	s_delay_alu instid0(VALU_DEP_4) | instskip(SKIP_3) | instid1(VALU_DEP_4)
	v_mad_co_u64_u32 v[19:20], null, s27, v69, v[19:20]
	v_dual_mov_b32 v20, v17 :: v_dual_mov_b32 v21, v17
	v_dual_mov_b32 v30, v17 :: v_dual_mov_b32 v31, v17
	v_mov_b32_e32 v32, v17
	v_lshlrev_b64_e32 v[18:19], 3, v[18:19]
	s_delay_alu instid0(VALU_DEP_1) | instskip(SKIP_1) | instid1(VALU_DEP_2)
	v_add_co_u32 v18, vcc_lo, s30, v18
	s_wait_alu 0xfffd
	v_add_co_ci_u32_e64 v19, null, s31, v19, vcc_lo
	global_load_b64 v[27:28], v[18:19], off
	v_dual_mov_b32 v18, v17 :: v_dual_mov_b32 v19, v17
	s_or_b32 exec_lo, exec_lo, s0
	s_and_saveexec_b32 s0, s3
	s_cbranch_execz .LBB157_36
.LBB157_71:
	s_wait_kmcnt 0x0
	v_mad_co_u64_u32 v[17:18], null, s26, v34, 0
	s_delay_alu instid0(VALU_DEP_1) | instskip(NEXT) | instid1(VALU_DEP_1)
	v_mad_co_u64_u32 v[41:42], null, s27, v34, v[18:19]
	v_mov_b32_e32 v18, v41
	s_delay_alu instid0(VALU_DEP_1) | instskip(NEXT) | instid1(VALU_DEP_1)
	v_lshlrev_b64_e32 v[17:18], 3, v[17:18]
	v_add_co_u32 v17, vcc_lo, s30, v17
	s_wait_alu 0xfffd
	s_delay_alu instid0(VALU_DEP_2)
	v_add_co_ci_u32_e64 v18, null, s31, v18, vcc_lo
	global_load_b64 v[17:18], v[17:18], off
	s_or_b32 exec_lo, exec_lo, s0
	s_and_saveexec_b32 s0, s4
	s_cbranch_execz .LBB157_37
.LBB157_72:
	s_wait_kmcnt 0x0
	v_mad_co_u64_u32 v[19:20], null, s26, v35, 0
	s_delay_alu instid0(VALU_DEP_1) | instskip(NEXT) | instid1(VALU_DEP_1)
	v_mad_co_u64_u32 v[34:35], null, s27, v35, v[20:21]
	v_mov_b32_e32 v20, v34
	s_delay_alu instid0(VALU_DEP_1) | instskip(NEXT) | instid1(VALU_DEP_1)
	v_lshlrev_b64_e32 v[19:20], 3, v[19:20]
	v_add_co_u32 v19, vcc_lo, s30, v19
	s_wait_alu 0xfffd
	s_delay_alu instid0(VALU_DEP_2)
	v_add_co_ci_u32_e64 v20, null, s31, v20, vcc_lo
	global_load_b64 v[19:20], v[19:20], off
	s_or_b32 exec_lo, exec_lo, s0
	s_and_saveexec_b32 s0, s5
	s_cbranch_execz .LBB157_38
.LBB157_73:
	s_wait_kmcnt 0x0
	v_mad_co_u64_u32 v[21:22], null, s26, v36, 0
	s_delay_alu instid0(VALU_DEP_1) | instskip(NEXT) | instid1(VALU_DEP_1)
	v_mad_co_u64_u32 v[34:35], null, s27, v36, v[22:23]
	v_mov_b32_e32 v22, v34
	s_delay_alu instid0(VALU_DEP_1) | instskip(NEXT) | instid1(VALU_DEP_1)
	v_lshlrev_b64_e32 v[21:22], 3, v[21:22]
	v_add_co_u32 v21, vcc_lo, s30, v21
	s_wait_alu 0xfffd
	s_delay_alu instid0(VALU_DEP_2)
	v_add_co_ci_u32_e64 v22, null, s31, v22, vcc_lo
	global_load_b64 v[21:22], v[21:22], off
	s_or_b32 exec_lo, exec_lo, s0
	s_and_saveexec_b32 s0, s6
	s_cbranch_execz .LBB157_39
.LBB157_74:
	s_wait_kmcnt 0x0
	v_mad_co_u64_u32 v[23:24], null, s26, v37, 0
	s_delay_alu instid0(VALU_DEP_1) | instskip(NEXT) | instid1(VALU_DEP_1)
	v_mad_co_u64_u32 v[34:35], null, s27, v37, v[24:25]
	v_mov_b32_e32 v24, v34
	s_delay_alu instid0(VALU_DEP_1) | instskip(NEXT) | instid1(VALU_DEP_1)
	v_lshlrev_b64_e32 v[23:24], 3, v[23:24]
	v_add_co_u32 v23, vcc_lo, s30, v23
	s_wait_alu 0xfffd
	s_delay_alu instid0(VALU_DEP_2)
	v_add_co_ci_u32_e64 v24, null, s31, v24, vcc_lo
	global_load_b64 v[23:24], v[23:24], off
	s_or_b32 exec_lo, exec_lo, s0
	s_and_saveexec_b32 s0, s7
	s_cbranch_execz .LBB157_40
.LBB157_75:
	s_wait_kmcnt 0x0
	v_mad_co_u64_u32 v[25:26], null, s26, v38, 0
	s_wait_loadcnt 0x0
	s_delay_alu instid0(VALU_DEP_1) | instskip(NEXT) | instid1(VALU_DEP_1)
	v_mad_co_u64_u32 v[34:35], null, s27, v38, v[26:27]
	v_mov_b32_e32 v26, v34
	s_delay_alu instid0(VALU_DEP_1) | instskip(NEXT) | instid1(VALU_DEP_1)
	v_lshlrev_b64_e32 v[25:26], 3, v[25:26]
	v_add_co_u32 v25, vcc_lo, s30, v25
	s_wait_alu 0xfffd
	s_delay_alu instid0(VALU_DEP_2)
	v_add_co_ci_u32_e64 v26, null, s31, v26, vcc_lo
	global_load_b64 v[25:26], v[25:26], off
	s_or_b32 exec_lo, exec_lo, s0
	s_and_saveexec_b32 s0, s8
	s_cbranch_execz .LBB157_41
.LBB157_76:
	s_wait_kmcnt 0x0
	v_mad_co_u64_u32 v[29:30], null, s26, v39, 0
	s_delay_alu instid0(VALU_DEP_1) | instskip(NEXT) | instid1(VALU_DEP_1)
	v_mad_co_u64_u32 v[34:35], null, s27, v39, v[30:31]
	v_mov_b32_e32 v30, v34
	s_delay_alu instid0(VALU_DEP_1) | instskip(NEXT) | instid1(VALU_DEP_1)
	v_lshlrev_b64_e32 v[29:30], 3, v[29:30]
	v_add_co_u32 v29, vcc_lo, s30, v29
	s_wait_alu 0xfffd
	s_delay_alu instid0(VALU_DEP_2)
	v_add_co_ci_u32_e64 v30, null, s31, v30, vcc_lo
	global_load_b64 v[29:30], v[29:30], off
	s_or_b32 exec_lo, exec_lo, s0
	s_xor_b32 s0, s23, -1
	s_and_saveexec_b32 s1, s9
	s_cbranch_execnz .LBB157_42
	s_branch .LBB157_43
.LBB157_77:
	v_lshlrev_b32_e32 v33, 3, v138
	v_lshlrev_b32_e32 v36, 3, v135
	;; [unrolled: 1-line block ×9, first 2 shown]
	s_wait_loadcnt 0x0
	s_barrier_signal -1
	s_barrier_wait -1
	global_inv scope:SCOPE_SE
	ds_store_b64 v33, v[72:73]
	ds_store_b64 v34, v[102:103]
	;; [unrolled: 1-line block ×8, first 2 shown]
	s_wait_loadcnt_dscnt 0x0
	s_barrier_signal -1
	s_barrier_wait -1
	global_inv scope:SCOPE_SE
	ds_load_b128 v[49:52], v65
	ds_load_b128 v[53:56], v65 offset:16
	ds_load_b128 v[57:60], v65 offset:32
	;; [unrolled: 1-line block ×3, first 2 shown]
	s_wait_loadcnt_dscnt 0x0
	s_barrier_signal -1
	s_barrier_wait -1
	global_inv scope:SCOPE_SE
	ds_store_b64 v33, v[94:95]
	ds_store_b64 v34, v[92:93]
	;; [unrolled: 1-line block ×8, first 2 shown]
	s_wait_loadcnt_dscnt 0x0
	s_barrier_signal -1
	s_barrier_wait -1
	global_inv scope:SCOPE_SE
	ds_load_b128 v[45:48], v65
	ds_load_b128 v[41:44], v65 offset:16
	ds_load_b128 v[37:40], v65 offset:32
	ds_load_b128 v[33:36], v65 offset:48
	s_mov_b32 s11, 0
	v_xor_b32_e32 v50, 0x80000000, v50
	v_xor_b32_e32 v52, 0x80000000, v52
	;; [unrolled: 1-line block ×8, first 2 shown]
.LBB157_78:
	s_wait_alu 0xfffe
	s_and_b32 vcc_lo, exec_lo, s11
	s_wait_alu 0xfffe
	s_cbranch_vccz .LBB157_106
; %bb.79:
	v_xor_b32_e32 v14, 0x7fffffff, v14
	v_xor_b32_e32 v13, -1, v13
	v_xor_b32_e32 v16, 0x7fffffff, v16
	v_xor_b32_e32 v15, -1, v15
	;; [unrolled: 2-line block ×8, first 2 shown]
	ds_store_b128 v125, v[13:16]
	ds_store_b128 v125, v[9:12] offset:16
	ds_store_b128 v125, v[5:8] offset:32
	;; [unrolled: 1-line block ×3, first 2 shown]
	; wave barrier
	ds_load_2addr_b64 v[4:7], v124 offset1:32
	ds_load_2addr_b64 v[8:11], v124 offset0:64 offset1:96
	ds_load_2addr_b64 v[12:15], v124 offset0:128 offset1:160
	s_wait_dscnt 0x7
	ds_load_2addr_b64 v[33:36], v124 offset0:192 offset1:224
	; wave barrier
	ds_store_b128 v125, v[21:24]
	ds_store_b128 v125, v[17:20] offset:16
	ds_store_b128 v125, v[29:32] offset:32
	;; [unrolled: 1-line block ×3, first 2 shown]
	; wave barrier
	ds_load_2addr_b64 v[16:19], v124 offset1:32
	ds_load_2addr_b64 v[20:23], v124 offset0:64 offset1:96
	ds_load_2addr_b64 v[24:27], v124 offset0:128 offset1:160
	ds_load_2addr_b64 v[28:31], v124 offset0:192 offset1:224
	s_wait_loadcnt_dscnt 0x0
	s_barrier_signal -1
	s_barrier_wait -1
	global_inv scope:SCOPE_SE
	s_load_b32 s10, s[34:35], 0xc
	s_getpc_b64 s[0:1]
	s_sext_i32_i16 s1, s1
	s_add_co_u32 s0, s0, _ZN7rocprim17ROCPRIM_400000_NS16block_radix_sortIlLj128ELj8ElLj1ELj1ELj0ELNS0_26block_radix_rank_algorithmE1ELNS0_18block_padding_hintE2ELNS0_4arch9wavefront6targetE0EE19radix_bits_per_passE@rel32@lo+8
	s_add_co_ci_u32 s1, s1, _ZN7rocprim17ROCPRIM_400000_NS16block_radix_sortIlLj128ELj8ElLj1ELj1ELj0ELNS0_26block_radix_rank_algorithmE1ELNS0_18block_padding_hintE2ELNS0_4arch9wavefront6targetE0EE19radix_bits_per_passE@rel32@hi+16
	v_or_b32_e32 v3, 31, v121
	s_load_b32 s21, s[0:1], 0x0
	s_mov_b32 s36, 0
	v_lshl_add_u32 v73, v116, 3, v0
	s_mov_b32 s37, s36
	s_mov_b32 s38, s36
	;; [unrolled: 1-line block ×3, first 2 shown]
	v_cmp_eq_u32_e64 s14, v69, v3
	v_cmp_lt_u32_e64 s12, 7, v120
	v_cmp_eq_u32_e64 s13, 0, v119
	v_mov_b32_e32 v37, 0
	v_cmp_gt_u32_e64 s15, 4, v69
	v_cmp_lt_u32_e64 s16, 31, v69
	v_cmp_eq_u32_e64 s17, 0, v69
	v_cmp_eq_u32_e64 s18, 0, v118
	v_cmp_lt_u32_e64 s19, 1, v118
	v_add_nc_u32_e32 v72, -4, v115
	v_dual_mov_b32 v38, 0 :: v_dual_add_nc_u32 v75, v114, v117
	s_wait_kmcnt 0x0
	s_lshr_b32 s11, s10, 16
	s_and_b32 s0, s10, 0xffff
	s_wait_alu 0xfffe
	v_mad_u32_u24 v1, v123, s11, v122
	v_cmp_lt_u32_e64 s10, 1, v120
	v_cmp_lt_u32_e64 s11, 3, v120
	s_mov_b32 s22, 64
	v_mad_co_u64_u32 v[1:2], null, v1, s0, v[69:70]
	v_sub_co_u32 v2, s1, v116, 1
	v_cmp_eq_u32_e64 s0, 0, v120
	s_delay_alu instid0(VALU_DEP_2) | instskip(NEXT) | instid1(VALU_DEP_4)
	v_cmp_gt_i32_e32 vcc_lo, 0, v2
	v_lshrrev_b32_e32 v1, 3, v1
	s_wait_alu 0xfffd
	v_cndmask_b32_e32 v2, v2, v116, vcc_lo
	s_delay_alu instid0(VALU_DEP_2) | instskip(NEXT) | instid1(VALU_DEP_2)
	v_and_b32_e32 v74, 0x1ffffffc, v1
	v_lshlrev_b32_e32 v32, 2, v2
	v_dual_mov_b32 v0, s36 :: v_dual_mov_b32 v1, s37
	v_dual_mov_b32 v2, s38 :: v_dual_mov_b32 v3, s39
	s_branch .LBB157_81
.LBB157_80:                             ;   in Loop: Header=BB157_81 Depth=1
	s_wait_alu 0xfffe
	s_and_not1_b32 vcc_lo, exec_lo, s20
	s_wait_alu 0xfffe
	s_cbranch_vccz .LBB157_105
.LBB157_81:                             ; =>This Inner Loop Header: Depth=1
	v_dual_mov_b32 v40, v5 :: v_dual_mov_b32 v39, v4
	s_wait_alu 0xfffe
	s_min_u32 s20, s21, s22
	v_mov_b32_e32 v52, v27
	s_wait_alu 0xfffe
	s_lshl_b32 s20, -1, s20
	v_mov_b32_e32 v60, v19
	v_lshrrev_b64 v[4:5], v37, v[39:40]
	s_wait_alu 0xfffe
	s_not_b32 s23, s20
	v_mov_b32_e32 v50, v29
	v_mov_b32_e32 v54, v25
	v_mov_b32_e32 v62, v17
	s_wait_alu 0xfffe
	v_dual_mov_b32 v42, v36 :: v_dual_and_b32 v5, s23, v4
	v_dual_mov_b32 v41, v35 :: v_dual_mov_b32 v44, v34
	v_dual_mov_b32 v43, v33 :: v_dual_mov_b32 v46, v15
	s_delay_alu instid0(VALU_DEP_3) | instskip(SKIP_3) | instid1(VALU_DEP_4)
	v_dual_mov_b32 v45, v14 :: v_dual_and_b32 v4, 1, v5
	v_lshlrev_b32_e32 v14, 30, v5
	v_dual_mov_b32 v64, v13 :: v_dual_lshlrev_b32 v15, 29, v5
	v_mov_b32_e32 v63, v12
	v_add_co_u32 v4, s20, v4, -1
	s_wait_alu 0xf1ff
	v_cndmask_b32_e64 v34, 0, 1, s20
	v_not_b32_e32 v48, v14
	v_dual_mov_b32 v66, v11 :: v_dual_lshlrev_b32 v33, 28, v5
	v_cmp_gt_i32_e64 s20, 0, v14
	s_delay_alu instid0(VALU_DEP_4)
	v_cmp_ne_u32_e32 vcc_lo, 0, v34
	v_not_b32_e32 v14, v15
	v_ashrrev_i32_e32 v48, 31, v48
	v_dual_mov_b32 v68, v9 :: v_dual_lshlrev_b32 v35, 27, v5
	s_wait_alu 0xfffd
	v_xor_b32_e32 v4, vcc_lo, v4
	v_cmp_gt_i32_e32 vcc_lo, 0, v15
	v_not_b32_e32 v15, v33
	v_ashrrev_i32_e32 v14, 31, v14
	s_wait_alu 0xf1ff
	v_xor_b32_e32 v48, s20, v48
	v_dual_mov_b32 v71, v7 :: v_dual_and_b32 v4, exec_lo, v4
	v_dual_mov_b32 v65, v10 :: v_dual_lshlrev_b32 v36, 26, v5
	v_cmp_gt_i32_e64 s20, 0, v33
	v_not_b32_e32 v33, v35
	v_ashrrev_i32_e32 v15, 31, v15
	s_wait_alu 0xfffd
	v_xor_b32_e32 v14, vcc_lo, v14
	v_and_b32_e32 v4, v4, v48
	v_dual_mov_b32 v70, v6 :: v_dual_lshlrev_b32 v47, 25, v5
	v_cmp_gt_i32_e32 vcc_lo, 0, v35
	v_not_b32_e32 v35, v36
	v_ashrrev_i32_e32 v33, 31, v33
	s_wait_alu 0xf1ff
	v_xor_b32_e32 v15, s20, v15
	v_dual_mov_b32 v51, v26 :: v_dual_and_b32 v4, v4, v14
	v_dual_mov_b32 v67, v8 :: v_dual_lshlrev_b32 v34, 24, v5
	v_cmp_gt_i32_e64 s20, 0, v36
	v_not_b32_e32 v14, v47
	v_ashrrev_i32_e32 v35, 31, v35
	s_wait_alu 0xfffd
	v_xor_b32_e32 v33, vcc_lo, v33
	v_and_b32_e32 v4, v4, v15
	v_dual_mov_b32 v56, v23 :: v_dual_lshlrev_b32 v5, 4, v5
	v_cmp_gt_i32_e32 vcc_lo, 0, v47
	v_not_b32_e32 v15, v34
	v_ashrrev_i32_e32 v14, 31, v14
	s_wait_alu 0xf1ff
	v_xor_b32_e32 v35, s20, v35
	v_dual_mov_b32 v55, v22 :: v_dual_and_b32 v4, v4, v33
	v_mov_b32_e32 v59, v18
	v_cmp_gt_i32_e64 s20, 0, v34
	v_ashrrev_i32_e32 v12, 31, v15
	s_wait_alu 0xfffd
	v_xor_b32_e32 v13, vcc_lo, v14
	v_and_b32_e32 v4, v4, v35
	v_dual_mov_b32 v48, v31 :: v_dual_mov_b32 v49, v28
	s_wait_alu 0xf1ff
	v_xor_b32_e32 v6, s20, v12
	v_mov_b32_e32 v58, v21
	v_dual_mov_b32 v47, v30 :: v_dual_and_b32 v4, v4, v13
	v_mov_b32_e32 v53, v24
	v_mov_b32_e32 v57, v20
	;; [unrolled: 1-line block ×3, first 2 shown]
	s_delay_alu instid0(VALU_DEP_4)
	v_and_b32_e32 v4, v4, v6
	v_add_nc_u32_e32 v13, v74, v5
	ds_store_b128 v114, v[0:3] offset:16
	ds_store_b128 v114, v[0:3] offset:32
	s_wait_loadcnt_dscnt 0x0
	s_barrier_signal -1
	v_mbcnt_lo_u32_b32 v12, v4, 0
	v_cmp_ne_u32_e64 s20, 0, v4
	s_barrier_wait -1
	global_inv scope:SCOPE_SE
	v_cmp_eq_u32_e32 vcc_lo, 0, v12
	; wave barrier
	s_and_b32 s33, s20, vcc_lo
	s_delay_alu instid0(SALU_CYCLE_1)
	s_and_saveexec_b32 s20, s33
; %bb.82:                               ;   in Loop: Header=BB157_81 Depth=1
	v_bcnt_u32_b32 v4, v4, 0
	ds_store_b32 v13, v4 offset:16
; %bb.83:                               ;   in Loop: Header=BB157_81 Depth=1
	s_wait_alu 0xfffe
	s_or_b32 exec_lo, exec_lo, s20
	v_lshrrev_b64 v[4:5], v37, v[70:71]
	; wave barrier
	s_delay_alu instid0(VALU_DEP_1) | instskip(NEXT) | instid1(VALU_DEP_1)
	v_and_b32_e32 v4, s23, v4
	v_and_b32_e32 v5, 1, v4
	v_lshlrev_b32_e32 v6, 30, v4
	v_lshlrev_b32_e32 v7, 29, v4
	v_lshlrev_b32_e32 v8, 28, v4
	v_lshlrev_b32_e32 v10, 27, v4
	v_add_co_u32 v5, s20, v5, -1
	s_wait_alu 0xf1ff
	v_cndmask_b32_e64 v9, 0, 1, s20
	v_not_b32_e32 v15, v6
	v_cmp_gt_i32_e64 s20, 0, v6
	v_not_b32_e32 v6, v7
	v_lshlrev_b32_e32 v11, 26, v4
	v_cmp_ne_u32_e32 vcc_lo, 0, v9
	v_ashrrev_i32_e32 v15, 31, v15
	v_lshlrev_b32_e32 v14, 25, v4
	v_ashrrev_i32_e32 v6, 31, v6
	v_lshlrev_b32_e32 v9, 24, v4
	s_wait_alu 0xfffd
	v_xor_b32_e32 v5, vcc_lo, v5
	v_cmp_gt_i32_e32 vcc_lo, 0, v7
	v_not_b32_e32 v7, v8
	s_wait_alu 0xf1ff
	v_xor_b32_e32 v15, s20, v15
	v_cmp_gt_i32_e64 s20, 0, v8
	v_and_b32_e32 v5, exec_lo, v5
	v_not_b32_e32 v8, v10
	v_ashrrev_i32_e32 v7, 31, v7
	s_wait_alu 0xfffd
	v_xor_b32_e32 v6, vcc_lo, v6
	v_cmp_gt_i32_e32 vcc_lo, 0, v10
	v_and_b32_e32 v5, v5, v15
	v_not_b32_e32 v10, v11
	v_ashrrev_i32_e32 v8, 31, v8
	s_wait_alu 0xf1ff
	v_xor_b32_e32 v7, s20, v7
	v_cmp_gt_i32_e64 s20, 0, v11
	v_and_b32_e32 v5, v5, v6
	v_not_b32_e32 v6, v14
	v_ashrrev_i32_e32 v10, 31, v10
	s_wait_alu 0xfffd
	v_xor_b32_e32 v8, vcc_lo, v8
	v_cmp_gt_i32_e32 vcc_lo, 0, v14
	v_and_b32_e32 v5, v5, v7
	v_not_b32_e32 v7, v9
	v_ashrrev_i32_e32 v6, 31, v6
	s_wait_alu 0xf1ff
	v_xor_b32_e32 v10, s20, v10
	v_lshlrev_b32_e32 v4, 4, v4
	v_and_b32_e32 v5, v5, v8
	v_cmp_gt_i32_e64 s20, 0, v9
	v_ashrrev_i32_e32 v7, 31, v7
	s_wait_alu 0xfffd
	v_xor_b32_e32 v6, vcc_lo, v6
	v_add_nc_u32_e32 v16, v74, v4
	v_and_b32_e32 v5, v5, v10
	s_wait_alu 0xf1ff
	v_xor_b32_e32 v4, s20, v7
	ds_load_b32 v14, v16 offset:16
	v_and_b32_e32 v5, v5, v6
	; wave barrier
	s_delay_alu instid0(VALU_DEP_1) | instskip(NEXT) | instid1(VALU_DEP_1)
	v_and_b32_e32 v4, v5, v4
	v_mbcnt_lo_u32_b32 v15, v4, 0
	v_cmp_ne_u32_e64 s20, 0, v4
	s_delay_alu instid0(VALU_DEP_2) | instskip(SKIP_1) | instid1(SALU_CYCLE_1)
	v_cmp_eq_u32_e32 vcc_lo, 0, v15
	s_and_b32 s33, s20, vcc_lo
	s_and_saveexec_b32 s20, s33
	s_cbranch_execz .LBB157_85
; %bb.84:                               ;   in Loop: Header=BB157_81 Depth=1
	s_wait_dscnt 0x0
	v_bcnt_u32_b32 v4, v4, v14
	ds_store_b32 v16, v4 offset:16
.LBB157_85:                             ;   in Loop: Header=BB157_81 Depth=1
	s_wait_alu 0xfffe
	s_or_b32 exec_lo, exec_lo, s20
	v_lshrrev_b64 v[4:5], v37, v[67:68]
	; wave barrier
	s_delay_alu instid0(VALU_DEP_1) | instskip(NEXT) | instid1(VALU_DEP_1)
	v_and_b32_e32 v4, s23, v4
	v_and_b32_e32 v5, 1, v4
	v_lshlrev_b32_e32 v6, 30, v4
	v_lshlrev_b32_e32 v7, 29, v4
	;; [unrolled: 1-line block ×4, first 2 shown]
	v_add_co_u32 v5, s20, v5, -1
	s_wait_alu 0xf1ff
	v_cndmask_b32_e64 v9, 0, 1, s20
	v_not_b32_e32 v18, v6
	v_cmp_gt_i32_e64 s20, 0, v6
	v_not_b32_e32 v6, v7
	v_lshlrev_b32_e32 v11, 26, v4
	v_cmp_ne_u32_e32 vcc_lo, 0, v9
	v_ashrrev_i32_e32 v18, 31, v18
	v_lshlrev_b32_e32 v17, 25, v4
	v_ashrrev_i32_e32 v6, 31, v6
	v_lshlrev_b32_e32 v9, 24, v4
	s_wait_alu 0xfffd
	v_xor_b32_e32 v5, vcc_lo, v5
	v_cmp_gt_i32_e32 vcc_lo, 0, v7
	v_not_b32_e32 v7, v8
	s_wait_alu 0xf1ff
	v_xor_b32_e32 v18, s20, v18
	v_cmp_gt_i32_e64 s20, 0, v8
	v_and_b32_e32 v5, exec_lo, v5
	v_not_b32_e32 v8, v10
	v_ashrrev_i32_e32 v7, 31, v7
	s_wait_alu 0xfffd
	v_xor_b32_e32 v6, vcc_lo, v6
	v_cmp_gt_i32_e32 vcc_lo, 0, v10
	v_and_b32_e32 v5, v5, v18
	v_not_b32_e32 v10, v11
	v_ashrrev_i32_e32 v8, 31, v8
	s_wait_alu 0xf1ff
	v_xor_b32_e32 v7, s20, v7
	v_cmp_gt_i32_e64 s20, 0, v11
	v_and_b32_e32 v5, v5, v6
	v_not_b32_e32 v6, v17
	v_ashrrev_i32_e32 v10, 31, v10
	s_wait_alu 0xfffd
	v_xor_b32_e32 v8, vcc_lo, v8
	v_cmp_gt_i32_e32 vcc_lo, 0, v17
	v_and_b32_e32 v5, v5, v7
	v_not_b32_e32 v7, v9
	v_ashrrev_i32_e32 v6, 31, v6
	s_wait_alu 0xf1ff
	v_xor_b32_e32 v10, s20, v10
	v_lshlrev_b32_e32 v4, 4, v4
	v_and_b32_e32 v5, v5, v8
	v_cmp_gt_i32_e64 s20, 0, v9
	v_ashrrev_i32_e32 v7, 31, v7
	s_wait_alu 0xfffd
	v_xor_b32_e32 v6, vcc_lo, v6
	v_add_nc_u32_e32 v19, v74, v4
	v_and_b32_e32 v5, v5, v10
	s_wait_alu 0xf1ff
	v_xor_b32_e32 v4, s20, v7
	ds_load_b32 v17, v19 offset:16
	v_and_b32_e32 v5, v5, v6
	; wave barrier
	s_delay_alu instid0(VALU_DEP_1) | instskip(NEXT) | instid1(VALU_DEP_1)
	v_and_b32_e32 v4, v5, v4
	v_mbcnt_lo_u32_b32 v18, v4, 0
	v_cmp_ne_u32_e64 s20, 0, v4
	s_delay_alu instid0(VALU_DEP_2) | instskip(SKIP_1) | instid1(SALU_CYCLE_1)
	v_cmp_eq_u32_e32 vcc_lo, 0, v18
	s_and_b32 s33, s20, vcc_lo
	s_and_saveexec_b32 s20, s33
	s_cbranch_execz .LBB157_87
; %bb.86:                               ;   in Loop: Header=BB157_81 Depth=1
	s_wait_dscnt 0x0
	v_bcnt_u32_b32 v4, v4, v17
	ds_store_b32 v19, v4 offset:16
.LBB157_87:                             ;   in Loop: Header=BB157_81 Depth=1
	s_wait_alu 0xfffe
	s_or_b32 exec_lo, exec_lo, s20
	v_lshrrev_b64 v[4:5], v37, v[65:66]
	; wave barrier
	s_delay_alu instid0(VALU_DEP_1) | instskip(NEXT) | instid1(VALU_DEP_1)
	v_and_b32_e32 v4, s23, v4
	v_and_b32_e32 v5, 1, v4
	v_lshlrev_b32_e32 v6, 30, v4
	v_lshlrev_b32_e32 v7, 29, v4
	;; [unrolled: 1-line block ×4, first 2 shown]
	v_add_co_u32 v5, s20, v5, -1
	s_wait_alu 0xf1ff
	v_cndmask_b32_e64 v9, 0, 1, s20
	v_not_b32_e32 v21, v6
	v_cmp_gt_i32_e64 s20, 0, v6
	v_not_b32_e32 v6, v7
	v_lshlrev_b32_e32 v11, 26, v4
	v_cmp_ne_u32_e32 vcc_lo, 0, v9
	v_ashrrev_i32_e32 v21, 31, v21
	v_lshlrev_b32_e32 v20, 25, v4
	v_ashrrev_i32_e32 v6, 31, v6
	v_lshlrev_b32_e32 v9, 24, v4
	s_wait_alu 0xfffd
	v_xor_b32_e32 v5, vcc_lo, v5
	v_cmp_gt_i32_e32 vcc_lo, 0, v7
	v_not_b32_e32 v7, v8
	s_wait_alu 0xf1ff
	v_xor_b32_e32 v21, s20, v21
	v_cmp_gt_i32_e64 s20, 0, v8
	v_and_b32_e32 v5, exec_lo, v5
	v_not_b32_e32 v8, v10
	v_ashrrev_i32_e32 v7, 31, v7
	s_wait_alu 0xfffd
	v_xor_b32_e32 v6, vcc_lo, v6
	v_cmp_gt_i32_e32 vcc_lo, 0, v10
	v_and_b32_e32 v5, v5, v21
	v_not_b32_e32 v10, v11
	v_ashrrev_i32_e32 v8, 31, v8
	s_wait_alu 0xf1ff
	v_xor_b32_e32 v7, s20, v7
	v_cmp_gt_i32_e64 s20, 0, v11
	v_and_b32_e32 v5, v5, v6
	v_not_b32_e32 v6, v20
	v_ashrrev_i32_e32 v10, 31, v10
	s_wait_alu 0xfffd
	v_xor_b32_e32 v8, vcc_lo, v8
	v_cmp_gt_i32_e32 vcc_lo, 0, v20
	v_and_b32_e32 v5, v5, v7
	v_not_b32_e32 v7, v9
	v_ashrrev_i32_e32 v6, 31, v6
	s_wait_alu 0xf1ff
	v_xor_b32_e32 v10, s20, v10
	v_lshlrev_b32_e32 v4, 4, v4
	v_and_b32_e32 v5, v5, v8
	v_cmp_gt_i32_e64 s20, 0, v9
	v_ashrrev_i32_e32 v7, 31, v7
	s_wait_alu 0xfffd
	v_xor_b32_e32 v6, vcc_lo, v6
	v_add_nc_u32_e32 v22, v74, v4
	v_and_b32_e32 v5, v5, v10
	s_wait_alu 0xf1ff
	v_xor_b32_e32 v4, s20, v7
	ds_load_b32 v20, v22 offset:16
	v_and_b32_e32 v5, v5, v6
	; wave barrier
	s_delay_alu instid0(VALU_DEP_1) | instskip(NEXT) | instid1(VALU_DEP_1)
	v_and_b32_e32 v4, v5, v4
	v_mbcnt_lo_u32_b32 v21, v4, 0
	v_cmp_ne_u32_e64 s20, 0, v4
	s_delay_alu instid0(VALU_DEP_2) | instskip(SKIP_1) | instid1(SALU_CYCLE_1)
	v_cmp_eq_u32_e32 vcc_lo, 0, v21
	s_and_b32 s33, s20, vcc_lo
	s_and_saveexec_b32 s20, s33
	s_cbranch_execz .LBB157_89
; %bb.88:                               ;   in Loop: Header=BB157_81 Depth=1
	s_wait_dscnt 0x0
	v_bcnt_u32_b32 v4, v4, v20
	ds_store_b32 v22, v4 offset:16
.LBB157_89:                             ;   in Loop: Header=BB157_81 Depth=1
	s_wait_alu 0xfffe
	s_or_b32 exec_lo, exec_lo, s20
	v_lshrrev_b64 v[4:5], v37, v[63:64]
	; wave barrier
	s_delay_alu instid0(VALU_DEP_1) | instskip(NEXT) | instid1(VALU_DEP_1)
	v_and_b32_e32 v4, s23, v4
	v_and_b32_e32 v5, 1, v4
	v_lshlrev_b32_e32 v6, 30, v4
	v_lshlrev_b32_e32 v7, 29, v4
	v_lshlrev_b32_e32 v8, 28, v4
	v_lshlrev_b32_e32 v10, 27, v4
	v_add_co_u32 v5, s20, v5, -1
	s_wait_alu 0xf1ff
	v_cndmask_b32_e64 v9, 0, 1, s20
	v_not_b32_e32 v24, v6
	v_cmp_gt_i32_e64 s20, 0, v6
	v_not_b32_e32 v6, v7
	v_lshlrev_b32_e32 v11, 26, v4
	v_cmp_ne_u32_e32 vcc_lo, 0, v9
	v_ashrrev_i32_e32 v24, 31, v24
	v_lshlrev_b32_e32 v23, 25, v4
	v_ashrrev_i32_e32 v6, 31, v6
	v_lshlrev_b32_e32 v9, 24, v4
	s_wait_alu 0xfffd
	v_xor_b32_e32 v5, vcc_lo, v5
	v_cmp_gt_i32_e32 vcc_lo, 0, v7
	v_not_b32_e32 v7, v8
	s_wait_alu 0xf1ff
	v_xor_b32_e32 v24, s20, v24
	v_cmp_gt_i32_e64 s20, 0, v8
	v_and_b32_e32 v5, exec_lo, v5
	v_not_b32_e32 v8, v10
	v_ashrrev_i32_e32 v7, 31, v7
	s_wait_alu 0xfffd
	v_xor_b32_e32 v6, vcc_lo, v6
	v_cmp_gt_i32_e32 vcc_lo, 0, v10
	v_and_b32_e32 v5, v5, v24
	v_not_b32_e32 v10, v11
	v_ashrrev_i32_e32 v8, 31, v8
	s_wait_alu 0xf1ff
	v_xor_b32_e32 v7, s20, v7
	v_cmp_gt_i32_e64 s20, 0, v11
	v_and_b32_e32 v5, v5, v6
	v_not_b32_e32 v6, v23
	v_ashrrev_i32_e32 v10, 31, v10
	s_wait_alu 0xfffd
	v_xor_b32_e32 v8, vcc_lo, v8
	v_cmp_gt_i32_e32 vcc_lo, 0, v23
	v_and_b32_e32 v5, v5, v7
	v_not_b32_e32 v7, v9
	v_ashrrev_i32_e32 v6, 31, v6
	s_wait_alu 0xf1ff
	v_xor_b32_e32 v10, s20, v10
	v_lshlrev_b32_e32 v4, 4, v4
	v_and_b32_e32 v5, v5, v8
	v_cmp_gt_i32_e64 s20, 0, v9
	v_ashrrev_i32_e32 v7, 31, v7
	s_wait_alu 0xfffd
	v_xor_b32_e32 v6, vcc_lo, v6
	v_add_nc_u32_e32 v25, v74, v4
	v_and_b32_e32 v5, v5, v10
	s_wait_alu 0xf1ff
	v_xor_b32_e32 v4, s20, v7
	ds_load_b32 v23, v25 offset:16
	v_and_b32_e32 v5, v5, v6
	; wave barrier
	s_delay_alu instid0(VALU_DEP_1) | instskip(NEXT) | instid1(VALU_DEP_1)
	v_and_b32_e32 v4, v5, v4
	v_mbcnt_lo_u32_b32 v24, v4, 0
	v_cmp_ne_u32_e64 s20, 0, v4
	s_delay_alu instid0(VALU_DEP_2) | instskip(SKIP_1) | instid1(SALU_CYCLE_1)
	v_cmp_eq_u32_e32 vcc_lo, 0, v24
	s_and_b32 s33, s20, vcc_lo
	s_and_saveexec_b32 s20, s33
	s_cbranch_execz .LBB157_91
; %bb.90:                               ;   in Loop: Header=BB157_81 Depth=1
	s_wait_dscnt 0x0
	v_bcnt_u32_b32 v4, v4, v23
	ds_store_b32 v25, v4 offset:16
.LBB157_91:                             ;   in Loop: Header=BB157_81 Depth=1
	s_wait_alu 0xfffe
	s_or_b32 exec_lo, exec_lo, s20
	v_lshrrev_b64 v[4:5], v37, v[45:46]
	; wave barrier
	s_delay_alu instid0(VALU_DEP_1) | instskip(NEXT) | instid1(VALU_DEP_1)
	v_and_b32_e32 v4, s23, v4
	v_and_b32_e32 v5, 1, v4
	v_lshlrev_b32_e32 v6, 30, v4
	v_lshlrev_b32_e32 v7, 29, v4
	;; [unrolled: 1-line block ×4, first 2 shown]
	v_add_co_u32 v5, s20, v5, -1
	s_wait_alu 0xf1ff
	v_cndmask_b32_e64 v9, 0, 1, s20
	v_not_b32_e32 v27, v6
	v_cmp_gt_i32_e64 s20, 0, v6
	v_not_b32_e32 v6, v7
	v_lshlrev_b32_e32 v11, 26, v4
	v_cmp_ne_u32_e32 vcc_lo, 0, v9
	v_ashrrev_i32_e32 v27, 31, v27
	v_lshlrev_b32_e32 v26, 25, v4
	v_ashrrev_i32_e32 v6, 31, v6
	v_lshlrev_b32_e32 v9, 24, v4
	s_wait_alu 0xfffd
	v_xor_b32_e32 v5, vcc_lo, v5
	v_cmp_gt_i32_e32 vcc_lo, 0, v7
	v_not_b32_e32 v7, v8
	s_wait_alu 0xf1ff
	v_xor_b32_e32 v27, s20, v27
	v_cmp_gt_i32_e64 s20, 0, v8
	v_and_b32_e32 v5, exec_lo, v5
	v_not_b32_e32 v8, v10
	v_ashrrev_i32_e32 v7, 31, v7
	s_wait_alu 0xfffd
	v_xor_b32_e32 v6, vcc_lo, v6
	v_cmp_gt_i32_e32 vcc_lo, 0, v10
	v_and_b32_e32 v5, v5, v27
	v_not_b32_e32 v10, v11
	v_ashrrev_i32_e32 v8, 31, v8
	s_wait_alu 0xf1ff
	v_xor_b32_e32 v7, s20, v7
	v_cmp_gt_i32_e64 s20, 0, v11
	v_and_b32_e32 v5, v5, v6
	v_not_b32_e32 v6, v26
	v_ashrrev_i32_e32 v10, 31, v10
	s_wait_alu 0xfffd
	v_xor_b32_e32 v8, vcc_lo, v8
	v_cmp_gt_i32_e32 vcc_lo, 0, v26
	v_and_b32_e32 v5, v5, v7
	v_not_b32_e32 v7, v9
	v_ashrrev_i32_e32 v6, 31, v6
	s_wait_alu 0xf1ff
	v_xor_b32_e32 v10, s20, v10
	v_lshlrev_b32_e32 v4, 4, v4
	v_and_b32_e32 v5, v5, v8
	v_cmp_gt_i32_e64 s20, 0, v9
	v_ashrrev_i32_e32 v7, 31, v7
	s_wait_alu 0xfffd
	v_xor_b32_e32 v6, vcc_lo, v6
	v_add_nc_u32_e32 v28, v74, v4
	v_and_b32_e32 v5, v5, v10
	s_wait_alu 0xf1ff
	v_xor_b32_e32 v4, s20, v7
	ds_load_b32 v26, v28 offset:16
	v_and_b32_e32 v5, v5, v6
	; wave barrier
	s_delay_alu instid0(VALU_DEP_1) | instskip(NEXT) | instid1(VALU_DEP_1)
	v_and_b32_e32 v4, v5, v4
	v_mbcnt_lo_u32_b32 v27, v4, 0
	v_cmp_ne_u32_e64 s20, 0, v4
	s_delay_alu instid0(VALU_DEP_2) | instskip(SKIP_1) | instid1(SALU_CYCLE_1)
	v_cmp_eq_u32_e32 vcc_lo, 0, v27
	s_and_b32 s33, s20, vcc_lo
	s_and_saveexec_b32 s20, s33
	s_cbranch_execz .LBB157_93
; %bb.92:                               ;   in Loop: Header=BB157_81 Depth=1
	s_wait_dscnt 0x0
	v_bcnt_u32_b32 v4, v4, v26
	ds_store_b32 v28, v4 offset:16
.LBB157_93:                             ;   in Loop: Header=BB157_81 Depth=1
	s_wait_alu 0xfffe
	s_or_b32 exec_lo, exec_lo, s20
	v_lshrrev_b64 v[4:5], v37, v[43:44]
	; wave barrier
	s_delay_alu instid0(VALU_DEP_1) | instskip(NEXT) | instid1(VALU_DEP_1)
	v_and_b32_e32 v4, s23, v4
	v_and_b32_e32 v5, 1, v4
	v_lshlrev_b32_e32 v6, 30, v4
	v_lshlrev_b32_e32 v7, 29, v4
	;; [unrolled: 1-line block ×4, first 2 shown]
	v_add_co_u32 v5, s20, v5, -1
	s_wait_alu 0xf1ff
	v_cndmask_b32_e64 v9, 0, 1, s20
	v_not_b32_e32 v30, v6
	v_cmp_gt_i32_e64 s20, 0, v6
	v_not_b32_e32 v6, v7
	v_lshlrev_b32_e32 v11, 26, v4
	v_cmp_ne_u32_e32 vcc_lo, 0, v9
	v_ashrrev_i32_e32 v30, 31, v30
	v_lshlrev_b32_e32 v29, 25, v4
	v_ashrrev_i32_e32 v6, 31, v6
	v_lshlrev_b32_e32 v9, 24, v4
	s_wait_alu 0xfffd
	v_xor_b32_e32 v5, vcc_lo, v5
	v_cmp_gt_i32_e32 vcc_lo, 0, v7
	v_not_b32_e32 v7, v8
	s_wait_alu 0xf1ff
	v_xor_b32_e32 v30, s20, v30
	v_cmp_gt_i32_e64 s20, 0, v8
	v_and_b32_e32 v5, exec_lo, v5
	v_not_b32_e32 v8, v10
	v_ashrrev_i32_e32 v7, 31, v7
	s_wait_alu 0xfffd
	v_xor_b32_e32 v6, vcc_lo, v6
	v_cmp_gt_i32_e32 vcc_lo, 0, v10
	v_and_b32_e32 v5, v5, v30
	v_not_b32_e32 v10, v11
	v_ashrrev_i32_e32 v8, 31, v8
	s_wait_alu 0xf1ff
	v_xor_b32_e32 v7, s20, v7
	v_cmp_gt_i32_e64 s20, 0, v11
	v_and_b32_e32 v5, v5, v6
	v_not_b32_e32 v6, v29
	v_ashrrev_i32_e32 v10, 31, v10
	s_wait_alu 0xfffd
	v_xor_b32_e32 v8, vcc_lo, v8
	v_cmp_gt_i32_e32 vcc_lo, 0, v29
	v_and_b32_e32 v5, v5, v7
	v_not_b32_e32 v7, v9
	v_ashrrev_i32_e32 v6, 31, v6
	s_wait_alu 0xf1ff
	v_xor_b32_e32 v10, s20, v10
	v_lshlrev_b32_e32 v4, 4, v4
	v_and_b32_e32 v5, v5, v8
	v_cmp_gt_i32_e64 s20, 0, v9
	v_ashrrev_i32_e32 v7, 31, v7
	s_wait_alu 0xfffd
	v_xor_b32_e32 v6, vcc_lo, v6
	v_add_nc_u32_e32 v31, v74, v4
	v_and_b32_e32 v5, v5, v10
	s_wait_alu 0xf1ff
	v_xor_b32_e32 v4, s20, v7
	ds_load_b32 v29, v31 offset:16
	v_and_b32_e32 v5, v5, v6
	; wave barrier
	s_delay_alu instid0(VALU_DEP_1) | instskip(NEXT) | instid1(VALU_DEP_1)
	v_and_b32_e32 v4, v5, v4
	v_mbcnt_lo_u32_b32 v30, v4, 0
	v_cmp_ne_u32_e64 s20, 0, v4
	s_delay_alu instid0(VALU_DEP_2) | instskip(SKIP_1) | instid1(SALU_CYCLE_1)
	v_cmp_eq_u32_e32 vcc_lo, 0, v30
	s_and_b32 s33, s20, vcc_lo
	s_and_saveexec_b32 s20, s33
	s_cbranch_execz .LBB157_95
; %bb.94:                               ;   in Loop: Header=BB157_81 Depth=1
	s_wait_dscnt 0x0
	v_bcnt_u32_b32 v4, v4, v29
	ds_store_b32 v31, v4 offset:16
.LBB157_95:                             ;   in Loop: Header=BB157_81 Depth=1
	s_wait_alu 0xfffe
	s_or_b32 exec_lo, exec_lo, s20
	v_lshrrev_b64 v[4:5], v37, v[41:42]
	; wave barrier
	s_delay_alu instid0(VALU_DEP_1) | instskip(NEXT) | instid1(VALU_DEP_1)
	v_and_b32_e32 v4, s23, v4
	v_and_b32_e32 v5, 1, v4
	v_lshlrev_b32_e32 v6, 30, v4
	v_lshlrev_b32_e32 v7, 29, v4
	;; [unrolled: 1-line block ×4, first 2 shown]
	v_add_co_u32 v5, s20, v5, -1
	s_wait_alu 0xf1ff
	v_cndmask_b32_e64 v9, 0, 1, s20
	v_not_b32_e32 v34, v6
	v_cmp_gt_i32_e64 s20, 0, v6
	v_not_b32_e32 v6, v7
	v_lshlrev_b32_e32 v11, 26, v4
	v_cmp_ne_u32_e32 vcc_lo, 0, v9
	v_ashrrev_i32_e32 v34, 31, v34
	v_lshlrev_b32_e32 v33, 25, v4
	v_ashrrev_i32_e32 v6, 31, v6
	v_lshlrev_b32_e32 v9, 24, v4
	s_wait_alu 0xfffd
	v_xor_b32_e32 v5, vcc_lo, v5
	v_cmp_gt_i32_e32 vcc_lo, 0, v7
	v_not_b32_e32 v7, v8
	s_wait_alu 0xf1ff
	v_xor_b32_e32 v34, s20, v34
	v_cmp_gt_i32_e64 s20, 0, v8
	v_and_b32_e32 v5, exec_lo, v5
	v_not_b32_e32 v8, v10
	v_ashrrev_i32_e32 v7, 31, v7
	s_wait_alu 0xfffd
	v_xor_b32_e32 v6, vcc_lo, v6
	v_cmp_gt_i32_e32 vcc_lo, 0, v10
	v_and_b32_e32 v5, v5, v34
	v_not_b32_e32 v10, v11
	v_ashrrev_i32_e32 v8, 31, v8
	s_wait_alu 0xf1ff
	v_xor_b32_e32 v7, s20, v7
	v_cmp_gt_i32_e64 s20, 0, v11
	v_and_b32_e32 v5, v5, v6
	v_not_b32_e32 v6, v33
	v_ashrrev_i32_e32 v10, 31, v10
	s_wait_alu 0xfffd
	v_xor_b32_e32 v8, vcc_lo, v8
	v_cmp_gt_i32_e32 vcc_lo, 0, v33
	v_and_b32_e32 v5, v5, v7
	v_not_b32_e32 v7, v9
	v_ashrrev_i32_e32 v6, 31, v6
	s_wait_alu 0xf1ff
	v_xor_b32_e32 v10, s20, v10
	v_lshlrev_b32_e32 v4, 4, v4
	v_and_b32_e32 v5, v5, v8
	v_cmp_gt_i32_e64 s20, 0, v9
	v_ashrrev_i32_e32 v7, 31, v7
	s_wait_alu 0xfffd
	v_xor_b32_e32 v6, vcc_lo, v6
	v_add_nc_u32_e32 v35, v74, v4
	v_and_b32_e32 v5, v5, v10
	s_wait_alu 0xf1ff
	v_xor_b32_e32 v4, s20, v7
	ds_load_b32 v33, v35 offset:16
	v_and_b32_e32 v5, v5, v6
	; wave barrier
	s_delay_alu instid0(VALU_DEP_1) | instskip(NEXT) | instid1(VALU_DEP_1)
	v_and_b32_e32 v4, v5, v4
	v_mbcnt_lo_u32_b32 v34, v4, 0
	v_cmp_ne_u32_e64 s20, 0, v4
	s_delay_alu instid0(VALU_DEP_2)
	v_cmp_eq_u32_e32 vcc_lo, 0, v34
	s_and_b32 s23, s20, vcc_lo
	s_wait_alu 0xfffe
	s_and_saveexec_b32 s20, s23
	s_cbranch_execz .LBB157_97
; %bb.96:                               ;   in Loop: Header=BB157_81 Depth=1
	s_wait_dscnt 0x0
	v_bcnt_u32_b32 v4, v4, v33
	ds_store_b32 v35, v4 offset:16
.LBB157_97:                             ;   in Loop: Header=BB157_81 Depth=1
	s_wait_alu 0xfffe
	s_or_b32 exec_lo, exec_lo, s20
	; wave barrier
	s_wait_loadcnt_dscnt 0x0
	s_barrier_signal -1
	s_barrier_wait -1
	global_inv scope:SCOPE_SE
	ds_load_b128 v[8:11], v114 offset:16
	ds_load_b128 v[4:7], v114 offset:32
	s_wait_dscnt 0x1
	v_add_nc_u32_e32 v36, v9, v8
	s_delay_alu instid0(VALU_DEP_1) | instskip(SKIP_1) | instid1(VALU_DEP_1)
	v_add3_u32 v36, v36, v10, v11
	s_wait_dscnt 0x0
	v_add3_u32 v36, v36, v4, v5
	s_delay_alu instid0(VALU_DEP_1) | instskip(NEXT) | instid1(VALU_DEP_1)
	v_add3_u32 v7, v36, v6, v7
	v_mov_b32_dpp v36, v7 row_shr:1 row_mask:0xf bank_mask:0xf
	s_delay_alu instid0(VALU_DEP_1) | instskip(NEXT) | instid1(VALU_DEP_1)
	v_cndmask_b32_e64 v36, v36, 0, s0
	v_add_nc_u32_e32 v7, v36, v7
	s_delay_alu instid0(VALU_DEP_1) | instskip(NEXT) | instid1(VALU_DEP_1)
	v_mov_b32_dpp v36, v7 row_shr:2 row_mask:0xf bank_mask:0xf
	v_cndmask_b32_e64 v36, 0, v36, s10
	s_delay_alu instid0(VALU_DEP_1) | instskip(NEXT) | instid1(VALU_DEP_1)
	v_add_nc_u32_e32 v7, v7, v36
	v_mov_b32_dpp v36, v7 row_shr:4 row_mask:0xf bank_mask:0xf
	s_delay_alu instid0(VALU_DEP_1) | instskip(NEXT) | instid1(VALU_DEP_1)
	v_cndmask_b32_e64 v36, 0, v36, s11
	v_add_nc_u32_e32 v7, v7, v36
	s_delay_alu instid0(VALU_DEP_1) | instskip(NEXT) | instid1(VALU_DEP_1)
	v_mov_b32_dpp v36, v7 row_shr:8 row_mask:0xf bank_mask:0xf
	v_cndmask_b32_e64 v36, 0, v36, s12
	s_delay_alu instid0(VALU_DEP_1) | instskip(SKIP_3) | instid1(VALU_DEP_1)
	v_add_nc_u32_e32 v7, v7, v36
	ds_swizzle_b32 v36, v7 offset:swizzle(BROADCAST,32,15)
	s_wait_dscnt 0x0
	v_cndmask_b32_e64 v36, v36, 0, s13
	v_add_nc_u32_e32 v7, v7, v36
	s_and_saveexec_b32 s20, s14
; %bb.98:                               ;   in Loop: Header=BB157_81 Depth=1
	ds_store_b32 v115, v7
; %bb.99:                               ;   in Loop: Header=BB157_81 Depth=1
	s_wait_alu 0xfffe
	s_or_b32 exec_lo, exec_lo, s20
	s_wait_loadcnt_dscnt 0x0
	s_barrier_signal -1
	s_barrier_wait -1
	global_inv scope:SCOPE_SE
	s_and_saveexec_b32 s20, s15
	s_cbranch_execz .LBB157_101
; %bb.100:                              ;   in Loop: Header=BB157_81 Depth=1
	ds_load_b32 v36, v75
	s_wait_dscnt 0x0
	v_mov_b32_dpp v76, v36 row_shr:1 row_mask:0xf bank_mask:0xf
	s_delay_alu instid0(VALU_DEP_1) | instskip(NEXT) | instid1(VALU_DEP_1)
	v_cndmask_b32_e64 v76, v76, 0, s18
	v_add_nc_u32_e32 v36, v76, v36
	s_delay_alu instid0(VALU_DEP_1) | instskip(NEXT) | instid1(VALU_DEP_1)
	v_mov_b32_dpp v76, v36 row_shr:2 row_mask:0xf bank_mask:0xf
	v_cndmask_b32_e64 v76, 0, v76, s19
	s_delay_alu instid0(VALU_DEP_1)
	v_add_nc_u32_e32 v36, v36, v76
	ds_store_b32 v75, v36
.LBB157_101:                            ;   in Loop: Header=BB157_81 Depth=1
	s_wait_alu 0xfffe
	s_or_b32 exec_lo, exec_lo, s20
	v_mov_b32_e32 v36, 0
	s_wait_loadcnt_dscnt 0x0
	s_barrier_signal -1
	s_barrier_wait -1
	global_inv scope:SCOPE_SE
	s_and_saveexec_b32 s20, s16
; %bb.102:                              ;   in Loop: Header=BB157_81 Depth=1
	ds_load_b32 v36, v72
; %bb.103:                              ;   in Loop: Header=BB157_81 Depth=1
	s_wait_alu 0xfffe
	s_or_b32 exec_lo, exec_lo, s20
	s_wait_dscnt 0x0
	v_add_nc_u32_e32 v7, v36, v7
	v_cmp_lt_u32_e32 vcc_lo, 55, v37
	s_mov_b32 s20, -1
	ds_bpermute_b32 v7, v32, v7
	s_and_b32 vcc_lo, exec_lo, vcc_lo
	s_wait_dscnt 0x0
	v_cndmask_b32_e64 v7, v7, v36, s1
	s_delay_alu instid0(VALU_DEP_1) | instskip(NEXT) | instid1(VALU_DEP_1)
	v_cndmask_b32_e64 v7, v7, 0, s17
	v_add_nc_u32_e32 v8, v7, v8
	s_delay_alu instid0(VALU_DEP_1) | instskip(NEXT) | instid1(VALU_DEP_1)
	v_add_nc_u32_e32 v9, v8, v9
	v_add_nc_u32_e32 v10, v9, v10
	s_delay_alu instid0(VALU_DEP_1) | instskip(NEXT) | instid1(VALU_DEP_1)
	v_add_nc_u32_e32 v76, v10, v11
	;; [unrolled: 3-line block ×3, first 2 shown]
	v_add_nc_u32_e32 v79, v78, v6
	ds_store_b128 v114, v[7:10] offset:16
	ds_store_b128 v114, v[76:79] offset:32
	s_wait_loadcnt_dscnt 0x0
	s_barrier_signal -1
	s_barrier_wait -1
	global_inv scope:SCOPE_SE
	ds_load_b32 v4, v13 offset:16
	ds_load_b32 v5, v16 offset:16
	;; [unrolled: 1-line block ×8, first 2 shown]
	s_wait_dscnt 0x7
	v_add_nc_u32_e32 v83, v4, v12
	s_wait_dscnt 0x6
	v_add3_u32 v82, v15, v14, v5
	s_wait_dscnt 0x5
	v_add3_u32 v81, v18, v17, v6
	;; [unrolled: 2-line block ×7, first 2 shown]
                                        ; implicit-def: $vgpr35_vgpr36
                                        ; implicit-def: $vgpr14_vgpr15
                                        ; implicit-def: $vgpr10_vgpr11
                                        ; implicit-def: $vgpr6_vgpr7
                                        ; implicit-def: $vgpr30_vgpr31
                                        ; implicit-def: $vgpr26_vgpr27
                                        ; implicit-def: $vgpr22_vgpr23
                                        ; implicit-def: $vgpr18_vgpr19
	s_wait_alu 0xfffe
	s_cbranch_vccnz .LBB157_80
; %bb.104:                              ;   in Loop: Header=BB157_81 Depth=1
	v_lshlrev_b32_e32 v16, 3, v83
	v_lshlrev_b32_e32 v19, 3, v80
	;; [unrolled: 1-line block ×8, first 2 shown]
	s_wait_loadcnt 0x0
	s_barrier_signal -1
	s_barrier_wait -1
	global_inv scope:SCOPE_SE
	ds_store_b64 v16, v[39:40]
	ds_store_b64 v17, v[70:71]
	;; [unrolled: 1-line block ×8, first 2 shown]
	s_wait_loadcnt_dscnt 0x0
	s_barrier_signal -1
	s_barrier_wait -1
	global_inv scope:SCOPE_SE
	ds_load_2addr_b64 v[4:7], v73 offset1:32
	ds_load_2addr_b64 v[8:11], v73 offset0:64 offset1:96
	ds_load_2addr_b64 v[12:15], v73 offset0:128 offset1:160
	;; [unrolled: 1-line block ×3, first 2 shown]
	s_wait_loadcnt_dscnt 0x0
	s_barrier_signal -1
	s_barrier_wait -1
	global_inv scope:SCOPE_SE
	ds_store_b64 v16, v[61:62]
	ds_store_b64 v17, v[59:60]
	;; [unrolled: 1-line block ×8, first 2 shown]
	s_wait_loadcnt_dscnt 0x0
	s_barrier_signal -1
	s_barrier_wait -1
	global_inv scope:SCOPE_SE
	ds_load_2addr_b64 v[16:19], v73 offset1:32
	ds_load_2addr_b64 v[20:23], v73 offset0:64 offset1:96
	ds_load_2addr_b64 v[24:27], v73 offset0:128 offset1:160
	;; [unrolled: 1-line block ×3, first 2 shown]
	v_add_co_u32 v37, vcc_lo, v37, 8
	s_wait_alu 0xfffd
	v_add_co_ci_u32_e64 v38, null, 0, v38, vcc_lo
	s_add_co_i32 s22, s22, -8
	s_mov_b32 s20, 0
	s_wait_loadcnt_dscnt 0x0
	s_barrier_signal -1
	s_barrier_wait -1
	global_inv scope:SCOPE_SE
	s_branch .LBB157_80
.LBB157_105:
	v_lshlrev_b32_e32 v16, 3, v83
	v_lshlrev_b32_e32 v19, 3, v80
	;; [unrolled: 1-line block ×9, first 2 shown]
	s_wait_loadcnt 0x0
	s_barrier_signal -1
	s_barrier_wait -1
	global_inv scope:SCOPE_SE
	ds_store_b64 v16, v[39:40]
	ds_store_b64 v17, v[70:71]
	;; [unrolled: 1-line block ×8, first 2 shown]
	s_wait_loadcnt_dscnt 0x0
	s_barrier_signal -1
	s_barrier_wait -1
	global_inv scope:SCOPE_SE
	ds_load_b128 v[0:3], v24
	ds_load_b128 v[4:7], v24 offset:16
	ds_load_b128 v[8:11], v24 offset:32
	ds_load_b128 v[12:15], v24 offset:48
	s_wait_loadcnt_dscnt 0x0
	s_barrier_signal -1
	s_barrier_wait -1
	global_inv scope:SCOPE_SE
	ds_store_b64 v16, v[61:62]
	ds_store_b64 v17, v[59:60]
	;; [unrolled: 1-line block ×8, first 2 shown]
	s_wait_loadcnt_dscnt 0x0
	s_barrier_signal -1
	s_barrier_wait -1
	global_inv scope:SCOPE_SE
	ds_load_b128 v[45:48], v24
	ds_load_b128 v[41:44], v24 offset:16
	ds_load_b128 v[37:40], v24 offset:32
	;; [unrolled: 1-line block ×3, first 2 shown]
	v_xor_b32_e32 v50, 0x7fffffff, v1
	v_xor_b32_e32 v49, -1, v0
	v_xor_b32_e32 v52, 0x7fffffff, v3
	v_xor_b32_e32 v51, -1, v2
	;; [unrolled: 2-line block ×8, first 2 shown]
.LBB157_106:
	v_mad_co_u64_u32 v[2:3], null, s24, v69, 0
	s_wait_loadcnt_dscnt 0x0
	s_barrier_signal -1
	s_barrier_wait -1
	global_inv scope:SCOPE_SE
	ds_store_2addr_b64 v112, v[49:50], v[51:52] offset1:1
	ds_store_2addr_b64 v112, v[53:54], v[55:56] offset0:2 offset1:3
	ds_store_2addr_b64 v112, v[57:58], v[59:60] offset0:4 offset1:5
	ds_store_2addr_b64 v112, v[61:62], v[63:64] offset0:6 offset1:7
	s_wait_loadcnt_dscnt 0x0
	v_mov_b32_e32 v0, v3
	s_barrier_signal -1
	s_barrier_wait -1
	global_inv scope:SCOPE_SE
	v_mad_co_u64_u32 v[3:4], null, s25, v69, v[0:1]
	ds_load_b64 v[14:15], v105 offset:1024
	ds_load_b64 v[12:13], v106 offset:2048
	;; [unrolled: 1-line block ×7, first 2 shown]
	v_lshlrev_b64_e32 v[2:3], 3, v[2:3]
	s_delay_alu instid0(VALU_DEP_1) | instskip(SKIP_1) | instid1(VALU_DEP_2)
	v_add_co_u32 v2, vcc_lo, s28, v2
	s_wait_alu 0xfffd
	v_add_co_ci_u32_e64 v3, null, s29, v3, vcc_lo
	s_and_saveexec_b32 s0, s2
	s_cbranch_execnz .LBB157_125
; %bb.107:
	s_wait_alu 0xfffe
	s_or_b32 exec_lo, exec_lo, s0
	s_and_saveexec_b32 s0, s3
	s_cbranch_execnz .LBB157_126
.LBB157_108:
	s_wait_alu 0xfffe
	s_or_b32 exec_lo, exec_lo, s0
	s_and_saveexec_b32 s0, s4
	s_cbranch_execnz .LBB157_127
.LBB157_109:
	s_wait_alu 0xfffe
	s_or_b32 exec_lo, exec_lo, s0
	s_and_saveexec_b32 s0, s5
	s_cbranch_execnz .LBB157_128
.LBB157_110:
	s_wait_alu 0xfffe
	s_or_b32 exec_lo, exec_lo, s0
	s_and_saveexec_b32 s0, s6
	s_cbranch_execnz .LBB157_129
.LBB157_111:
	s_wait_alu 0xfffe
	s_or_b32 exec_lo, exec_lo, s0
	s_and_saveexec_b32 s0, s7
	s_cbranch_execnz .LBB157_130
.LBB157_112:
	s_wait_alu 0xfffe
	s_or_b32 exec_lo, exec_lo, s0
	s_and_saveexec_b32 s0, s8
	s_cbranch_execnz .LBB157_131
.LBB157_113:
	s_wait_alu 0xfffe
	s_or_b32 exec_lo, exec_lo, s0
	s_and_saveexec_b32 s0, s9
	s_cbranch_execz .LBB157_115
.LBB157_114:
	v_mad_co_u64_u32 v[2:3], null, 0x1c00, s24, v[2:3]
	s_wait_dscnt 0x1
	s_delay_alu instid0(VALU_DEP_1)
	v_mad_co_u64_u32 v[3:4], null, 0x1c00, s25, v[3:4]
	s_wait_dscnt 0x0
	global_store_b64 v[2:3], v[0:1], off
.LBB157_115:
	s_wait_alu 0xfffe
	s_or_b32 exec_lo, exec_lo, s0
	s_wait_kmcnt 0x0
	v_mad_co_u64_u32 v[2:3], null, s26, v69, 0
	s_wait_storecnt 0x0
	s_wait_loadcnt_dscnt 0x0
	s_barrier_signal -1
	s_barrier_wait -1
	global_inv scope:SCOPE_SE
	ds_store_2addr_b64 v112, v[45:46], v[47:48] offset1:1
	ds_store_2addr_b64 v112, v[41:42], v[43:44] offset0:2 offset1:3
	ds_store_2addr_b64 v112, v[37:38], v[39:40] offset0:4 offset1:5
	;; [unrolled: 1-line block ×3, first 2 shown]
	s_wait_loadcnt_dscnt 0x0
	v_mov_b32_e32 v0, v3
	s_barrier_signal -1
	s_barrier_wait -1
	global_inv scope:SCOPE_SE
	v_mad_co_u64_u32 v[3:4], null, s27, v69, v[0:1]
	ds_load_b64 v[14:15], v105 offset:1024
	ds_load_b64 v[12:13], v106 offset:2048
	;; [unrolled: 1-line block ×7, first 2 shown]
	v_lshlrev_b64_e32 v[2:3], 3, v[2:3]
	s_delay_alu instid0(VALU_DEP_1) | instskip(SKIP_1) | instid1(VALU_DEP_2)
	v_add_co_u32 v2, vcc_lo, s30, v2
	s_wait_alu 0xfffd
	v_add_co_ci_u32_e64 v3, null, s31, v3, vcc_lo
	s_and_saveexec_b32 s0, s2
	s_cbranch_execnz .LBB157_132
; %bb.116:
	s_wait_alu 0xfffe
	s_or_b32 exec_lo, exec_lo, s0
	s_and_saveexec_b32 s0, s3
	s_cbranch_execnz .LBB157_133
.LBB157_117:
	s_wait_alu 0xfffe
	s_or_b32 exec_lo, exec_lo, s0
	s_and_saveexec_b32 s0, s4
	s_cbranch_execnz .LBB157_134
.LBB157_118:
	s_wait_alu 0xfffe
	s_or_b32 exec_lo, exec_lo, s0
	s_and_saveexec_b32 s0, s5
	s_cbranch_execnz .LBB157_135
.LBB157_119:
	s_wait_alu 0xfffe
	s_or_b32 exec_lo, exec_lo, s0
	s_and_saveexec_b32 s0, s6
	s_cbranch_execnz .LBB157_136
.LBB157_120:
	s_wait_alu 0xfffe
	s_or_b32 exec_lo, exec_lo, s0
	s_and_saveexec_b32 s0, s7
	s_cbranch_execnz .LBB157_137
.LBB157_121:
	s_wait_alu 0xfffe
	s_or_b32 exec_lo, exec_lo, s0
	s_and_saveexec_b32 s0, s8
	s_cbranch_execnz .LBB157_138
.LBB157_122:
	s_wait_alu 0xfffe
	s_or_b32 exec_lo, exec_lo, s0
	s_and_saveexec_b32 s0, s9
	s_cbranch_execz .LBB157_124
.LBB157_123:
	v_mad_co_u64_u32 v[2:3], null, 0x1c00, s26, v[2:3]
	s_wait_dscnt 0x1
	s_delay_alu instid0(VALU_DEP_1)
	v_mad_co_u64_u32 v[3:4], null, 0x1c00, s27, v[3:4]
	s_wait_dscnt 0x0
	global_store_b64 v[2:3], v[0:1], off
.LBB157_124:
	s_nop 0
	s_sendmsg sendmsg(MSG_DEALLOC_VGPRS)
	s_endpgm
.LBB157_125:
	ds_load_b64 v[16:17], v104
	s_wait_dscnt 0x0
	global_store_b64 v[2:3], v[16:17], off
	s_wait_alu 0xfffe
	s_or_b32 exec_lo, exec_lo, s0
	s_and_saveexec_b32 s0, s3
	s_cbranch_execz .LBB157_108
.LBB157_126:
	s_lshl_b64 s[10:11], s[24:25], 10
	s_wait_alu 0xfffe
	v_add_co_u32 v16, vcc_lo, v2, s10
	s_wait_alu 0xfffd
	v_add_co_ci_u32_e64 v17, null, s11, v3, vcc_lo
	s_wait_dscnt 0x6
	global_store_b64 v[16:17], v[14:15], off
	s_or_b32 exec_lo, exec_lo, s0
	s_and_saveexec_b32 s0, s4
	s_cbranch_execz .LBB157_109
.LBB157_127:
	s_lshl_b64 s[10:11], s[24:25], 11
	s_wait_dscnt 0x6
	s_wait_alu 0xfffe
	v_add_co_u32 v14, vcc_lo, v2, s10
	s_wait_alu 0xfffd
	v_add_co_ci_u32_e64 v15, null, s11, v3, vcc_lo
	s_wait_dscnt 0x5
	global_store_b64 v[14:15], v[12:13], off
	s_or_b32 exec_lo, exec_lo, s0
	s_and_saveexec_b32 s0, s5
	s_cbranch_execz .LBB157_110
.LBB157_128:
	s_wait_dscnt 0x5
	v_mad_co_u64_u32 v[12:13], null, 0xc00, s24, v[2:3]
	s_delay_alu instid0(VALU_DEP_1)
	v_mad_co_u64_u32 v[13:14], null, 0xc00, s25, v[13:14]
	s_wait_dscnt 0x4
	global_store_b64 v[12:13], v[10:11], off
	s_wait_alu 0xfffe
	s_or_b32 exec_lo, exec_lo, s0
	s_and_saveexec_b32 s0, s6
	s_cbranch_execz .LBB157_111
.LBB157_129:
	s_lshl_b64 s[10:11], s[24:25], 12
	s_wait_dscnt 0x4
	s_wait_alu 0xfffe
	v_add_co_u32 v10, vcc_lo, v2, s10
	s_wait_alu 0xfffd
	v_add_co_ci_u32_e64 v11, null, s11, v3, vcc_lo
	s_wait_dscnt 0x3
	global_store_b64 v[10:11], v[8:9], off
	s_or_b32 exec_lo, exec_lo, s0
	s_and_saveexec_b32 s0, s7
	s_cbranch_execz .LBB157_112
.LBB157_130:
	s_wait_dscnt 0x3
	v_mad_co_u64_u32 v[8:9], null, 0x1400, s24, v[2:3]
	s_delay_alu instid0(VALU_DEP_1)
	v_mad_co_u64_u32 v[9:10], null, 0x1400, s25, v[9:10]
	s_wait_dscnt 0x2
	global_store_b64 v[8:9], v[6:7], off
	s_wait_alu 0xfffe
	s_or_b32 exec_lo, exec_lo, s0
	s_and_saveexec_b32 s0, s8
	s_cbranch_execz .LBB157_113
.LBB157_131:
	s_wait_dscnt 0x2
	v_mad_co_u64_u32 v[6:7], null, 0x1800, s24, v[2:3]
	s_delay_alu instid0(VALU_DEP_1)
	v_mad_co_u64_u32 v[7:8], null, 0x1800, s25, v[7:8]
	s_wait_dscnt 0x1
	global_store_b64 v[6:7], v[4:5], off
	s_wait_alu 0xfffe
	s_or_b32 exec_lo, exec_lo, s0
	s_and_saveexec_b32 s0, s9
	s_cbranch_execnz .LBB157_114
	s_branch .LBB157_115
.LBB157_132:
	ds_load_b64 v[16:17], v104
	s_wait_dscnt 0x0
	global_store_b64 v[2:3], v[16:17], off
	s_wait_alu 0xfffe
	s_or_b32 exec_lo, exec_lo, s0
	s_and_saveexec_b32 s0, s3
	s_cbranch_execz .LBB157_117
.LBB157_133:
	s_lshl_b64 s[2:3], s[26:27], 10
	s_delay_alu instid0(SALU_CYCLE_1)
	v_add_co_u32 v16, vcc_lo, v2, s2
	s_wait_alu 0xfffd
	v_add_co_ci_u32_e64 v17, null, s3, v3, vcc_lo
	s_wait_dscnt 0x6
	global_store_b64 v[16:17], v[14:15], off
	s_wait_alu 0xfffe
	s_or_b32 exec_lo, exec_lo, s0
	s_and_saveexec_b32 s0, s4
	s_cbranch_execz .LBB157_118
.LBB157_134:
	s_lshl_b64 s[2:3], s[26:27], 11
	s_wait_dscnt 0x6
	s_wait_alu 0xfffe
	v_add_co_u32 v14, vcc_lo, v2, s2
	s_wait_alu 0xfffd
	v_add_co_ci_u32_e64 v15, null, s3, v3, vcc_lo
	s_wait_dscnt 0x5
	global_store_b64 v[14:15], v[12:13], off
	s_or_b32 exec_lo, exec_lo, s0
	s_and_saveexec_b32 s0, s5
	s_cbranch_execz .LBB157_119
.LBB157_135:
	s_wait_dscnt 0x5
	v_mad_co_u64_u32 v[12:13], null, 0xc00, s26, v[2:3]
	s_delay_alu instid0(VALU_DEP_1)
	v_mad_co_u64_u32 v[13:14], null, 0xc00, s27, v[13:14]
	s_wait_dscnt 0x4
	global_store_b64 v[12:13], v[10:11], off
	s_wait_alu 0xfffe
	s_or_b32 exec_lo, exec_lo, s0
	s_and_saveexec_b32 s0, s6
	s_cbranch_execz .LBB157_120
.LBB157_136:
	s_lshl_b64 s[2:3], s[26:27], 12
	s_wait_dscnt 0x4
	s_wait_alu 0xfffe
	v_add_co_u32 v10, vcc_lo, v2, s2
	s_wait_alu 0xfffd
	v_add_co_ci_u32_e64 v11, null, s3, v3, vcc_lo
	s_wait_dscnt 0x3
	global_store_b64 v[10:11], v[8:9], off
	s_or_b32 exec_lo, exec_lo, s0
	s_and_saveexec_b32 s0, s7
	s_cbranch_execz .LBB157_121
.LBB157_137:
	s_wait_dscnt 0x3
	v_mad_co_u64_u32 v[8:9], null, 0x1400, s26, v[2:3]
	s_delay_alu instid0(VALU_DEP_1)
	v_mad_co_u64_u32 v[9:10], null, 0x1400, s27, v[9:10]
	s_wait_dscnt 0x2
	global_store_b64 v[8:9], v[6:7], off
	s_wait_alu 0xfffe
	s_or_b32 exec_lo, exec_lo, s0
	s_and_saveexec_b32 s0, s8
	s_cbranch_execz .LBB157_122
.LBB157_138:
	s_wait_dscnt 0x2
	v_mad_co_u64_u32 v[6:7], null, 0x1800, s26, v[2:3]
	s_delay_alu instid0(VALU_DEP_1)
	v_mad_co_u64_u32 v[7:8], null, 0x1800, s27, v[7:8]
	s_wait_dscnt 0x1
	global_store_b64 v[6:7], v[4:5], off
	s_wait_alu 0xfffe
	s_or_b32 exec_lo, exec_lo, s0
	s_and_saveexec_b32 s0, s9
	s_cbranch_execnz .LBB157_123
	s_branch .LBB157_124
	.section	.rodata,"a",@progbits
	.p2align	6, 0x0
	.amdhsa_kernel _ZN2at6native18radixSortKVInPlaceILin1ELin1ELi128ELi8EllmEEvNS_4cuda6detail10TensorInfoIT3_T5_EES6_S6_S6_NS4_IT4_S6_EES6_b
		.amdhsa_group_segment_fixed_size 8448
		.amdhsa_private_segment_fixed_size 0
		.amdhsa_kernarg_size 1128
		.amdhsa_user_sgpr_count 2
		.amdhsa_user_sgpr_dispatch_ptr 0
		.amdhsa_user_sgpr_queue_ptr 0
		.amdhsa_user_sgpr_kernarg_segment_ptr 1
		.amdhsa_user_sgpr_dispatch_id 0
		.amdhsa_user_sgpr_private_segment_size 0
		.amdhsa_wavefront_size32 1
		.amdhsa_uses_dynamic_stack 0
		.amdhsa_enable_private_segment 0
		.amdhsa_system_sgpr_workgroup_id_x 1
		.amdhsa_system_sgpr_workgroup_id_y 1
		.amdhsa_system_sgpr_workgroup_id_z 1
		.amdhsa_system_sgpr_workgroup_info 0
		.amdhsa_system_vgpr_workitem_id 2
		.amdhsa_next_free_vgpr 139
		.amdhsa_next_free_sgpr 40
		.amdhsa_reserve_vcc 1
		.amdhsa_float_round_mode_32 0
		.amdhsa_float_round_mode_16_64 0
		.amdhsa_float_denorm_mode_32 3
		.amdhsa_float_denorm_mode_16_64 3
		.amdhsa_fp16_overflow 0
		.amdhsa_workgroup_processor_mode 1
		.amdhsa_memory_ordered 1
		.amdhsa_forward_progress 1
		.amdhsa_inst_pref_size 125
		.amdhsa_round_robin_scheduling 0
		.amdhsa_exception_fp_ieee_invalid_op 0
		.amdhsa_exception_fp_denorm_src 0
		.amdhsa_exception_fp_ieee_div_zero 0
		.amdhsa_exception_fp_ieee_overflow 0
		.amdhsa_exception_fp_ieee_underflow 0
		.amdhsa_exception_fp_ieee_inexact 0
		.amdhsa_exception_int_div_zero 0
	.end_amdhsa_kernel
	.section	.text._ZN2at6native18radixSortKVInPlaceILin1ELin1ELi128ELi8EllmEEvNS_4cuda6detail10TensorInfoIT3_T5_EES6_S6_S6_NS4_IT4_S6_EES6_b,"axG",@progbits,_ZN2at6native18radixSortKVInPlaceILin1ELin1ELi128ELi8EllmEEvNS_4cuda6detail10TensorInfoIT3_T5_EES6_S6_S6_NS4_IT4_S6_EES6_b,comdat
.Lfunc_end157:
	.size	_ZN2at6native18radixSortKVInPlaceILin1ELin1ELi128ELi8EllmEEvNS_4cuda6detail10TensorInfoIT3_T5_EES6_S6_S6_NS4_IT4_S6_EES6_b, .Lfunc_end157-_ZN2at6native18radixSortKVInPlaceILin1ELin1ELi128ELi8EllmEEvNS_4cuda6detail10TensorInfoIT3_T5_EES6_S6_S6_NS4_IT4_S6_EES6_b
                                        ; -- End function
	.set _ZN2at6native18radixSortKVInPlaceILin1ELin1ELi128ELi8EllmEEvNS_4cuda6detail10TensorInfoIT3_T5_EES6_S6_S6_NS4_IT4_S6_EES6_b.num_vgpr, 139
	.set _ZN2at6native18radixSortKVInPlaceILin1ELin1ELi128ELi8EllmEEvNS_4cuda6detail10TensorInfoIT3_T5_EES6_S6_S6_NS4_IT4_S6_EES6_b.num_agpr, 0
	.set _ZN2at6native18radixSortKVInPlaceILin1ELin1ELi128ELi8EllmEEvNS_4cuda6detail10TensorInfoIT3_T5_EES6_S6_S6_NS4_IT4_S6_EES6_b.numbered_sgpr, 40
	.set _ZN2at6native18radixSortKVInPlaceILin1ELin1ELi128ELi8EllmEEvNS_4cuda6detail10TensorInfoIT3_T5_EES6_S6_S6_NS4_IT4_S6_EES6_b.num_named_barrier, 0
	.set _ZN2at6native18radixSortKVInPlaceILin1ELin1ELi128ELi8EllmEEvNS_4cuda6detail10TensorInfoIT3_T5_EES6_S6_S6_NS4_IT4_S6_EES6_b.private_seg_size, 0
	.set _ZN2at6native18radixSortKVInPlaceILin1ELin1ELi128ELi8EllmEEvNS_4cuda6detail10TensorInfoIT3_T5_EES6_S6_S6_NS4_IT4_S6_EES6_b.uses_vcc, 1
	.set _ZN2at6native18radixSortKVInPlaceILin1ELin1ELi128ELi8EllmEEvNS_4cuda6detail10TensorInfoIT3_T5_EES6_S6_S6_NS4_IT4_S6_EES6_b.uses_flat_scratch, 0
	.set _ZN2at6native18radixSortKVInPlaceILin1ELin1ELi128ELi8EllmEEvNS_4cuda6detail10TensorInfoIT3_T5_EES6_S6_S6_NS4_IT4_S6_EES6_b.has_dyn_sized_stack, 0
	.set _ZN2at6native18radixSortKVInPlaceILin1ELin1ELi128ELi8EllmEEvNS_4cuda6detail10TensorInfoIT3_T5_EES6_S6_S6_NS4_IT4_S6_EES6_b.has_recursion, 0
	.set _ZN2at6native18radixSortKVInPlaceILin1ELin1ELi128ELi8EllmEEvNS_4cuda6detail10TensorInfoIT3_T5_EES6_S6_S6_NS4_IT4_S6_EES6_b.has_indirect_call, 0
	.section	.AMDGPU.csdata,"",@progbits
; Kernel info:
; codeLenInByte = 15992
; TotalNumSgprs: 42
; NumVgprs: 139
; ScratchSize: 0
; MemoryBound: 0
; FloatMode: 240
; IeeeMode: 1
; LDSByteSize: 8448 bytes/workgroup (compile time only)
; SGPRBlocks: 0
; VGPRBlocks: 17
; NumSGPRsForWavesPerEU: 42
; NumVGPRsForWavesPerEU: 139
; Occupancy: 10
; WaveLimiterHint : 1
; COMPUTE_PGM_RSRC2:SCRATCH_EN: 0
; COMPUTE_PGM_RSRC2:USER_SGPR: 2
; COMPUTE_PGM_RSRC2:TRAP_HANDLER: 0
; COMPUTE_PGM_RSRC2:TGID_X_EN: 1
; COMPUTE_PGM_RSRC2:TGID_Y_EN: 1
; COMPUTE_PGM_RSRC2:TGID_Z_EN: 1
; COMPUTE_PGM_RSRC2:TIDIG_COMP_CNT: 2
	.section	.text._ZN2at6native18radixSortKVInPlaceILin1ELin1ELi32ELi4EllmEEvNS_4cuda6detail10TensorInfoIT3_T5_EES6_S6_S6_NS4_IT4_S6_EES6_b,"axG",@progbits,_ZN2at6native18radixSortKVInPlaceILin1ELin1ELi32ELi4EllmEEvNS_4cuda6detail10TensorInfoIT3_T5_EES6_S6_S6_NS4_IT4_S6_EES6_b,comdat
	.protected	_ZN2at6native18radixSortKVInPlaceILin1ELin1ELi32ELi4EllmEEvNS_4cuda6detail10TensorInfoIT3_T5_EES6_S6_S6_NS4_IT4_S6_EES6_b ; -- Begin function _ZN2at6native18radixSortKVInPlaceILin1ELin1ELi32ELi4EllmEEvNS_4cuda6detail10TensorInfoIT3_T5_EES6_S6_S6_NS4_IT4_S6_EES6_b
	.globl	_ZN2at6native18radixSortKVInPlaceILin1ELin1ELi32ELi4EllmEEvNS_4cuda6detail10TensorInfoIT3_T5_EES6_S6_S6_NS4_IT4_S6_EES6_b
	.p2align	8
	.type	_ZN2at6native18radixSortKVInPlaceILin1ELin1ELi32ELi4EllmEEvNS_4cuda6detail10TensorInfoIT3_T5_EES6_S6_S6_NS4_IT4_S6_EES6_b,@function
_ZN2at6native18radixSortKVInPlaceILin1ELin1ELi32ELi4EllmEEvNS_4cuda6detail10TensorInfoIT3_T5_EES6_S6_S6_NS4_IT4_S6_EES6_b: ; @_ZN2at6native18radixSortKVInPlaceILin1ELin1ELi32ELi4EllmEEvNS_4cuda6detail10TensorInfoIT3_T5_EES6_S6_S6_NS4_IT4_S6_EES6_b
; %bb.0:
	s_clause 0x1
	s_load_b64 s[2:3], s[0:1], 0x368
	s_load_b128 s[12:15], s[0:1], 0x1a0
	s_lshr_b32 s4, ttmp7, 16
	s_and_b32 s5, ttmp7, 0xffff
	s_wait_kmcnt 0x0
	s_mul_i32 s3, s3, s4
	s_delay_alu instid0(SALU_CYCLE_1) | instskip(SKIP_2) | instid1(SALU_CYCLE_1)
	s_add_co_i32 s3, s3, s5
	s_mov_b32 s5, 0
	s_mul_i32 s2, s3, s2
	s_add_co_i32 s4, s2, ttmp9
	s_delay_alu instid0(SALU_CYCLE_1)
	v_cmp_le_u64_e64 s2, s[12:13], s[4:5]
	s_and_b32 vcc_lo, exec_lo, s2
	s_cbranch_vccnz .LBB158_76
; %bb.1:
	s_clause 0x1
	s_load_b32 s9, s[0:1], 0x198
	s_load_b64 s[12:13], s[0:1], 0x1b0
	s_mov_b64 s[2:3], 0
	s_mov_b64 s[6:7], s[4:5]
	s_wait_kmcnt 0x0
	s_cmp_lt_i32 s9, 2
	s_cbranch_scc1 .LBB158_9
; %bb.2:
	s_mov_b32 s8, 0
	s_add_co_i32 s2, s9, -1
	s_mov_b32 s3, s8
	s_add_co_i32 s15, s9, 1
	s_lshl_b64 s[2:3], s[2:3], 3
	s_mov_b64 s[16:17], s[4:5]
	s_add_nc_u64 s[6:7], s[0:1], s[2:3]
	s_mov_b64 s[2:3], 0
	s_add_nc_u64 s[10:11], s[6:7], 8
.LBB158_3:                              ; =>This Inner Loop Header: Depth=1
	s_load_b64 s[18:19], s[10:11], 0x0
	s_wait_kmcnt 0x0
	s_or_b64 s[6:7], s[16:17], s[18:19]
	s_wait_alu 0xfffe
	s_mov_b32 s9, s7
                                        ; implicit-def: $sgpr6_sgpr7
	s_delay_alu instid0(SALU_CYCLE_1)
	s_cmp_lg_u64 s[8:9], 0
	s_mov_b32 s9, -1
	s_cbranch_scc0 .LBB158_5
; %bb.4:                                ;   in Loop: Header=BB158_3 Depth=1
	s_cvt_f32_u32 s6, s18
	s_cvt_f32_u32 s7, s19
	s_sub_nc_u64 s[20:21], 0, s[18:19]
	s_mov_b32 s23, s8
	s_mov_b32 s27, s8
	s_wait_alu 0xfffe
	s_fmamk_f32 s6, s7, 0x4f800000, s6
	s_wait_alu 0xfffe
	s_delay_alu instid0(SALU_CYCLE_2) | instskip(NEXT) | instid1(TRANS32_DEP_1)
	v_s_rcp_f32 s6, s6
	s_mul_f32 s6, s6, 0x5f7ffffc
	s_wait_alu 0xfffe
	s_delay_alu instid0(SALU_CYCLE_2) | instskip(SKIP_1) | instid1(SALU_CYCLE_2)
	s_mul_f32 s7, s6, 0x2f800000
	s_wait_alu 0xfffe
	s_trunc_f32 s7, s7
	s_wait_alu 0xfffe
	s_delay_alu instid0(SALU_CYCLE_2) | instskip(SKIP_2) | instid1(SALU_CYCLE_1)
	s_fmamk_f32 s6, s7, 0xcf800000, s6
	s_cvt_u32_f32 s7, s7
	s_wait_alu 0xfffe
	s_cvt_u32_f32 s6, s6
	s_wait_alu 0xfffe
	s_delay_alu instid0(SALU_CYCLE_2) | instskip(NEXT) | instid1(SALU_CYCLE_1)
	s_mul_u64 s[24:25], s[20:21], s[6:7]
	s_mul_hi_u32 s29, s6, s25
	s_mul_i32 s28, s6, s25
	s_mul_hi_u32 s22, s6, s24
	s_mul_i32 s26, s7, s24
	s_add_nc_u64 s[22:23], s[22:23], s[28:29]
	s_mul_hi_u32 s9, s7, s24
	s_mul_hi_u32 s30, s7, s25
	s_add_co_u32 s22, s22, s26
	s_add_co_ci_u32 s26, s23, s9
	s_mul_i32 s24, s7, s25
	s_add_co_ci_u32 s25, s30, 0
	s_delay_alu instid0(SALU_CYCLE_1) | instskip(SKIP_3) | instid1(SALU_CYCLE_1)
	s_add_nc_u64 s[22:23], s[26:27], s[24:25]
	s_mov_b32 s25, s8
	s_add_co_u32 s6, s6, s22
	s_cselect_b32 s9, -1, 0
	s_cmp_lg_u32 s9, 0
	s_add_co_ci_u32 s7, s7, s23
	s_mov_b32 s23, s8
	s_wait_alu 0xfffe
	s_mul_u64 s[20:21], s[20:21], s[6:7]
	s_delay_alu instid0(SALU_CYCLE_1)
	s_mul_hi_u32 s27, s6, s21
	s_mul_i32 s26, s6, s21
	s_mul_hi_u32 s22, s6, s20
	s_mul_i32 s24, s7, s20
	s_add_nc_u64 s[22:23], s[22:23], s[26:27]
	s_mul_hi_u32 s9, s7, s20
	s_mul_hi_u32 s28, s7, s21
	s_mul_i32 s20, s7, s21
	s_add_co_u32 s21, s22, s24
	s_add_co_ci_u32 s24, s23, s9
	s_add_co_ci_u32 s21, s28, 0
	s_mov_b32 s23, s8
	s_add_nc_u64 s[20:21], s[24:25], s[20:21]
	s_delay_alu instid0(SALU_CYCLE_1)
	s_add_co_u32 s6, s6, s20
	s_cselect_b32 s9, -1, 0
	s_wait_alu 0xfffe
	s_mul_hi_u32 s22, s16, s6
	s_cmp_lg_u32 s9, 0
	s_mul_hi_u32 s9, s17, s6
	s_add_co_ci_u32 s20, s7, s21
	s_mul_i32 s21, s17, s6
	s_mul_hi_u32 s7, s16, s20
	s_mul_i32 s6, s16, s20
	s_mul_hi_u32 s26, s17, s20
	s_wait_alu 0xfffe
	s_add_nc_u64 s[6:7], s[22:23], s[6:7]
	s_mul_i32 s20, s17, s20
	s_wait_alu 0xfffe
	s_add_co_u32 s6, s6, s21
	s_add_co_ci_u32 s24, s7, s9
	s_add_co_ci_u32 s21, s26, 0
	s_delay_alu instid0(SALU_CYCLE_1) | instskip(SKIP_2) | instid1(SALU_CYCLE_1)
	s_add_nc_u64 s[6:7], s[24:25], s[20:21]
	s_wait_alu 0xfffe
	s_mul_u64 s[20:21], s[18:19], s[6:7]
	s_sub_co_u32 s9, s16, s20
	s_cselect_b32 s20, -1, 0
	s_sub_co_i32 s22, s17, s21
	s_cmp_lg_u32 s20, 0
	s_sub_co_ci_u32 s22, s22, s19
	s_sub_co_u32 s23, s9, s18
	s_cselect_b32 s24, -1, 0
	s_delay_alu instid0(SALU_CYCLE_1) | instskip(SKIP_1) | instid1(SALU_CYCLE_1)
	s_cmp_lg_u32 s24, 0
	s_sub_co_ci_u32 s22, s22, 0
	s_cmp_ge_u32 s22, s19
	s_cselect_b32 s24, -1, 0
	s_cmp_ge_u32 s23, s18
	s_cselect_b32 s25, -1, 0
	s_cmp_eq_u32 s22, s19
	s_add_nc_u64 s[22:23], s[6:7], 1
	s_cselect_b32 s26, s25, s24
	s_add_nc_u64 s[24:25], s[6:7], 2
	s_cmp_lg_u32 s26, 0
	s_cselect_b32 s22, s24, s22
	s_cselect_b32 s23, s25, s23
	s_cmp_lg_u32 s20, 0
	s_sub_co_ci_u32 s20, s17, s21
	s_delay_alu instid0(SALU_CYCLE_1)
	s_cmp_ge_u32 s20, s19
	s_cselect_b32 s21, -1, 0
	s_cmp_ge_u32 s9, s18
	s_cselect_b32 s9, -1, 0
	s_cmp_eq_u32 s20, s19
	s_cselect_b32 s9, s9, s21
	s_delay_alu instid0(SALU_CYCLE_1)
	s_cmp_lg_u32 s9, 0
	s_mov_b32 s9, 0
	s_cselect_b32 s7, s23, s7
	s_cselect_b32 s6, s22, s6
.LBB158_5:                              ;   in Loop: Header=BB158_3 Depth=1
	s_and_not1_b32 vcc_lo, exec_lo, s9
	s_cbranch_vccnz .LBB158_7
; %bb.6:                                ;   in Loop: Header=BB158_3 Depth=1
	v_cvt_f32_u32_e32 v1, s18
	s_sub_co_i32 s7, 0, s18
	s_delay_alu instid0(VALU_DEP_1) | instskip(NEXT) | instid1(TRANS32_DEP_1)
	v_rcp_iflag_f32_e32 v1, v1
	v_mul_f32_e32 v1, 0x4f7ffffe, v1
	s_delay_alu instid0(VALU_DEP_1) | instskip(NEXT) | instid1(VALU_DEP_1)
	v_cvt_u32_f32_e32 v1, v1
	v_readfirstlane_b32 s6, v1
	s_wait_alu 0xfffe
	s_mul_i32 s7, s7, s6
	s_wait_alu 0xfffe
	s_mul_hi_u32 s7, s6, s7
	s_wait_alu 0xfffe
	s_add_co_i32 s6, s6, s7
	s_wait_alu 0xfffe
	s_mul_hi_u32 s6, s16, s6
	s_wait_alu 0xfffe
	s_mul_i32 s7, s6, s18
	s_add_co_i32 s9, s6, 1
	s_wait_alu 0xfffe
	s_sub_co_i32 s7, s16, s7
	s_wait_alu 0xfffe
	s_sub_co_i32 s20, s7, s18
	s_cmp_ge_u32 s7, s18
	s_cselect_b32 s6, s9, s6
	s_cselect_b32 s7, s20, s7
	s_wait_alu 0xfffe
	s_add_co_i32 s9, s6, 1
	s_cmp_ge_u32 s7, s18
	s_mov_b32 s7, s8
	s_cselect_b32 s6, s9, s6
.LBB158_7:                              ;   in Loop: Header=BB158_3 Depth=1
	s_load_b64 s[20:21], s[10:11], 0xc8
	s_mul_u64 s[18:19], s[6:7], s[18:19]
	s_add_co_i32 s15, s15, -1
	s_wait_alu 0xfffe
	s_sub_nc_u64 s[16:17], s[16:17], s[18:19]
	s_cmp_gt_u32 s15, 2
	s_add_nc_u64 s[10:11], s[10:11], -8
	s_wait_kmcnt 0x0
	s_mul_u64 s[16:17], s[20:21], s[16:17]
	s_delay_alu instid0(SALU_CYCLE_1)
	s_add_nc_u64 s[2:3], s[16:17], s[2:3]
	s_cbranch_scc0 .LBB158_9
; %bb.8:                                ;   in Loop: Header=BB158_3 Depth=1
	s_mov_b64 s[16:17], s[6:7]
	s_branch .LBB158_3
.LBB158_9:
	s_load_b32 s9, s[0:1], 0x350
	s_add_nc_u64 s[20:21], s[0:1], 0x368
	s_mov_b64 s[18:19], 0
	s_wait_kmcnt 0x0
	s_cmp_lt_i32 s9, 2
	s_cbranch_scc1 .LBB158_17
; %bb.10:
	s_mov_b32 s8, 0
	s_add_co_i32 s10, s9, -1
	s_mov_b32 s11, s8
	s_add_co_i32 s15, s9, 1
	s_lshl_b64 s[10:11], s[10:11], 3
	s_delay_alu instid0(SALU_CYCLE_1) | instskip(NEXT) | instid1(SALU_CYCLE_1)
	s_add_nc_u64 s[10:11], s[0:1], s[10:11]
	s_add_nc_u64 s[10:11], s[10:11], 0x1c0
.LBB158_11:                             ; =>This Inner Loop Header: Depth=1
	s_load_b64 s[16:17], s[10:11], 0x0
	s_wait_kmcnt 0x0
	s_or_b64 s[22:23], s[4:5], s[16:17]
	s_delay_alu instid0(SALU_CYCLE_1)
	s_mov_b32 s9, s23
                                        ; implicit-def: $sgpr22_sgpr23
	s_wait_alu 0xfffe
	s_cmp_lg_u64 s[8:9], 0
	s_mov_b32 s9, -1
	s_cbranch_scc0 .LBB158_13
; %bb.12:                               ;   in Loop: Header=BB158_11 Depth=1
	s_cvt_f32_u32 s9, s16
	s_cvt_f32_u32 s22, s17
	s_sub_nc_u64 s[24:25], 0, s[16:17]
	s_mov_b32 s27, s8
	s_mov_b32 s31, s8
	s_wait_alu 0xfffe
	s_fmamk_f32 s9, s22, 0x4f800000, s9
	s_wait_alu 0xfffe
	s_delay_alu instid0(SALU_CYCLE_2) | instskip(NEXT) | instid1(TRANS32_DEP_1)
	v_s_rcp_f32 s9, s9
	s_mul_f32 s9, s9, 0x5f7ffffc
	s_wait_alu 0xfffe
	s_delay_alu instid0(SALU_CYCLE_2) | instskip(NEXT) | instid1(SALU_CYCLE_3)
	s_mul_f32 s22, s9, 0x2f800000
	s_trunc_f32 s22, s22
	s_delay_alu instid0(SALU_CYCLE_3) | instskip(SKIP_2) | instid1(SALU_CYCLE_1)
	s_fmamk_f32 s9, s22, 0xcf800000, s9
	s_cvt_u32_f32 s23, s22
	s_wait_alu 0xfffe
	s_cvt_u32_f32 s22, s9
	s_delay_alu instid0(SALU_CYCLE_3) | instskip(NEXT) | instid1(SALU_CYCLE_1)
	s_mul_u64 s[28:29], s[24:25], s[22:23]
	s_mul_hi_u32 s35, s22, s29
	s_mul_i32 s34, s22, s29
	s_mul_hi_u32 s26, s22, s28
	s_mul_i32 s30, s23, s28
	s_add_nc_u64 s[26:27], s[26:27], s[34:35]
	s_mul_hi_u32 s9, s23, s28
	s_mul_hi_u32 s33, s23, s29
	s_add_co_u32 s26, s26, s30
	s_wait_alu 0xfffe
	s_add_co_ci_u32 s30, s27, s9
	s_mul_i32 s28, s23, s29
	s_add_co_ci_u32 s29, s33, 0
	s_delay_alu instid0(SALU_CYCLE_1)
	s_add_nc_u64 s[26:27], s[30:31], s[28:29]
	s_mov_b32 s29, s8
	s_add_co_u32 s22, s22, s26
	s_cselect_b32 s9, -1, 0
	s_wait_alu 0xfffe
	s_cmp_lg_u32 s9, 0
	s_add_co_ci_u32 s23, s23, s27
	s_mov_b32 s27, s8
	s_mul_u64 s[24:25], s[24:25], s[22:23]
	s_delay_alu instid0(SALU_CYCLE_1)
	s_mul_hi_u32 s31, s22, s25
	s_mul_i32 s30, s22, s25
	s_mul_hi_u32 s26, s22, s24
	s_mul_i32 s28, s23, s24
	s_add_nc_u64 s[26:27], s[26:27], s[30:31]
	s_mul_hi_u32 s9, s23, s24
	s_mul_hi_u32 s33, s23, s25
	s_mul_i32 s24, s23, s25
	s_add_co_u32 s25, s26, s28
	s_wait_alu 0xfffe
	s_add_co_ci_u32 s28, s27, s9
	s_add_co_ci_u32 s25, s33, 0
	s_mov_b32 s27, s8
	s_add_nc_u64 s[24:25], s[28:29], s[24:25]
	s_delay_alu instid0(SALU_CYCLE_1)
	s_add_co_u32 s9, s22, s24
	s_cselect_b32 s22, -1, 0
	s_wait_alu 0xfffe
	s_mul_hi_u32 s26, s4, s9
	s_cmp_lg_u32 s22, 0
	s_mul_hi_u32 s28, s5, s9
	s_add_co_ci_u32 s24, s23, s25
	s_mul_i32 s9, s5, s9
	s_mul_hi_u32 s23, s4, s24
	s_mul_i32 s22, s4, s24
	s_mul_hi_u32 s25, s5, s24
	s_add_nc_u64 s[22:23], s[26:27], s[22:23]
	s_mul_i32 s24, s5, s24
	s_wait_alu 0xfffe
	s_add_co_u32 s9, s22, s9
	s_add_co_ci_u32 s28, s23, s28
	s_add_co_ci_u32 s25, s25, 0
	s_delay_alu instid0(SALU_CYCLE_1) | instskip(NEXT) | instid1(SALU_CYCLE_1)
	s_add_nc_u64 s[22:23], s[28:29], s[24:25]
	s_mul_u64 s[24:25], s[16:17], s[22:23]
	s_delay_alu instid0(SALU_CYCLE_1)
	s_sub_co_u32 s9, s4, s24
	s_cselect_b32 s24, -1, 0
	s_sub_co_i32 s26, s5, s25
	s_cmp_lg_u32 s24, 0
	s_sub_co_ci_u32 s26, s26, s17
	s_wait_alu 0xfffe
	s_sub_co_u32 s27, s9, s16
	s_cselect_b32 s28, -1, 0
	s_delay_alu instid0(SALU_CYCLE_1) | instskip(SKIP_1) | instid1(SALU_CYCLE_1)
	s_cmp_lg_u32 s28, 0
	s_sub_co_ci_u32 s26, s26, 0
	s_cmp_ge_u32 s26, s17
	s_cselect_b32 s28, -1, 0
	s_cmp_ge_u32 s27, s16
	s_cselect_b32 s29, -1, 0
	s_cmp_eq_u32 s26, s17
	s_add_nc_u64 s[26:27], s[22:23], 1
	s_cselect_b32 s30, s29, s28
	s_add_nc_u64 s[28:29], s[22:23], 2
	s_cmp_lg_u32 s30, 0
	s_cselect_b32 s26, s28, s26
	s_cselect_b32 s27, s29, s27
	s_cmp_lg_u32 s24, 0
	s_sub_co_ci_u32 s24, s5, s25
	s_delay_alu instid0(SALU_CYCLE_1)
	s_cmp_ge_u32 s24, s17
	s_cselect_b32 s25, -1, 0
	s_cmp_ge_u32 s9, s16
	s_cselect_b32 s9, -1, 0
	s_cmp_eq_u32 s24, s17
	s_wait_alu 0xfffe
	s_cselect_b32 s9, s9, s25
	s_wait_alu 0xfffe
	s_cmp_lg_u32 s9, 0
	s_mov_b32 s9, 0
	s_cselect_b32 s23, s27, s23
	s_cselect_b32 s22, s26, s22
.LBB158_13:                             ;   in Loop: Header=BB158_11 Depth=1
	s_wait_alu 0xfffe
	s_and_not1_b32 vcc_lo, exec_lo, s9
	s_cbranch_vccnz .LBB158_15
; %bb.14:                               ;   in Loop: Header=BB158_11 Depth=1
	v_cvt_f32_u32_e32 v1, s16
	s_sub_co_i32 s22, 0, s16
	s_delay_alu instid0(VALU_DEP_1) | instskip(NEXT) | instid1(TRANS32_DEP_1)
	v_rcp_iflag_f32_e32 v1, v1
	v_mul_f32_e32 v1, 0x4f7ffffe, v1
	s_delay_alu instid0(VALU_DEP_1) | instskip(NEXT) | instid1(VALU_DEP_1)
	v_cvt_u32_f32_e32 v1, v1
	v_readfirstlane_b32 s9, v1
	s_mul_i32 s22, s22, s9
	s_delay_alu instid0(SALU_CYCLE_1) | instskip(NEXT) | instid1(SALU_CYCLE_1)
	s_mul_hi_u32 s22, s9, s22
	s_add_co_i32 s9, s9, s22
	s_wait_alu 0xfffe
	s_mul_hi_u32 s9, s4, s9
	s_wait_alu 0xfffe
	s_mul_i32 s22, s9, s16
	s_add_co_i32 s23, s9, 1
	s_sub_co_i32 s22, s4, s22
	s_delay_alu instid0(SALU_CYCLE_1)
	s_sub_co_i32 s24, s22, s16
	s_cmp_ge_u32 s22, s16
	s_cselect_b32 s9, s23, s9
	s_cselect_b32 s22, s24, s22
	s_wait_alu 0xfffe
	s_add_co_i32 s23, s9, 1
	s_cmp_ge_u32 s22, s16
	s_cselect_b32 s22, s23, s9
	s_mov_b32 s23, s8
.LBB158_15:                             ;   in Loop: Header=BB158_11 Depth=1
	s_load_b64 s[24:25], s[10:11], 0xc8
	s_mul_u64 s[16:17], s[22:23], s[16:17]
	s_add_co_i32 s15, s15, -1
	s_wait_alu 0xfffe
	s_sub_nc_u64 s[4:5], s[4:5], s[16:17]
	s_cmp_gt_u32 s15, 2
	s_add_nc_u64 s[10:11], s[10:11], -8
	s_wait_kmcnt 0x0
	s_wait_alu 0xfffe
	s_mul_u64 s[4:5], s[24:25], s[4:5]
	s_wait_alu 0xfffe
	s_add_nc_u64 s[18:19], s[4:5], s[18:19]
	s_cbranch_scc0 .LBB158_18
; %bb.16:                               ;   in Loop: Header=BB158_11 Depth=1
	s_mov_b64 s[4:5], s[22:23]
	s_branch .LBB158_11
.LBB158_17:
	s_mov_b64 s[22:23], s[4:5]
.LBB158_18:
	s_clause 0x2
	s_load_b64 s[4:5], s[0:1], 0xd0
	s_load_b32 s8, s[0:1], 0x360
	s_load_b64 s[16:17], s[0:1], 0x0
	s_wait_kmcnt 0x0
	s_mul_u64 s[4:5], s[4:5], s[6:7]
	s_bitcmp1_b32 s8, 0
	s_brev_b32 s6, 1
	s_cselect_b32 s24, -1, 0
	s_wait_alu 0xfffe
	s_lshl_b64 s[26:27], s[4:5], 3
	s_lshl_b64 s[28:29], s[2:3], 3
	s_and_b32 s2, s24, exec_lo
	s_cselect_b32 s4, 0, -1
	s_cselect_b32 s5, s6, 0x7fffffff
	s_wait_alu 0xfffe
	s_mov_b32 s6, s4
	s_mov_b32 s7, s5
	;; [unrolled: 1-line block ×6, first 2 shown]
	v_and_b32_e32 v33, 0x3ff, v0
	s_wait_alu 0xfffe
	v_dual_mov_b32 v1, s4 :: v_dual_mov_b32 v4, s7
	v_dual_mov_b32 v7, s10 :: v_dual_mov_b32 v10, s5
	v_mov_b32_e32 v2, s5
	v_cmp_gt_u32_e64 s2, s14, v33
	v_dual_mov_b32 v3, s6 :: v_dual_mov_b32 v6, s9
	v_dual_mov_b32 v5, s8 :: v_dual_mov_b32 v8, s11
	v_mov_b32_e32 v9, s4
	s_add_nc_u64 s[16:17], s[16:17], s[26:27]
	s_wait_alu 0xfffe
	s_add_nc_u64 s[16:17], s[16:17], s[28:29]
	s_and_saveexec_b32 s3, s2
	s_cbranch_execz .LBB158_20
; %bb.19:
	v_mad_co_u64_u32 v[1:2], null, s12, v33, 0
	s_delay_alu instid0(VALU_DEP_1) | instskip(NEXT) | instid1(VALU_DEP_1)
	v_mad_co_u64_u32 v[2:3], null, s13, v33, v[2:3]
	v_lshlrev_b64_e32 v[1:2], 3, v[1:2]
	s_wait_alu 0xfffe
	s_delay_alu instid0(VALU_DEP_1) | instskip(NEXT) | instid1(VALU_DEP_1)
	v_add_co_u32 v1, vcc_lo, s16, v1
	v_add_co_ci_u32_e64 v2, null, s17, v2, vcc_lo
	global_load_b64 v[9:10], v[1:2], off
	v_dual_mov_b32 v1, s4 :: v_dual_mov_b32 v2, s5
	v_dual_mov_b32 v3, s6 :: v_dual_mov_b32 v4, s7
	;; [unrolled: 1-line block ×4, first 2 shown]
.LBB158_20:
	s_or_b32 exec_lo, exec_lo, s3
	v_add_nc_u32_e32 v17, 32, v33
	s_delay_alu instid0(VALU_DEP_1)
	v_cmp_gt_u32_e64 s3, s14, v17
	s_and_saveexec_b32 s4, s3
	s_cbranch_execz .LBB158_22
; %bb.21:
	v_mad_co_u64_u32 v[1:2], null, s12, v17, 0
	s_delay_alu instid0(VALU_DEP_1) | instskip(NEXT) | instid1(VALU_DEP_1)
	v_mad_co_u64_u32 v[2:3], null, s13, v17, v[2:3]
	v_lshlrev_b64_e32 v[1:2], 3, v[1:2]
	s_wait_alu 0xfffe
	s_delay_alu instid0(VALU_DEP_1) | instskip(SKIP_1) | instid1(VALU_DEP_2)
	v_add_co_u32 v1, vcc_lo, s16, v1
	s_wait_alu 0xfffd
	v_add_co_ci_u32_e64 v2, null, s17, v2, vcc_lo
	global_load_b64 v[3:4], v[1:2], off
.LBB158_22:
	s_wait_alu 0xfffe
	s_or_b32 exec_lo, exec_lo, s4
	v_add_nc_u32_e32 v18, 64, v33
	s_delay_alu instid0(VALU_DEP_1)
	v_cmp_gt_u32_e64 s4, s14, v18
	s_and_saveexec_b32 s5, s4
	s_cbranch_execz .LBB158_24
; %bb.23:
	v_mad_co_u64_u32 v[1:2], null, s12, v18, 0
	s_wait_loadcnt 0x0
	s_delay_alu instid0(VALU_DEP_1) | instskip(NEXT) | instid1(VALU_DEP_1)
	v_mad_co_u64_u32 v[5:6], null, s13, v18, v[2:3]
	v_mov_b32_e32 v2, v5
	s_delay_alu instid0(VALU_DEP_1) | instskip(NEXT) | instid1(VALU_DEP_1)
	v_lshlrev_b64_e32 v[1:2], 3, v[1:2]
	v_add_co_u32 v1, vcc_lo, s16, v1
	s_wait_alu 0xfffd
	s_delay_alu instid0(VALU_DEP_2)
	v_add_co_ci_u32_e64 v2, null, s17, v2, vcc_lo
	global_load_b64 v[5:6], v[1:2], off
.LBB158_24:
	s_wait_alu 0xfffe
	s_or_b32 exec_lo, exec_lo, s5
	s_clause 0x1
	s_load_b64 s[8:9], s[0:1], 0x288
	s_load_b64 s[6:7], s[0:1], 0x1b8
	v_add_nc_u32_e32 v19, 0x60, v33
	s_delay_alu instid0(VALU_DEP_1)
	v_cmp_gt_u32_e64 s5, s14, v19
	s_and_saveexec_b32 s10, s5
	s_cbranch_execz .LBB158_26
; %bb.25:
	v_mad_co_u64_u32 v[1:2], null, s12, v19, 0
	s_wait_loadcnt 0x0
	s_delay_alu instid0(VALU_DEP_1) | instskip(NEXT) | instid1(VALU_DEP_1)
	v_mad_co_u64_u32 v[7:8], null, s13, v19, v[2:3]
	v_mov_b32_e32 v2, v7
	s_delay_alu instid0(VALU_DEP_1) | instskip(NEXT) | instid1(VALU_DEP_1)
	v_lshlrev_b64_e32 v[1:2], 3, v[1:2]
	v_add_co_u32 v1, vcc_lo, s16, v1
	s_wait_alu 0xfffd
	s_delay_alu instid0(VALU_DEP_2)
	v_add_co_ci_u32_e64 v2, null, s17, v2, vcc_lo
	global_load_b64 v[7:8], v[1:2], off
.LBB158_26:
	s_wait_alu 0xfffe
	s_or_b32 exec_lo, exec_lo, s10
	v_lshrrev_b32_e32 v1, 2, v33
	v_lshrrev_b32_e32 v2, 2, v17
	v_lshlrev_b32_e32 v11, 3, v33
	v_lshrrev_b32_e32 v12, 2, v18
	v_lshrrev_b32_e32 v13, 2, v19
	v_and_b32_e32 v1, 0xf8, v1
	v_and_b32_e32 v2, 0x1f8, v2
	s_load_b64 s[14:15], s[0:1], 0x358
	v_and_b32_e32 v12, 0x1f8, v12
	v_and_b32_e32 v13, 0x1f8, v13
	v_add_nc_u32_e32 v52, v1, v11
	v_and_b32_e32 v1, 0x3f8, v33
	v_add_nc_u32_e32 v53, v2, v11
	s_wait_kmcnt 0x0
	s_mul_u64 s[0:1], s[8:9], s[22:23]
	s_wait_loadcnt 0x0
	ds_store_b64 v52, v[9:10]
	ds_store_b64 v53, v[3:4] offset:256
	v_lshl_add_u32 v56, v33, 5, v1
	v_mov_b32_e32 v1, 0
	v_mov_b32_e32 v2, 0
	v_add_nc_u32_e32 v54, v12, v11
	v_add_nc_u32_e32 v55, v13, v11
	ds_store_b64 v54, v[5:6] offset:512
	ds_store_b64 v55, v[7:8] offset:768
	s_wait_dscnt 0x0
	; wave barrier
	global_inv scope:SCOPE_SE
	ds_load_2addr_b64 v[13:16], v56 offset1:1
	ds_load_2addr_b64 v[9:12], v56 offset0:2 offset1:3
	s_lshl_b64 s[0:1], s[0:1], 3
	v_mov_b32_e32 v3, 0
	v_mov_b32_e32 v4, 0
	s_add_nc_u64 s[0:1], s[6:7], s[0:1]
	s_lshl_b64 s[6:7], s[18:19], 3
	s_wait_loadcnt_dscnt 0x0
	s_wait_alu 0xfffe
	s_add_nc_u64 s[18:19], s[0:1], s[6:7]
	; wave barrier
	global_inv scope:SCOPE_SE
	s_and_saveexec_b32 s0, s2
	s_cbranch_execz .LBB158_28
; %bb.27:
	v_mad_co_u64_u32 v[3:4], null, s14, v33, 0
	s_delay_alu instid0(VALU_DEP_1) | instskip(NEXT) | instid1(VALU_DEP_1)
	v_mad_co_u64_u32 v[4:5], null, s15, v33, v[4:5]
	v_lshlrev_b64_e32 v[3:4], 3, v[3:4]
	s_wait_alu 0xfffe
	s_delay_alu instid0(VALU_DEP_1) | instskip(SKIP_1) | instid1(VALU_DEP_2)
	v_add_co_u32 v3, vcc_lo, s18, v3
	s_wait_alu 0xfffd
	v_add_co_ci_u32_e64 v4, null, s19, v4, vcc_lo
	global_load_b64 v[3:4], v[3:4], off
.LBB158_28:
	s_or_b32 exec_lo, exec_lo, s0
	s_and_saveexec_b32 s0, s3
	s_cbranch_execz .LBB158_30
; %bb.29:
	v_mad_co_u64_u32 v[1:2], null, s14, v17, 0
	s_wait_loadcnt 0x0
	s_delay_alu instid0(VALU_DEP_1) | instskip(NEXT) | instid1(VALU_DEP_1)
	v_mad_co_u64_u32 v[5:6], null, s15, v17, v[2:3]
	v_mov_b32_e32 v2, v5
	s_delay_alu instid0(VALU_DEP_1) | instskip(SKIP_1) | instid1(VALU_DEP_1)
	v_lshlrev_b64_e32 v[1:2], 3, v[1:2]
	s_wait_alu 0xfffe
	v_add_co_u32 v1, vcc_lo, s18, v1
	s_wait_alu 0xfffd
	s_delay_alu instid0(VALU_DEP_2)
	v_add_co_ci_u32_e64 v2, null, s19, v2, vcc_lo
	global_load_b64 v[1:2], v[1:2], off
.LBB158_30:
	s_or_b32 exec_lo, exec_lo, s0
	v_mov_b32_e32 v5, 0
	v_dual_mov_b32 v6, 0 :: v_dual_mov_b32 v7, 0
	v_mov_b32_e32 v8, 0
	s_and_saveexec_b32 s0, s4
	s_cbranch_execz .LBB158_32
; %bb.31:
	v_mad_co_u64_u32 v[7:8], null, s14, v18, 0
	s_delay_alu instid0(VALU_DEP_1) | instskip(NEXT) | instid1(VALU_DEP_1)
	v_mad_co_u64_u32 v[17:18], null, s15, v18, v[8:9]
	v_mov_b32_e32 v8, v17
	s_delay_alu instid0(VALU_DEP_1) | instskip(SKIP_1) | instid1(VALU_DEP_1)
	v_lshlrev_b64_e32 v[7:8], 3, v[7:8]
	s_wait_alu 0xfffe
	v_add_co_u32 v7, vcc_lo, s18, v7
	s_wait_alu 0xfffd
	s_delay_alu instid0(VALU_DEP_2)
	v_add_co_ci_u32_e64 v8, null, s19, v8, vcc_lo
	global_load_b64 v[7:8], v[7:8], off
.LBB158_32:
	s_or_b32 exec_lo, exec_lo, s0
	s_xor_b32 s0, s24, -1
	s_and_saveexec_b32 s1, s5
	s_cbranch_execz .LBB158_34
; %bb.33:
	v_mad_co_u64_u32 v[5:6], null, s14, v19, 0
	s_wait_loadcnt 0x0
	s_delay_alu instid0(VALU_DEP_1) | instskip(NEXT) | instid1(VALU_DEP_1)
	v_mad_co_u64_u32 v[17:18], null, s15, v19, v[6:7]
	v_mov_b32_e32 v6, v17
	s_delay_alu instid0(VALU_DEP_1) | instskip(SKIP_1) | instid1(VALU_DEP_1)
	v_lshlrev_b64_e32 v[5:6], 3, v[5:6]
	s_wait_alu 0xfffe
	v_add_co_u32 v5, vcc_lo, s18, v5
	s_wait_alu 0xfffd
	s_delay_alu instid0(VALU_DEP_2)
	v_add_co_ci_u32_e64 v6, null, s19, v6, vcc_lo
	global_load_b64 v[5:6], v[5:6], off
.LBB158_34:
	s_or_b32 exec_lo, exec_lo, s1
	s_wait_loadcnt 0x0
	ds_store_b64 v52, v[3:4]
	ds_store_b64 v53, v[1:2] offset:256
	ds_store_b64 v54, v[7:8] offset:512
	ds_store_b64 v55, v[5:6] offset:768
	s_wait_dscnt 0x0
	; wave barrier
	global_inv scope:SCOPE_SE
	ds_load_2addr_b64 v[5:8], v56 offset1:1
	ds_load_2addr_b64 v[1:4], v56 offset0:2 offset1:3
	v_lshlrev_b32_e32 v57, 2, v33
	s_and_b32 vcc_lo, exec_lo, s0
	v_bfe_u32 v60, v0, 10, 10
	v_bfe_u32 v61, v0, 20, 10
	v_mbcnt_lo_u32_b32 v59, -1, 0
	v_lshlrev_b32_e32 v58, 5, v33
	v_cmp_eq_u32_e64 s0, 31, v33
	v_cmp_eq_u32_e64 s10, 0, v33
	; wave barrier
	s_wait_loadcnt_dscnt 0x0
	global_inv scope:SCOPE_SE
	s_wait_alu 0xfffe
	s_cbranch_vccz .LBB158_49
; %bb.35:
	v_and_b32_e32 v21, 3, v59
	v_xor_b32_e32 v17, 0x80000000, v14
	v_xor_b32_e32 v19, 0x80000000, v16
	;; [unrolled: 1-line block ×4, first 2 shown]
	v_cmp_eq_u32_e32 vcc_lo, 0, v21
	v_and_b32_e32 v0, 28, v59
	v_cmp_eq_u32_e64 s1, 1, v21
	v_cmp_eq_u32_e64 s6, 2, v21
	;; [unrolled: 1-line block ×3, first 2 shown]
	s_wait_loadcnt 0x0
	ds_bpermute_b32 v21, v0, v17 offset:96
	; wave barrier
	s_wait_dscnt 0x0
	global_inv scope:SCOPE_SE
	s_load_b32 s22, s[20:21], 0xc
	s_getpc_b64 s[8:9]
	s_wait_alu 0xfffe
	s_sext_i32_i16 s9, s9
	s_add_co_u32 s8, s8, _ZN7rocprim17ROCPRIM_400000_NS16block_radix_sortIlLj32ELj4ElLj1ELj1ELj0ELNS0_26block_radix_rank_algorithmE1ELNS0_18block_padding_hintE2ELNS0_4arch9wavefront6targetE0EE19radix_bits_per_passE@rel32@lo+12
	s_wait_alu 0xfffe
	s_add_co_ci_u32 s9, s9, _ZN7rocprim17ROCPRIM_400000_NS16block_radix_sortIlLj32ELj4ElLj1ELj1ELj0ELNS0_26block_radix_rank_algorithmE1ELNS0_18block_padding_hintE2ELNS0_4arch9wavefront6targetE0EE19radix_bits_per_passE@rel32@hi+24
	v_mov_b32_e32 v64, 0
	s_load_b32 s11, s[8:9], 0x0
	s_mov_b32 s23, 64
	v_cndmask_b32_e32 v21, 0, v21, vcc_lo
	ds_bpermute_b32 v18, v0, v13
	ds_bpermute_b32 v20, v0, v17
	;; [unrolled: 1-line block ×3, first 2 shown]
	ds_bpermute_b32 v31, v0, v17 offset:32
	ds_bpermute_b32 v22, v0, v19
	ds_bpermute_b32 v26, v0, v9
	ds_bpermute_b32 v34, v0, v19 offset:32
	ds_bpermute_b32 v27, v0, v23
	ds_bpermute_b32 v29, v0, v11
	ds_bpermute_b32 v36, v0, v23 offset:32
	ds_bpermute_b32 v30, v0, v24
	ds_bpermute_b32 v39, v0, v13 offset:64
	ds_bpermute_b32 v28, v0, v13 offset:32
	;; [unrolled: 1-line block ×9, first 2 shown]
	s_wait_dscnt 0x13
	v_cndmask_b32_e32 v18, 0, v18, vcc_lo
	s_wait_dscnt 0x12
	v_cndmask_b32_e32 v20, 0, v20, vcc_lo
	ds_bpermute_b32 v43, v0, v13 offset:96
	s_wait_dscnt 0x11
	v_cndmask_b32_e32 v31, 0, v31, vcc_lo
	ds_bpermute_b32 v24, v0, v24 offset:96
	v_cndmask_b32_e64 v18, v18, v25, s1
	s_wait_dscnt 0x11
	v_cndmask_b32_e64 v20, v20, v22, s1
	ds_bpermute_b32 v25, v0, v23 offset:64
	s_wait_dscnt 0x10
	v_cndmask_b32_e64 v17, v31, v34, s1
	ds_bpermute_b32 v31, v0, v19 offset:96
	v_cndmask_b32_e64 v26, v18, v26, s6
	s_wait_dscnt 0x10
	v_cndmask_b32_e64 v20, v20, v27, s6
	ds_bpermute_b32 v23, v0, v23 offset:96
	s_wait_dscnt 0xf
	v_cndmask_b32_e64 v19, v17, v36, s6
	ds_bpermute_b32 v27, v0, v11 offset:32
	v_cndmask_b32_e64 v17, v26, v29, s7
	ds_bpermute_b32 v29, v0, v6
	s_wait_dscnt 0x10
	v_cndmask_b32_e64 v18, v20, v30, s7
	s_wait_dscnt 0xf
	v_cndmask_b32_e32 v30, 0, v39, vcc_lo
	ds_bpermute_b32 v39, v0, v6 offset:32
	ds_bpermute_b32 v22, v0, v15 offset:64
	s_wait_dscnt 0x10
	v_cndmask_b32_e32 v28, 0, v28, vcc_lo
	s_wait_dscnt 0xf
	v_cndmask_b32_e32 v20, 0, v37, vcc_lo
	ds_bpermute_b32 v34, v0, v8
	ds_bpermute_b32 v37, v0, v2
	ds_bpermute_b32 v36, v0, v5 offset:32
	ds_bpermute_b32 v44, v0, v8 offset:32
	;; [unrolled: 1-line block ×4, first 2 shown]
	s_wait_dscnt 0xb
	v_cndmask_b32_e64 v31, v21, v31, s1
	ds_bpermute_b32 v47, v0, v4 offset:96
	s_wait_dscnt 0xb
	v_cndmask_b32_e64 v23, v31, v23, s6
	s_wait_dscnt 0x9
	v_cndmask_b32_e32 v29, 0, v29, vcc_lo
	v_cndmask_b32_e64 v28, v28, v32, s1
	ds_bpermute_b32 v32, v0, v9 offset:96
	s_wait_dscnt 0x9
	v_cndmask_b32_e32 v31, 0, v39, vcc_lo
	v_cndmask_b32_e64 v20, v20, v40, s1
	s_wait_dscnt 0x8
	v_cndmask_b32_e64 v22, v30, v22, s1
	v_cndmask_b32_e64 v28, v28, v35, s6
	ds_bpermute_b32 v30, v0, v5
	ds_bpermute_b32 v35, v0, v7
	v_cndmask_b32_e64 v25, v20, v25, s6
	v_cndmask_b32_e64 v20, v19, v38, s7
	;; [unrolled: 1-line block ×3, first 2 shown]
	ds_bpermute_b32 v27, v0, v11 offset:64
	v_cndmask_b32_e64 v26, v22, v41, s6
	v_cndmask_b32_e64 v22, v25, v42, s7
	ds_bpermute_b32 v25, v0, v15 offset:96
	ds_bpermute_b32 v38, v0, v1
	ds_bpermute_b32 v41, v0, v7 offset:32
	ds_bpermute_b32 v40, v0, v11 offset:96
	ds_bpermute_b32 v42, v0, v4
	v_cndmask_b32_e64 v24, v23, v24, s7
	ds_bpermute_b32 v39, v0, v8 offset:96
	s_wait_dscnt 0x8
	v_cndmask_b32_e32 v30, 0, v30, vcc_lo
	s_wait_dscnt 0x6
	v_cndmask_b32_e64 v21, v26, v27, s7
	v_cndmask_b32_e64 v26, v29, v34, s1
	s_delay_alu instid0(VALU_DEP_3)
	v_cndmask_b32_e64 v27, v30, v35, s1
	v_cndmask_b32_e32 v30, 0, v36, vcc_lo
	ds_bpermute_b32 v29, v0, v6 offset:64
	ds_bpermute_b32 v35, v0, v6 offset:96
	v_cndmask_b32_e64 v26, v26, v37, s6
	ds_bpermute_b32 v37, v0, v5 offset:96
	v_cndmask_b32_e32 v28, 0, v43, vcc_lo
	ds_bpermute_b32 v43, v0, v3
	s_wait_dscnt 0x8
	v_cndmask_b32_e64 v27, v27, v38, s6
	s_wait_dscnt 0x7
	v_cndmask_b32_e64 v30, v30, v41, s1
	ds_bpermute_b32 v34, v0, v4 offset:32
	v_cndmask_b32_e64 v25, v28, v25, s1
	ds_bpermute_b32 v28, v0, v1 offset:32
	ds_bpermute_b32 v36, v0, v8 offset:64
	ds_bpermute_b32 v38, v0, v7 offset:64
	ds_bpermute_b32 v41, v0, v7 offset:96
	v_cndmask_b32_e64 v25, v25, v32, s6
	s_wait_dscnt 0xa
	v_cndmask_b32_e64 v26, v26, v42, s7
	ds_bpermute_b32 v32, v0, v3 offset:32
	ds_bpermute_b32 v42, v0, v1 offset:64
	v_cndmask_b32_e64 v23, v25, v40, s7
	ds_bpermute_b32 v40, v0, v2 offset:64
	s_wait_dscnt 0xb
	v_cndmask_b32_e32 v29, 0, v29, vcc_lo
	s_wait_dscnt 0x8
	v_cndmask_b32_e64 v25, v27, v43, s7
	v_cndmask_b32_e64 v27, v31, v44, s1
	ds_bpermute_b32 v31, v0, v2 offset:32
	ds_bpermute_b32 v44, v0, v2 offset:96
	;; [unrolled: 1-line block ×3, first 2 shown]
	s_wait_dscnt 0x9
	v_cndmask_b32_e64 v30, v30, v28, s6
	ds_bpermute_b32 v28, v0, v5 offset:64
	ds_bpermute_b32 v0, v0, v3 offset:96
	s_wait_dscnt 0xa
	v_cndmask_b32_e64 v29, v29, v36, s1
	s_wait_dscnt 0x5
	s_delay_alu instid0(VALU_DEP_1)
	v_cndmask_b32_e64 v29, v29, v40, s6
	s_wait_dscnt 0x4
	v_cndmask_b32_e64 v27, v27, v31, s6
	v_cndmask_b32_e32 v31, 0, v35, vcc_lo
	v_cndmask_b32_e32 v35, 0, v37, vcc_lo
	v_and_or_b32 v37, 0xf80, v57, v59
	s_wait_dscnt 0x1
	v_cndmask_b32_e32 v28, 0, v28, vcc_lo
	v_cndmask_b32_e64 v31, v31, v39, s1
	s_delay_alu instid0(VALU_DEP_3) | instskip(NEXT) | instid1(VALU_DEP_3)
	v_lshlrev_b32_e32 v62, 3, v37
	v_cndmask_b32_e64 v36, v28, v38, s1
	v_cndmask_b32_e64 v28, v27, v34, s7
	;; [unrolled: 1-line block ×4, first 2 shown]
	s_wait_kmcnt 0x0
	s_lshr_b32 s1, s22, 16
	v_cndmask_b32_e64 v35, v36, v42, s6
	v_cndmask_b32_e64 v27, v30, v32, s7
	;; [unrolled: 1-line block ×6, first 2 shown]
	v_and_b32_e32 v36, 15, v59
	s_wait_dscnt 0x0
	v_cndmask_b32_e64 v31, v34, v0, s7
	s_wait_alu 0xfffe
	v_mad_u32_u24 v0, v61, s1, v60
	s_and_b32 s1, s22, 0xffff
	s_wait_alu 0xfffe
	s_delay_alu instid0(VALU_DEP_1) | instskip(SKIP_3) | instid1(VALU_DEP_2)
	v_mad_co_u64_u32 v[34:35], null, v0, s1, v[33:34]
	v_sub_co_u32 v0, s22, v59, 1
	v_and_b32_e32 v35, 16, v59
	s_or_b32 s22, s10, s22
	v_cmp_gt_i32_e32 vcc_lo, 0, v0
	s_delay_alu instid0(VALU_DEP_4) | instskip(NEXT) | instid1(VALU_DEP_3)
	v_lshrrev_b32_e32 v34, 3, v34
	v_cmp_eq_u32_e64 s9, 0, v35
	s_wait_alu 0xfffd
	s_delay_alu instid0(VALU_DEP_2)
	v_dual_cndmask_b32 v0, v0, v59 :: v_dual_and_b32 v63, 0x1ffffffc, v34
	v_mov_b32_e32 v34, 0
	v_mov_b32_e32 v35, 0
	v_cmp_eq_u32_e64 s1, 0, v36
	v_cmp_lt_u32_e64 s6, 1, v36
	v_cmp_lt_u32_e64 s7, 3, v36
	;; [unrolled: 1-line block ×3, first 2 shown]
	v_lshlrev_b32_e32 v0, 2, v0
	s_branch .LBB158_37
.LBB158_36:                             ;   in Loop: Header=BB158_37 Depth=1
	s_wait_alu 0xfffe
	s_and_not1_b32 vcc_lo, exec_lo, s10
	s_wait_alu 0xfffe
	s_cbranch_vccz .LBB158_50
.LBB158_37:                             ; =>This Inner Loop Header: Depth=1
	v_dual_mov_b32 v37, v18 :: v_dual_mov_b32 v36, v17
	s_min_u32 s10, s11, s23
	ds_store_2addr_b32 v58, v64, v64 offset0:1 offset1:2
	ds_store_2addr_b32 v58, v64, v64 offset0:3 offset1:4
	;; [unrolled: 1-line block ×4, first 2 shown]
	s_wait_alu 0xfffe
	s_lshl_b32 s10, -1, s10
	s_wait_loadcnt_dscnt 0x0
	v_lshrrev_b64 v[17:18], v34, v[36:37]
	s_wait_alu 0xfffe
	s_not_b32 s24, s10
	; wave barrier
	global_inv scope:SCOPE_SE
	; wave barrier
	s_wait_alu 0xfffe
	v_dual_mov_b32 v47, v24 :: v_dual_and_b32 v18, s24, v17
	v_dual_mov_b32 v46, v23 :: v_dual_mov_b32 v49, v22
	v_dual_mov_b32 v51, v20 :: v_dual_mov_b32 v48, v21
	s_delay_alu instid0(VALU_DEP_3)
	v_lshlrev_b32_e32 v39, 29, v18
	v_and_b32_e32 v17, 1, v18
	v_lshlrev_b32_e32 v38, 30, v18
	v_lshlrev_b32_e32 v40, 28, v18
	v_lshlrev_b32_e32 v42, 27, v18
	v_dual_mov_b32 v50, v19 :: v_dual_lshlrev_b32 v43, 26, v18
	v_add_co_u32 v17, s10, v17, -1
	s_wait_alu 0xf1ff
	v_cndmask_b32_e64 v41, 0, 1, s10
	v_not_b32_e32 v45, v38
	v_cmp_gt_i32_e64 s10, 0, v38
	v_not_b32_e32 v38, v39
	v_lshlrev_b32_e32 v44, 25, v18
	v_cmp_ne_u32_e32 vcc_lo, 0, v41
	v_ashrrev_i32_e32 v45, 31, v45
	v_lshlrev_b32_e32 v41, 24, v18
	v_ashrrev_i32_e32 v38, 31, v38
	s_wait_alu 0xfffd
	v_xor_b32_e32 v17, vcc_lo, v17
	v_cmp_gt_i32_e32 vcc_lo, 0, v39
	v_not_b32_e32 v39, v40
	s_wait_alu 0xf1ff
	v_xor_b32_e32 v45, s10, v45
	v_cmp_gt_i32_e64 s10, 0, v40
	v_and_b32_e32 v17, exec_lo, v17
	v_not_b32_e32 v40, v42
	v_ashrrev_i32_e32 v39, 31, v39
	s_wait_alu 0xfffd
	v_xor_b32_e32 v38, vcc_lo, v38
	v_cmp_gt_i32_e32 vcc_lo, 0, v42
	v_and_b32_e32 v17, v17, v45
	v_not_b32_e32 v42, v43
	v_ashrrev_i32_e32 v40, 31, v40
	s_wait_alu 0xf1ff
	v_xor_b32_e32 v39, s10, v39
	v_cmp_gt_i32_e64 s10, 0, v43
	v_and_b32_e32 v17, v17, v38
	v_ashrrev_i32_e32 v42, 31, v42
	s_wait_alu 0xfffd
	v_xor_b32_e32 v40, vcc_lo, v40
	s_delay_alu instid0(VALU_DEP_3)
	v_and_b32_e32 v17, v17, v39
	v_not_b32_e32 v39, v41
	s_wait_alu 0xf1ff
	v_xor_b32_e32 v42, s10, v42
	v_cmp_gt_i32_e64 s10, 0, v41
	v_and_b32_e32 v17, v17, v40
	v_mov_b32_e32 v41, v30
	v_not_b32_e32 v38, v44
	v_cmp_gt_i32_e32 vcc_lo, 0, v44
	v_ashrrev_i32_e32 v39, 31, v39
	v_and_b32_e32 v17, v17, v42
	v_mov_b32_e32 v45, v26
	v_ashrrev_i32_e32 v38, 31, v38
	v_dual_mov_b32 v43, v28 :: v_dual_mov_b32 v44, v25
	s_wait_alu 0xf1ff
	v_xor_b32_e32 v39, s10, v39
	v_mov_b32_e32 v40, v29
	s_wait_alu 0xfffd
	v_xor_b32_e32 v38, vcc_lo, v38
	v_mov_b32_e32 v42, v27
	v_lshl_add_u32 v26, v18, 2, v63
	s_delay_alu instid0(VALU_DEP_3) | instskip(NEXT) | instid1(VALU_DEP_1)
	v_and_b32_e32 v17, v17, v38
	v_and_b32_e32 v17, v17, v39
	v_dual_mov_b32 v39, v32 :: v_dual_mov_b32 v38, v31
	s_delay_alu instid0(VALU_DEP_2) | instskip(SKIP_1) | instid1(VALU_DEP_2)
	v_mbcnt_lo_u32_b32 v25, v17, 0
	v_cmp_ne_u32_e64 s10, 0, v17
	v_cmp_eq_u32_e32 vcc_lo, 0, v25
	s_and_b32 s25, s10, vcc_lo
	s_wait_alu 0xfffe
	s_and_saveexec_b32 s10, s25
; %bb.38:                               ;   in Loop: Header=BB158_37 Depth=1
	v_bcnt_u32_b32 v17, v17, 0
	ds_store_b32 v26, v17 offset:4
; %bb.39:                               ;   in Loop: Header=BB158_37 Depth=1
	s_wait_alu 0xfffe
	s_or_b32 exec_lo, exec_lo, s10
	v_lshrrev_b64 v[17:18], v34, v[50:51]
	; wave barrier
	s_delay_alu instid0(VALU_DEP_1) | instskip(NEXT) | instid1(VALU_DEP_1)
	v_and_b32_e32 v17, s24, v17
	v_and_b32_e32 v18, 1, v17
	v_lshlrev_b32_e32 v19, 30, v17
	v_lshlrev_b32_e32 v20, 29, v17
	;; [unrolled: 1-line block ×4, first 2 shown]
	v_add_co_u32 v18, s10, v18, -1
	s_wait_alu 0xf1ff
	v_cndmask_b32_e64 v22, 0, 1, s10
	v_not_b32_e32 v28, v19
	v_cmp_gt_i32_e64 s10, 0, v19
	v_not_b32_e32 v19, v20
	v_lshlrev_b32_e32 v24, 26, v17
	v_cmp_ne_u32_e32 vcc_lo, 0, v22
	v_ashrrev_i32_e32 v28, 31, v28
	v_lshlrev_b32_e32 v27, 25, v17
	v_ashrrev_i32_e32 v19, 31, v19
	v_lshlrev_b32_e32 v22, 24, v17
	s_wait_alu 0xfffd
	v_xor_b32_e32 v18, vcc_lo, v18
	v_cmp_gt_i32_e32 vcc_lo, 0, v20
	v_not_b32_e32 v20, v21
	s_wait_alu 0xf1ff
	v_xor_b32_e32 v28, s10, v28
	v_cmp_gt_i32_e64 s10, 0, v21
	v_and_b32_e32 v18, exec_lo, v18
	v_not_b32_e32 v21, v23
	v_ashrrev_i32_e32 v20, 31, v20
	s_wait_alu 0xfffd
	v_xor_b32_e32 v19, vcc_lo, v19
	v_cmp_gt_i32_e32 vcc_lo, 0, v23
	v_and_b32_e32 v18, v18, v28
	v_not_b32_e32 v23, v24
	v_ashrrev_i32_e32 v21, 31, v21
	s_wait_alu 0xf1ff
	v_xor_b32_e32 v20, s10, v20
	v_cmp_gt_i32_e64 s10, 0, v24
	v_and_b32_e32 v18, v18, v19
	v_not_b32_e32 v19, v27
	v_ashrrev_i32_e32 v23, 31, v23
	s_wait_alu 0xfffd
	v_xor_b32_e32 v21, vcc_lo, v21
	v_cmp_gt_i32_e32 vcc_lo, 0, v27
	v_and_b32_e32 v18, v18, v20
	v_not_b32_e32 v20, v22
	v_ashrrev_i32_e32 v19, 31, v19
	s_wait_alu 0xf1ff
	v_xor_b32_e32 v23, s10, v23
	v_cmp_gt_i32_e64 s10, 0, v22
	v_and_b32_e32 v18, v18, v21
	v_ashrrev_i32_e32 v20, 31, v20
	s_wait_alu 0xfffd
	v_xor_b32_e32 v19, vcc_lo, v19
	v_lshl_add_u32 v28, v17, 2, v63
	v_and_b32_e32 v18, v18, v23
	s_wait_alu 0xf1ff
	v_xor_b32_e32 v17, s10, v20
	ds_load_b32 v27, v28 offset:4
	v_and_b32_e32 v18, v18, v19
	; wave barrier
	s_delay_alu instid0(VALU_DEP_1) | instskip(NEXT) | instid1(VALU_DEP_1)
	v_and_b32_e32 v17, v18, v17
	v_mbcnt_lo_u32_b32 v29, v17, 0
	v_cmp_ne_u32_e64 s10, 0, v17
	s_delay_alu instid0(VALU_DEP_2)
	v_cmp_eq_u32_e32 vcc_lo, 0, v29
	s_and_b32 s25, s10, vcc_lo
	s_wait_alu 0xfffe
	s_and_saveexec_b32 s10, s25
	s_cbranch_execz .LBB158_41
; %bb.40:                               ;   in Loop: Header=BB158_37 Depth=1
	s_wait_dscnt 0x0
	v_bcnt_u32_b32 v17, v17, v27
	ds_store_b32 v28, v17 offset:4
.LBB158_41:                             ;   in Loop: Header=BB158_37 Depth=1
	s_wait_alu 0xfffe
	s_or_b32 exec_lo, exec_lo, s10
	v_lshrrev_b64 v[17:18], v34, v[48:49]
	; wave barrier
	s_delay_alu instid0(VALU_DEP_1) | instskip(NEXT) | instid1(VALU_DEP_1)
	v_and_b32_e32 v17, s24, v17
	v_and_b32_e32 v18, 1, v17
	v_lshlrev_b32_e32 v19, 30, v17
	v_lshlrev_b32_e32 v20, 29, v17
	;; [unrolled: 1-line block ×4, first 2 shown]
	v_add_co_u32 v18, s10, v18, -1
	s_wait_alu 0xf1ff
	v_cndmask_b32_e64 v22, 0, 1, s10
	v_not_b32_e32 v31, v19
	v_cmp_gt_i32_e64 s10, 0, v19
	v_not_b32_e32 v19, v20
	v_lshlrev_b32_e32 v24, 26, v17
	v_cmp_ne_u32_e32 vcc_lo, 0, v22
	v_ashrrev_i32_e32 v31, 31, v31
	v_lshlrev_b32_e32 v30, 25, v17
	v_ashrrev_i32_e32 v19, 31, v19
	v_lshlrev_b32_e32 v22, 24, v17
	s_wait_alu 0xfffd
	v_xor_b32_e32 v18, vcc_lo, v18
	v_cmp_gt_i32_e32 vcc_lo, 0, v20
	v_not_b32_e32 v20, v21
	s_wait_alu 0xf1ff
	v_xor_b32_e32 v31, s10, v31
	v_cmp_gt_i32_e64 s10, 0, v21
	v_and_b32_e32 v18, exec_lo, v18
	v_not_b32_e32 v21, v23
	v_ashrrev_i32_e32 v20, 31, v20
	s_wait_alu 0xfffd
	v_xor_b32_e32 v19, vcc_lo, v19
	v_cmp_gt_i32_e32 vcc_lo, 0, v23
	v_and_b32_e32 v18, v18, v31
	v_not_b32_e32 v23, v24
	v_ashrrev_i32_e32 v21, 31, v21
	s_wait_alu 0xf1ff
	v_xor_b32_e32 v20, s10, v20
	v_cmp_gt_i32_e64 s10, 0, v24
	v_and_b32_e32 v18, v18, v19
	v_not_b32_e32 v19, v30
	v_ashrrev_i32_e32 v23, 31, v23
	s_wait_alu 0xfffd
	v_xor_b32_e32 v21, vcc_lo, v21
	v_cmp_gt_i32_e32 vcc_lo, 0, v30
	v_and_b32_e32 v18, v18, v20
	v_not_b32_e32 v20, v22
	v_ashrrev_i32_e32 v19, 31, v19
	s_wait_alu 0xf1ff
	v_xor_b32_e32 v23, s10, v23
	v_cmp_gt_i32_e64 s10, 0, v22
	v_and_b32_e32 v18, v18, v21
	v_ashrrev_i32_e32 v20, 31, v20
	s_wait_alu 0xfffd
	v_xor_b32_e32 v19, vcc_lo, v19
	v_lshl_add_u32 v31, v17, 2, v63
	v_and_b32_e32 v18, v18, v23
	s_wait_alu 0xf1ff
	v_xor_b32_e32 v17, s10, v20
	ds_load_b32 v30, v31 offset:4
	v_and_b32_e32 v18, v18, v19
	; wave barrier
	s_delay_alu instid0(VALU_DEP_1) | instskip(NEXT) | instid1(VALU_DEP_1)
	v_and_b32_e32 v17, v18, v17
	v_mbcnt_lo_u32_b32 v32, v17, 0
	v_cmp_ne_u32_e64 s10, 0, v17
	s_delay_alu instid0(VALU_DEP_2)
	v_cmp_eq_u32_e32 vcc_lo, 0, v32
	s_and_b32 s25, s10, vcc_lo
	s_wait_alu 0xfffe
	s_and_saveexec_b32 s10, s25
	s_cbranch_execz .LBB158_43
; %bb.42:                               ;   in Loop: Header=BB158_37 Depth=1
	s_wait_dscnt 0x0
	v_bcnt_u32_b32 v17, v17, v30
	ds_store_b32 v31, v17 offset:4
.LBB158_43:                             ;   in Loop: Header=BB158_37 Depth=1
	s_wait_alu 0xfffe
	s_or_b32 exec_lo, exec_lo, s10
	v_lshrrev_b64 v[17:18], v34, v[46:47]
	; wave barrier
	s_delay_alu instid0(VALU_DEP_1) | instskip(NEXT) | instid1(VALU_DEP_1)
	v_and_b32_e32 v17, s24, v17
	v_and_b32_e32 v18, 1, v17
	v_lshlrev_b32_e32 v19, 30, v17
	v_lshlrev_b32_e32 v20, 29, v17
	;; [unrolled: 1-line block ×4, first 2 shown]
	v_add_co_u32 v18, s10, v18, -1
	s_wait_alu 0xf1ff
	v_cndmask_b32_e64 v22, 0, 1, s10
	v_not_b32_e32 v66, v19
	v_cmp_gt_i32_e64 s10, 0, v19
	v_not_b32_e32 v19, v20
	v_lshlrev_b32_e32 v24, 26, v17
	v_cmp_ne_u32_e32 vcc_lo, 0, v22
	v_ashrrev_i32_e32 v66, 31, v66
	v_lshlrev_b32_e32 v65, 25, v17
	v_ashrrev_i32_e32 v19, 31, v19
	v_lshlrev_b32_e32 v22, 24, v17
	s_wait_alu 0xfffd
	v_xor_b32_e32 v18, vcc_lo, v18
	v_cmp_gt_i32_e32 vcc_lo, 0, v20
	v_not_b32_e32 v20, v21
	s_wait_alu 0xf1ff
	v_xor_b32_e32 v66, s10, v66
	v_cmp_gt_i32_e64 s10, 0, v21
	v_and_b32_e32 v18, exec_lo, v18
	v_not_b32_e32 v21, v23
	v_ashrrev_i32_e32 v20, 31, v20
	s_wait_alu 0xfffd
	v_xor_b32_e32 v19, vcc_lo, v19
	v_cmp_gt_i32_e32 vcc_lo, 0, v23
	v_and_b32_e32 v18, v18, v66
	v_not_b32_e32 v23, v24
	v_ashrrev_i32_e32 v21, 31, v21
	s_wait_alu 0xf1ff
	v_xor_b32_e32 v20, s10, v20
	v_cmp_gt_i32_e64 s10, 0, v24
	v_and_b32_e32 v18, v18, v19
	v_not_b32_e32 v19, v65
	v_ashrrev_i32_e32 v23, 31, v23
	s_wait_alu 0xfffd
	v_xor_b32_e32 v21, vcc_lo, v21
	v_cmp_gt_i32_e32 vcc_lo, 0, v65
	v_and_b32_e32 v18, v18, v20
	v_not_b32_e32 v20, v22
	v_ashrrev_i32_e32 v19, 31, v19
	s_wait_alu 0xf1ff
	v_xor_b32_e32 v23, s10, v23
	v_cmp_gt_i32_e64 s10, 0, v22
	v_and_b32_e32 v18, v18, v21
	v_ashrrev_i32_e32 v20, 31, v20
	s_wait_alu 0xfffd
	v_xor_b32_e32 v19, vcc_lo, v19
	v_lshl_add_u32 v66, v17, 2, v63
	v_and_b32_e32 v18, v18, v23
	s_wait_alu 0xf1ff
	v_xor_b32_e32 v17, s10, v20
	ds_load_b32 v65, v66 offset:4
	v_and_b32_e32 v18, v18, v19
	; wave barrier
	s_delay_alu instid0(VALU_DEP_1) | instskip(NEXT) | instid1(VALU_DEP_1)
	v_and_b32_e32 v17, v18, v17
	v_mbcnt_lo_u32_b32 v69, v17, 0
	v_cmp_ne_u32_e64 s10, 0, v17
	s_delay_alu instid0(VALU_DEP_2)
	v_cmp_eq_u32_e32 vcc_lo, 0, v69
	s_and_b32 s24, s10, vcc_lo
	s_wait_alu 0xfffe
	s_and_saveexec_b32 s10, s24
	s_cbranch_execz .LBB158_45
; %bb.44:                               ;   in Loop: Header=BB158_37 Depth=1
	s_wait_dscnt 0x0
	v_bcnt_u32_b32 v17, v17, v65
	ds_store_b32 v66, v17 offset:4
.LBB158_45:                             ;   in Loop: Header=BB158_37 Depth=1
	s_wait_alu 0xfffe
	s_or_b32 exec_lo, exec_lo, s10
	; wave barrier
	; wave barrier
	s_wait_loadcnt_dscnt 0x0
	global_inv scope:SCOPE_SE
	ds_load_2addr_b32 v[23:24], v58 offset0:1 offset1:2
	ds_load_2addr_b32 v[21:22], v58 offset0:3 offset1:4
	;; [unrolled: 1-line block ×4, first 2 shown]
	s_wait_dscnt 0x3
	v_add_nc_u32_e32 v67, v24, v23
	s_wait_dscnt 0x2
	s_delay_alu instid0(VALU_DEP_1) | instskip(SKIP_1) | instid1(VALU_DEP_1)
	v_add3_u32 v67, v67, v21, v22
	s_wait_dscnt 0x1
	v_add3_u32 v67, v67, v19, v20
	s_wait_dscnt 0x0
	s_delay_alu instid0(VALU_DEP_1) | instskip(NEXT) | instid1(VALU_DEP_1)
	v_add3_u32 v18, v67, v17, v18
	v_mov_b32_dpp v67, v18 row_shr:1 row_mask:0xf bank_mask:0xf
	s_delay_alu instid0(VALU_DEP_1) | instskip(NEXT) | instid1(VALU_DEP_1)
	v_cndmask_b32_e64 v67, v67, 0, s1
	v_add_nc_u32_e32 v18, v67, v18
	s_delay_alu instid0(VALU_DEP_1) | instskip(NEXT) | instid1(VALU_DEP_1)
	v_mov_b32_dpp v67, v18 row_shr:2 row_mask:0xf bank_mask:0xf
	v_cndmask_b32_e64 v67, 0, v67, s6
	s_delay_alu instid0(VALU_DEP_1) | instskip(NEXT) | instid1(VALU_DEP_1)
	v_add_nc_u32_e32 v18, v18, v67
	v_mov_b32_dpp v67, v18 row_shr:4 row_mask:0xf bank_mask:0xf
	s_delay_alu instid0(VALU_DEP_1) | instskip(NEXT) | instid1(VALU_DEP_1)
	v_cndmask_b32_e64 v67, 0, v67, s7
	v_add_nc_u32_e32 v18, v18, v67
	s_delay_alu instid0(VALU_DEP_1) | instskip(NEXT) | instid1(VALU_DEP_1)
	v_mov_b32_dpp v67, v18 row_shr:8 row_mask:0xf bank_mask:0xf
	v_cndmask_b32_e64 v67, 0, v67, s8
	s_delay_alu instid0(VALU_DEP_1) | instskip(SKIP_3) | instid1(VALU_DEP_1)
	v_add_nc_u32_e32 v18, v18, v67
	ds_swizzle_b32 v67, v18 offset:swizzle(BROADCAST,32,15)
	s_wait_dscnt 0x0
	v_cndmask_b32_e64 v67, v67, 0, s9
	v_add_nc_u32_e32 v18, v18, v67
	s_and_saveexec_b32 s10, s0
; %bb.46:                               ;   in Loop: Header=BB158_37 Depth=1
	ds_store_b32 v64, v18
; %bb.47:                               ;   in Loop: Header=BB158_37 Depth=1
	s_wait_alu 0xfffe
	s_or_b32 exec_lo, exec_lo, s10
	ds_bpermute_b32 v18, v0, v18
	; wave barrier
	s_wait_loadcnt_dscnt 0x0
	global_inv scope:SCOPE_SE
	v_cmp_lt_u32_e32 vcc_lo, 55, v34
	s_mov_b32 s10, -1
	s_and_b32 vcc_lo, exec_lo, vcc_lo
	v_cndmask_b32_e64 v18, v18, 0, s22
	s_delay_alu instid0(VALU_DEP_1) | instskip(NEXT) | instid1(VALU_DEP_1)
	v_add_nc_u32_e32 v23, v18, v23
	v_add_nc_u32_e32 v24, v23, v24
	s_delay_alu instid0(VALU_DEP_1) | instskip(NEXT) | instid1(VALU_DEP_1)
	v_add_nc_u32_e32 v21, v24, v21
	v_add_nc_u32_e32 v22, v21, v22
	;; [unrolled: 3-line block ×3, first 2 shown]
	s_delay_alu instid0(VALU_DEP_1)
	v_add_nc_u32_e32 v17, v20, v17
	ds_store_2addr_b32 v58, v18, v23 offset0:1 offset1:2
	ds_store_2addr_b32 v58, v24, v21 offset0:3 offset1:4
	;; [unrolled: 1-line block ×4, first 2 shown]
	; wave barrier
	s_wait_loadcnt_dscnt 0x0
	global_inv scope:SCOPE_SE
	ds_load_b32 v17, v26 offset:4
	ds_load_b32 v18, v28 offset:4
	;; [unrolled: 1-line block ×4, first 2 shown]
                                        ; implicit-def: $vgpr23_vgpr24
	s_wait_dscnt 0x3
	v_add_nc_u32_e32 v68, v17, v25
	s_wait_dscnt 0x2
	v_add3_u32 v67, v29, v27, v18
	s_wait_dscnt 0x1
	v_add3_u32 v66, v32, v30, v19
	;; [unrolled: 2-line block ×3, first 2 shown]
                                        ; implicit-def: $vgpr19_vgpr20
                                        ; implicit-def: $vgpr31_vgpr32
                                        ; implicit-def: $vgpr27_vgpr28
	s_wait_alu 0xfffe
	s_cbranch_vccnz .LBB158_36
; %bb.48:                               ;   in Loop: Header=BB158_37 Depth=1
	v_lshlrev_b32_e32 v25, 3, v68
	v_lshlrev_b32_e32 v26, 3, v67
	;; [unrolled: 1-line block ×4, first 2 shown]
	s_wait_loadcnt 0x0
	; wave barrier
	global_inv scope:SCOPE_SE
	ds_store_b64 v25, v[36:37]
	ds_store_b64 v26, v[50:51]
	;; [unrolled: 1-line block ×4, first 2 shown]
	; wave barrier
	s_wait_loadcnt_dscnt 0x0
	global_inv scope:SCOPE_SE
	ds_load_2addr_b64 v[17:20], v62 offset1:32
	ds_load_2addr_b64 v[21:24], v62 offset0:64 offset1:96
	; wave barrier
	s_wait_loadcnt_dscnt 0x0
	global_inv scope:SCOPE_SE
	ds_store_b64 v25, v[44:45]
	ds_store_b64 v26, v[42:43]
	;; [unrolled: 1-line block ×4, first 2 shown]
	; wave barrier
	s_wait_loadcnt_dscnt 0x0
	global_inv scope:SCOPE_SE
	ds_load_2addr_b64 v[25:28], v62 offset1:32
	ds_load_2addr_b64 v[29:32], v62 offset0:64 offset1:96
	v_add_co_u32 v34, vcc_lo, v34, 8
	s_wait_alu 0xfffd
	v_add_co_ci_u32_e64 v35, null, 0, v35, vcc_lo
	s_add_co_i32 s23, s23, -8
	s_mov_b32 s10, 0
	; wave barrier
	s_wait_loadcnt_dscnt 0x0
	global_inv scope:SCOPE_SE
	s_branch .LBB158_36
.LBB158_49:
                                        ; implicit-def: $vgpr23_vgpr24
                                        ; implicit-def: $vgpr19_vgpr20
                                        ; implicit-def: $vgpr34
	s_cbranch_execnz .LBB158_51
	s_branch .LBB158_66
.LBB158_50:
	v_lshlrev_b32_e32 v0, 3, v68
	v_lshlrev_b32_e32 v26, 3, v66
	;; [unrolled: 1-line block ×5, first 2 shown]
	s_wait_loadcnt 0x0
	; wave barrier
	global_inv scope:SCOPE_SE
	ds_store_b64 v0, v[36:37]
	ds_store_b64 v25, v[50:51]
	;; [unrolled: 1-line block ×4, first 2 shown]
	; wave barrier
	s_wait_loadcnt_dscnt 0x0
	global_inv scope:SCOPE_SE
	ds_load_b128 v[17:20], v34
	ds_load_b128 v[21:24], v34 offset:16
	; wave barrier
	s_wait_loadcnt_dscnt 0x0
	global_inv scope:SCOPE_SE
	ds_store_b64 v0, v[44:45]
	ds_store_b64 v25, v[42:43]
	;; [unrolled: 1-line block ×4, first 2 shown]
	; wave barrier
	s_wait_loadcnt_dscnt 0x0
	global_inv scope:SCOPE_SE
	v_xor_b32_e32 v18, 0x80000000, v18
	v_xor_b32_e32 v20, 0x80000000, v20
	;; [unrolled: 1-line block ×4, first 2 shown]
	s_branch .LBB158_66
.LBB158_51:
	v_xor_b32_e32 v21, 0x7fffffff, v10
	v_and_b32_e32 v10, 3, v59
	v_xor_b32_e32 v0, -1, v13
	v_xor_b32_e32 v13, 0x7fffffff, v14
	v_xor_b32_e32 v14, 0x7fffffff, v16
	v_xor_b32_e32 v15, -1, v15
	v_cmp_eq_u32_e32 vcc_lo, 0, v10
	v_and_b32_e32 v19, 28, v59
	v_xor_b32_e32 v18, -1, v9
	v_xor_b32_e32 v22, 0x7fffffff, v12
	v_xor_b32_e32 v23, -1, v11
	s_wait_loadcnt 0x0
	ds_bpermute_b32 v16, v19, v0
	; wave barrier
	s_wait_dscnt 0x0
	global_inv scope:SCOPE_SE
	s_load_b32 s7, s[20:21], 0xc
	v_cmp_eq_u32_e64 s9, 31, v33
	v_mov_b32_e32 v39, 0
	s_mov_b32 s21, 64
	v_cndmask_b32_e32 v16, 0, v16, vcc_lo
	ds_bpermute_b32 v17, v19, v13
	ds_bpermute_b32 v9, v19, v14
	;; [unrolled: 1-line block ×5, first 2 shown]
	ds_bpermute_b32 v24, v19, v0 offset:32
	ds_bpermute_b32 v27, v19, v13 offset:32
	ds_bpermute_b32 v26, v19, v22
	ds_bpermute_b32 v29, v19, v14 offset:32
	ds_bpermute_b32 v31, v19, v13 offset:64
	;; [unrolled: 1-line block ×5, first 2 shown]
	ds_bpermute_b32 v25, v19, v23
	ds_bpermute_b32 v35, v19, v23 offset:32
	ds_bpermute_b32 v37, v19, v22 offset:64
	;; [unrolled: 1-line block ×6, first 2 shown]
	s_wait_dscnt 0x13
	v_cndmask_b32_e32 v17, 0, v17, vcc_lo
	v_cmp_eq_u32_e64 s0, 1, v10
	v_cmp_eq_u32_e64 s1, 2, v10
	;; [unrolled: 1-line block ×3, first 2 shown]
	ds_bpermute_b32 v22, v19, v22 offset:96
	s_wait_dscnt 0x13
	v_cndmask_b32_e64 v9, v17, v9, s0
	s_wait_dscnt 0x12
	v_cndmask_b32_e64 v16, v16, v20, s0
	ds_bpermute_b32 v17, v19, v0 offset:64
	ds_bpermute_b32 v20, v19, v21 offset:32
	s_wait_dscnt 0x10
	v_cndmask_b32_e32 v27, 0, v27, vcc_lo
	v_cndmask_b32_e64 v9, v9, v12, s1
	v_cndmask_b32_e64 v11, v16, v11, s1
	ds_bpermute_b32 v12, v19, v15 offset:64
	v_cndmask_b32_e32 v16, 0, v24, vcc_lo
	ds_bpermute_b32 v24, v19, v21 offset:64
	ds_bpermute_b32 v0, v19, v0 offset:96
	s_wait_dscnt 0x12
	s_wait_alu 0xf1ff
	v_cndmask_b32_e64 v10, v9, v26, s6
	s_wait_dscnt 0x11
	v_cndmask_b32_e64 v9, v27, v29, s0
	s_wait_dscnt 0x10
	v_cndmask_b32_e32 v26, 0, v31, vcc_lo
	ds_bpermute_b32 v27, v19, v14 offset:96
	s_wait_dscnt 0x10
	v_cndmask_b32_e64 v16, v16, v28, s0
	ds_bpermute_b32 v15, v19, v15 offset:96
	s_wait_dscnt 0xb
	v_cndmask_b32_e32 v13, 0, v13, vcc_lo
	ds_bpermute_b32 v21, v19, v21 offset:96
	ds_bpermute_b32 v28, v19, v2
	v_cndmask_b32_e64 v14, v16, v30, s1
	ds_bpermute_b32 v30, v19, v6 offset:32
	s_wait_dscnt 0x9
	v_cndmask_b32_e32 v17, 0, v17, vcc_lo
	v_cndmask_b32_e64 v26, v26, v32, s0
	s_wait_dscnt 0x8
	v_cndmask_b32_e64 v20, v9, v20, s1
	v_cndmask_b32_e64 v9, v11, v25, s6
	;; [unrolled: 1-line block ×3, first 2 shown]
	s_wait_dscnt 0x7
	v_cndmask_b32_e64 v16, v17, v12, s0
	ds_bpermute_b32 v25, v19, v8
	s_wait_dscnt 0x7
	v_cndmask_b32_e64 v17, v26, v24, s1
	s_wait_dscnt 0x6
	v_cndmask_b32_e32 v0, 0, v0, vcc_lo
	v_cndmask_b32_e64 v12, v20, v34, s6
	ds_bpermute_b32 v20, v19, v23 offset:64
	ds_bpermute_b32 v24, v19, v5
	v_cndmask_b32_e64 v14, v17, v37, s6
	ds_bpermute_b32 v17, v19, v6
	s_wait_dscnt 0x8
	v_cndmask_b32_e64 v13, v13, v27, s0
	ds_bpermute_b32 v27, v19, v5 offset:32
	ds_bpermute_b32 v26, v19, v7
	ds_bpermute_b32 v23, v19, v23 offset:96
	ds_bpermute_b32 v31, v19, v7 offset:32
	ds_bpermute_b32 v32, v19, v4
	ds_bpermute_b32 v35, v19, v8 offset:32
	ds_bpermute_b32 v29, v19, v1
	s_wait_dscnt 0xe
	v_cndmask_b32_e64 v0, v0, v15, s0
	v_cndmask_b32_e64 v16, v16, v36, s1
	s_wait_dscnt 0xd
	v_cndmask_b32_e64 v21, v13, v21, s1
	ds_bpermute_b32 v34, v19, v3
	ds_bpermute_b32 v36, v19, v1 offset:32
	v_cndmask_b32_e64 v0, v0, v18, s1
	s_wait_dscnt 0xb
	v_cndmask_b32_e64 v13, v16, v20, s6
	ds_bpermute_b32 v20, v19, v6 offset:64
	ds_bpermute_b32 v6, v19, v6 offset:96
	s_wait_dscnt 0xb
	v_cndmask_b32_e32 v15, 0, v17, vcc_lo
	s_wait_dscnt 0xa
	v_dual_cndmask_b32 v17, 0, v24 :: v_dual_cndmask_b32 v18, 0, v27
	v_cndmask_b32_e64 v16, v21, v22, s6
	v_cndmask_b32_e32 v22, 0, v30, vcc_lo
	v_cndmask_b32_e64 v15, v15, v25, s0
	ds_bpermute_b32 v24, v19, v5 offset:64
	ds_bpermute_b32 v5, v19, v5 offset:96
	s_wait_dscnt 0xb
	v_cndmask_b32_e64 v17, v17, v26, s0
	ds_bpermute_b32 v26, v19, v8 offset:64
	v_cndmask_b32_e64 v21, v15, v28, s1
	ds_bpermute_b32 v8, v19, v8 offset:96
	s_wait_dscnt 0xc
	v_cndmask_b32_e64 v15, v0, v23, s6
	s_wait_dscnt 0xb
	v_cndmask_b32_e64 v0, v18, v31, s0
	ds_bpermute_b32 v27, v19, v7 offset:64
	s_wait_dscnt 0xb
	v_cndmask_b32_e64 v18, v21, v32, s6
	s_wait_dscnt 0xa
	v_cndmask_b32_e64 v21, v22, v35, s0
	ds_bpermute_b32 v22, v19, v2 offset:32
	ds_bpermute_b32 v7, v19, v7 offset:96
	;; [unrolled: 1-line block ×4, first 2 shown]
	s_wait_dscnt 0xd
	v_cndmask_b32_e64 v17, v17, v29, s1
	ds_bpermute_b32 v25, v19, v4 offset:32
	ds_bpermute_b32 v29, v19, v1 offset:64
	;; [unrolled: 1-line block ×5, first 2 shown]
	s_wait_dscnt 0x11
	v_cndmask_b32_e64 v17, v17, v34, s6
	ds_bpermute_b32 v23, v19, v3 offset:32
	s_wait_dscnt 0x10
	v_cndmask_b32_e32 v20, 0, v20, vcc_lo
	ds_bpermute_b32 v30, v19, v3 offset:64
	ds_bpermute_b32 v34, v19, v3 offset:96
	s_wait_dscnt 0x11
	v_cndmask_b32_e32 v3, 0, v6, vcc_lo
	s_wait_dscnt 0x10
	v_cndmask_b32_e32 v1, 0, v24, vcc_lo
	;; [unrolled: 2-line block ×3, first 2 shown]
	s_wait_dscnt 0xe
	v_cndmask_b32_e64 v19, v20, v26, s0
	v_cndmask_b32_e64 v0, v0, v36, s1
	s_wait_dscnt 0xd
	v_cndmask_b32_e64 v3, v3, v8, s0
	s_wait_dscnt 0xb
	v_cndmask_b32_e64 v6, v21, v22, s1
	v_cndmask_b32_e64 v1, v1, v27, s0
	s_wait_dscnt 0xa
	v_cndmask_b32_e64 v5, v5, v7, s0
	s_wait_dscnt 0x8
	;; [unrolled: 2-line block ×3, first 2 shown]
	v_cndmask_b32_e64 v20, v6, v25, s6
	v_cndmask_b32_e64 v6, v19, v28, s1
	s_wait_dscnt 0x6
	v_cndmask_b32_e64 v7, v1, v29, s1
	s_wait_dscnt 0x5
	v_cndmask_b32_e64 v5, v5, v32, s1
	s_getpc_b64 s[0:1]
	s_wait_alu 0xfffe
	s_sext_i32_i16 s1, s1
	s_add_co_u32 s0, s0, _ZN7rocprim17ROCPRIM_400000_NS16block_radix_sortIlLj32ELj4ElLj1ELj1ELj0ELNS0_26block_radix_rank_algorithmE1ELNS0_18block_padding_hintE2ELNS0_4arch9wavefront6targetE0EE19radix_bits_per_passE@rel32@lo+12
	s_wait_alu 0xfffe
	s_add_co_ci_u32 s1, s1, _ZN7rocprim17ROCPRIM_400000_NS16block_radix_sortIlLj32ELj4ElLj1ELj1ELj0ELNS0_26block_radix_rank_algorithmE1ELNS0_18block_padding_hintE2ELNS0_4arch9wavefront6targetE0EE19radix_bits_per_passE@rel32@hi+24
	s_wait_kmcnt 0x0
	s_lshr_b32 s8, s7, 16
	s_wait_dscnt 0x3
	v_cndmask_b32_e64 v3, v2, v4, s6
	s_wait_alu 0xfffe
	v_mad_u32_u24 v4, v61, s8, v60
	s_load_b32 s11, s[0:1], 0x0
	s_and_b32 s0, s7, 0xffff
	s_wait_dscnt 0x0
	v_cndmask_b32_e64 v2, v5, v34, s6
	v_cndmask_b32_e64 v1, v6, v31, s6
	s_wait_alu 0xfffe
	v_mad_co_u64_u32 v[4:5], null, v4, s0, v[33:34]
	v_sub_co_u32 v5, s10, v59, 1
	v_and_b32_e32 v6, 15, v59
	v_cndmask_b32_e64 v19, v0, v23, s6
	v_cndmask_b32_e64 v0, v7, v30, s6
	s_delay_alu instid0(VALU_DEP_4)
	v_cmp_gt_i32_e32 vcc_lo, 0, v5
	v_lshrrev_b32_e32 v4, 3, v4
	v_cmp_eq_u32_e64 s0, 0, v6
	v_cmp_lt_u32_e64 s1, 1, v6
	v_and_b32_e32 v7, 16, v59
	s_wait_alu 0xfffd
	v_cndmask_b32_e32 v5, v5, v59, vcc_lo
	v_cmp_lt_u32_e64 s6, 3, v6
	v_cmp_lt_u32_e64 s7, 7, v6
	v_and_or_b32 v6, 0xf80, v57, v59
	v_cmp_eq_u32_e32 vcc_lo, 0, v33
	v_lshlrev_b32_e32 v36, 2, v5
	v_and_b32_e32 v38, 0x1ffffffc, v4
	v_mov_b32_e32 v4, 0
	v_cmp_eq_u32_e64 s8, 0, v7
	v_lshlrev_b32_e32 v37, 3, v6
	v_mov_b32_e32 v5, 0
	s_or_b32 s20, vcc_lo, s10
	s_branch .LBB158_53
.LBB158_52:                             ;   in Loop: Header=BB158_53 Depth=1
	s_wait_alu 0xfffe
	s_and_not1_b32 vcc_lo, exec_lo, s10
	s_wait_alu 0xfffe
	s_cbranch_vccz .LBB158_65
.LBB158_53:                             ; =>This Inner Loop Header: Depth=1
	v_dual_mov_b32 v6, v9 :: v_dual_mov_b32 v7, v10
	s_wait_kmcnt 0x0
	s_min_u32 s10, s11, s21
	ds_store_2addr_b32 v58, v39, v39 offset0:1 offset1:2
	ds_store_2addr_b32 v58, v39, v39 offset0:3 offset1:4
	;; [unrolled: 1-line block ×4, first 2 shown]
	s_wait_alu 0xfffe
	s_lshl_b32 s10, -1, s10
	s_wait_loadcnt_dscnt 0x0
	v_lshrrev_b64 v[8:9], v4, v[6:7]
	s_wait_alu 0xfffe
	s_not_b32 s22, s10
	; wave barrier
	global_inv scope:SCOPE_SE
	; wave barrier
	s_wait_alu 0xfffe
	v_dual_mov_b32 v30, v16 :: v_dual_and_b32 v9, s22, v8
	v_dual_mov_b32 v29, v15 :: v_dual_mov_b32 v32, v14
	v_mov_b32_e32 v35, v12
	s_delay_alu instid0(VALU_DEP_3)
	v_dual_mov_b32 v31, v13 :: v_dual_lshlrev_b32 v10, 30, v9
	v_and_b32_e32 v8, 1, v9
	v_lshlrev_b32_e32 v21, 29, v9
	v_lshlrev_b32_e32 v22, 28, v9
	;; [unrolled: 1-line block ×3, first 2 shown]
	v_not_b32_e32 v27, v10
	v_add_co_u32 v8, s10, v8, -1
	s_wait_alu 0xf1ff
	v_cndmask_b32_e64 v23, 0, 1, s10
	v_cmp_gt_i32_e64 s10, 0, v10
	v_not_b32_e32 v10, v21
	v_ashrrev_i32_e32 v27, 31, v27
	v_dual_mov_b32 v34, v11 :: v_dual_lshlrev_b32 v25, 26, v9
	v_cmp_ne_u32_e32 vcc_lo, 0, v23
	s_delay_alu instid0(VALU_DEP_4)
	v_ashrrev_i32_e32 v10, 31, v10
	s_wait_alu 0xf1ff
	v_xor_b32_e32 v27, s10, v27
	v_cmp_gt_i32_e64 s10, 0, v22
	v_lshlrev_b32_e32 v26, 25, v9
	s_wait_alu 0xfffd
	v_xor_b32_e32 v8, vcc_lo, v8
	v_cmp_gt_i32_e32 vcc_lo, 0, v21
	v_not_b32_e32 v21, v22
	v_not_b32_e32 v22, v24
	v_lshlrev_b32_e32 v23, 24, v9
	v_and_b32_e32 v8, exec_lo, v8
	s_wait_alu 0xfffd
	v_xor_b32_e32 v10, vcc_lo, v10
	v_ashrrev_i32_e32 v21, 31, v21
	v_cmp_gt_i32_e32 vcc_lo, 0, v24
	v_not_b32_e32 v24, v25
	v_and_b32_e32 v8, v8, v27
	v_ashrrev_i32_e32 v22, 31, v22
	s_wait_alu 0xf1ff
	v_xor_b32_e32 v21, s10, v21
	v_mov_b32_e32 v28, v1
	v_cmp_gt_i32_e64 s10, 0, v25
	v_and_b32_e32 v8, v8, v10
	v_ashrrev_i32_e32 v24, 31, v24
	s_wait_alu 0xfffd
	v_xor_b32_e32 v22, vcc_lo, v22
	v_mov_b32_e32 v27, v0
	v_not_b32_e32 v10, v26
	v_and_b32_e32 v8, v8, v21
	v_cmp_gt_i32_e32 vcc_lo, 0, v26
	s_wait_alu 0xf1ff
	v_xor_b32_e32 v24, s10, v24
	v_mov_b32_e32 v26, v3
	v_not_b32_e32 v21, v23
	v_ashrrev_i32_e32 v10, 31, v10
	v_and_b32_e32 v8, v8, v22
	v_cmp_gt_i32_e64 s10, 0, v23
	v_mov_b32_e32 v25, v2
	v_ashrrev_i32_e32 v21, 31, v21
	s_wait_alu 0xfffd
	v_xor_b32_e32 v10, vcc_lo, v10
	v_and_b32_e32 v8, v8, v24
	v_dual_mov_b32 v24, v18 :: v_dual_mov_b32 v23, v17
	s_wait_alu 0xf1ff
	v_xor_b32_e32 v21, s10, v21
	v_lshl_add_u32 v13, v9, 2, v38
	v_and_b32_e32 v8, v8, v10
	s_delay_alu instid0(VALU_DEP_1) | instskip(SKIP_1) | instid1(VALU_DEP_2)
	v_and_b32_e32 v8, v8, v21
	v_dual_mov_b32 v22, v20 :: v_dual_mov_b32 v21, v19
	v_mbcnt_lo_u32_b32 v12, v8, 0
	v_cmp_ne_u32_e64 s10, 0, v8
	s_delay_alu instid0(VALU_DEP_2)
	v_cmp_eq_u32_e32 vcc_lo, 0, v12
	s_and_b32 s23, s10, vcc_lo
	s_wait_alu 0xfffe
	s_and_saveexec_b32 s10, s23
; %bb.54:                               ;   in Loop: Header=BB158_53 Depth=1
	v_bcnt_u32_b32 v0, v8, 0
	ds_store_b32 v13, v0 offset:4
; %bb.55:                               ;   in Loop: Header=BB158_53 Depth=1
	s_wait_alu 0xfffe
	s_or_b32 exec_lo, exec_lo, s10
	v_lshrrev_b64 v[0:1], v4, v[34:35]
	; wave barrier
	s_delay_alu instid0(VALU_DEP_1) | instskip(NEXT) | instid1(VALU_DEP_1)
	v_and_b32_e32 v0, s22, v0
	v_and_b32_e32 v1, 1, v0
	v_lshlrev_b32_e32 v2, 30, v0
	v_lshlrev_b32_e32 v3, 29, v0
	;; [unrolled: 1-line block ×4, first 2 shown]
	v_add_co_u32 v1, s10, v1, -1
	s_wait_alu 0xf1ff
	v_cndmask_b32_e64 v9, 0, 1, s10
	v_not_b32_e32 v15, v2
	v_cmp_gt_i32_e64 s10, 0, v2
	v_not_b32_e32 v2, v3
	v_lshlrev_b32_e32 v11, 26, v0
	v_cmp_ne_u32_e32 vcc_lo, 0, v9
	v_ashrrev_i32_e32 v15, 31, v15
	v_lshlrev_b32_e32 v14, 25, v0
	v_ashrrev_i32_e32 v2, 31, v2
	v_lshlrev_b32_e32 v9, 24, v0
	s_wait_alu 0xfffd
	v_xor_b32_e32 v1, vcc_lo, v1
	v_cmp_gt_i32_e32 vcc_lo, 0, v3
	v_not_b32_e32 v3, v8
	s_wait_alu 0xf1ff
	v_xor_b32_e32 v15, s10, v15
	v_cmp_gt_i32_e64 s10, 0, v8
	v_and_b32_e32 v1, exec_lo, v1
	v_not_b32_e32 v8, v10
	v_ashrrev_i32_e32 v3, 31, v3
	s_wait_alu 0xfffd
	v_xor_b32_e32 v2, vcc_lo, v2
	v_cmp_gt_i32_e32 vcc_lo, 0, v10
	v_and_b32_e32 v1, v1, v15
	v_not_b32_e32 v10, v11
	v_ashrrev_i32_e32 v8, 31, v8
	s_wait_alu 0xf1ff
	v_xor_b32_e32 v3, s10, v3
	v_cmp_gt_i32_e64 s10, 0, v11
	v_and_b32_e32 v1, v1, v2
	v_not_b32_e32 v2, v14
	v_ashrrev_i32_e32 v10, 31, v10
	s_wait_alu 0xfffd
	v_xor_b32_e32 v8, vcc_lo, v8
	v_cmp_gt_i32_e32 vcc_lo, 0, v14
	v_and_b32_e32 v1, v1, v3
	v_not_b32_e32 v3, v9
	v_ashrrev_i32_e32 v2, 31, v2
	s_wait_alu 0xf1ff
	v_xor_b32_e32 v10, s10, v10
	v_cmp_gt_i32_e64 s10, 0, v9
	v_and_b32_e32 v1, v1, v8
	v_ashrrev_i32_e32 v3, 31, v3
	s_wait_alu 0xfffd
	v_xor_b32_e32 v2, vcc_lo, v2
	v_lshl_add_u32 v15, v0, 2, v38
	v_and_b32_e32 v1, v1, v10
	s_wait_alu 0xf1ff
	v_xor_b32_e32 v0, s10, v3
	ds_load_b32 v14, v15 offset:4
	v_and_b32_e32 v1, v1, v2
	; wave barrier
	s_delay_alu instid0(VALU_DEP_1) | instskip(NEXT) | instid1(VALU_DEP_1)
	v_and_b32_e32 v0, v1, v0
	v_mbcnt_lo_u32_b32 v16, v0, 0
	v_cmp_ne_u32_e64 s10, 0, v0
	s_delay_alu instid0(VALU_DEP_2)
	v_cmp_eq_u32_e32 vcc_lo, 0, v16
	s_and_b32 s23, s10, vcc_lo
	s_wait_alu 0xfffe
	s_and_saveexec_b32 s10, s23
	s_cbranch_execz .LBB158_57
; %bb.56:                               ;   in Loop: Header=BB158_53 Depth=1
	s_wait_dscnt 0x0
	v_bcnt_u32_b32 v0, v0, v14
	ds_store_b32 v15, v0 offset:4
.LBB158_57:                             ;   in Loop: Header=BB158_53 Depth=1
	s_wait_alu 0xfffe
	s_or_b32 exec_lo, exec_lo, s10
	v_lshrrev_b64 v[0:1], v4, v[31:32]
	; wave barrier
	s_delay_alu instid0(VALU_DEP_1) | instskip(NEXT) | instid1(VALU_DEP_1)
	v_and_b32_e32 v0, s22, v0
	v_and_b32_e32 v1, 1, v0
	v_lshlrev_b32_e32 v2, 30, v0
	v_lshlrev_b32_e32 v3, 29, v0
	v_lshlrev_b32_e32 v8, 28, v0
	v_lshlrev_b32_e32 v10, 27, v0
	v_add_co_u32 v1, s10, v1, -1
	s_wait_alu 0xf1ff
	v_cndmask_b32_e64 v9, 0, 1, s10
	v_not_b32_e32 v18, v2
	v_cmp_gt_i32_e64 s10, 0, v2
	v_not_b32_e32 v2, v3
	v_lshlrev_b32_e32 v11, 26, v0
	v_cmp_ne_u32_e32 vcc_lo, 0, v9
	v_ashrrev_i32_e32 v18, 31, v18
	v_lshlrev_b32_e32 v17, 25, v0
	v_ashrrev_i32_e32 v2, 31, v2
	v_lshlrev_b32_e32 v9, 24, v0
	s_wait_alu 0xfffd
	v_xor_b32_e32 v1, vcc_lo, v1
	v_cmp_gt_i32_e32 vcc_lo, 0, v3
	v_not_b32_e32 v3, v8
	s_wait_alu 0xf1ff
	v_xor_b32_e32 v18, s10, v18
	v_cmp_gt_i32_e64 s10, 0, v8
	v_and_b32_e32 v1, exec_lo, v1
	v_not_b32_e32 v8, v10
	v_ashrrev_i32_e32 v3, 31, v3
	s_wait_alu 0xfffd
	v_xor_b32_e32 v2, vcc_lo, v2
	v_cmp_gt_i32_e32 vcc_lo, 0, v10
	v_and_b32_e32 v1, v1, v18
	v_not_b32_e32 v10, v11
	v_ashrrev_i32_e32 v8, 31, v8
	s_wait_alu 0xf1ff
	v_xor_b32_e32 v3, s10, v3
	v_cmp_gt_i32_e64 s10, 0, v11
	v_and_b32_e32 v1, v1, v2
	v_not_b32_e32 v2, v17
	v_ashrrev_i32_e32 v10, 31, v10
	s_wait_alu 0xfffd
	v_xor_b32_e32 v8, vcc_lo, v8
	v_cmp_gt_i32_e32 vcc_lo, 0, v17
	v_and_b32_e32 v1, v1, v3
	v_not_b32_e32 v3, v9
	v_ashrrev_i32_e32 v2, 31, v2
	s_wait_alu 0xf1ff
	v_xor_b32_e32 v10, s10, v10
	v_cmp_gt_i32_e64 s10, 0, v9
	v_and_b32_e32 v1, v1, v8
	v_ashrrev_i32_e32 v3, 31, v3
	s_wait_alu 0xfffd
	v_xor_b32_e32 v2, vcc_lo, v2
	v_lshl_add_u32 v18, v0, 2, v38
	v_and_b32_e32 v1, v1, v10
	s_wait_alu 0xf1ff
	v_xor_b32_e32 v0, s10, v3
	ds_load_b32 v17, v18 offset:4
	v_and_b32_e32 v1, v1, v2
	; wave barrier
	s_delay_alu instid0(VALU_DEP_1) | instskip(NEXT) | instid1(VALU_DEP_1)
	v_and_b32_e32 v0, v1, v0
	v_mbcnt_lo_u32_b32 v19, v0, 0
	v_cmp_ne_u32_e64 s10, 0, v0
	s_delay_alu instid0(VALU_DEP_2)
	v_cmp_eq_u32_e32 vcc_lo, 0, v19
	s_and_b32 s23, s10, vcc_lo
	s_wait_alu 0xfffe
	s_and_saveexec_b32 s10, s23
	s_cbranch_execz .LBB158_59
; %bb.58:                               ;   in Loop: Header=BB158_53 Depth=1
	s_wait_dscnt 0x0
	v_bcnt_u32_b32 v0, v0, v17
	ds_store_b32 v18, v0 offset:4
.LBB158_59:                             ;   in Loop: Header=BB158_53 Depth=1
	s_wait_alu 0xfffe
	s_or_b32 exec_lo, exec_lo, s10
	v_lshrrev_b64 v[0:1], v4, v[29:30]
	; wave barrier
	s_delay_alu instid0(VALU_DEP_1) | instskip(NEXT) | instid1(VALU_DEP_1)
	v_and_b32_e32 v0, s22, v0
	v_and_b32_e32 v1, 1, v0
	v_lshlrev_b32_e32 v2, 30, v0
	v_lshlrev_b32_e32 v3, 29, v0
	;; [unrolled: 1-line block ×4, first 2 shown]
	v_add_co_u32 v1, s10, v1, -1
	s_wait_alu 0xf1ff
	v_cndmask_b32_e64 v9, 0, 1, s10
	v_not_b32_e32 v40, v2
	v_cmp_gt_i32_e64 s10, 0, v2
	v_not_b32_e32 v2, v3
	v_lshlrev_b32_e32 v11, 26, v0
	v_cmp_ne_u32_e32 vcc_lo, 0, v9
	v_ashrrev_i32_e32 v40, 31, v40
	v_lshlrev_b32_e32 v20, 25, v0
	v_ashrrev_i32_e32 v2, 31, v2
	v_lshlrev_b32_e32 v9, 24, v0
	s_wait_alu 0xfffd
	v_xor_b32_e32 v1, vcc_lo, v1
	v_cmp_gt_i32_e32 vcc_lo, 0, v3
	v_not_b32_e32 v3, v8
	s_wait_alu 0xf1ff
	v_xor_b32_e32 v40, s10, v40
	v_cmp_gt_i32_e64 s10, 0, v8
	v_and_b32_e32 v1, exec_lo, v1
	v_not_b32_e32 v8, v10
	v_ashrrev_i32_e32 v3, 31, v3
	s_wait_alu 0xfffd
	v_xor_b32_e32 v2, vcc_lo, v2
	v_cmp_gt_i32_e32 vcc_lo, 0, v10
	v_and_b32_e32 v1, v1, v40
	v_not_b32_e32 v10, v11
	v_ashrrev_i32_e32 v8, 31, v8
	s_wait_alu 0xf1ff
	v_xor_b32_e32 v3, s10, v3
	v_cmp_gt_i32_e64 s10, 0, v11
	v_and_b32_e32 v1, v1, v2
	v_not_b32_e32 v2, v20
	v_ashrrev_i32_e32 v10, 31, v10
	s_wait_alu 0xfffd
	v_xor_b32_e32 v8, vcc_lo, v8
	v_cmp_gt_i32_e32 vcc_lo, 0, v20
	v_and_b32_e32 v1, v1, v3
	v_not_b32_e32 v3, v9
	v_ashrrev_i32_e32 v2, 31, v2
	s_wait_alu 0xf1ff
	v_xor_b32_e32 v10, s10, v10
	v_cmp_gt_i32_e64 s10, 0, v9
	v_and_b32_e32 v1, v1, v8
	v_ashrrev_i32_e32 v3, 31, v3
	s_wait_alu 0xfffd
	v_xor_b32_e32 v2, vcc_lo, v2
	v_lshl_add_u32 v40, v0, 2, v38
	v_and_b32_e32 v1, v1, v10
	s_wait_alu 0xf1ff
	v_xor_b32_e32 v0, s10, v3
	ds_load_b32 v20, v40 offset:4
	v_and_b32_e32 v1, v1, v2
	; wave barrier
	s_delay_alu instid0(VALU_DEP_1) | instskip(NEXT) | instid1(VALU_DEP_1)
	v_and_b32_e32 v0, v1, v0
	v_mbcnt_lo_u32_b32 v43, v0, 0
	v_cmp_ne_u32_e64 s10, 0, v0
	s_delay_alu instid0(VALU_DEP_2)
	v_cmp_eq_u32_e32 vcc_lo, 0, v43
	s_and_b32 s22, s10, vcc_lo
	s_wait_alu 0xfffe
	s_and_saveexec_b32 s10, s22
	s_cbranch_execz .LBB158_61
; %bb.60:                               ;   in Loop: Header=BB158_53 Depth=1
	s_wait_dscnt 0x0
	v_bcnt_u32_b32 v0, v0, v20
	ds_store_b32 v40, v0 offset:4
.LBB158_61:                             ;   in Loop: Header=BB158_53 Depth=1
	s_wait_alu 0xfffe
	s_or_b32 exec_lo, exec_lo, s10
	; wave barrier
	; wave barrier
	s_wait_loadcnt_dscnt 0x0
	global_inv scope:SCOPE_SE
	ds_load_2addr_b32 v[10:11], v58 offset0:1 offset1:2
	ds_load_2addr_b32 v[8:9], v58 offset0:3 offset1:4
	;; [unrolled: 1-line block ×4, first 2 shown]
	s_wait_dscnt 0x3
	v_add_nc_u32_e32 v41, v11, v10
	s_wait_dscnt 0x2
	s_delay_alu instid0(VALU_DEP_1) | instskip(SKIP_1) | instid1(VALU_DEP_1)
	v_add3_u32 v41, v41, v8, v9
	s_wait_dscnt 0x1
	v_add3_u32 v41, v41, v2, v3
	s_wait_dscnt 0x0
	s_delay_alu instid0(VALU_DEP_1) | instskip(NEXT) | instid1(VALU_DEP_1)
	v_add3_u32 v1, v41, v0, v1
	v_mov_b32_dpp v41, v1 row_shr:1 row_mask:0xf bank_mask:0xf
	s_delay_alu instid0(VALU_DEP_1) | instskip(NEXT) | instid1(VALU_DEP_1)
	v_cndmask_b32_e64 v41, v41, 0, s0
	v_add_nc_u32_e32 v1, v41, v1
	s_delay_alu instid0(VALU_DEP_1) | instskip(NEXT) | instid1(VALU_DEP_1)
	v_mov_b32_dpp v41, v1 row_shr:2 row_mask:0xf bank_mask:0xf
	v_cndmask_b32_e64 v41, 0, v41, s1
	s_delay_alu instid0(VALU_DEP_1) | instskip(NEXT) | instid1(VALU_DEP_1)
	v_add_nc_u32_e32 v1, v1, v41
	v_mov_b32_dpp v41, v1 row_shr:4 row_mask:0xf bank_mask:0xf
	s_delay_alu instid0(VALU_DEP_1) | instskip(NEXT) | instid1(VALU_DEP_1)
	v_cndmask_b32_e64 v41, 0, v41, s6
	v_add_nc_u32_e32 v1, v1, v41
	s_delay_alu instid0(VALU_DEP_1) | instskip(NEXT) | instid1(VALU_DEP_1)
	v_mov_b32_dpp v41, v1 row_shr:8 row_mask:0xf bank_mask:0xf
	v_cndmask_b32_e64 v41, 0, v41, s7
	s_delay_alu instid0(VALU_DEP_1) | instskip(SKIP_3) | instid1(VALU_DEP_1)
	v_add_nc_u32_e32 v1, v1, v41
	ds_swizzle_b32 v41, v1 offset:swizzle(BROADCAST,32,15)
	s_wait_dscnt 0x0
	v_cndmask_b32_e64 v41, v41, 0, s8
	v_add_nc_u32_e32 v1, v1, v41
	s_and_saveexec_b32 s10, s9
; %bb.62:                               ;   in Loop: Header=BB158_53 Depth=1
	ds_store_b32 v39, v1
; %bb.63:                               ;   in Loop: Header=BB158_53 Depth=1
	s_wait_alu 0xfffe
	s_or_b32 exec_lo, exec_lo, s10
	ds_bpermute_b32 v1, v36, v1
	; wave barrier
	s_wait_loadcnt_dscnt 0x0
	global_inv scope:SCOPE_SE
	v_cmp_lt_u32_e32 vcc_lo, 55, v4
	s_mov_b32 s10, -1
	s_and_b32 vcc_lo, exec_lo, vcc_lo
	v_cndmask_b32_e64 v1, v1, 0, s20
	s_delay_alu instid0(VALU_DEP_1) | instskip(NEXT) | instid1(VALU_DEP_1)
	v_add_nc_u32_e32 v10, v1, v10
	v_add_nc_u32_e32 v11, v10, v11
	s_delay_alu instid0(VALU_DEP_1) | instskip(NEXT) | instid1(VALU_DEP_1)
	v_add_nc_u32_e32 v8, v11, v8
	v_add_nc_u32_e32 v9, v8, v9
	;; [unrolled: 3-line block ×3, first 2 shown]
	s_delay_alu instid0(VALU_DEP_1)
	v_add_nc_u32_e32 v0, v3, v0
	ds_store_2addr_b32 v58, v1, v10 offset0:1 offset1:2
	ds_store_2addr_b32 v58, v11, v8 offset0:3 offset1:4
	ds_store_2addr_b32 v58, v9, v2 offset0:5 offset1:6
	ds_store_2addr_b32 v58, v3, v0 offset0:7 offset1:8
	; wave barrier
	s_wait_loadcnt_dscnt 0x0
	global_inv scope:SCOPE_SE
	ds_load_b32 v0, v13 offset:4
	ds_load_b32 v1, v15 offset:4
	;; [unrolled: 1-line block ×4, first 2 shown]
	s_wait_dscnt 0x3
	v_add_nc_u32_e32 v42, v0, v12
	s_wait_dscnt 0x2
	v_add3_u32 v41, v16, v14, v1
	s_wait_dscnt 0x1
	v_add3_u32 v40, v19, v17, v2
	;; [unrolled: 2-line block ×3, first 2 shown]
                                        ; implicit-def: $vgpr15_vgpr16
                                        ; implicit-def: $vgpr11_vgpr12
                                        ; implicit-def: $vgpr2_vgpr3
                                        ; implicit-def: $vgpr19_vgpr20
	s_wait_alu 0xfffe
	s_cbranch_vccnz .LBB158_52
; %bb.64:                               ;   in Loop: Header=BB158_53 Depth=1
	v_lshlrev_b32_e32 v0, 3, v42
	v_lshlrev_b32_e32 v1, 3, v41
	;; [unrolled: 1-line block ×4, first 2 shown]
	s_wait_loadcnt 0x0
	; wave barrier
	global_inv scope:SCOPE_SE
	ds_store_b64 v0, v[6:7]
	ds_store_b64 v1, v[34:35]
	;; [unrolled: 1-line block ×4, first 2 shown]
	; wave barrier
	s_wait_loadcnt_dscnt 0x0
	global_inv scope:SCOPE_SE
	ds_load_2addr_b64 v[9:12], v37 offset1:32
	ds_load_2addr_b64 v[13:16], v37 offset0:64 offset1:96
	; wave barrier
	s_wait_loadcnt_dscnt 0x0
	global_inv scope:SCOPE_SE
	ds_store_b64 v0, v[23:24]
	ds_store_b64 v1, v[21:22]
	;; [unrolled: 1-line block ×4, first 2 shown]
	; wave barrier
	s_wait_loadcnt_dscnt 0x0
	global_inv scope:SCOPE_SE
	ds_load_2addr_b64 v[17:20], v37 offset1:32
	ds_load_2addr_b64 v[0:3], v37 offset0:64 offset1:96
	v_add_co_u32 v4, vcc_lo, v4, 8
	s_wait_alu 0xfffd
	v_add_co_ci_u32_e64 v5, null, 0, v5, vcc_lo
	s_add_co_i32 s21, s21, -8
	s_mov_b32 s10, 0
	; wave barrier
	s_wait_loadcnt_dscnt 0x0
	global_inv scope:SCOPE_SE
	s_branch .LBB158_52
.LBB158_65:
	v_lshlrev_b32_e32 v9, 3, v42
	v_lshlrev_b32_e32 v10, 3, v41
	s_wait_loadcnt 0x0
	; wave barrier
	global_inv scope:SCOPE_SE
	v_lshlrev_b32_e32 v11, 3, v40
	ds_store_b64 v9, v[6:7]
	ds_store_b64 v10, v[34:35]
	v_lshlrev_b32_e32 v34, 3, v57
	v_lshlrev_b32_e32 v8, 3, v8
	ds_store_b64 v11, v[31:32]
	ds_store_b64 v8, v[29:30]
	; wave barrier
	s_wait_loadcnt_dscnt 0x0
	global_inv scope:SCOPE_SE
	ds_load_b128 v[0:3], v34
	ds_load_b128 v[4:7], v34 offset:16
	; wave barrier
	s_wait_loadcnt_dscnt 0x0
	global_inv scope:SCOPE_SE
	ds_store_b64 v9, v[23:24]
	ds_store_b64 v10, v[21:22]
	ds_store_b64 v11, v[27:28]
	ds_store_b64 v8, v[25:26]
	; wave barrier
	s_wait_loadcnt_dscnt 0x0
	global_inv scope:SCOPE_SE
	v_xor_b32_e32 v18, 0x7fffffff, v1
	v_xor_b32_e32 v17, -1, v0
	v_xor_b32_e32 v20, 0x7fffffff, v3
	v_xor_b32_e32 v19, -1, v2
	;; [unrolled: 2-line block ×4, first 2 shown]
.LBB158_66:
	v_mad_co_u64_u32 v[10:11], null, s12, v33, 0
	ds_load_2addr_b64 v[0:3], v34 offset0:2 offset1:3
	ds_load_2addr_b64 v[4:7], v34 offset1:1
	; wave barrier
	s_wait_loadcnt_dscnt 0x0
	global_inv scope:SCOPE_SE
	ds_store_2addr_b64 v56, v[17:18], v[19:20] offset1:1
	ds_store_2addr_b64 v56, v[21:22], v[23:24] offset0:2 offset1:3
	; wave barrier
	s_wait_loadcnt_dscnt 0x0
	global_inv scope:SCOPE_SE
	v_mov_b32_e32 v8, v11
	s_delay_alu instid0(VALU_DEP_1) | instskip(SKIP_4) | instid1(VALU_DEP_1)
	v_mad_co_u64_u32 v[11:12], null, s13, v33, v[8:9]
	ds_load_b64 v[14:15], v53 offset:256
	ds_load_b64 v[12:13], v54 offset:512
	;; [unrolled: 1-line block ×3, first 2 shown]
	v_lshlrev_b64_e32 v[10:11], 3, v[10:11]
	v_add_co_u32 v10, vcc_lo, s16, v10
	s_wait_alu 0xfffd
	s_delay_alu instid0(VALU_DEP_2)
	v_add_co_ci_u32_e64 v11, null, s17, v11, vcc_lo
	s_and_saveexec_b32 s0, s2
	s_cbranch_execnz .LBB158_77
; %bb.67:
	s_wait_alu 0xfffe
	s_or_b32 exec_lo, exec_lo, s0
	s_and_saveexec_b32 s0, s3
	s_cbranch_execnz .LBB158_78
.LBB158_68:
	s_wait_alu 0xfffe
	s_or_b32 exec_lo, exec_lo, s0
	s_and_saveexec_b32 s0, s4
	s_cbranch_execnz .LBB158_79
.LBB158_69:
	s_wait_alu 0xfffe
	s_or_b32 exec_lo, exec_lo, s0
	s_and_saveexec_b32 s0, s5
	s_cbranch_execz .LBB158_71
.LBB158_70:
	v_mad_co_u64_u32 v[10:11], null, 0x300, s12, v[10:11]
	s_wait_dscnt 0x1
	s_delay_alu instid0(VALU_DEP_1)
	v_mad_co_u64_u32 v[11:12], null, 0x300, s13, v[11:12]
	s_wait_dscnt 0x0
	global_store_b64 v[10:11], v[8:9], off
.LBB158_71:
	s_wait_alu 0xfffe
	s_or_b32 exec_lo, exec_lo, s0
	s_wait_dscnt 0x0
	v_mad_co_u64_u32 v[8:9], null, s14, v33, 0
	s_wait_loadcnt 0x0
	s_wait_storecnt 0x0
	; wave barrier
	global_inv scope:SCOPE_SE
	ds_store_2addr_b64 v56, v[4:5], v[6:7] offset1:1
	ds_store_2addr_b64 v56, v[0:1], v[2:3] offset0:2 offset1:3
	; wave barrier
	s_wait_loadcnt_dscnt 0x0
	global_inv scope:SCOPE_SE
	ds_load_b64 v[6:7], v53 offset:256
	ds_load_b64 v[4:5], v54 offset:512
	;; [unrolled: 1-line block ×3, first 2 shown]
	v_mad_co_u64_u32 v[9:10], null, s15, v33, v[9:10]
	s_delay_alu instid0(VALU_DEP_1) | instskip(NEXT) | instid1(VALU_DEP_1)
	v_lshlrev_b64_e32 v[2:3], 3, v[8:9]
	v_add_co_u32 v2, vcc_lo, s18, v2
	s_wait_alu 0xfffd
	s_delay_alu instid0(VALU_DEP_2)
	v_add_co_ci_u32_e64 v3, null, s19, v3, vcc_lo
	s_and_saveexec_b32 s0, s2
	s_cbranch_execnz .LBB158_80
; %bb.72:
	s_wait_alu 0xfffe
	s_or_b32 exec_lo, exec_lo, s0
	s_and_saveexec_b32 s0, s3
	s_cbranch_execnz .LBB158_81
.LBB158_73:
	s_wait_alu 0xfffe
	s_or_b32 exec_lo, exec_lo, s0
	s_and_saveexec_b32 s0, s4
	s_cbranch_execnz .LBB158_82
.LBB158_74:
	s_wait_alu 0xfffe
	s_or_b32 exec_lo, exec_lo, s0
	s_and_saveexec_b32 s0, s5
	s_cbranch_execz .LBB158_76
.LBB158_75:
	v_mad_co_u64_u32 v[2:3], null, 0x300, s14, v[2:3]
	s_wait_dscnt 0x1
	s_delay_alu instid0(VALU_DEP_1)
	v_mad_co_u64_u32 v[3:4], null, 0x300, s15, v[3:4]
	s_wait_dscnt 0x0
	global_store_b64 v[2:3], v[0:1], off
.LBB158_76:
	s_endpgm
.LBB158_77:
	ds_load_b64 v[16:17], v52
	s_wait_dscnt 0x0
	global_store_b64 v[10:11], v[16:17], off
	s_wait_alu 0xfffe
	s_or_b32 exec_lo, exec_lo, s0
	s_and_saveexec_b32 s0, s3
	s_cbranch_execz .LBB158_68
.LBB158_78:
	s_lshl_b64 s[6:7], s[12:13], 8
	s_wait_alu 0xfffe
	v_add_co_u32 v16, vcc_lo, v10, s6
	s_wait_alu 0xfffd
	v_add_co_ci_u32_e64 v17, null, s7, v11, vcc_lo
	s_wait_dscnt 0x2
	global_store_b64 v[16:17], v[14:15], off
	s_or_b32 exec_lo, exec_lo, s0
	s_and_saveexec_b32 s0, s4
	s_cbranch_execz .LBB158_69
.LBB158_79:
	s_lshl_b64 s[6:7], s[12:13], 9
	s_wait_dscnt 0x2
	s_wait_alu 0xfffe
	v_add_co_u32 v14, vcc_lo, v10, s6
	s_wait_alu 0xfffd
	v_add_co_ci_u32_e64 v15, null, s7, v11, vcc_lo
	s_wait_dscnt 0x1
	global_store_b64 v[14:15], v[12:13], off
	s_or_b32 exec_lo, exec_lo, s0
	s_and_saveexec_b32 s0, s5
	s_cbranch_execnz .LBB158_70
	s_branch .LBB158_71
.LBB158_80:
	ds_load_b64 v[8:9], v52
	s_wait_dscnt 0x0
	global_store_b64 v[2:3], v[8:9], off
	s_wait_alu 0xfffe
	s_or_b32 exec_lo, exec_lo, s0
	s_and_saveexec_b32 s0, s3
	s_cbranch_execz .LBB158_73
.LBB158_81:
	s_lshl_b64 s[2:3], s[14:15], 8
	s_delay_alu instid0(SALU_CYCLE_1)
	v_add_co_u32 v8, vcc_lo, v2, s2
	s_wait_alu 0xfffd
	v_add_co_ci_u32_e64 v9, null, s3, v3, vcc_lo
	s_wait_dscnt 0x2
	global_store_b64 v[8:9], v[6:7], off
	s_wait_alu 0xfffe
	s_or_b32 exec_lo, exec_lo, s0
	s_and_saveexec_b32 s0, s4
	s_cbranch_execz .LBB158_74
.LBB158_82:
	s_lshl_b64 s[2:3], s[14:15], 9
	s_wait_dscnt 0x2
	s_wait_alu 0xfffe
	v_add_co_u32 v6, vcc_lo, v2, s2
	s_wait_alu 0xfffd
	v_add_co_ci_u32_e64 v7, null, s3, v3, vcc_lo
	s_wait_dscnt 0x1
	global_store_b64 v[6:7], v[4:5], off
	s_or_b32 exec_lo, exec_lo, s0
	s_and_saveexec_b32 s0, s5
	s_cbranch_execnz .LBB158_75
	s_branch .LBB158_76
	.section	.rodata,"a",@progbits
	.p2align	6, 0x0
	.amdhsa_kernel _ZN2at6native18radixSortKVInPlaceILin1ELin1ELi32ELi4EllmEEvNS_4cuda6detail10TensorInfoIT3_T5_EES6_S6_S6_NS4_IT4_S6_EES6_b
		.amdhsa_group_segment_fixed_size 1056
		.amdhsa_private_segment_fixed_size 0
		.amdhsa_kernarg_size 1128
		.amdhsa_user_sgpr_count 2
		.amdhsa_user_sgpr_dispatch_ptr 0
		.amdhsa_user_sgpr_queue_ptr 0
		.amdhsa_user_sgpr_kernarg_segment_ptr 1
		.amdhsa_user_sgpr_dispatch_id 0
		.amdhsa_user_sgpr_private_segment_size 0
		.amdhsa_wavefront_size32 1
		.amdhsa_uses_dynamic_stack 0
		.amdhsa_enable_private_segment 0
		.amdhsa_system_sgpr_workgroup_id_x 1
		.amdhsa_system_sgpr_workgroup_id_y 1
		.amdhsa_system_sgpr_workgroup_id_z 1
		.amdhsa_system_sgpr_workgroup_info 0
		.amdhsa_system_vgpr_workitem_id 2
		.amdhsa_next_free_vgpr 70
		.amdhsa_next_free_sgpr 36
		.amdhsa_reserve_vcc 1
		.amdhsa_float_round_mode_32 0
		.amdhsa_float_round_mode_16_64 0
		.amdhsa_float_denorm_mode_32 3
		.amdhsa_float_denorm_mode_16_64 3
		.amdhsa_fp16_overflow 0
		.amdhsa_workgroup_processor_mode 1
		.amdhsa_memory_ordered 1
		.amdhsa_forward_progress 1
		.amdhsa_inst_pref_size 91
		.amdhsa_round_robin_scheduling 0
		.amdhsa_exception_fp_ieee_invalid_op 0
		.amdhsa_exception_fp_denorm_src 0
		.amdhsa_exception_fp_ieee_div_zero 0
		.amdhsa_exception_fp_ieee_overflow 0
		.amdhsa_exception_fp_ieee_underflow 0
		.amdhsa_exception_fp_ieee_inexact 0
		.amdhsa_exception_int_div_zero 0
	.end_amdhsa_kernel
	.section	.text._ZN2at6native18radixSortKVInPlaceILin1ELin1ELi32ELi4EllmEEvNS_4cuda6detail10TensorInfoIT3_T5_EES6_S6_S6_NS4_IT4_S6_EES6_b,"axG",@progbits,_ZN2at6native18radixSortKVInPlaceILin1ELin1ELi32ELi4EllmEEvNS_4cuda6detail10TensorInfoIT3_T5_EES6_S6_S6_NS4_IT4_S6_EES6_b,comdat
.Lfunc_end158:
	.size	_ZN2at6native18radixSortKVInPlaceILin1ELin1ELi32ELi4EllmEEvNS_4cuda6detail10TensorInfoIT3_T5_EES6_S6_S6_NS4_IT4_S6_EES6_b, .Lfunc_end158-_ZN2at6native18radixSortKVInPlaceILin1ELin1ELi32ELi4EllmEEvNS_4cuda6detail10TensorInfoIT3_T5_EES6_S6_S6_NS4_IT4_S6_EES6_b
                                        ; -- End function
	.set _ZN2at6native18radixSortKVInPlaceILin1ELin1ELi32ELi4EllmEEvNS_4cuda6detail10TensorInfoIT3_T5_EES6_S6_S6_NS4_IT4_S6_EES6_b.num_vgpr, 70
	.set _ZN2at6native18radixSortKVInPlaceILin1ELin1ELi32ELi4EllmEEvNS_4cuda6detail10TensorInfoIT3_T5_EES6_S6_S6_NS4_IT4_S6_EES6_b.num_agpr, 0
	.set _ZN2at6native18radixSortKVInPlaceILin1ELin1ELi32ELi4EllmEEvNS_4cuda6detail10TensorInfoIT3_T5_EES6_S6_S6_NS4_IT4_S6_EES6_b.numbered_sgpr, 36
	.set _ZN2at6native18radixSortKVInPlaceILin1ELin1ELi32ELi4EllmEEvNS_4cuda6detail10TensorInfoIT3_T5_EES6_S6_S6_NS4_IT4_S6_EES6_b.num_named_barrier, 0
	.set _ZN2at6native18radixSortKVInPlaceILin1ELin1ELi32ELi4EllmEEvNS_4cuda6detail10TensorInfoIT3_T5_EES6_S6_S6_NS4_IT4_S6_EES6_b.private_seg_size, 0
	.set _ZN2at6native18radixSortKVInPlaceILin1ELin1ELi32ELi4EllmEEvNS_4cuda6detail10TensorInfoIT3_T5_EES6_S6_S6_NS4_IT4_S6_EES6_b.uses_vcc, 1
	.set _ZN2at6native18radixSortKVInPlaceILin1ELin1ELi32ELi4EllmEEvNS_4cuda6detail10TensorInfoIT3_T5_EES6_S6_S6_NS4_IT4_S6_EES6_b.uses_flat_scratch, 0
	.set _ZN2at6native18radixSortKVInPlaceILin1ELin1ELi32ELi4EllmEEvNS_4cuda6detail10TensorInfoIT3_T5_EES6_S6_S6_NS4_IT4_S6_EES6_b.has_dyn_sized_stack, 0
	.set _ZN2at6native18radixSortKVInPlaceILin1ELin1ELi32ELi4EllmEEvNS_4cuda6detail10TensorInfoIT3_T5_EES6_S6_S6_NS4_IT4_S6_EES6_b.has_recursion, 0
	.set _ZN2at6native18radixSortKVInPlaceILin1ELin1ELi32ELi4EllmEEvNS_4cuda6detail10TensorInfoIT3_T5_EES6_S6_S6_NS4_IT4_S6_EES6_b.has_indirect_call, 0
	.section	.AMDGPU.csdata,"",@progbits
; Kernel info:
; codeLenInByte = 11616
; TotalNumSgprs: 38
; NumVgprs: 70
; ScratchSize: 0
; MemoryBound: 0
; FloatMode: 240
; IeeeMode: 1
; LDSByteSize: 1056 bytes/workgroup (compile time only)
; SGPRBlocks: 0
; VGPRBlocks: 8
; NumSGPRsForWavesPerEU: 38
; NumVGPRsForWavesPerEU: 70
; Occupancy: 16
; WaveLimiterHint : 1
; COMPUTE_PGM_RSRC2:SCRATCH_EN: 0
; COMPUTE_PGM_RSRC2:USER_SGPR: 2
; COMPUTE_PGM_RSRC2:TRAP_HANDLER: 0
; COMPUTE_PGM_RSRC2:TGID_X_EN: 1
; COMPUTE_PGM_RSRC2:TGID_Y_EN: 1
; COMPUTE_PGM_RSRC2:TGID_Z_EN: 1
; COMPUTE_PGM_RSRC2:TIDIG_COMP_CNT: 2
	.section	.text._ZN2at6native18radixSortKVInPlaceILin1ELin1ELi16ELi2EllmEEvNS_4cuda6detail10TensorInfoIT3_T5_EES6_S6_S6_NS4_IT4_S6_EES6_b,"axG",@progbits,_ZN2at6native18radixSortKVInPlaceILin1ELin1ELi16ELi2EllmEEvNS_4cuda6detail10TensorInfoIT3_T5_EES6_S6_S6_NS4_IT4_S6_EES6_b,comdat
	.protected	_ZN2at6native18radixSortKVInPlaceILin1ELin1ELi16ELi2EllmEEvNS_4cuda6detail10TensorInfoIT3_T5_EES6_S6_S6_NS4_IT4_S6_EES6_b ; -- Begin function _ZN2at6native18radixSortKVInPlaceILin1ELin1ELi16ELi2EllmEEvNS_4cuda6detail10TensorInfoIT3_T5_EES6_S6_S6_NS4_IT4_S6_EES6_b
	.globl	_ZN2at6native18radixSortKVInPlaceILin1ELin1ELi16ELi2EllmEEvNS_4cuda6detail10TensorInfoIT3_T5_EES6_S6_S6_NS4_IT4_S6_EES6_b
	.p2align	8
	.type	_ZN2at6native18radixSortKVInPlaceILin1ELin1ELi16ELi2EllmEEvNS_4cuda6detail10TensorInfoIT3_T5_EES6_S6_S6_NS4_IT4_S6_EES6_b,@function
_ZN2at6native18radixSortKVInPlaceILin1ELin1ELi16ELi2EllmEEvNS_4cuda6detail10TensorInfoIT3_T5_EES6_S6_S6_NS4_IT4_S6_EES6_b: ; @_ZN2at6native18radixSortKVInPlaceILin1ELin1ELi16ELi2EllmEEvNS_4cuda6detail10TensorInfoIT3_T5_EES6_S6_S6_NS4_IT4_S6_EES6_b
; %bb.0:
	s_clause 0x1
	s_load_b64 s[2:3], s[0:1], 0x368
	s_load_b128 s[4:7], s[0:1], 0x1a0
	s_wait_kmcnt 0x0
	s_lshr_b32 s7, ttmp7, 16
	s_and_b32 s8, ttmp7, 0xffff
	s_mov_b32 s9, 0
	s_mul_i32 s3, s3, s7
	s_delay_alu instid0(SALU_CYCLE_1) | instskip(NEXT) | instid1(SALU_CYCLE_1)
	s_add_co_i32 s3, s3, s8
	s_mul_i32 s2, s3, s2
	s_delay_alu instid0(SALU_CYCLE_1) | instskip(NEXT) | instid1(SALU_CYCLE_1)
	s_add_co_i32 s8, s2, ttmp9
	v_cmp_le_u64_e64 s2, s[4:5], s[8:9]
	s_and_b32 vcc_lo, exec_lo, s2
	s_cbranch_vccnz .LBB159_68
; %bb.1:
	s_clause 0x1
	s_load_b32 s5, s[0:1], 0x198
	s_load_b64 s[16:17], s[0:1], 0x1b0
	s_mov_b64 s[2:3], 0
	s_mov_b64 s[10:11], s[8:9]
	s_wait_kmcnt 0x0
	s_cmp_lt_i32 s5, 2
	s_cbranch_scc1 .LBB159_9
; %bb.2:
	s_mov_b32 s4, 0
	s_add_co_i32 s2, s5, -1
	s_wait_alu 0xfffe
	s_mov_b32 s3, s4
	s_add_co_i32 s7, s5, 1
	s_lshl_b64 s[2:3], s[2:3], 3
	s_mov_b64 s[14:15], s[8:9]
	s_add_nc_u64 s[10:11], s[0:1], s[2:3]
	s_mov_b64 s[2:3], 0
	s_add_nc_u64 s[12:13], s[10:11], 8
.LBB159_3:                              ; =>This Inner Loop Header: Depth=1
	s_load_b64 s[18:19], s[12:13], 0x0
	s_wait_kmcnt 0x0
	s_or_b64 s[10:11], s[14:15], s[18:19]
	s_delay_alu instid0(SALU_CYCLE_1)
	s_mov_b32 s5, s11
                                        ; implicit-def: $sgpr10_sgpr11
	s_wait_alu 0xfffe
	s_cmp_lg_u64 s[4:5], 0
	s_mov_b32 s5, -1
	s_cbranch_scc0 .LBB159_5
; %bb.4:                                ;   in Loop: Header=BB159_3 Depth=1
	s_cvt_f32_u32 s5, s18
	s_cvt_f32_u32 s10, s19
	s_sub_nc_u64 s[20:21], 0, s[18:19]
	s_mov_b32 s23, s4
	s_mov_b32 s27, s4
	s_wait_alu 0xfffe
	s_fmamk_f32 s5, s10, 0x4f800000, s5
	s_wait_alu 0xfffe
	s_delay_alu instid0(SALU_CYCLE_2) | instskip(NEXT) | instid1(TRANS32_DEP_1)
	v_s_rcp_f32 s5, s5
	s_mul_f32 s5, s5, 0x5f7ffffc
	s_wait_alu 0xfffe
	s_delay_alu instid0(SALU_CYCLE_2) | instskip(NEXT) | instid1(SALU_CYCLE_3)
	s_mul_f32 s10, s5, 0x2f800000
	s_trunc_f32 s10, s10
	s_delay_alu instid0(SALU_CYCLE_3) | instskip(SKIP_2) | instid1(SALU_CYCLE_1)
	s_fmamk_f32 s5, s10, 0xcf800000, s5
	s_cvt_u32_f32 s11, s10
	s_wait_alu 0xfffe
	s_cvt_u32_f32 s10, s5
	s_delay_alu instid0(SALU_CYCLE_3) | instskip(NEXT) | instid1(SALU_CYCLE_1)
	s_mul_u64 s[24:25], s[20:21], s[10:11]
	s_mul_hi_u32 s29, s10, s25
	s_mul_i32 s28, s10, s25
	s_mul_hi_u32 s22, s10, s24
	s_mul_i32 s26, s11, s24
	s_add_nc_u64 s[22:23], s[22:23], s[28:29]
	s_mul_hi_u32 s5, s11, s24
	s_mul_hi_u32 s30, s11, s25
	s_add_co_u32 s22, s22, s26
	s_wait_alu 0xfffe
	s_add_co_ci_u32 s26, s23, s5
	s_mul_i32 s24, s11, s25
	s_add_co_ci_u32 s25, s30, 0
	s_delay_alu instid0(SALU_CYCLE_1)
	s_add_nc_u64 s[22:23], s[26:27], s[24:25]
	s_mov_b32 s25, s4
	s_add_co_u32 s10, s10, s22
	s_cselect_b32 s5, -1, 0
	s_wait_alu 0xfffe
	s_cmp_lg_u32 s5, 0
	s_add_co_ci_u32 s11, s11, s23
	s_mov_b32 s23, s4
	s_mul_u64 s[20:21], s[20:21], s[10:11]
	s_delay_alu instid0(SALU_CYCLE_1)
	s_mul_hi_u32 s27, s10, s21
	s_mul_i32 s26, s10, s21
	s_mul_hi_u32 s22, s10, s20
	s_mul_i32 s24, s11, s20
	s_add_nc_u64 s[22:23], s[22:23], s[26:27]
	s_mul_hi_u32 s5, s11, s20
	s_mul_hi_u32 s28, s11, s21
	s_mul_i32 s20, s11, s21
	s_add_co_u32 s21, s22, s24
	s_wait_alu 0xfffe
	s_add_co_ci_u32 s24, s23, s5
	s_add_co_ci_u32 s21, s28, 0
	s_mov_b32 s23, s4
	s_add_nc_u64 s[20:21], s[24:25], s[20:21]
	s_delay_alu instid0(SALU_CYCLE_1)
	s_add_co_u32 s5, s10, s20
	s_cselect_b32 s10, -1, 0
	s_wait_alu 0xfffe
	s_mul_hi_u32 s22, s14, s5
	s_cmp_lg_u32 s10, 0
	s_mul_hi_u32 s24, s15, s5
	s_add_co_ci_u32 s20, s11, s21
	s_mul_i32 s5, s15, s5
	s_mul_hi_u32 s11, s14, s20
	s_mul_i32 s10, s14, s20
	s_mul_hi_u32 s21, s15, s20
	s_add_nc_u64 s[10:11], s[22:23], s[10:11]
	s_mul_i32 s20, s15, s20
	s_wait_alu 0xfffe
	s_add_co_u32 s5, s10, s5
	s_add_co_ci_u32 s24, s11, s24
	s_add_co_ci_u32 s21, s21, 0
	s_delay_alu instid0(SALU_CYCLE_1) | instskip(NEXT) | instid1(SALU_CYCLE_1)
	s_add_nc_u64 s[10:11], s[24:25], s[20:21]
	s_mul_u64 s[20:21], s[18:19], s[10:11]
	s_delay_alu instid0(SALU_CYCLE_1)
	s_sub_co_u32 s5, s14, s20
	s_cselect_b32 s20, -1, 0
	s_sub_co_i32 s22, s15, s21
	s_cmp_lg_u32 s20, 0
	s_sub_co_ci_u32 s22, s22, s19
	s_wait_alu 0xfffe
	s_sub_co_u32 s23, s5, s18
	s_cselect_b32 s24, -1, 0
	s_delay_alu instid0(SALU_CYCLE_1) | instskip(SKIP_1) | instid1(SALU_CYCLE_1)
	s_cmp_lg_u32 s24, 0
	s_sub_co_ci_u32 s22, s22, 0
	s_cmp_ge_u32 s22, s19
	s_cselect_b32 s24, -1, 0
	s_cmp_ge_u32 s23, s18
	s_cselect_b32 s25, -1, 0
	s_cmp_eq_u32 s22, s19
	s_add_nc_u64 s[22:23], s[10:11], 1
	s_cselect_b32 s26, s25, s24
	s_add_nc_u64 s[24:25], s[10:11], 2
	s_cmp_lg_u32 s26, 0
	s_cselect_b32 s22, s24, s22
	s_cselect_b32 s23, s25, s23
	s_cmp_lg_u32 s20, 0
	s_sub_co_ci_u32 s20, s15, s21
	s_delay_alu instid0(SALU_CYCLE_1)
	s_cmp_ge_u32 s20, s19
	s_cselect_b32 s21, -1, 0
	s_cmp_ge_u32 s5, s18
	s_cselect_b32 s5, -1, 0
	s_cmp_eq_u32 s20, s19
	s_wait_alu 0xfffe
	s_cselect_b32 s5, s5, s21
	s_wait_alu 0xfffe
	s_cmp_lg_u32 s5, 0
	s_mov_b32 s5, 0
	s_cselect_b32 s11, s23, s11
	s_cselect_b32 s10, s22, s10
.LBB159_5:                              ;   in Loop: Header=BB159_3 Depth=1
	s_wait_alu 0xfffe
	s_and_not1_b32 vcc_lo, exec_lo, s5
	s_cbranch_vccnz .LBB159_7
; %bb.6:                                ;   in Loop: Header=BB159_3 Depth=1
	v_cvt_f32_u32_e32 v1, s18
	s_sub_co_i32 s10, 0, s18
	s_delay_alu instid0(VALU_DEP_1) | instskip(NEXT) | instid1(TRANS32_DEP_1)
	v_rcp_iflag_f32_e32 v1, v1
	v_mul_f32_e32 v1, 0x4f7ffffe, v1
	s_delay_alu instid0(VALU_DEP_1) | instskip(NEXT) | instid1(VALU_DEP_1)
	v_cvt_u32_f32_e32 v1, v1
	v_readfirstlane_b32 s5, v1
	s_mul_i32 s10, s10, s5
	s_delay_alu instid0(SALU_CYCLE_1) | instskip(NEXT) | instid1(SALU_CYCLE_1)
	s_mul_hi_u32 s10, s5, s10
	s_add_co_i32 s5, s5, s10
	s_wait_alu 0xfffe
	s_mul_hi_u32 s5, s14, s5
	s_wait_alu 0xfffe
	s_mul_i32 s10, s5, s18
	s_add_co_i32 s11, s5, 1
	s_sub_co_i32 s10, s14, s10
	s_delay_alu instid0(SALU_CYCLE_1)
	s_sub_co_i32 s20, s10, s18
	s_cmp_ge_u32 s10, s18
	s_cselect_b32 s5, s11, s5
	s_cselect_b32 s10, s20, s10
	s_wait_alu 0xfffe
	s_add_co_i32 s11, s5, 1
	s_cmp_ge_u32 s10, s18
	s_cselect_b32 s10, s11, s5
	s_mov_b32 s11, s4
.LBB159_7:                              ;   in Loop: Header=BB159_3 Depth=1
	s_load_b64 s[20:21], s[12:13], 0xc8
	s_mul_u64 s[18:19], s[10:11], s[18:19]
	s_add_co_i32 s7, s7, -1
	s_wait_alu 0xfffe
	s_sub_nc_u64 s[14:15], s[14:15], s[18:19]
	s_cmp_gt_u32 s7, 2
	s_add_nc_u64 s[12:13], s[12:13], -8
	s_wait_kmcnt 0x0
	s_mul_u64 s[14:15], s[20:21], s[14:15]
	s_delay_alu instid0(SALU_CYCLE_1)
	s_add_nc_u64 s[2:3], s[14:15], s[2:3]
	s_cbranch_scc0 .LBB159_9
; %bb.8:                                ;   in Loop: Header=BB159_3 Depth=1
	s_mov_b64 s[14:15], s[10:11]
	s_branch .LBB159_3
.LBB159_9:
	s_load_b32 s7, s[0:1], 0x350
	s_mov_b64 s[4:5], 0
	s_wait_kmcnt 0x0
	s_cmp_lt_i32 s7, 2
	s_cbranch_scc1 .LBB159_17
; %bb.10:
	s_mov_b32 s12, 0
	s_add_co_i32 s4, s7, -1
	s_mov_b32 s5, s12
	s_add_co_i32 s7, s7, 1
	s_wait_alu 0xfffe
	s_lshl_b64 s[4:5], s[4:5], 3
	s_wait_alu 0xfffe
	s_add_nc_u64 s[4:5], s[0:1], s[4:5]
	s_wait_alu 0xfffe
	s_add_nc_u64 s[14:15], s[4:5], 0x1c0
	s_mov_b64 s[4:5], 0
.LBB159_11:                             ; =>This Inner Loop Header: Depth=1
	s_load_b64 s[18:19], s[14:15], 0x0
                                        ; implicit-def: $sgpr22_sgpr23
	s_wait_kmcnt 0x0
	s_or_b64 s[20:21], s[8:9], s[18:19]
	s_delay_alu instid0(SALU_CYCLE_1)
	s_mov_b32 s13, s21
	s_wait_alu 0xfffe
	s_cmp_lg_u64 s[12:13], 0
	s_mov_b32 s13, -1
	s_cbranch_scc0 .LBB159_13
; %bb.12:                               ;   in Loop: Header=BB159_11 Depth=1
	s_cvt_f32_u32 s13, s18
	s_cvt_f32_u32 s20, s19
	s_sub_nc_u64 s[22:23], 0, s[18:19]
	s_mov_b32 s25, s12
	s_mov_b32 s29, s12
	s_wait_alu 0xfffe
	s_fmamk_f32 s13, s20, 0x4f800000, s13
	s_wait_alu 0xfffe
	s_delay_alu instid0(SALU_CYCLE_2) | instskip(NEXT) | instid1(TRANS32_DEP_1)
	v_s_rcp_f32 s13, s13
	s_mul_f32 s13, s13, 0x5f7ffffc
	s_wait_alu 0xfffe
	s_delay_alu instid0(SALU_CYCLE_2) | instskip(NEXT) | instid1(SALU_CYCLE_3)
	s_mul_f32 s20, s13, 0x2f800000
	s_trunc_f32 s20, s20
	s_delay_alu instid0(SALU_CYCLE_3) | instskip(SKIP_2) | instid1(SALU_CYCLE_1)
	s_fmamk_f32 s13, s20, 0xcf800000, s13
	s_cvt_u32_f32 s21, s20
	s_wait_alu 0xfffe
	s_cvt_u32_f32 s20, s13
	s_delay_alu instid0(SALU_CYCLE_3) | instskip(NEXT) | instid1(SALU_CYCLE_1)
	s_mul_u64 s[26:27], s[22:23], s[20:21]
	s_mul_hi_u32 s31, s20, s27
	s_mul_i32 s30, s20, s27
	s_mul_hi_u32 s24, s20, s26
	s_mul_i32 s28, s21, s26
	s_add_nc_u64 s[24:25], s[24:25], s[30:31]
	s_mul_hi_u32 s13, s21, s26
	s_mul_hi_u32 s33, s21, s27
	s_add_co_u32 s24, s24, s28
	s_wait_alu 0xfffe
	s_add_co_ci_u32 s28, s25, s13
	s_mul_i32 s26, s21, s27
	s_add_co_ci_u32 s27, s33, 0
	s_delay_alu instid0(SALU_CYCLE_1)
	s_add_nc_u64 s[24:25], s[28:29], s[26:27]
	s_mov_b32 s27, s12
	s_add_co_u32 s20, s20, s24
	s_cselect_b32 s13, -1, 0
	s_wait_alu 0xfffe
	s_cmp_lg_u32 s13, 0
	s_add_co_ci_u32 s21, s21, s25
	s_mov_b32 s25, s12
	s_mul_u64 s[22:23], s[22:23], s[20:21]
	s_delay_alu instid0(SALU_CYCLE_1)
	s_mul_hi_u32 s29, s20, s23
	s_mul_i32 s28, s20, s23
	s_mul_hi_u32 s24, s20, s22
	s_mul_i32 s26, s21, s22
	s_add_nc_u64 s[24:25], s[24:25], s[28:29]
	s_mul_hi_u32 s13, s21, s22
	s_mul_hi_u32 s30, s21, s23
	s_mul_i32 s22, s21, s23
	s_add_co_u32 s23, s24, s26
	s_wait_alu 0xfffe
	s_add_co_ci_u32 s26, s25, s13
	s_add_co_ci_u32 s23, s30, 0
	s_mov_b32 s25, s12
	s_add_nc_u64 s[22:23], s[26:27], s[22:23]
	s_delay_alu instid0(SALU_CYCLE_1)
	s_add_co_u32 s13, s20, s22
	s_cselect_b32 s20, -1, 0
	s_wait_alu 0xfffe
	s_mul_hi_u32 s24, s8, s13
	s_cmp_lg_u32 s20, 0
	s_mul_hi_u32 s26, s9, s13
	s_add_co_ci_u32 s22, s21, s23
	s_mul_i32 s13, s9, s13
	s_mul_hi_u32 s21, s8, s22
	s_mul_i32 s20, s8, s22
	s_mul_hi_u32 s23, s9, s22
	s_add_nc_u64 s[20:21], s[24:25], s[20:21]
	s_mul_i32 s22, s9, s22
	s_wait_alu 0xfffe
	s_add_co_u32 s13, s20, s13
	s_add_co_ci_u32 s26, s21, s26
	s_add_co_ci_u32 s23, s23, 0
	s_delay_alu instid0(SALU_CYCLE_1) | instskip(NEXT) | instid1(SALU_CYCLE_1)
	s_add_nc_u64 s[20:21], s[26:27], s[22:23]
	s_mul_u64 s[22:23], s[18:19], s[20:21]
	s_delay_alu instid0(SALU_CYCLE_1)
	s_sub_co_u32 s13, s8, s22
	s_cselect_b32 s22, -1, 0
	s_sub_co_i32 s24, s9, s23
	s_cmp_lg_u32 s22, 0
	s_sub_co_ci_u32 s24, s24, s19
	s_wait_alu 0xfffe
	s_sub_co_u32 s25, s13, s18
	s_cselect_b32 s26, -1, 0
	s_delay_alu instid0(SALU_CYCLE_1) | instskip(SKIP_1) | instid1(SALU_CYCLE_1)
	s_cmp_lg_u32 s26, 0
	s_sub_co_ci_u32 s24, s24, 0
	s_cmp_ge_u32 s24, s19
	s_cselect_b32 s26, -1, 0
	s_cmp_ge_u32 s25, s18
	s_cselect_b32 s27, -1, 0
	s_cmp_eq_u32 s24, s19
	s_add_nc_u64 s[24:25], s[20:21], 1
	s_cselect_b32 s28, s27, s26
	s_add_nc_u64 s[26:27], s[20:21], 2
	s_cmp_lg_u32 s28, 0
	s_cselect_b32 s24, s26, s24
	s_cselect_b32 s25, s27, s25
	s_cmp_lg_u32 s22, 0
	s_sub_co_ci_u32 s22, s9, s23
	s_delay_alu instid0(SALU_CYCLE_1)
	s_cmp_ge_u32 s22, s19
	s_cselect_b32 s23, -1, 0
	s_cmp_ge_u32 s13, s18
	s_cselect_b32 s13, -1, 0
	s_cmp_eq_u32 s22, s19
	s_wait_alu 0xfffe
	s_cselect_b32 s13, s13, s23
	s_wait_alu 0xfffe
	s_cmp_lg_u32 s13, 0
	s_mov_b32 s13, 0
	s_cselect_b32 s23, s25, s21
	s_cselect_b32 s22, s24, s20
.LBB159_13:                             ;   in Loop: Header=BB159_11 Depth=1
	s_wait_alu 0xfffe
	s_and_not1_b32 vcc_lo, exec_lo, s13
	s_cbranch_vccnz .LBB159_15
; %bb.14:                               ;   in Loop: Header=BB159_11 Depth=1
	v_cvt_f32_u32_e32 v1, s18
	s_sub_co_i32 s20, 0, s18
	s_mov_b32 s23, s12
	s_delay_alu instid0(VALU_DEP_1) | instskip(NEXT) | instid1(TRANS32_DEP_1)
	v_rcp_iflag_f32_e32 v1, v1
	v_mul_f32_e32 v1, 0x4f7ffffe, v1
	s_delay_alu instid0(VALU_DEP_1) | instskip(NEXT) | instid1(VALU_DEP_1)
	v_cvt_u32_f32_e32 v1, v1
	v_readfirstlane_b32 s13, v1
	s_mul_i32 s20, s20, s13
	s_delay_alu instid0(SALU_CYCLE_1) | instskip(NEXT) | instid1(SALU_CYCLE_1)
	s_mul_hi_u32 s20, s13, s20
	s_add_co_i32 s13, s13, s20
	s_wait_alu 0xfffe
	s_mul_hi_u32 s13, s8, s13
	s_wait_alu 0xfffe
	s_mul_i32 s20, s13, s18
	s_add_co_i32 s21, s13, 1
	s_sub_co_i32 s20, s8, s20
	s_delay_alu instid0(SALU_CYCLE_1)
	s_sub_co_i32 s22, s20, s18
	s_cmp_ge_u32 s20, s18
	s_cselect_b32 s13, s21, s13
	s_cselect_b32 s20, s22, s20
	s_wait_alu 0xfffe
	s_add_co_i32 s21, s13, 1
	s_cmp_ge_u32 s20, s18
	s_cselect_b32 s22, s21, s13
.LBB159_15:                             ;   in Loop: Header=BB159_11 Depth=1
	s_load_b64 s[20:21], s[14:15], 0xc8
	s_mul_u64 s[18:19], s[22:23], s[18:19]
	s_add_co_i32 s7, s7, -1
	s_wait_alu 0xfffe
	s_sub_nc_u64 s[8:9], s[8:9], s[18:19]
	s_cmp_gt_u32 s7, 2
	s_add_nc_u64 s[14:15], s[14:15], -8
	s_wait_kmcnt 0x0
	s_wait_alu 0xfffe
	s_mul_u64 s[8:9], s[20:21], s[8:9]
	s_wait_alu 0xfffe
	s_add_nc_u64 s[4:5], s[8:9], s[4:5]
	s_cbranch_scc0 .LBB159_18
; %bb.16:                               ;   in Loop: Header=BB159_11 Depth=1
	s_mov_b64 s[8:9], s[22:23]
	s_branch .LBB159_11
.LBB159_17:
	s_mov_b64 s[22:23], s[8:9]
.LBB159_18:
	s_clause 0x2
	s_load_b64 s[8:9], s[0:1], 0xd0
	s_load_b32 s7, s[0:1], 0x360
	s_load_b64 s[12:13], s[0:1], 0x0
	s_wait_kmcnt 0x0
	s_mul_u64 s[8:9], s[8:9], s[10:11]
	s_bitcmp1_b32 s7, 0
	s_brev_b32 s10, 1
	s_cselect_b32 s7, -1, 0
	s_wait_alu 0xfffe
	s_lshl_b64 s[14:15], s[8:9], 3
	s_lshl_b64 s[18:19], s[2:3], 3
	s_and_b32 s2, s7, exec_lo
	s_cselect_b32 s8, 0, -1
	s_cselect_b32 s9, s10, 0x7fffffff
	s_wait_alu 0xfffe
	s_mov_b32 s10, s8
	s_mov_b32 s11, s9
	v_dual_mov_b32 v1, s8 :: v_dual_mov_b32 v2, s9
	v_cmp_gt_u32_e64 s2, s6, v0
	v_dual_mov_b32 v3, s10 :: v_dual_mov_b32 v4, s11
	v_dual_mov_b32 v5, s8 :: v_dual_mov_b32 v6, s9
	s_add_nc_u64 s[12:13], s[12:13], s[14:15]
	s_wait_alu 0xfffe
	s_add_nc_u64 s[18:19], s[12:13], s[18:19]
	s_and_saveexec_b32 s3, s2
	s_cbranch_execz .LBB159_20
; %bb.19:
	v_mad_co_u64_u32 v[1:2], null, s16, v0, 0
	s_delay_alu instid0(VALU_DEP_1) | instskip(NEXT) | instid1(VALU_DEP_1)
	v_mad_co_u64_u32 v[2:3], null, s17, v0, v[2:3]
	v_lshlrev_b64_e32 v[1:2], 3, v[1:2]
	s_wait_alu 0xfffe
	s_delay_alu instid0(VALU_DEP_1) | instskip(NEXT) | instid1(VALU_DEP_1)
	v_add_co_u32 v1, vcc_lo, s18, v1
	v_add_co_ci_u32_e64 v2, null, s19, v2, vcc_lo
	global_load_b64 v[5:6], v[1:2], off
	v_dual_mov_b32 v1, s8 :: v_dual_mov_b32 v2, s9
	v_dual_mov_b32 v3, s10 :: v_dual_mov_b32 v4, s11
.LBB159_20:
	s_or_b32 exec_lo, exec_lo, s3
	s_clause 0x1
	s_load_b64 s[10:11], s[0:1], 0x288
	s_load_b64 s[8:9], s[0:1], 0x1b8
	v_or_b32_e32 v9, 16, v0
	s_delay_alu instid0(VALU_DEP_1)
	v_cmp_gt_u32_e64 s3, s6, v9
	s_and_saveexec_b32 s6, s3
	s_cbranch_execz .LBB159_22
; %bb.21:
	v_mad_co_u64_u32 v[1:2], null, s16, v9, 0
	s_delay_alu instid0(VALU_DEP_1) | instskip(NEXT) | instid1(VALU_DEP_1)
	v_mad_co_u64_u32 v[2:3], null, s17, v9, v[2:3]
	v_lshlrev_b64_e32 v[1:2], 3, v[1:2]
	s_delay_alu instid0(VALU_DEP_1) | instskip(SKIP_1) | instid1(VALU_DEP_2)
	v_add_co_u32 v1, vcc_lo, s18, v1
	s_wait_alu 0xfffd
	v_add_co_ci_u32_e64 v2, null, s19, v2, vcc_lo
	global_load_b64 v[3:4], v[1:2], off
.LBB159_22:
	s_wait_alu 0xfffe
	s_or_b32 exec_lo, exec_lo, s6
	v_lshlrev_b32_e32 v27, 3, v0
	v_dual_mov_b32 v7, 0 :: v_dual_lshlrev_b32 v28, 4, v0
	s_load_b64 s[20:21], s[0:1], 0x358
	v_mov_b32_e32 v8, 0
	s_wait_loadcnt 0x0
	ds_store_2addr_b64 v27, v[5:6], v[3:4] offset1:16
	s_wait_dscnt 0x0
	; wave barrier
	global_inv scope:SCOPE_SE
	v_mov_b32_e32 v5, 0
	ds_load_2addr_b64 v[1:4], v28 offset1:1
	s_wait_kmcnt 0x0
	s_mul_u64 s[0:1], s[10:11], s[22:23]
	s_lshl_b64 s[4:5], s[4:5], 3
	s_lshl_b64 s[0:1], s[0:1], 3
	v_mov_b32_e32 v6, v5
	s_add_nc_u64 s[0:1], s[8:9], s[0:1]
	s_wait_loadcnt_dscnt 0x0
	s_wait_alu 0xfffe
	s_add_nc_u64 s[22:23], s[0:1], s[4:5]
	; wave barrier
	global_inv scope:SCOPE_SE
	s_and_saveexec_b32 s0, s2
	s_cbranch_execz .LBB159_24
; %bb.23:
	v_mad_co_u64_u32 v[6:7], null, s20, v0, 0
	s_delay_alu instid0(VALU_DEP_1) | instskip(NEXT) | instid1(VALU_DEP_1)
	v_mad_co_u64_u32 v[7:8], null, s21, v0, v[7:8]
	v_lshlrev_b64_e32 v[6:7], 3, v[6:7]
	s_delay_alu instid0(VALU_DEP_1) | instskip(SKIP_1) | instid1(VALU_DEP_2)
	v_add_co_u32 v6, vcc_lo, s22, v6
	s_wait_alu 0xfffd
	v_add_co_ci_u32_e64 v7, null, s23, v7, vcc_lo
	global_load_b64 v[7:8], v[6:7], off
	v_mov_b32_e32 v6, v5
.LBB159_24:
	s_or_b32 exec_lo, exec_lo, s0
	s_xor_b32 s8, s7, -1
	s_and_saveexec_b32 s0, s3
	s_cbranch_execz .LBB159_26
; %bb.25:
	v_mad_co_u64_u32 v[5:6], null, s20, v9, 0
	s_wait_loadcnt 0x0
	s_delay_alu instid0(VALU_DEP_1) | instskip(NEXT) | instid1(VALU_DEP_1)
	v_mad_co_u64_u32 v[9:10], null, s21, v9, v[6:7]
	v_mov_b32_e32 v6, v9
	s_delay_alu instid0(VALU_DEP_1) | instskip(NEXT) | instid1(VALU_DEP_1)
	v_lshlrev_b64_e32 v[5:6], 3, v[5:6]
	v_add_co_u32 v5, vcc_lo, s22, v5
	s_wait_alu 0xfffd
	s_delay_alu instid0(VALU_DEP_2)
	v_add_co_ci_u32_e64 v6, null, s23, v6, vcc_lo
	global_load_b64 v[5:6], v[5:6], off
.LBB159_26:
	s_or_b32 exec_lo, exec_lo, s0
	v_mbcnt_lo_u32_b32 v9, -1, 0
	s_getpc_b64 s[0:1]
	s_sext_i32_i16 s1, s1
	s_add_co_u32 s0, s0, _ZN7rocprim17ROCPRIM_400000_NS16block_radix_sortIlLj16ELj2ElLj1ELj1ELj0ELNS0_26block_radix_rank_algorithmE1ELNS0_18block_padding_hintE2ELNS0_4arch9wavefront6targetE0EE19radix_bits_per_passE@rel32@lo+8
	s_add_co_ci_u32 s1, s1, _ZN7rocprim17ROCPRIM_400000_NS16block_radix_sortIlLj16ELj2ElLj1ELj1ELj0ELNS0_26block_radix_rank_algorithmE1ELNS0_18block_padding_hintE2ELNS0_4arch9wavefront6targetE0EE19radix_bits_per_passE@rel32@hi+16
	s_wait_loadcnt 0x0
	ds_store_2addr_b64 v27, v[7:8], v[5:6] offset1:16
	s_wait_dscnt 0x0
	; wave barrier
	global_inv scope:SCOPE_SE
	ds_load_2addr_b64 v[5:8], v28 offset1:1
	v_sub_co_u32 v11, s15, v9, 1
	v_and_b32_e32 v12, 16, v9
	s_load_b32 s24, s[0:1], 0x0
	v_and_b32_e32 v10, 15, v9
	v_cmp_gt_u32_e64 s0, 0x80, v0
	v_cmp_eq_u32_e64 s7, 15, v0
	v_cmp_lt_i32_e32 vcc_lo, v11, v12
	v_lshlrev_b32_e32 v30, 5, v0
	v_cmp_eq_u32_e64 s1, 0, v10
	v_cmp_lt_u32_e64 s4, 1, v10
	v_cmp_lt_u32_e64 s5, 3, v10
	s_wait_alu 0xfffd
	v_cndmask_b32_e32 v9, v11, v9, vcc_lo
	v_cmp_lt_u32_e64 s6, 7, v10
	v_sub_nc_u32_e32 v29, v30, v28
	s_and_b32 vcc_lo, exec_lo, s8
	v_cmp_gt_u32_e64 s8, 0x70, v0
	v_lshlrev_b32_e32 v31, 2, v9
	v_cmp_gt_u32_e64 s9, 0x60, v0
	v_cmp_gt_u32_e64 s10, 0x50, v0
	;; [unrolled: 1-line block ×6, first 2 shown]
	s_mov_b32 s25, -1
	; wave barrier
	s_wait_loadcnt_dscnt 0x0
	global_inv scope:SCOPE_SE
                                        ; implicit-def: $vgpr15_vgpr16
                                        ; implicit-def: $vgpr11_vgpr12
	s_wait_alu 0xfffe
	s_cbranch_vccz .LBB159_43
; %bb.27:
	v_dual_mov_b32 v23, 0 :: v_dual_mov_b32 v14, v6
	v_dual_mov_b32 v33, 0 :: v_dual_mov_b32 v16, v8
	v_xor_b32_e32 v10, 0x80000000, v2
	v_dual_mov_b32 v9, v1 :: v_dual_lshlrev_b32 v32, 2, v0
	v_xor_b32_e32 v12, 0x80000000, v4
	v_dual_mov_b32 v11, v3 :: v_dual_mov_b32 v24, 0
	v_mov_b32_e32 v13, v5
	v_mov_b32_e32 v15, v7
	s_mov_b32 s25, 64
	s_branch .LBB159_29
.LBB159_28:                             ;   in Loop: Header=BB159_29 Depth=1
	s_wait_alu 0xfffe
	s_and_not1_b32 vcc_lo, exec_lo, s26
	s_wait_alu 0xfffe
	s_cbranch_vccz .LBB159_42
.LBB159_29:                             ; =>This Inner Loop Header: Depth=1
	v_dual_mov_b32 v22, v12 :: v_dual_mov_b32 v21, v11
	v_dual_mov_b32 v26, v10 :: v_dual_mov_b32 v25, v9
	;; [unrolled: 1-line block ×4, first 2 shown]
	s_and_saveexec_b32 s26, s0
	s_cbranch_execz .LBB159_38
; %bb.30:                               ;   in Loop: Header=BB159_29 Depth=1
	ds_store_b32 v32, v33
	s_and_b32 exec_lo, exec_lo, s8
	s_cbranch_execz .LBB159_38
; %bb.31:                               ;   in Loop: Header=BB159_29 Depth=1
	ds_store_b32 v32, v33 offset:64
	s_and_b32 exec_lo, exec_lo, s9
	s_cbranch_execz .LBB159_38
; %bb.32:                               ;   in Loop: Header=BB159_29 Depth=1
	ds_store_b32 v32, v33 offset:128
	;; [unrolled: 4-line block ×6, first 2 shown]
	s_and_b32 exec_lo, exec_lo, s14
; %bb.37:                               ;   in Loop: Header=BB159_29 Depth=1
	ds_store_b32 v32, v33 offset:448
.LBB159_38:                             ;   in Loop: Header=BB159_29 Depth=1
	s_wait_alu 0xfffe
	s_or_b32 exec_lo, exec_lo, s26
	s_wait_kmcnt 0x0
	s_min_u32 s26, s24, s25
	v_lshrrev_b64 v[9:10], v23, v[25:26]
	s_wait_alu 0xfffe
	s_lshl_b32 s26, -1, s26
	s_wait_alu 0xfffe
	s_not_b32 s26, s26
	s_wait_alu 0xfffe
	v_and_b32_e32 v9, s26, v9
	s_delay_alu instid0(VALU_DEP_1) | instskip(SKIP_1) | instid1(VALU_DEP_2)
	v_lshlrev_b32_e32 v10, 4, v9
	v_lshrrev_b32_e32 v9, 2, v9
	v_and_or_b32 v10, 0x70, v10, v0
	s_delay_alu instid0(VALU_DEP_2) | instskip(NEXT) | instid1(VALU_DEP_1)
	v_and_b32_e32 v9, 0x1ffffffe, v9
	v_lshl_add_u32 v34, v10, 2, v9
	v_lshrrev_b64 v[9:10], v23, v[21:22]
	ds_load_u16 v35, v34
	v_and_b32_e32 v9, s26, v9
	s_delay_alu instid0(VALU_DEP_1) | instskip(SKIP_1) | instid1(VALU_DEP_2)
	v_lshlrev_b32_e32 v10, 4, v9
	v_lshrrev_b32_e32 v9, 2, v9
	v_and_or_b32 v10, 0x70, v10, v0
	s_delay_alu instid0(VALU_DEP_2) | instskip(NEXT) | instid1(VALU_DEP_1)
	v_and_b32_e32 v9, 0x1ffffffe, v9
	v_lshl_add_u32 v36, v10, 2, v9
	s_wait_dscnt 0x0
	v_add_nc_u16 v11, v35, 1
	ds_store_b16 v34, v11
	ds_load_u16 v37, v36
	s_wait_dscnt 0x0
	v_add_nc_u16 v9, v37, 1
	ds_store_b16 v36, v9
	; wave barrier
	s_wait_loadcnt_dscnt 0x0
	global_inv scope:SCOPE_SE
	ds_load_b128 v[13:16], v30
	ds_load_b128 v[9:12], v30 offset:16
	s_wait_dscnt 0x1
	v_add_nc_u32_e32 v38, v14, v13
	s_delay_alu instid0(VALU_DEP_1) | instskip(SKIP_1) | instid1(VALU_DEP_1)
	v_add3_u32 v38, v38, v15, v16
	s_wait_dscnt 0x0
	v_add3_u32 v38, v38, v9, v10
	s_delay_alu instid0(VALU_DEP_1) | instskip(NEXT) | instid1(VALU_DEP_1)
	v_add3_u32 v12, v38, v11, v12
	v_mov_b32_dpp v38, v12 row_shr:1 row_mask:0xf bank_mask:0xf
	s_delay_alu instid0(VALU_DEP_1) | instskip(NEXT) | instid1(VALU_DEP_1)
	v_cndmask_b32_e64 v38, v38, 0, s1
	v_add_nc_u32_e32 v12, v38, v12
	s_delay_alu instid0(VALU_DEP_1) | instskip(NEXT) | instid1(VALU_DEP_1)
	v_mov_b32_dpp v38, v12 row_shr:2 row_mask:0xf bank_mask:0xf
	v_cndmask_b32_e64 v38, 0, v38, s4
	s_delay_alu instid0(VALU_DEP_1) | instskip(NEXT) | instid1(VALU_DEP_1)
	v_add_nc_u32_e32 v12, v12, v38
	v_mov_b32_dpp v38, v12 row_shr:4 row_mask:0xf bank_mask:0xf
	s_delay_alu instid0(VALU_DEP_1) | instskip(NEXT) | instid1(VALU_DEP_1)
	v_cndmask_b32_e64 v38, 0, v38, s5
	v_add_nc_u32_e32 v12, v12, v38
	s_delay_alu instid0(VALU_DEP_1) | instskip(NEXT) | instid1(VALU_DEP_1)
	v_mov_b32_dpp v38, v12 row_shr:8 row_mask:0xf bank_mask:0xf
	v_cndmask_b32_e64 v38, 0, v38, s6
	s_delay_alu instid0(VALU_DEP_1)
	v_add_nc_u32_e32 v12, v12, v38
	s_and_saveexec_b32 s26, s7
; %bb.39:                               ;   in Loop: Header=BB159_29 Depth=1
	ds_store_b32 v33, v12 offset:512
; %bb.40:                               ;   in Loop: Header=BB159_29 Depth=1
	s_wait_alu 0xfffe
	s_or_b32 exec_lo, exec_lo, s26
	ds_bpermute_b32 v12, v31, v12
	; wave barrier
	s_wait_loadcnt_dscnt 0x0
	global_inv scope:SCOPE_SE
	ds_load_b32 v38, v33 offset:512
	v_cmp_lt_u32_e32 vcc_lo, 59, v23
	s_mov_b32 s26, -1
	s_and_b32 vcc_lo, exec_lo, vcc_lo
	v_cndmask_b32_e64 v12, v12, 0, s15
	s_wait_dscnt 0x0
	s_delay_alu instid0(VALU_DEP_1) | instskip(NEXT) | instid1(VALU_DEP_1)
	v_lshl_add_u32 v12, v38, 16, v12
	v_add_nc_u32_e32 v13, v12, v13
	s_delay_alu instid0(VALU_DEP_1) | instskip(NEXT) | instid1(VALU_DEP_1)
	v_add_nc_u32_e32 v14, v13, v14
	v_add_nc_u32_e32 v15, v14, v15
	s_delay_alu instid0(VALU_DEP_1) | instskip(NEXT) | instid1(VALU_DEP_1)
	v_add_nc_u32_e32 v38, v15, v16
	;; [unrolled: 3-line block ×3, first 2 shown]
	v_add_nc_u32_e32 v41, v40, v11
	v_and_b32_e32 v11, 0xffff, v35
	ds_store_b128 v30, v[12:15]
	ds_store_b128 v30, v[38:41] offset:16
	; wave barrier
	s_wait_loadcnt_dscnt 0x0
	global_inv scope:SCOPE_SE
	ds_load_u16 v9, v34
	ds_load_u16 v10, v36
	v_and_b32_e32 v12, 0xffff, v37
                                        ; implicit-def: $vgpr15_vgpr16
	s_wait_dscnt 0x1
	v_add_nc_u32_e32 v35, v9, v11
	s_wait_dscnt 0x0
	s_delay_alu instid0(VALU_DEP_2)
	v_add_nc_u32_e32 v34, v10, v12
                                        ; implicit-def: $vgpr11_vgpr12
	s_wait_alu 0xfffe
	s_cbranch_vccnz .LBB159_28
; %bb.41:                               ;   in Loop: Header=BB159_29 Depth=1
	v_lshlrev_b32_e32 v13, 3, v35
	s_delay_alu instid0(VALU_DEP_2)
	v_lshlrev_b32_e32 v14, 3, v34
	s_wait_loadcnt 0x0
	; wave barrier
	global_inv scope:SCOPE_SE
	v_add_co_u32 v23, vcc_lo, v23, 4
	ds_store_b64 v13, v[25:26]
	ds_store_b64 v14, v[21:22]
	; wave barrier
	s_wait_loadcnt_dscnt 0x0
	global_inv scope:SCOPE_SE
	ds_load_b128 v[9:12], v29
	; wave barrier
	s_wait_loadcnt_dscnt 0x0
	global_inv scope:SCOPE_SE
	ds_store_b64 v13, v[19:20]
	ds_store_b64 v14, v[17:18]
	; wave barrier
	s_wait_loadcnt_dscnt 0x0
	global_inv scope:SCOPE_SE
	ds_load_b128 v[13:16], v29
	s_wait_alu 0xfffd
	v_add_co_ci_u32_e64 v24, null, 0, v24, vcc_lo
	s_add_co_i32 s25, s25, -4
	s_mov_b32 s26, 0
	; wave barrier
	s_wait_loadcnt_dscnt 0x0
	global_inv scope:SCOPE_SE
	s_branch .LBB159_28
.LBB159_42:
	v_lshlrev_b32_e32 v9, 3, v35
	v_lshlrev_b32_e32 v10, 3, v34
	s_wait_loadcnt 0x0
	; wave barrier
	global_inv scope:SCOPE_SE
	s_mov_b32 s25, 0
	ds_store_b64 v9, v[25:26]
	ds_store_b64 v10, v[21:22]
	; wave barrier
	s_wait_loadcnt_dscnt 0x0
	global_inv scope:SCOPE_SE
	ds_load_b128 v[13:16], v29
	; wave barrier
	s_wait_loadcnt_dscnt 0x0
	global_inv scope:SCOPE_SE
	ds_store_b64 v9, v[19:20]
	ds_store_b64 v10, v[17:18]
	; wave barrier
	s_wait_loadcnt_dscnt 0x0
	global_inv scope:SCOPE_SE
	ds_load_b128 v[9:12], v29
	v_xor_b32_e32 v14, 0x80000000, v14
	v_xor_b32_e32 v16, 0x80000000, v16
.LBB159_43:
	s_and_b32 vcc_lo, exec_lo, s25
	s_wait_alu 0xfffe
	s_cbranch_vccz .LBB159_60
; %bb.44:
	s_wait_dscnt 0x0
	v_mul_i32_i24_e32 v9, -12, v0
	v_dual_mov_b32 v13, 0 :: v_dual_mov_b32 v20, 0
	v_xor_b32_e32 v2, 0x7fffffff, v2
	v_xor_b32_e32 v1, -1, v1
	v_xor_b32_e32 v4, 0x7fffffff, v4
	v_xor_b32_e32 v3, -1, v3
	v_cmp_gt_u32_e64 s8, 0x70, v0
	v_cmp_gt_u32_e64 s9, 0x60, v0
	;; [unrolled: 1-line block ×7, first 2 shown]
	v_dual_mov_b32 v14, 0 :: v_dual_add_nc_u32 v19, v29, v9
	s_mov_b32 s25, 64
	s_branch .LBB159_46
.LBB159_45:                             ;   in Loop: Header=BB159_46 Depth=1
	s_wait_alu 0xfffe
	s_and_not1_b32 vcc_lo, exec_lo, s26
	s_wait_alu 0xfffe
	s_cbranch_vccz .LBB159_59
.LBB159_46:                             ; =>This Inner Loop Header: Depth=1
	v_dual_mov_b32 v16, v4 :: v_dual_mov_b32 v15, v3
	v_dual_mov_b32 v18, v2 :: v_dual_mov_b32 v17, v1
	;; [unrolled: 1-line block ×4, first 2 shown]
	s_and_saveexec_b32 s26, s0
	s_cbranch_execz .LBB159_55
; %bb.47:                               ;   in Loop: Header=BB159_46 Depth=1
	ds_store_b32 v19, v20
	s_and_b32 exec_lo, exec_lo, s8
	s_cbranch_execz .LBB159_55
; %bb.48:                               ;   in Loop: Header=BB159_46 Depth=1
	ds_store_b32 v19, v20 offset:64
	s_and_b32 exec_lo, exec_lo, s9
	s_cbranch_execz .LBB159_55
; %bb.49:                               ;   in Loop: Header=BB159_46 Depth=1
	ds_store_b32 v19, v20 offset:128
	;; [unrolled: 4-line block ×6, first 2 shown]
	s_and_b32 exec_lo, exec_lo, s14
; %bb.54:                               ;   in Loop: Header=BB159_46 Depth=1
	ds_store_b32 v19, v20 offset:448
.LBB159_55:                             ;   in Loop: Header=BB159_46 Depth=1
	s_wait_alu 0xfffe
	s_or_b32 exec_lo, exec_lo, s26
	s_wait_kmcnt 0x0
	s_min_u32 s26, s24, s25
	v_lshrrev_b64 v[1:2], v13, v[17:18]
	s_wait_alu 0xfffe
	s_lshl_b32 s26, -1, s26
	s_wait_alu 0xfffe
	s_not_b32 s26, s26
	s_wait_alu 0xfffe
	v_and_b32_e32 v1, s26, v1
	s_delay_alu instid0(VALU_DEP_1) | instskip(SKIP_1) | instid1(VALU_DEP_2)
	v_lshlrev_b32_e32 v2, 4, v1
	v_lshrrev_b32_e32 v1, 2, v1
	v_and_or_b32 v2, 0x70, v2, v0
	s_delay_alu instid0(VALU_DEP_2) | instskip(NEXT) | instid1(VALU_DEP_1)
	v_and_b32_e32 v1, 0x1ffffffe, v1
	v_lshl_add_u32 v21, v2, 2, v1
	v_lshrrev_b64 v[1:2], v13, v[15:16]
	ds_load_u16 v22, v21
	v_and_b32_e32 v1, s26, v1
	s_delay_alu instid0(VALU_DEP_1) | instskip(SKIP_1) | instid1(VALU_DEP_2)
	v_lshlrev_b32_e32 v2, 4, v1
	v_lshrrev_b32_e32 v1, 2, v1
	v_and_or_b32 v2, 0x70, v2, v0
	s_delay_alu instid0(VALU_DEP_2) | instskip(NEXT) | instid1(VALU_DEP_1)
	v_and_b32_e32 v1, 0x1ffffffe, v1
	v_lshl_add_u32 v23, v2, 2, v1
	s_wait_dscnt 0x0
	v_add_nc_u16 v3, v22, 1
	ds_store_b16 v21, v3
	ds_load_u16 v24, v23
	s_wait_dscnt 0x0
	v_add_nc_u16 v1, v24, 1
	ds_store_b16 v23, v1
	; wave barrier
	s_wait_loadcnt_dscnt 0x0
	global_inv scope:SCOPE_SE
	ds_load_b128 v[5:8], v30
	ds_load_b128 v[1:4], v30 offset:16
	s_wait_dscnt 0x1
	v_add_nc_u32_e32 v25, v6, v5
	s_delay_alu instid0(VALU_DEP_1) | instskip(SKIP_1) | instid1(VALU_DEP_1)
	v_add3_u32 v25, v25, v7, v8
	s_wait_dscnt 0x0
	v_add3_u32 v25, v25, v1, v2
	s_delay_alu instid0(VALU_DEP_1) | instskip(NEXT) | instid1(VALU_DEP_1)
	v_add3_u32 v4, v25, v3, v4
	v_mov_b32_dpp v25, v4 row_shr:1 row_mask:0xf bank_mask:0xf
	s_delay_alu instid0(VALU_DEP_1) | instskip(NEXT) | instid1(VALU_DEP_1)
	v_cndmask_b32_e64 v25, v25, 0, s1
	v_add_nc_u32_e32 v4, v25, v4
	s_delay_alu instid0(VALU_DEP_1) | instskip(NEXT) | instid1(VALU_DEP_1)
	v_mov_b32_dpp v25, v4 row_shr:2 row_mask:0xf bank_mask:0xf
	v_cndmask_b32_e64 v25, 0, v25, s4
	s_delay_alu instid0(VALU_DEP_1) | instskip(NEXT) | instid1(VALU_DEP_1)
	v_add_nc_u32_e32 v4, v4, v25
	v_mov_b32_dpp v25, v4 row_shr:4 row_mask:0xf bank_mask:0xf
	s_delay_alu instid0(VALU_DEP_1) | instskip(NEXT) | instid1(VALU_DEP_1)
	v_cndmask_b32_e64 v25, 0, v25, s5
	v_add_nc_u32_e32 v4, v4, v25
	s_delay_alu instid0(VALU_DEP_1) | instskip(NEXT) | instid1(VALU_DEP_1)
	v_mov_b32_dpp v25, v4 row_shr:8 row_mask:0xf bank_mask:0xf
	v_cndmask_b32_e64 v25, 0, v25, s6
	s_delay_alu instid0(VALU_DEP_1)
	v_add_nc_u32_e32 v4, v4, v25
	s_and_saveexec_b32 s26, s7
; %bb.56:                               ;   in Loop: Header=BB159_46 Depth=1
	ds_store_b32 v20, v4 offset:512
; %bb.57:                               ;   in Loop: Header=BB159_46 Depth=1
	s_wait_alu 0xfffe
	s_or_b32 exec_lo, exec_lo, s26
	ds_bpermute_b32 v4, v31, v4
	; wave barrier
	s_wait_loadcnt_dscnt 0x0
	global_inv scope:SCOPE_SE
	ds_load_b32 v25, v20 offset:512
	v_cmp_lt_u32_e32 vcc_lo, 59, v13
	s_mov_b32 s26, -1
	s_and_b32 vcc_lo, exec_lo, vcc_lo
	v_cndmask_b32_e64 v4, v4, 0, s15
	s_wait_dscnt 0x0
	s_delay_alu instid0(VALU_DEP_1) | instskip(NEXT) | instid1(VALU_DEP_1)
	v_lshl_add_u32 v4, v25, 16, v4
	v_add_nc_u32_e32 v5, v4, v5
	s_delay_alu instid0(VALU_DEP_1) | instskip(NEXT) | instid1(VALU_DEP_1)
	v_add_nc_u32_e32 v6, v5, v6
	v_add_nc_u32_e32 v7, v6, v7
	s_delay_alu instid0(VALU_DEP_1) | instskip(NEXT) | instid1(VALU_DEP_1)
	v_add_nc_u32_e32 v32, v7, v8
	;; [unrolled: 3-line block ×3, first 2 shown]
	v_add_nc_u32_e32 v35, v34, v3
	v_and_b32_e32 v3, 0xffff, v22
	ds_store_b128 v30, v[4:7]
	ds_store_b128 v30, v[32:35] offset:16
	; wave barrier
	s_wait_loadcnt_dscnt 0x0
	global_inv scope:SCOPE_SE
	ds_load_u16 v1, v21
	ds_load_u16 v2, v23
	v_and_b32_e32 v4, 0xffff, v24
                                        ; implicit-def: $vgpr7_vgpr8
	s_wait_dscnt 0x1
	v_add_nc_u32_e32 v22, v1, v3
	s_wait_dscnt 0x0
	s_delay_alu instid0(VALU_DEP_2)
	v_add_nc_u32_e32 v21, v2, v4
                                        ; implicit-def: $vgpr3_vgpr4
	s_wait_alu 0xfffe
	s_cbranch_vccnz .LBB159_45
; %bb.58:                               ;   in Loop: Header=BB159_46 Depth=1
	v_lshlrev_b32_e32 v5, 3, v22
	s_delay_alu instid0(VALU_DEP_2)
	v_lshlrev_b32_e32 v6, 3, v21
	s_wait_loadcnt 0x0
	; wave barrier
	global_inv scope:SCOPE_SE
	v_add_co_u32 v13, vcc_lo, v13, 4
	ds_store_b64 v5, v[17:18]
	ds_store_b64 v6, v[15:16]
	; wave barrier
	s_wait_loadcnt_dscnt 0x0
	global_inv scope:SCOPE_SE
	ds_load_b128 v[1:4], v29
	; wave barrier
	s_wait_loadcnt_dscnt 0x0
	global_inv scope:SCOPE_SE
	ds_store_b64 v5, v[11:12]
	ds_store_b64 v6, v[9:10]
	; wave barrier
	s_wait_loadcnt_dscnt 0x0
	global_inv scope:SCOPE_SE
	ds_load_b128 v[5:8], v29
	s_wait_alu 0xfffd
	v_add_co_ci_u32_e64 v14, null, 0, v14, vcc_lo
	s_add_co_i32 s25, s25, -4
	s_mov_b32 s26, 0
	; wave barrier
	s_wait_loadcnt_dscnt 0x0
	global_inv scope:SCOPE_SE
	s_branch .LBB159_45
.LBB159_59:
	v_lshlrev_b32_e32 v5, 3, v22
	v_lshlrev_b32_e32 v6, 3, v21
	s_wait_loadcnt 0x0
	; wave barrier
	global_inv scope:SCOPE_SE
	ds_store_b64 v5, v[17:18]
	ds_store_b64 v6, v[15:16]
	; wave barrier
	s_wait_loadcnt_dscnt 0x0
	global_inv scope:SCOPE_SE
	ds_load_b128 v[1:4], v29
	; wave barrier
	s_wait_loadcnt_dscnt 0x0
	global_inv scope:SCOPE_SE
	ds_store_b64 v5, v[11:12]
	ds_store_b64 v6, v[9:10]
	; wave barrier
	s_wait_loadcnt_dscnt 0x0
	global_inv scope:SCOPE_SE
	ds_load_b128 v[9:12], v29
	v_xor_b32_e32 v14, 0x7fffffff, v2
	v_xor_b32_e32 v13, -1, v1
	v_xor_b32_e32 v16, 0x7fffffff, v4
	v_xor_b32_e32 v15, -1, v3
.LBB159_60:
	v_mad_co_u64_u32 v[3:4], null, s16, v0, 0
	; wave barrier
	s_wait_loadcnt_dscnt 0x0
	global_inv scope:SCOPE_SE
	ds_store_2addr_b64 v28, v[13:14], v[15:16] offset1:1
	; wave barrier
	s_wait_loadcnt_dscnt 0x0
	global_inv scope:SCOPE_SE
	v_mov_b32_e32 v1, v4
	s_delay_alu instid0(VALU_DEP_1) | instskip(SKIP_2) | instid1(VALU_DEP_1)
	v_mad_co_u64_u32 v[4:5], null, s17, v0, v[1:2]
	ds_load_b64 v[1:2], v27 offset:128
	v_lshlrev_b64_e32 v[3:4], 3, v[3:4]
	v_add_co_u32 v3, vcc_lo, s18, v3
	s_wait_alu 0xfffd
	s_delay_alu instid0(VALU_DEP_2)
	v_add_co_ci_u32_e64 v4, null, s19, v4, vcc_lo
	s_and_saveexec_b32 s0, s2
	s_cbranch_execz .LBB159_62
; %bb.61:
	ds_load_b64 v[5:6], v27
	s_wait_dscnt 0x0
	global_store_b64 v[3:4], v[5:6], off
.LBB159_62:
	s_wait_alu 0xfffe
	s_or_b32 exec_lo, exec_lo, s0
	s_and_saveexec_b32 s0, s3
	s_cbranch_execz .LBB159_64
; %bb.63:
	s_lshl_b64 s[4:5], s[16:17], 7
	s_wait_alu 0xfffe
	v_add_co_u32 v3, vcc_lo, v3, s4
	s_wait_alu 0xfffd
	v_add_co_ci_u32_e64 v4, null, s5, v4, vcc_lo
	s_wait_dscnt 0x0
	global_store_b64 v[3:4], v[1:2], off
.LBB159_64:
	s_wait_alu 0xfffe
	s_or_b32 exec_lo, exec_lo, s0
	s_wait_dscnt 0x0
	v_mad_co_u64_u32 v[2:3], null, s20, v0, 0
	s_wait_loadcnt 0x0
	s_wait_storecnt 0x0
	; wave barrier
	global_inv scope:SCOPE_SE
	ds_store_2addr_b64 v28, v[9:10], v[11:12] offset1:1
	; wave barrier
	s_wait_loadcnt_dscnt 0x0
	global_inv scope:SCOPE_SE
	v_mov_b32_e32 v1, v3
	s_delay_alu instid0(VALU_DEP_1) | instskip(SKIP_2) | instid1(VALU_DEP_1)
	v_mad_co_u64_u32 v[3:4], null, s21, v0, v[1:2]
	ds_load_b64 v[0:1], v27 offset:128
	v_lshlrev_b64_e32 v[2:3], 3, v[2:3]
	v_add_co_u32 v2, vcc_lo, s22, v2
	s_wait_alu 0xfffd
	s_delay_alu instid0(VALU_DEP_2)
	v_add_co_ci_u32_e64 v3, null, s23, v3, vcc_lo
	s_and_saveexec_b32 s0, s2
	s_cbranch_execz .LBB159_66
; %bb.65:
	ds_load_b64 v[4:5], v27
	s_wait_dscnt 0x0
	global_store_b64 v[2:3], v[4:5], off
.LBB159_66:
	s_wait_alu 0xfffe
	s_or_b32 exec_lo, exec_lo, s0
	s_and_saveexec_b32 s0, s3
	s_cbranch_execz .LBB159_68
; %bb.67:
	s_lshl_b64 s[0:1], s[20:21], 7
	s_wait_alu 0xfffe
	v_add_co_u32 v2, vcc_lo, v2, s0
	s_wait_alu 0xfffd
	v_add_co_ci_u32_e64 v3, null, s1, v3, vcc_lo
	s_wait_dscnt 0x0
	global_store_b64 v[2:3], v[0:1], off
.LBB159_68:
	s_endpgm
	.section	.rodata,"a",@progbits
	.p2align	6, 0x0
	.amdhsa_kernel _ZN2at6native18radixSortKVInPlaceILin1ELin1ELi16ELi2EllmEEvNS_4cuda6detail10TensorInfoIT3_T5_EES6_S6_S6_NS4_IT4_S6_EES6_b
		.amdhsa_group_segment_fixed_size 528
		.amdhsa_private_segment_fixed_size 0
		.amdhsa_kernarg_size 1128
		.amdhsa_user_sgpr_count 2
		.amdhsa_user_sgpr_dispatch_ptr 0
		.amdhsa_user_sgpr_queue_ptr 0
		.amdhsa_user_sgpr_kernarg_segment_ptr 1
		.amdhsa_user_sgpr_dispatch_id 0
		.amdhsa_user_sgpr_private_segment_size 0
		.amdhsa_wavefront_size32 1
		.amdhsa_uses_dynamic_stack 0
		.amdhsa_enable_private_segment 0
		.amdhsa_system_sgpr_workgroup_id_x 1
		.amdhsa_system_sgpr_workgroup_id_y 1
		.amdhsa_system_sgpr_workgroup_id_z 1
		.amdhsa_system_sgpr_workgroup_info 0
		.amdhsa_system_vgpr_workitem_id 0
		.amdhsa_next_free_vgpr 42
		.amdhsa_next_free_sgpr 34
		.amdhsa_reserve_vcc 1
		.amdhsa_float_round_mode_32 0
		.amdhsa_float_round_mode_16_64 0
		.amdhsa_float_denorm_mode_32 3
		.amdhsa_float_denorm_mode_16_64 3
		.amdhsa_fp16_overflow 0
		.amdhsa_workgroup_processor_mode 1
		.amdhsa_memory_ordered 1
		.amdhsa_forward_progress 1
		.amdhsa_inst_pref_size 42
		.amdhsa_round_robin_scheduling 0
		.amdhsa_exception_fp_ieee_invalid_op 0
		.amdhsa_exception_fp_denorm_src 0
		.amdhsa_exception_fp_ieee_div_zero 0
		.amdhsa_exception_fp_ieee_overflow 0
		.amdhsa_exception_fp_ieee_underflow 0
		.amdhsa_exception_fp_ieee_inexact 0
		.amdhsa_exception_int_div_zero 0
	.end_amdhsa_kernel
	.section	.text._ZN2at6native18radixSortKVInPlaceILin1ELin1ELi16ELi2EllmEEvNS_4cuda6detail10TensorInfoIT3_T5_EES6_S6_S6_NS4_IT4_S6_EES6_b,"axG",@progbits,_ZN2at6native18radixSortKVInPlaceILin1ELin1ELi16ELi2EllmEEvNS_4cuda6detail10TensorInfoIT3_T5_EES6_S6_S6_NS4_IT4_S6_EES6_b,comdat
.Lfunc_end159:
	.size	_ZN2at6native18radixSortKVInPlaceILin1ELin1ELi16ELi2EllmEEvNS_4cuda6detail10TensorInfoIT3_T5_EES6_S6_S6_NS4_IT4_S6_EES6_b, .Lfunc_end159-_ZN2at6native18radixSortKVInPlaceILin1ELin1ELi16ELi2EllmEEvNS_4cuda6detail10TensorInfoIT3_T5_EES6_S6_S6_NS4_IT4_S6_EES6_b
                                        ; -- End function
	.set _ZN2at6native18radixSortKVInPlaceILin1ELin1ELi16ELi2EllmEEvNS_4cuda6detail10TensorInfoIT3_T5_EES6_S6_S6_NS4_IT4_S6_EES6_b.num_vgpr, 42
	.set _ZN2at6native18radixSortKVInPlaceILin1ELin1ELi16ELi2EllmEEvNS_4cuda6detail10TensorInfoIT3_T5_EES6_S6_S6_NS4_IT4_S6_EES6_b.num_agpr, 0
	.set _ZN2at6native18radixSortKVInPlaceILin1ELin1ELi16ELi2EllmEEvNS_4cuda6detail10TensorInfoIT3_T5_EES6_S6_S6_NS4_IT4_S6_EES6_b.numbered_sgpr, 34
	.set _ZN2at6native18radixSortKVInPlaceILin1ELin1ELi16ELi2EllmEEvNS_4cuda6detail10TensorInfoIT3_T5_EES6_S6_S6_NS4_IT4_S6_EES6_b.num_named_barrier, 0
	.set _ZN2at6native18radixSortKVInPlaceILin1ELin1ELi16ELi2EllmEEvNS_4cuda6detail10TensorInfoIT3_T5_EES6_S6_S6_NS4_IT4_S6_EES6_b.private_seg_size, 0
	.set _ZN2at6native18radixSortKVInPlaceILin1ELin1ELi16ELi2EllmEEvNS_4cuda6detail10TensorInfoIT3_T5_EES6_S6_S6_NS4_IT4_S6_EES6_b.uses_vcc, 1
	.set _ZN2at6native18radixSortKVInPlaceILin1ELin1ELi16ELi2EllmEEvNS_4cuda6detail10TensorInfoIT3_T5_EES6_S6_S6_NS4_IT4_S6_EES6_b.uses_flat_scratch, 0
	.set _ZN2at6native18radixSortKVInPlaceILin1ELin1ELi16ELi2EllmEEvNS_4cuda6detail10TensorInfoIT3_T5_EES6_S6_S6_NS4_IT4_S6_EES6_b.has_dyn_sized_stack, 0
	.set _ZN2at6native18radixSortKVInPlaceILin1ELin1ELi16ELi2EllmEEvNS_4cuda6detail10TensorInfoIT3_T5_EES6_S6_S6_NS4_IT4_S6_EES6_b.has_recursion, 0
	.set _ZN2at6native18radixSortKVInPlaceILin1ELin1ELi16ELi2EllmEEvNS_4cuda6detail10TensorInfoIT3_T5_EES6_S6_S6_NS4_IT4_S6_EES6_b.has_indirect_call, 0
	.section	.AMDGPU.csdata,"",@progbits
; Kernel info:
; codeLenInByte = 5340
; TotalNumSgprs: 36
; NumVgprs: 42
; ScratchSize: 0
; MemoryBound: 0
; FloatMode: 240
; IeeeMode: 1
; LDSByteSize: 528 bytes/workgroup (compile time only)
; SGPRBlocks: 0
; VGPRBlocks: 5
; NumSGPRsForWavesPerEU: 36
; NumVGPRsForWavesPerEU: 42
; Occupancy: 16
; WaveLimiterHint : 1
; COMPUTE_PGM_RSRC2:SCRATCH_EN: 0
; COMPUTE_PGM_RSRC2:USER_SGPR: 2
; COMPUTE_PGM_RSRC2:TRAP_HANDLER: 0
; COMPUTE_PGM_RSRC2:TGID_X_EN: 1
; COMPUTE_PGM_RSRC2:TGID_Y_EN: 1
; COMPUTE_PGM_RSRC2:TGID_Z_EN: 1
; COMPUTE_PGM_RSRC2:TIDIG_COMP_CNT: 0
	.section	.text._ZN2at6native18radixSortKVInPlaceILin2ELin1ELi512ELi8EsljEEvNS_4cuda6detail10TensorInfoIT3_T5_EES6_S6_S6_NS4_IT4_S6_EES6_b,"axG",@progbits,_ZN2at6native18radixSortKVInPlaceILin2ELin1ELi512ELi8EsljEEvNS_4cuda6detail10TensorInfoIT3_T5_EES6_S6_S6_NS4_IT4_S6_EES6_b,comdat
	.protected	_ZN2at6native18radixSortKVInPlaceILin2ELin1ELi512ELi8EsljEEvNS_4cuda6detail10TensorInfoIT3_T5_EES6_S6_S6_NS4_IT4_S6_EES6_b ; -- Begin function _ZN2at6native18radixSortKVInPlaceILin2ELin1ELi512ELi8EsljEEvNS_4cuda6detail10TensorInfoIT3_T5_EES6_S6_S6_NS4_IT4_S6_EES6_b
	.globl	_ZN2at6native18radixSortKVInPlaceILin2ELin1ELi512ELi8EsljEEvNS_4cuda6detail10TensorInfoIT3_T5_EES6_S6_S6_NS4_IT4_S6_EES6_b
	.p2align	8
	.type	_ZN2at6native18radixSortKVInPlaceILin2ELin1ELi512ELi8EsljEEvNS_4cuda6detail10TensorInfoIT3_T5_EES6_S6_S6_NS4_IT4_S6_EES6_b,@function
_ZN2at6native18radixSortKVInPlaceILin2ELin1ELi512ELi8EsljEEvNS_4cuda6detail10TensorInfoIT3_T5_EES6_S6_S6_NS4_IT4_S6_EES6_b: ; @_ZN2at6native18radixSortKVInPlaceILin2ELin1ELi512ELi8EsljEEvNS_4cuda6detail10TensorInfoIT3_T5_EES6_S6_S6_NS4_IT4_S6_EES6_b
; %bb.0:
	s_clause 0x1
	s_load_b64 s[2:3], s[0:1], 0x1c8
	s_load_b96 s[24:26], s[0:1], 0xd8
	s_lshr_b32 s4, ttmp7, 16
	s_wait_kmcnt 0x0
	s_mul_i32 s3, s3, s4
	s_and_b32 s4, ttmp7, 0xffff
	s_delay_alu instid0(SALU_CYCLE_1) | instskip(NEXT) | instid1(SALU_CYCLE_1)
	s_add_co_i32 s3, s3, s4
	s_mul_i32 s4, s3, s2
	s_delay_alu instid0(SALU_CYCLE_1) | instskip(NEXT) | instid1(SALU_CYCLE_1)
	s_add_co_i32 s4, s4, ttmp9
	s_cmp_ge_u32 s4, s24
	s_cbranch_scc1 .LBB160_146
; %bb.1:
	s_load_b32 s2, s[0:1], 0x1b8
	s_add_nc_u64 s[10:11], s[0:1], 0xe8
	s_mov_b32 s9, 0
	s_mov_b32 s12, s4
	s_wait_kmcnt 0x0
	s_cmp_lt_i32 s2, 2
	s_cbranch_scc1 .LBB160_4
; %bb.2:
	s_add_co_i32 s8, s2, -1
	s_add_co_i32 s5, s2, 1
	s_lshl_b64 s[6:7], s[8:9], 2
	s_mov_b32 s12, s4
	s_add_nc_u64 s[6:7], s[10:11], s[6:7]
	s_delay_alu instid0(SALU_CYCLE_1)
	s_add_nc_u64 s[2:3], s[6:7], 8
.LBB160_3:                              ; =>This Inner Loop Header: Depth=1
	s_clause 0x1
	s_load_b32 s6, s[2:3], 0x0
	s_load_b32 s7, s[2:3], 0x64
	s_mov_b32 s14, s12
	s_add_nc_u64 s[2:3], s[2:3], -4
	s_wait_kmcnt 0x0
	s_cvt_f32_u32 s8, s6
	s_sub_co_i32 s13, 0, s6
	s_wait_alu 0xfffe
	s_delay_alu instid0(SALU_CYCLE_1) | instskip(NEXT) | instid1(TRANS32_DEP_1)
	v_rcp_iflag_f32_e32 v1, s8
	v_readfirstlane_b32 s8, v1
	s_mul_f32 s8, s8, 0x4f7ffffe
	s_wait_alu 0xfffe
	s_delay_alu instid0(SALU_CYCLE_2) | instskip(SKIP_1) | instid1(SALU_CYCLE_2)
	s_cvt_u32_f32 s8, s8
	s_wait_alu 0xfffe
	s_mul_i32 s13, s13, s8
	s_delay_alu instid0(SALU_CYCLE_1) | instskip(NEXT) | instid1(SALU_CYCLE_1)
	s_mul_hi_u32 s13, s8, s13
	s_add_co_i32 s8, s8, s13
	s_wait_alu 0xfffe
	s_mul_hi_u32 s8, s12, s8
	s_wait_alu 0xfffe
	s_mul_i32 s12, s8, s6
	s_add_co_i32 s13, s8, 1
	s_sub_co_i32 s12, s14, s12
	s_delay_alu instid0(SALU_CYCLE_1)
	s_sub_co_i32 s15, s12, s6
	s_cmp_ge_u32 s12, s6
	s_cselect_b32 s8, s13, s8
	s_cselect_b32 s12, s15, s12
	s_wait_alu 0xfffe
	s_add_co_i32 s13, s8, 1
	s_cmp_ge_u32 s12, s6
	s_cselect_b32 s12, s13, s8
	s_add_co_i32 s5, s5, -1
	s_mul_i32 s6, s12, s6
	s_delay_alu instid0(SALU_CYCLE_1) | instskip(NEXT) | instid1(SALU_CYCLE_1)
	s_sub_co_i32 s6, s14, s6
	s_mul_i32 s6, s7, s6
	s_delay_alu instid0(SALU_CYCLE_1)
	s_add_co_i32 s9, s6, s9
	s_cmp_gt_u32 s5, 2
	s_cbranch_scc1 .LBB160_3
.LBB160_4:
	s_clause 0x2
	s_load_b64 s[28:29], s[0:1], 0x1c0
	s_load_b64 s[2:3], s[0:1], 0x0
	s_load_b32 s5, s[0:1], 0x6c
	s_add_nc_u64 s[34:35], s[0:1], 0x1c8
	s_mov_b32 s0, 0x8000
	s_mov_b32 s15, 0
	s_wait_kmcnt 0x0
	s_bitcmp1_b32 s29, 0
	s_mul_i32 s14, s5, s4
	s_cselect_b32 s8, -1, 0
	s_wait_alu 0xfffe
	s_and_b32 s1, s8, exec_lo
	s_cselect_b32 s1, s0, 0x7fff
	s_delay_alu instid0(SALU_CYCLE_1)
	s_pack_ll_b32_b16 s4, s1, s1
	v_mov_b32_e32 v5, s1
	s_mov_b32 s5, s4
	s_mov_b32 s6, s4
	;; [unrolled: 1-line block ×3, first 2 shown]
	v_dual_mov_b32 v1, s4 :: v_dual_and_b32 v46, 0x3ff, v0
	v_dual_mov_b32 v2, s5 :: v_dual_mov_b32 v3, s6
	v_mov_b32_e32 v4, s7
	s_delay_alu instid0(VALU_DEP_3)
	v_mul_lo_u32 v44, s26, v46
	v_cmp_gt_u32_e64 s0, s25, v46
	s_lshl_b64 s[6:7], s[14:15], 1
	s_wait_alu 0xfffe
	s_add_nc_u64 s[30:31], s[2:3], s[6:7]
	s_and_saveexec_b32 s1, s0
	s_cbranch_execz .LBB160_6
; %bb.5:
	v_mov_b32_e32 v45, 0
	v_dual_mov_b32 v3, s4 :: v_dual_mov_b32 v4, s4
	s_delay_alu instid0(VALU_DEP_2) | instskip(NEXT) | instid1(VALU_DEP_1)
	v_lshlrev_b64_e32 v[1:2], 1, v[44:45]
	v_add_co_u32 v1, vcc_lo, s30, v1
	s_delay_alu instid0(VALU_DEP_1)
	v_add_co_ci_u32_e64 v2, null, s31, v2, vcc_lo
	global_load_u16 v5, v[1:2], off
	v_mov_b32_e32 v2, s4
	s_wait_loadcnt 0x0
	v_bfi_b32 v1, 0xffff, v5, s4
.LBB160_6:
	s_wait_alu 0xfffe
	s_or_b32 exec_lo, exec_lo, s1
	v_add_nc_u32_e32 v15, 0x200, v46
	s_delay_alu instid0(VALU_DEP_1)
	v_cmp_gt_u32_e64 s1, s25, v15
	s_and_saveexec_b32 s2, s1
	s_cbranch_execz .LBB160_8
; %bb.7:
	v_mul_lo_u32 v6, s26, v15
	v_mov_b32_e32 v7, 0
	s_delay_alu instid0(VALU_DEP_1) | instskip(NEXT) | instid1(VALU_DEP_1)
	v_lshlrev_b64_e32 v[6:7], 1, v[6:7]
	v_add_co_u32 v6, vcc_lo, s30, v6
	s_wait_alu 0xfffd
	s_delay_alu instid0(VALU_DEP_2)
	v_add_co_ci_u32_e64 v7, null, s31, v7, vcc_lo
	global_load_d16_hi_b16 v1, v[6:7], off
.LBB160_8:
	s_or_b32 exec_lo, exec_lo, s2
	v_or_b32_e32 v16, 0x400, v46
	s_delay_alu instid0(VALU_DEP_1)
	v_cmp_gt_u32_e64 s2, s25, v16
	s_and_saveexec_b32 s3, s2
	s_cbranch_execz .LBB160_10
; %bb.9:
	v_mul_lo_u32 v6, s26, v16
	v_mov_b32_e32 v7, 0
	s_delay_alu instid0(VALU_DEP_1) | instskip(NEXT) | instid1(VALU_DEP_1)
	v_lshlrev_b64_e32 v[6:7], 1, v[6:7]
	v_add_co_u32 v6, vcc_lo, s30, v6
	s_wait_alu 0xfffd
	s_delay_alu instid0(VALU_DEP_2)
	v_add_co_ci_u32_e64 v7, null, s31, v7, vcc_lo
	global_load_d16_b16 v2, v[6:7], off
.LBB160_10:
	s_or_b32 exec_lo, exec_lo, s3
	v_add_nc_u32_e32 v17, 0x600, v46
	s_delay_alu instid0(VALU_DEP_1)
	v_cmp_gt_u32_e64 s3, s25, v17
	s_and_saveexec_b32 s4, s3
	s_cbranch_execz .LBB160_12
; %bb.11:
	v_mul_lo_u32 v6, s26, v17
	v_mov_b32_e32 v7, 0
	s_delay_alu instid0(VALU_DEP_1) | instskip(NEXT) | instid1(VALU_DEP_1)
	v_lshlrev_b64_e32 v[6:7], 1, v[6:7]
	v_add_co_u32 v6, vcc_lo, s30, v6
	s_wait_alu 0xfffd
	s_delay_alu instid0(VALU_DEP_2)
	v_add_co_ci_u32_e64 v7, null, s31, v7, vcc_lo
	s_wait_loadcnt 0x0
	global_load_d16_hi_b16 v2, v[6:7], off
.LBB160_12:
	s_wait_alu 0xfffe
	s_or_b32 exec_lo, exec_lo, s4
	v_or_b32_e32 v18, 0x800, v46
	s_delay_alu instid0(VALU_DEP_1)
	v_cmp_gt_u32_e64 s4, s25, v18
	s_and_saveexec_b32 s5, s4
	s_cbranch_execz .LBB160_14
; %bb.13:
	v_mul_lo_u32 v6, s26, v18
	v_mov_b32_e32 v7, 0
	s_delay_alu instid0(VALU_DEP_1) | instskip(NEXT) | instid1(VALU_DEP_1)
	v_lshlrev_b64_e32 v[6:7], 1, v[6:7]
	v_add_co_u32 v6, vcc_lo, s30, v6
	s_wait_alu 0xfffd
	s_delay_alu instid0(VALU_DEP_2)
	v_add_co_ci_u32_e64 v7, null, s31, v7, vcc_lo
	global_load_d16_b16 v3, v[6:7], off
.LBB160_14:
	s_wait_alu 0xfffe
	s_or_b32 exec_lo, exec_lo, s5
	v_add_nc_u32_e32 v19, 0xa00, v46
	s_delay_alu instid0(VALU_DEP_1)
	v_cmp_gt_u32_e64 s5, s25, v19
	s_and_saveexec_b32 s6, s5
	s_cbranch_execz .LBB160_16
; %bb.15:
	v_mul_lo_u32 v6, s26, v19
	v_mov_b32_e32 v7, 0
	s_delay_alu instid0(VALU_DEP_1) | instskip(NEXT) | instid1(VALU_DEP_1)
	v_lshlrev_b64_e32 v[6:7], 1, v[6:7]
	v_add_co_u32 v6, vcc_lo, s30, v6
	s_wait_alu 0xfffd
	s_delay_alu instid0(VALU_DEP_2)
	v_add_co_ci_u32_e64 v7, null, s31, v7, vcc_lo
	s_wait_loadcnt 0x0
	global_load_d16_hi_b16 v3, v[6:7], off
.LBB160_16:
	s_wait_alu 0xfffe
	s_or_b32 exec_lo, exec_lo, s6
	v_or_b32_e32 v20, 0xc00, v46
	s_delay_alu instid0(VALU_DEP_1)
	v_cmp_gt_u32_e64 s6, s25, v20
	s_and_saveexec_b32 s7, s6
	s_cbranch_execz .LBB160_18
; %bb.17:
	v_mul_lo_u32 v6, s26, v20
	v_mov_b32_e32 v7, 0
	s_delay_alu instid0(VALU_DEP_1) | instskip(NEXT) | instid1(VALU_DEP_1)
	v_lshlrev_b64_e32 v[6:7], 1, v[6:7]
	v_add_co_u32 v6, vcc_lo, s30, v6
	s_wait_alu 0xfffd
	s_delay_alu instid0(VALU_DEP_2)
	v_add_co_ci_u32_e64 v7, null, s31, v7, vcc_lo
	global_load_d16_b16 v4, v[6:7], off
.LBB160_18:
	s_wait_alu 0xfffe
	s_or_b32 exec_lo, exec_lo, s7
	s_clause 0x1
	s_load_b32 s13, s[10:11], 0x6c
	s_load_b64 s[10:11], s[10:11], 0x0
	v_add_nc_u32_e32 v21, 0xe00, v46
	s_delay_alu instid0(VALU_DEP_1)
	v_cmp_gt_u32_e64 s7, s25, v21
	s_and_saveexec_b32 s14, s7
	s_cbranch_execz .LBB160_20
; %bb.19:
	v_mul_lo_u32 v6, s26, v21
	v_mov_b32_e32 v7, 0
	s_delay_alu instid0(VALU_DEP_1) | instskip(NEXT) | instid1(VALU_DEP_1)
	v_lshlrev_b64_e32 v[6:7], 1, v[6:7]
	v_add_co_u32 v6, vcc_lo, s30, v6
	s_wait_alu 0xfffd
	s_delay_alu instid0(VALU_DEP_2)
	v_add_co_ci_u32_e64 v7, null, s31, v7, vcc_lo
	s_wait_loadcnt 0x0
	global_load_d16_hi_b16 v4, v[6:7], off
.LBB160_20:
	s_or_b32 exec_lo, exec_lo, s14
	v_lshrrev_b32_e32 v6, 4, v46
	v_lshrrev_b32_e32 v7, 4, v15
	;; [unrolled: 1-line block ×3, first 2 shown]
	v_dual_mov_b32 v42, 0 :: v_dual_lshlrev_b32 v9, 1, v46
	s_delay_alu instid0(VALU_DEP_4) | instskip(NEXT) | instid1(VALU_DEP_4)
	v_and_b32_e32 v6, 60, v6
	v_and_b32_e32 v7, 0x7c, v7
	s_delay_alu instid0(VALU_DEP_4)
	v_and_b32_e32 v8, 0x7c, v8
	v_lshrrev_b32_e32 v10, 4, v17
	v_lshrrev_b32_e32 v11, 4, v21
	v_mov_b32_e32 v43, v42
	v_add_nc_u32_e32 v51, v6, v9
	v_dual_mov_b32 v12, v42 :: v_dual_add_nc_u32 v45, v7, v9
	v_add_nc_u32_e32 v52, v8, v9
	v_and_b32_e32 v6, 0xfc, v10
	v_lshrrev_b32_e32 v7, 4, v18
	v_lshrrev_b32_e32 v8, 4, v19
	;; [unrolled: 1-line block ×3, first 2 shown]
	s_wait_kmcnt 0x0
	s_mul_i32 s12, s13, s12
	v_add_nc_u32_e32 v53, v6, v9
	v_and_b32_e32 v6, 0xbc, v7
	v_and_b32_e32 v7, 0xfc, v8
	;; [unrolled: 1-line block ×4, first 2 shown]
	v_lshrrev_b32_e32 v11, 1, v46
	v_dual_mov_b32 v13, 0 :: v_dual_add_nc_u32 v54, v6, v9
	v_add_nc_u32_e32 v55, v7, v9
	v_add_nc_u32_e32 v56, v8, v9
	s_delay_alu instid0(VALU_DEP_4) | instskip(SKIP_2) | instid1(VALU_DEP_3)
	v_dual_mov_b32 v11, v42 :: v_dual_and_b32 v6, 0x1fc, v11
	v_mov_b32_e32 v7, v42
	v_dual_mov_b32 v14, 0 :: v_dual_add_nc_u32 v57, v10, v9
	v_lshl_add_u32 v58, v46, 4, v6
	ds_store_b16 v51, v5
	s_wait_loadcnt 0x0
	ds_store_b16_d16_hi v45, v1 offset:1024
	ds_store_b16 v52, v2 offset:2048
	ds_store_b16_d16_hi v53, v2 offset:3072
	ds_store_b16 v54, v3 offset:4096
	;; [unrolled: 2-line block ×3, first 2 shown]
	ds_store_b16_d16_hi v57, v4 offset:7168
	s_wait_dscnt 0x0
	s_barrier_signal -1
	s_barrier_wait -1
	global_inv scope:SCOPE_SE
	ds_load_2addr_b32 v[49:50], v58 offset1:1
	ds_load_2addr_b32 v[47:48], v58 offset0:2 offset1:3
	v_mul_lo_u32 v41, s28, v46
	s_add_co_i32 s12, s12, s9
	s_mov_b32 s13, 0
	v_dual_mov_b32 v9, v42 :: v_dual_mov_b32 v10, v42
	v_dual_mov_b32 v1, v42 :: v_dual_mov_b32 v2, v42
	;; [unrolled: 1-line block ×4, first 2 shown]
	v_mov_b32_e32 v8, v42
	s_lshl_b64 s[12:13], s[12:13], 3
	s_wait_loadcnt_dscnt 0x0
	s_add_nc_u64 s[24:25], s[10:11], s[12:13]
	s_barrier_signal -1
	s_barrier_wait -1
	global_inv scope:SCOPE_SE
	s_and_saveexec_b32 s9, s0
	s_cbranch_execnz .LBB160_76
; %bb.21:
	s_wait_alu 0xfffe
	s_or_b32 exec_lo, exec_lo, s9
	s_and_saveexec_b32 s9, s1
	s_cbranch_execnz .LBB160_77
.LBB160_22:
	s_wait_alu 0xfffe
	s_or_b32 exec_lo, exec_lo, s9
	s_and_saveexec_b32 s9, s2
	s_cbranch_execnz .LBB160_78
.LBB160_23:
	s_wait_alu 0xfffe
	s_or_b32 exec_lo, exec_lo, s9
	s_and_saveexec_b32 s9, s3
	s_cbranch_execnz .LBB160_79
.LBB160_24:
	s_wait_alu 0xfffe
	s_or_b32 exec_lo, exec_lo, s9
	s_and_saveexec_b32 s9, s4
	s_cbranch_execnz .LBB160_80
.LBB160_25:
	s_wait_alu 0xfffe
	s_or_b32 exec_lo, exec_lo, s9
	s_and_saveexec_b32 s9, s5
	s_cbranch_execnz .LBB160_81
.LBB160_26:
	s_wait_alu 0xfffe
	s_or_b32 exec_lo, exec_lo, s9
	s_and_saveexec_b32 s9, s6
	s_cbranch_execz .LBB160_28
.LBB160_27:
	v_mul_lo_u32 v5, s28, v20
	v_mov_b32_e32 v6, 0
	s_delay_alu instid0(VALU_DEP_1) | instskip(NEXT) | instid1(VALU_DEP_1)
	v_lshlrev_b64_e32 v[5:6], 3, v[5:6]
	v_add_co_u32 v5, vcc_lo, s24, v5
	s_wait_alu 0xfffd
	s_delay_alu instid0(VALU_DEP_2)
	v_add_co_ci_u32_e64 v6, null, s25, v6, vcc_lo
	global_load_b64 v[5:6], v[5:6], off
.LBB160_28:
	s_wait_alu 0xfffe
	s_or_b32 exec_lo, exec_lo, s9
	v_lshrrev_b32_e32 v69, 5, v46
	v_lshrrev_b32_e32 v25, 5, v15
	;; [unrolled: 1-line block ×8, first 2 shown]
	v_lshlrev_b32_e32 v66, 3, v46
	v_lshrrev_b32_e32 v15, 2, v46
	s_xor_b32 s8, s8, -1
	s_and_saveexec_b32 s9, s7
	s_cbranch_execz .LBB160_30
; %bb.29:
	v_mul_lo_u32 v7, s28, v21
	v_mov_b32_e32 v8, 0
	s_delay_alu instid0(VALU_DEP_1) | instskip(NEXT) | instid1(VALU_DEP_1)
	v_lshlrev_b64_e32 v[7:8], 3, v[7:8]
	v_add_co_u32 v7, vcc_lo, s24, v7
	s_wait_alu 0xfffd
	s_delay_alu instid0(VALU_DEP_2)
	v_add_co_ci_u32_e64 v8, null, s25, v8, vcc_lo
	global_load_b64 v[7:8], v[7:8], off
.LBB160_30:
	s_wait_alu 0xfffe
	s_or_b32 exec_lo, exec_lo, s9
	v_lshl_add_u32 v59, v69, 3, v66
	v_lshl_add_u32 v60, v25, 3, v66
	;; [unrolled: 1-line block ×5, first 2 shown]
	s_wait_loadcnt 0x0
	ds_store_b64 v59, v[13:14]
	ds_store_b64 v60, v[42:43] offset:4096
	ds_store_b64 v61, v[9:10] offset:8192
	;; [unrolled: 1-line block ×3, first 2 shown]
	v_lshlrev_b32_e32 v9, 3, v66
	v_lshl_add_u32 v42, v22, 3, v66
	v_lshl_add_u32 v43, v18, 3, v66
	;; [unrolled: 1-line block ×3, first 2 shown]
	ds_store_b64 v42, v[1:2] offset:16384
	ds_store_b64 v43, v[3:4] offset:20480
	;; [unrolled: 1-line block ×4, first 2 shown]
	v_lshl_add_u32 v65, v15, 3, v9
	s_wait_dscnt 0x0
	s_barrier_signal -1
	s_barrier_wait -1
	global_inv scope:SCOPE_SE
	ds_load_2addr_b64 v[5:8], v65 offset1:1
	ds_load_2addr_b64 v[1:4], v65 offset0:2 offset1:3
	v_mbcnt_lo_u32_b32 v70, -1, 0
	v_and_b32_e32 v17, 0x1f00, v66
	ds_load_2addr_b64 v[13:16], v65 offset0:4 offset1:5
	ds_load_2addr_b64 v[9:12], v65 offset0:6 offset1:7
	v_and_b32_e32 v72, 0x3e0, v46
	v_bfe_u32 v73, v0, 10, 10
	v_bfe_u32 v74, v0, 20, 10
	v_or_b32_e32 v71, v70, v17
	v_lshlrev_b32_e32 v67, 2, v66
	v_or_b32_e32 v18, v70, v72
	s_mov_b32 s12, 0
	s_and_b32 vcc_lo, exec_lo, s8
	v_lshlrev_b32_e32 v68, 1, v71
	s_mov_b32 s8, -1
	v_lshlrev_b32_e32 v76, 3, v18
	v_lshlrev_b32_e32 v77, 4, v18
	s_wait_loadcnt_dscnt 0x0
	v_mad_u32_u24 v75, v71, 6, v68
	s_barrier_signal -1
	s_barrier_wait -1
	global_inv scope:SCOPE_SE
	s_wait_alu 0xfffe
	s_cbranch_vccz .LBB160_82
; %bb.31:
	v_xor_b32_e32 v17, 0x80008000, v49
	v_xor_b32_e32 v18, 0x80008000, v50
	;; [unrolled: 1-line block ×4, first 2 shown]
	s_getpc_b64 s[8:9]
	s_wait_alu 0xfffe
	s_sext_i32_i16 s9, s9
	s_add_co_u32 s8, s8, _ZN7rocprim17ROCPRIM_400000_NS16block_radix_sortIsLj512ELj8ElLj1ELj1ELj0ELNS0_26block_radix_rank_algorithmE1ELNS0_18block_padding_hintE2ELNS0_4arch9wavefront6targetE0EE19radix_bits_per_passE@rel32@lo+12
	s_wait_alu 0xfffe
	s_add_co_ci_u32 s9, s9, _ZN7rocprim17ROCPRIM_400000_NS16block_radix_sortIsLj512ELj8ElLj1ELj1ELj0ELNS0_26block_radix_rank_algorithmE1ELNS0_18block_padding_hintE2ELNS0_4arch9wavefront6targetE0EE19radix_bits_per_passE@rel32@hi+24
	s_mov_b32 s13, s12
	s_load_b32 s17, s[8:9], 0x0
	s_mov_b32 s14, s12
	ds_store_b128 v77, v[17:20]
	; wave barrier
	ds_load_u16 v78, v68
	s_mov_b32 s15, s12
	v_lshlrev_b32_e32 v0, 3, v76
	ds_load_u16 v79, v68 offset:64
	ds_load_u16 v80, v68 offset:128
	;; [unrolled: 1-line block ×7, first 2 shown]
	s_wait_loadcnt_dscnt 0x0
	s_barrier_signal -1
	s_barrier_wait -1
	global_inv scope:SCOPE_SE
	ds_store_b128 v0, v[5:8]
	ds_store_b128 v0, v[1:4] offset:16
	ds_store_b128 v0, v[13:16] offset:32
	;; [unrolled: 1-line block ×3, first 2 shown]
	; wave barrier
	s_wait_kmcnt 0x0
	s_min_u32 s8, s17, 16
	s_wait_alu 0xfffe
	s_lshl_b32 s8, -1, s8
	s_wait_alu 0xfffe
	s_not_b32 s9, s8
	v_and_b32_e32 v17, 0xffff, v78
	s_wait_alu 0xfffe
	s_delay_alu instid0(VALU_DEP_1)
	v_and_b32_e32 v40, s9, v17
	ds_load_2addr_b64 v[21:24], v75 offset1:32
	ds_load_2addr_b64 v[17:20], v75 offset0:64 offset1:96
	ds_load_2addr_b64 v[29:32], v75 offset0:128 offset1:160
	;; [unrolled: 1-line block ×3, first 2 shown]
	s_wait_loadcnt_dscnt 0x0
	s_barrier_signal -1
	v_and_b32_e32 v0, 1, v40
	v_lshlrev_b32_e32 v33, 30, v40
	v_lshlrev_b32_e32 v36, 28, v40
	;; [unrolled: 1-line block ×3, first 2 shown]
	s_barrier_wait -1
	v_add_co_u32 v0, s8, v0, -1
	s_wait_alu 0xf1ff
	v_cndmask_b32_e64 v34, 0, 1, s8
	v_not_b32_e32 v35, v33
	v_cmp_gt_i32_e64 s8, 0, v33
	global_inv scope:SCOPE_SE
	v_cmp_ne_u32_e32 vcc_lo, 0, v34
	v_lshlrev_b32_e32 v34, 29, v40
	v_ashrrev_i32_e32 v33, 31, v35
	s_wait_alu 0xfffd
	v_xor_b32_e32 v0, vcc_lo, v0
	s_delay_alu instid0(VALU_DEP_3)
	v_not_b32_e32 v35, v34
	v_cmp_gt_i32_e32 vcc_lo, 0, v34
	s_wait_alu 0xf1ff
	v_xor_b32_e32 v33, s8, v33
	s_load_b32 s8, s[34:35], 0xc
	v_and_b32_e32 v0, exec_lo, v0
	v_ashrrev_i32_e32 v34, 31, v35
	v_not_b32_e32 v35, v36
	s_delay_alu instid0(VALU_DEP_3) | instskip(NEXT) | instid1(VALU_DEP_3)
	v_and_b32_e32 v0, v0, v33
	v_xor_b32_e32 v33, vcc_lo, v34
	v_cmp_gt_i32_e32 vcc_lo, 0, v36
	s_delay_alu instid0(VALU_DEP_4) | instskip(SKIP_1) | instid1(VALU_DEP_4)
	v_ashrrev_i32_e32 v34, 31, v35
	v_not_b32_e32 v35, v37
	v_and_b32_e32 v0, v0, v33
	v_lshlrev_b32_e32 v33, 26, v40
	s_wait_alu 0xfffd
	v_xor_b32_e32 v34, vcc_lo, v34
	v_cmp_gt_i32_e32 vcc_lo, 0, v37
	v_ashrrev_i32_e32 v35, 31, v35
	v_not_b32_e32 v36, v33
	s_delay_alu instid0(VALU_DEP_4)
	v_and_b32_e32 v0, v0, v34
	v_lshlrev_b32_e32 v34, 25, v40
	s_wait_alu 0xfffd
	v_xor_b32_e32 v35, vcc_lo, v35
	v_cmp_gt_i32_e32 vcc_lo, 0, v33
	v_ashrrev_i32_e32 v33, 31, v36
	s_wait_kmcnt 0x0
	s_lshr_b32 s10, s8, 16
	v_not_b32_e32 v36, v34
	v_and_b32_e32 v0, v0, v35
	v_lshlrev_b32_e32 v35, 24, v40
	s_wait_alu 0xfffd
	v_xor_b32_e32 v33, vcc_lo, v33
	v_cmp_gt_i32_e32 vcc_lo, 0, v34
	v_ashrrev_i32_e32 v34, 31, v36
	v_mad_u32_u24 v37, v74, s10, v73
	v_not_b32_e32 v36, v35
	v_and_b32_e32 v0, v0, v33
	s_and_b32 s8, s8, 0xffff
	s_wait_alu 0xfffd
	v_xor_b32_e32 v33, vcc_lo, v34
	v_cmp_gt_i32_e32 vcc_lo, 0, v35
	v_ashrrev_i32_e32 v34, 31, v36
	s_wait_alu 0xfffe
	v_mad_co_u64_u32 v[38:39], null, v37, s8, v[46:47]
	v_and_b32_e32 v0, v0, v33
	s_wait_alu 0xfffd
	v_xor_b32_e32 v33, vcc_lo, v34
	v_dual_mov_b32 v37, s15 :: v_dual_mov_b32 v36, s14
	v_dual_mov_b32 v35, s13 :: v_dual_mov_b32 v34, s12
	s_delay_alu instid0(VALU_DEP_3)
	v_and_b32_e32 v33, v0, v33
	v_lshrrev_b32_e32 v0, 5, v38
	ds_store_b128 v67, v[34:37] offset:64
	ds_store_b128 v67, v[34:37] offset:80
	v_mbcnt_lo_u32_b32 v90, v33, 0
	v_lshlrev_b32_e32 v0, 2, v0
	v_lshlrev_b32_e32 v34, 6, v40
	v_cmp_ne_u32_e64 s8, 0, v33
	s_wait_loadcnt_dscnt 0x0
	v_cmp_eq_u32_e32 vcc_lo, 0, v90
	s_barrier_signal -1
	v_add_nc_u32_e32 v91, v0, v34
	s_barrier_wait -1
	global_inv scope:SCOPE_SE
	s_and_b32 s10, s8, vcc_lo
	; wave barrier
	s_wait_alu 0xfffe
	s_and_saveexec_b32 s8, s10
; %bb.32:
	v_bcnt_u32_b32 v33, v33, 0
	ds_store_b32 v91, v33 offset:64
; %bb.33:
	s_wait_alu 0xfffe
	s_or_b32 exec_lo, exec_lo, s8
	v_and_b32_e32 v33, 0xffff, v79
	; wave barrier
	s_delay_alu instid0(VALU_DEP_1) | instskip(NEXT) | instid1(VALU_DEP_1)
	v_and_b32_e32 v33, s9, v33
	v_and_b32_e32 v34, 1, v33
	v_lshlrev_b32_e32 v35, 30, v33
	v_lshlrev_b32_e32 v36, 29, v33
	;; [unrolled: 1-line block ×4, first 2 shown]
	v_add_co_u32 v34, s8, v34, -1
	s_wait_alu 0xf1ff
	v_cndmask_b32_e64 v38, 0, 1, s8
	v_not_b32_e32 v87, v35
	v_cmp_gt_i32_e64 s8, 0, v35
	v_not_b32_e32 v35, v36
	v_lshlrev_b32_e32 v40, 26, v33
	v_cmp_ne_u32_e32 vcc_lo, 0, v38
	v_ashrrev_i32_e32 v87, 31, v87
	v_lshlrev_b32_e32 v86, 25, v33
	v_ashrrev_i32_e32 v35, 31, v35
	v_lshlrev_b32_e32 v38, 24, v33
	s_wait_alu 0xfffd
	v_xor_b32_e32 v34, vcc_lo, v34
	v_cmp_gt_i32_e32 vcc_lo, 0, v36
	v_not_b32_e32 v36, v37
	s_wait_alu 0xf1ff
	v_xor_b32_e32 v87, s8, v87
	v_cmp_gt_i32_e64 s8, 0, v37
	v_and_b32_e32 v34, exec_lo, v34
	v_not_b32_e32 v37, v39
	v_ashrrev_i32_e32 v36, 31, v36
	s_wait_alu 0xfffd
	v_xor_b32_e32 v35, vcc_lo, v35
	v_cmp_gt_i32_e32 vcc_lo, 0, v39
	v_and_b32_e32 v34, v34, v87
	v_not_b32_e32 v39, v40
	v_ashrrev_i32_e32 v37, 31, v37
	s_wait_alu 0xf1ff
	v_xor_b32_e32 v36, s8, v36
	v_cmp_gt_i32_e64 s8, 0, v40
	v_and_b32_e32 v34, v34, v35
	v_not_b32_e32 v35, v86
	v_ashrrev_i32_e32 v39, 31, v39
	s_wait_alu 0xfffd
	v_xor_b32_e32 v37, vcc_lo, v37
	v_cmp_gt_i32_e32 vcc_lo, 0, v86
	v_and_b32_e32 v34, v34, v36
	v_not_b32_e32 v36, v38
	v_ashrrev_i32_e32 v35, 31, v35
	s_wait_alu 0xf1ff
	v_xor_b32_e32 v39, s8, v39
	v_lshlrev_b32_e32 v33, 6, v33
	v_and_b32_e32 v34, v34, v37
	v_cmp_gt_i32_e64 s8, 0, v38
	v_ashrrev_i32_e32 v36, 31, v36
	s_wait_alu 0xfffd
	v_xor_b32_e32 v35, vcc_lo, v35
	v_add_nc_u32_e32 v94, v0, v33
	v_and_b32_e32 v34, v34, v39
	s_wait_alu 0xf1ff
	v_xor_b32_e32 v33, s8, v36
	ds_load_b32 v92, v94 offset:64
	v_and_b32_e32 v34, v34, v35
	; wave barrier
	s_delay_alu instid0(VALU_DEP_1) | instskip(NEXT) | instid1(VALU_DEP_1)
	v_and_b32_e32 v33, v34, v33
	v_mbcnt_lo_u32_b32 v93, v33, 0
	v_cmp_ne_u32_e64 s8, 0, v33
	s_delay_alu instid0(VALU_DEP_2)
	v_cmp_eq_u32_e32 vcc_lo, 0, v93
	s_and_b32 s10, s8, vcc_lo
	s_wait_alu 0xfffe
	s_and_saveexec_b32 s8, s10
	s_cbranch_execz .LBB160_35
; %bb.34:
	s_wait_dscnt 0x0
	v_bcnt_u32_b32 v33, v33, v92
	ds_store_b32 v94, v33 offset:64
.LBB160_35:
	s_wait_alu 0xfffe
	s_or_b32 exec_lo, exec_lo, s8
	v_and_b32_e32 v33, 0xffff, v80
	; wave barrier
	s_delay_alu instid0(VALU_DEP_1) | instskip(NEXT) | instid1(VALU_DEP_1)
	v_and_b32_e32 v33, s9, v33
	v_and_b32_e32 v34, 1, v33
	v_lshlrev_b32_e32 v35, 30, v33
	v_lshlrev_b32_e32 v36, 29, v33
	;; [unrolled: 1-line block ×4, first 2 shown]
	v_add_co_u32 v34, s8, v34, -1
	s_wait_alu 0xf1ff
	v_cndmask_b32_e64 v38, 0, 1, s8
	v_not_b32_e32 v87, v35
	v_cmp_gt_i32_e64 s8, 0, v35
	v_not_b32_e32 v35, v36
	v_lshlrev_b32_e32 v40, 26, v33
	v_cmp_ne_u32_e32 vcc_lo, 0, v38
	v_ashrrev_i32_e32 v87, 31, v87
	v_lshlrev_b32_e32 v86, 25, v33
	v_ashrrev_i32_e32 v35, 31, v35
	v_lshlrev_b32_e32 v38, 24, v33
	s_wait_alu 0xfffd
	v_xor_b32_e32 v34, vcc_lo, v34
	v_cmp_gt_i32_e32 vcc_lo, 0, v36
	v_not_b32_e32 v36, v37
	s_wait_alu 0xf1ff
	v_xor_b32_e32 v87, s8, v87
	v_cmp_gt_i32_e64 s8, 0, v37
	v_and_b32_e32 v34, exec_lo, v34
	v_not_b32_e32 v37, v39
	v_ashrrev_i32_e32 v36, 31, v36
	s_wait_alu 0xfffd
	v_xor_b32_e32 v35, vcc_lo, v35
	v_cmp_gt_i32_e32 vcc_lo, 0, v39
	v_and_b32_e32 v34, v34, v87
	v_not_b32_e32 v39, v40
	v_ashrrev_i32_e32 v37, 31, v37
	s_wait_alu 0xf1ff
	v_xor_b32_e32 v36, s8, v36
	v_cmp_gt_i32_e64 s8, 0, v40
	v_and_b32_e32 v34, v34, v35
	v_not_b32_e32 v35, v86
	v_ashrrev_i32_e32 v39, 31, v39
	s_wait_alu 0xfffd
	v_xor_b32_e32 v37, vcc_lo, v37
	v_cmp_gt_i32_e32 vcc_lo, 0, v86
	v_and_b32_e32 v34, v34, v36
	v_not_b32_e32 v36, v38
	v_ashrrev_i32_e32 v35, 31, v35
	s_wait_alu 0xf1ff
	v_xor_b32_e32 v39, s8, v39
	v_lshlrev_b32_e32 v33, 6, v33
	v_and_b32_e32 v34, v34, v37
	v_cmp_gt_i32_e64 s8, 0, v38
	v_ashrrev_i32_e32 v36, 31, v36
	s_wait_alu 0xfffd
	v_xor_b32_e32 v35, vcc_lo, v35
	v_add_nc_u32_e32 v97, v0, v33
	v_and_b32_e32 v34, v34, v39
	s_wait_alu 0xf1ff
	v_xor_b32_e32 v33, s8, v36
	ds_load_b32 v95, v97 offset:64
	v_and_b32_e32 v34, v34, v35
	; wave barrier
	s_delay_alu instid0(VALU_DEP_1) | instskip(NEXT) | instid1(VALU_DEP_1)
	v_and_b32_e32 v33, v34, v33
	v_mbcnt_lo_u32_b32 v96, v33, 0
	v_cmp_ne_u32_e64 s8, 0, v33
	s_delay_alu instid0(VALU_DEP_2)
	v_cmp_eq_u32_e32 vcc_lo, 0, v96
	s_and_b32 s10, s8, vcc_lo
	s_wait_alu 0xfffe
	s_and_saveexec_b32 s8, s10
	s_cbranch_execz .LBB160_37
; %bb.36:
	s_wait_dscnt 0x0
	v_bcnt_u32_b32 v33, v33, v95
	ds_store_b32 v97, v33 offset:64
.LBB160_37:
	s_wait_alu 0xfffe
	s_or_b32 exec_lo, exec_lo, s8
	v_and_b32_e32 v33, 0xffff, v81
	; wave barrier
	s_delay_alu instid0(VALU_DEP_1) | instskip(NEXT) | instid1(VALU_DEP_1)
	v_and_b32_e32 v33, s9, v33
	v_and_b32_e32 v34, 1, v33
	v_lshlrev_b32_e32 v35, 30, v33
	v_lshlrev_b32_e32 v36, 29, v33
	;; [unrolled: 1-line block ×4, first 2 shown]
	v_add_co_u32 v34, s8, v34, -1
	s_wait_alu 0xf1ff
	v_cndmask_b32_e64 v38, 0, 1, s8
	v_not_b32_e32 v87, v35
	v_cmp_gt_i32_e64 s8, 0, v35
	v_not_b32_e32 v35, v36
	v_lshlrev_b32_e32 v40, 26, v33
	v_cmp_ne_u32_e32 vcc_lo, 0, v38
	v_ashrrev_i32_e32 v87, 31, v87
	v_lshlrev_b32_e32 v86, 25, v33
	v_ashrrev_i32_e32 v35, 31, v35
	v_lshlrev_b32_e32 v38, 24, v33
	s_wait_alu 0xfffd
	v_xor_b32_e32 v34, vcc_lo, v34
	v_cmp_gt_i32_e32 vcc_lo, 0, v36
	v_not_b32_e32 v36, v37
	s_wait_alu 0xf1ff
	v_xor_b32_e32 v87, s8, v87
	v_cmp_gt_i32_e64 s8, 0, v37
	v_and_b32_e32 v34, exec_lo, v34
	v_not_b32_e32 v37, v39
	v_ashrrev_i32_e32 v36, 31, v36
	s_wait_alu 0xfffd
	v_xor_b32_e32 v35, vcc_lo, v35
	v_cmp_gt_i32_e32 vcc_lo, 0, v39
	v_and_b32_e32 v34, v34, v87
	v_not_b32_e32 v39, v40
	v_ashrrev_i32_e32 v37, 31, v37
	s_wait_alu 0xf1ff
	v_xor_b32_e32 v36, s8, v36
	v_cmp_gt_i32_e64 s8, 0, v40
	v_and_b32_e32 v34, v34, v35
	v_not_b32_e32 v35, v86
	v_ashrrev_i32_e32 v39, 31, v39
	s_wait_alu 0xfffd
	v_xor_b32_e32 v37, vcc_lo, v37
	v_cmp_gt_i32_e32 vcc_lo, 0, v86
	v_and_b32_e32 v34, v34, v36
	v_not_b32_e32 v36, v38
	v_ashrrev_i32_e32 v35, 31, v35
	s_wait_alu 0xf1ff
	v_xor_b32_e32 v39, s8, v39
	v_lshlrev_b32_e32 v33, 6, v33
	v_and_b32_e32 v34, v34, v37
	v_cmp_gt_i32_e64 s8, 0, v38
	v_ashrrev_i32_e32 v36, 31, v36
	s_wait_alu 0xfffd
	v_xor_b32_e32 v35, vcc_lo, v35
	v_add_nc_u32_e32 v100, v0, v33
	v_and_b32_e32 v34, v34, v39
	s_wait_alu 0xf1ff
	v_xor_b32_e32 v33, s8, v36
	ds_load_b32 v98, v100 offset:64
	v_and_b32_e32 v34, v34, v35
	; wave barrier
	s_delay_alu instid0(VALU_DEP_1) | instskip(NEXT) | instid1(VALU_DEP_1)
	v_and_b32_e32 v33, v34, v33
	v_mbcnt_lo_u32_b32 v99, v33, 0
	v_cmp_ne_u32_e64 s8, 0, v33
	s_delay_alu instid0(VALU_DEP_2)
	v_cmp_eq_u32_e32 vcc_lo, 0, v99
	s_and_b32 s10, s8, vcc_lo
	s_wait_alu 0xfffe
	s_and_saveexec_b32 s8, s10
	s_cbranch_execz .LBB160_39
; %bb.38:
	s_wait_dscnt 0x0
	v_bcnt_u32_b32 v33, v33, v98
	ds_store_b32 v100, v33 offset:64
.LBB160_39:
	s_wait_alu 0xfffe
	s_or_b32 exec_lo, exec_lo, s8
	v_and_b32_e32 v33, 0xffff, v82
	; wave barrier
	s_delay_alu instid0(VALU_DEP_1) | instskip(NEXT) | instid1(VALU_DEP_1)
	v_and_b32_e32 v33, s9, v33
	v_and_b32_e32 v34, 1, v33
	v_lshlrev_b32_e32 v35, 30, v33
	v_lshlrev_b32_e32 v36, 29, v33
	;; [unrolled: 1-line block ×4, first 2 shown]
	v_add_co_u32 v34, s8, v34, -1
	s_wait_alu 0xf1ff
	v_cndmask_b32_e64 v38, 0, 1, s8
	v_not_b32_e32 v87, v35
	v_cmp_gt_i32_e64 s8, 0, v35
	v_not_b32_e32 v35, v36
	v_lshlrev_b32_e32 v40, 26, v33
	v_cmp_ne_u32_e32 vcc_lo, 0, v38
	v_ashrrev_i32_e32 v87, 31, v87
	v_lshlrev_b32_e32 v86, 25, v33
	v_ashrrev_i32_e32 v35, 31, v35
	v_lshlrev_b32_e32 v38, 24, v33
	s_wait_alu 0xfffd
	v_xor_b32_e32 v34, vcc_lo, v34
	v_cmp_gt_i32_e32 vcc_lo, 0, v36
	v_not_b32_e32 v36, v37
	s_wait_alu 0xf1ff
	v_xor_b32_e32 v87, s8, v87
	v_cmp_gt_i32_e64 s8, 0, v37
	v_and_b32_e32 v34, exec_lo, v34
	v_not_b32_e32 v37, v39
	v_ashrrev_i32_e32 v36, 31, v36
	s_wait_alu 0xfffd
	v_xor_b32_e32 v35, vcc_lo, v35
	v_cmp_gt_i32_e32 vcc_lo, 0, v39
	v_and_b32_e32 v34, v34, v87
	v_not_b32_e32 v39, v40
	v_ashrrev_i32_e32 v37, 31, v37
	s_wait_alu 0xf1ff
	v_xor_b32_e32 v36, s8, v36
	v_cmp_gt_i32_e64 s8, 0, v40
	v_and_b32_e32 v34, v34, v35
	v_not_b32_e32 v35, v86
	v_ashrrev_i32_e32 v39, 31, v39
	s_wait_alu 0xfffd
	v_xor_b32_e32 v37, vcc_lo, v37
	v_cmp_gt_i32_e32 vcc_lo, 0, v86
	v_and_b32_e32 v34, v34, v36
	v_not_b32_e32 v36, v38
	v_ashrrev_i32_e32 v35, 31, v35
	s_wait_alu 0xf1ff
	v_xor_b32_e32 v39, s8, v39
	v_lshlrev_b32_e32 v33, 6, v33
	v_and_b32_e32 v34, v34, v37
	v_cmp_gt_i32_e64 s8, 0, v38
	v_ashrrev_i32_e32 v36, 31, v36
	s_wait_alu 0xfffd
	v_xor_b32_e32 v35, vcc_lo, v35
	v_add_nc_u32_e32 v103, v0, v33
	v_and_b32_e32 v34, v34, v39
	s_wait_alu 0xf1ff
	v_xor_b32_e32 v33, s8, v36
	ds_load_b32 v101, v103 offset:64
	v_and_b32_e32 v34, v34, v35
	; wave barrier
	s_delay_alu instid0(VALU_DEP_1) | instskip(NEXT) | instid1(VALU_DEP_1)
	v_and_b32_e32 v33, v34, v33
	v_mbcnt_lo_u32_b32 v102, v33, 0
	v_cmp_ne_u32_e64 s8, 0, v33
	s_delay_alu instid0(VALU_DEP_2)
	v_cmp_eq_u32_e32 vcc_lo, 0, v102
	s_and_b32 s10, s8, vcc_lo
	s_wait_alu 0xfffe
	s_and_saveexec_b32 s8, s10
	s_cbranch_execz .LBB160_41
; %bb.40:
	s_wait_dscnt 0x0
	v_bcnt_u32_b32 v33, v33, v101
	ds_store_b32 v103, v33 offset:64
.LBB160_41:
	s_wait_alu 0xfffe
	s_or_b32 exec_lo, exec_lo, s8
	v_and_b32_e32 v33, 0xffff, v83
	; wave barrier
	s_delay_alu instid0(VALU_DEP_1) | instskip(NEXT) | instid1(VALU_DEP_1)
	v_and_b32_e32 v33, s9, v33
	v_and_b32_e32 v34, 1, v33
	v_lshlrev_b32_e32 v35, 30, v33
	v_lshlrev_b32_e32 v36, 29, v33
	;; [unrolled: 1-line block ×4, first 2 shown]
	v_add_co_u32 v34, s8, v34, -1
	s_wait_alu 0xf1ff
	v_cndmask_b32_e64 v38, 0, 1, s8
	v_not_b32_e32 v87, v35
	v_cmp_gt_i32_e64 s8, 0, v35
	v_not_b32_e32 v35, v36
	v_lshlrev_b32_e32 v40, 26, v33
	v_cmp_ne_u32_e32 vcc_lo, 0, v38
	v_ashrrev_i32_e32 v87, 31, v87
	v_lshlrev_b32_e32 v86, 25, v33
	v_ashrrev_i32_e32 v35, 31, v35
	v_lshlrev_b32_e32 v38, 24, v33
	s_wait_alu 0xfffd
	v_xor_b32_e32 v34, vcc_lo, v34
	v_cmp_gt_i32_e32 vcc_lo, 0, v36
	v_not_b32_e32 v36, v37
	s_wait_alu 0xf1ff
	v_xor_b32_e32 v87, s8, v87
	v_cmp_gt_i32_e64 s8, 0, v37
	v_and_b32_e32 v34, exec_lo, v34
	v_not_b32_e32 v37, v39
	v_ashrrev_i32_e32 v36, 31, v36
	s_wait_alu 0xfffd
	v_xor_b32_e32 v35, vcc_lo, v35
	v_cmp_gt_i32_e32 vcc_lo, 0, v39
	v_and_b32_e32 v34, v34, v87
	v_not_b32_e32 v39, v40
	v_ashrrev_i32_e32 v37, 31, v37
	s_wait_alu 0xf1ff
	v_xor_b32_e32 v36, s8, v36
	v_cmp_gt_i32_e64 s8, 0, v40
	v_and_b32_e32 v34, v34, v35
	v_not_b32_e32 v35, v86
	v_ashrrev_i32_e32 v39, 31, v39
	s_wait_alu 0xfffd
	v_xor_b32_e32 v37, vcc_lo, v37
	v_cmp_gt_i32_e32 vcc_lo, 0, v86
	v_and_b32_e32 v34, v34, v36
	v_not_b32_e32 v36, v38
	v_ashrrev_i32_e32 v35, 31, v35
	s_wait_alu 0xf1ff
	v_xor_b32_e32 v39, s8, v39
	v_lshlrev_b32_e32 v33, 6, v33
	v_and_b32_e32 v34, v34, v37
	v_cmp_gt_i32_e64 s8, 0, v38
	v_ashrrev_i32_e32 v36, 31, v36
	s_wait_alu 0xfffd
	v_xor_b32_e32 v35, vcc_lo, v35
	v_add_nc_u32_e32 v106, v0, v33
	v_and_b32_e32 v34, v34, v39
	s_wait_alu 0xf1ff
	v_xor_b32_e32 v33, s8, v36
	ds_load_b32 v104, v106 offset:64
	v_and_b32_e32 v34, v34, v35
	; wave barrier
	s_delay_alu instid0(VALU_DEP_1) | instskip(NEXT) | instid1(VALU_DEP_1)
	v_and_b32_e32 v33, v34, v33
	v_mbcnt_lo_u32_b32 v105, v33, 0
	v_cmp_ne_u32_e64 s8, 0, v33
	s_delay_alu instid0(VALU_DEP_2)
	v_cmp_eq_u32_e32 vcc_lo, 0, v105
	s_and_b32 s10, s8, vcc_lo
	s_wait_alu 0xfffe
	s_and_saveexec_b32 s8, s10
	s_cbranch_execz .LBB160_43
; %bb.42:
	s_wait_dscnt 0x0
	v_bcnt_u32_b32 v33, v33, v104
	ds_store_b32 v106, v33 offset:64
.LBB160_43:
	s_wait_alu 0xfffe
	s_or_b32 exec_lo, exec_lo, s8
	v_and_b32_e32 v33, 0xffff, v84
	; wave barrier
	s_delay_alu instid0(VALU_DEP_1) | instskip(NEXT) | instid1(VALU_DEP_1)
	v_and_b32_e32 v33, s9, v33
	v_and_b32_e32 v34, 1, v33
	v_lshlrev_b32_e32 v35, 30, v33
	v_lshlrev_b32_e32 v36, 29, v33
	;; [unrolled: 1-line block ×4, first 2 shown]
	v_add_co_u32 v34, s8, v34, -1
	s_wait_alu 0xf1ff
	v_cndmask_b32_e64 v38, 0, 1, s8
	v_not_b32_e32 v87, v35
	v_cmp_gt_i32_e64 s8, 0, v35
	v_not_b32_e32 v35, v36
	v_lshlrev_b32_e32 v40, 26, v33
	v_cmp_ne_u32_e32 vcc_lo, 0, v38
	v_ashrrev_i32_e32 v87, 31, v87
	v_lshlrev_b32_e32 v86, 25, v33
	v_ashrrev_i32_e32 v35, 31, v35
	v_lshlrev_b32_e32 v38, 24, v33
	s_wait_alu 0xfffd
	v_xor_b32_e32 v34, vcc_lo, v34
	v_cmp_gt_i32_e32 vcc_lo, 0, v36
	v_not_b32_e32 v36, v37
	s_wait_alu 0xf1ff
	v_xor_b32_e32 v87, s8, v87
	v_cmp_gt_i32_e64 s8, 0, v37
	v_and_b32_e32 v34, exec_lo, v34
	v_not_b32_e32 v37, v39
	v_ashrrev_i32_e32 v36, 31, v36
	s_wait_alu 0xfffd
	v_xor_b32_e32 v35, vcc_lo, v35
	v_cmp_gt_i32_e32 vcc_lo, 0, v39
	v_and_b32_e32 v34, v34, v87
	v_not_b32_e32 v39, v40
	v_ashrrev_i32_e32 v37, 31, v37
	s_wait_alu 0xf1ff
	v_xor_b32_e32 v36, s8, v36
	v_cmp_gt_i32_e64 s8, 0, v40
	v_and_b32_e32 v34, v34, v35
	v_not_b32_e32 v35, v86
	v_ashrrev_i32_e32 v39, 31, v39
	s_wait_alu 0xfffd
	v_xor_b32_e32 v37, vcc_lo, v37
	v_cmp_gt_i32_e32 vcc_lo, 0, v86
	v_and_b32_e32 v34, v34, v36
	v_not_b32_e32 v36, v38
	v_ashrrev_i32_e32 v35, 31, v35
	s_wait_alu 0xf1ff
	v_xor_b32_e32 v39, s8, v39
	v_lshlrev_b32_e32 v33, 6, v33
	v_and_b32_e32 v34, v34, v37
	v_cmp_gt_i32_e64 s8, 0, v38
	v_ashrrev_i32_e32 v36, 31, v36
	s_wait_alu 0xfffd
	v_xor_b32_e32 v35, vcc_lo, v35
	v_add_nc_u32_e32 v109, v0, v33
	v_and_b32_e32 v34, v34, v39
	s_wait_alu 0xf1ff
	v_xor_b32_e32 v33, s8, v36
	ds_load_b32 v107, v109 offset:64
	v_and_b32_e32 v34, v34, v35
	; wave barrier
	s_delay_alu instid0(VALU_DEP_1) | instskip(NEXT) | instid1(VALU_DEP_1)
	v_and_b32_e32 v33, v34, v33
	v_mbcnt_lo_u32_b32 v108, v33, 0
	v_cmp_ne_u32_e64 s8, 0, v33
	s_delay_alu instid0(VALU_DEP_2)
	v_cmp_eq_u32_e32 vcc_lo, 0, v108
	s_and_b32 s10, s8, vcc_lo
	s_wait_alu 0xfffe
	s_and_saveexec_b32 s8, s10
	s_cbranch_execz .LBB160_45
; %bb.44:
	s_wait_dscnt 0x0
	v_bcnt_u32_b32 v33, v33, v107
	ds_store_b32 v109, v33 offset:64
.LBB160_45:
	s_wait_alu 0xfffe
	s_or_b32 exec_lo, exec_lo, s8
	v_and_b32_e32 v33, 0xffff, v85
	; wave barrier
	s_delay_alu instid0(VALU_DEP_1) | instskip(NEXT) | instid1(VALU_DEP_1)
	v_and_b32_e32 v33, s9, v33
	v_and_b32_e32 v34, 1, v33
	v_lshlrev_b32_e32 v35, 30, v33
	v_lshlrev_b32_e32 v36, 29, v33
	v_lshlrev_b32_e32 v37, 28, v33
	v_lshlrev_b32_e32 v39, 27, v33
	v_add_co_u32 v34, s8, v34, -1
	s_wait_alu 0xf1ff
	v_cndmask_b32_e64 v38, 0, 1, s8
	v_not_b32_e32 v87, v35
	v_cmp_gt_i32_e64 s8, 0, v35
	v_not_b32_e32 v35, v36
	v_lshlrev_b32_e32 v40, 26, v33
	v_cmp_ne_u32_e32 vcc_lo, 0, v38
	v_ashrrev_i32_e32 v87, 31, v87
	v_lshlrev_b32_e32 v86, 25, v33
	v_ashrrev_i32_e32 v35, 31, v35
	v_lshlrev_b32_e32 v38, 24, v33
	s_wait_alu 0xfffd
	v_xor_b32_e32 v34, vcc_lo, v34
	v_cmp_gt_i32_e32 vcc_lo, 0, v36
	v_not_b32_e32 v36, v37
	s_wait_alu 0xf1ff
	v_xor_b32_e32 v87, s8, v87
	v_cmp_gt_i32_e64 s8, 0, v37
	v_and_b32_e32 v34, exec_lo, v34
	v_not_b32_e32 v37, v39
	v_ashrrev_i32_e32 v36, 31, v36
	s_wait_alu 0xfffd
	v_xor_b32_e32 v35, vcc_lo, v35
	v_cmp_gt_i32_e32 vcc_lo, 0, v39
	v_and_b32_e32 v34, v34, v87
	v_not_b32_e32 v39, v40
	v_ashrrev_i32_e32 v37, 31, v37
	s_wait_alu 0xf1ff
	v_xor_b32_e32 v36, s8, v36
	v_cmp_gt_i32_e64 s8, 0, v40
	v_and_b32_e32 v34, v34, v35
	v_not_b32_e32 v35, v86
	v_ashrrev_i32_e32 v39, 31, v39
	s_wait_alu 0xfffd
	v_xor_b32_e32 v37, vcc_lo, v37
	v_cmp_gt_i32_e32 vcc_lo, 0, v86
	v_and_b32_e32 v34, v34, v36
	v_not_b32_e32 v36, v38
	v_ashrrev_i32_e32 v35, 31, v35
	s_wait_alu 0xf1ff
	v_xor_b32_e32 v39, s8, v39
	v_lshlrev_b32_e32 v33, 6, v33
	v_and_b32_e32 v34, v34, v37
	v_cmp_gt_i32_e64 s8, 0, v38
	v_ashrrev_i32_e32 v36, 31, v36
	s_wait_alu 0xfffd
	v_xor_b32_e32 v35, vcc_lo, v35
	v_add_nc_u32_e32 v112, v0, v33
	v_and_b32_e32 v34, v34, v39
	v_min_u32_e32 v86, 0x1e0, v72
	s_wait_alu 0xf1ff
	v_xor_b32_e32 v33, s8, v36
	ds_load_b32 v110, v112 offset:64
	v_and_b32_e32 v34, v34, v35
	; wave barrier
	s_delay_alu instid0(VALU_DEP_1) | instskip(NEXT) | instid1(VALU_DEP_1)
	v_and_b32_e32 v33, v34, v33
	v_mbcnt_lo_u32_b32 v111, v33, 0
	v_cmp_ne_u32_e64 s8, 0, v33
	s_delay_alu instid0(VALU_DEP_2)
	v_cmp_eq_u32_e32 vcc_lo, 0, v111
	s_and_b32 s9, s8, vcc_lo
	s_wait_alu 0xfffe
	s_and_saveexec_b32 s8, s9
	s_cbranch_execz .LBB160_47
; %bb.46:
	s_wait_dscnt 0x0
	v_bcnt_u32_b32 v33, v33, v110
	ds_store_b32 v112, v33 offset:64
.LBB160_47:
	s_wait_alu 0xfffe
	s_or_b32 exec_lo, exec_lo, s8
	; wave barrier
	s_wait_loadcnt_dscnt 0x0
	s_barrier_signal -1
	s_barrier_wait -1
	global_inv scope:SCOPE_SE
	ds_load_b128 v[37:40], v67 offset:64
	ds_load_b128 v[33:36], v67 offset:80
	v_and_b32_e32 v89, 16, v70
	v_or_b32_e32 v86, 31, v86
	s_delay_alu instid0(VALU_DEP_2) | instskip(NEXT) | instid1(VALU_DEP_2)
	v_cmp_eq_u32_e64 s15, 0, v89
	v_cmp_eq_u32_e64 s13, v46, v86
	s_wait_dscnt 0x1
	v_add_nc_u32_e32 v87, v38, v37
	s_delay_alu instid0(VALU_DEP_1) | instskip(SKIP_1) | instid1(VALU_DEP_1)
	v_add3_u32 v87, v87, v39, v40
	s_wait_dscnt 0x0
	v_add3_u32 v87, v87, v33, v34
	s_delay_alu instid0(VALU_DEP_1) | instskip(SKIP_1) | instid1(VALU_DEP_2)
	v_add3_u32 v36, v87, v35, v36
	v_and_b32_e32 v87, 15, v70
	v_mov_b32_dpp v88, v36 row_shr:1 row_mask:0xf bank_mask:0xf
	s_delay_alu instid0(VALU_DEP_2)
	v_cmp_eq_u32_e32 vcc_lo, 0, v87
	v_cmp_lt_u32_e64 s8, 1, v87
	v_cmp_lt_u32_e64 s9, 3, v87
	;; [unrolled: 1-line block ×3, first 2 shown]
	s_wait_alu 0xfffd
	v_cndmask_b32_e64 v88, v88, 0, vcc_lo
	s_delay_alu instid0(VALU_DEP_1) | instskip(NEXT) | instid1(VALU_DEP_1)
	v_add_nc_u32_e32 v36, v88, v36
	v_mov_b32_dpp v88, v36 row_shr:2 row_mask:0xf bank_mask:0xf
	s_wait_alu 0xf1ff
	s_delay_alu instid0(VALU_DEP_1) | instskip(NEXT) | instid1(VALU_DEP_1)
	v_cndmask_b32_e64 v88, 0, v88, s8
	v_add_nc_u32_e32 v36, v36, v88
	s_delay_alu instid0(VALU_DEP_1) | instskip(NEXT) | instid1(VALU_DEP_1)
	v_mov_b32_dpp v88, v36 row_shr:4 row_mask:0xf bank_mask:0xf
	v_cndmask_b32_e64 v88, 0, v88, s9
	s_delay_alu instid0(VALU_DEP_1) | instskip(NEXT) | instid1(VALU_DEP_1)
	v_add_nc_u32_e32 v36, v36, v88
	v_mov_b32_dpp v88, v36 row_shr:8 row_mask:0xf bank_mask:0xf
	s_delay_alu instid0(VALU_DEP_1) | instskip(NEXT) | instid1(VALU_DEP_1)
	v_cndmask_b32_e64 v87, 0, v88, s10
	v_add_nc_u32_e32 v88, v36, v87
	v_bfe_i32 v87, v70, 4, 1
	ds_swizzle_b32 v36, v88 offset:swizzle(BROADCAST,32,15)
	s_wait_dscnt 0x0
	v_and_b32_e32 v113, v87, v36
	v_mul_i32_i24_e32 v36, 0xffffffe4, v46
	v_lshlrev_b32_e32 v87, 2, v69
	s_delay_alu instid0(VALU_DEP_3)
	v_add_nc_u32_e32 v89, v88, v113
	s_and_saveexec_b32 s11, s13
; %bb.48:
	ds_store_b32 v87, v89
; %bb.49:
	s_wait_alu 0xfffe
	s_or_b32 exec_lo, exec_lo, s11
	v_cmp_gt_u32_e64 s12, 16, v46
	v_add_nc_u32_e32 v86, v67, v36
	s_wait_loadcnt_dscnt 0x0
	s_barrier_signal -1
	s_barrier_wait -1
	global_inv scope:SCOPE_SE
	s_and_saveexec_b32 s11, s12
	s_cbranch_execz .LBB160_51
; %bb.50:
	ds_load_b32 v36, v86
	s_wait_dscnt 0x0
	v_mov_b32_dpp v88, v36 row_shr:1 row_mask:0xf bank_mask:0xf
	s_delay_alu instid0(VALU_DEP_1) | instskip(NEXT) | instid1(VALU_DEP_1)
	v_cndmask_b32_e64 v88, v88, 0, vcc_lo
	v_add_nc_u32_e32 v36, v88, v36
	s_delay_alu instid0(VALU_DEP_1) | instskip(NEXT) | instid1(VALU_DEP_1)
	v_mov_b32_dpp v88, v36 row_shr:2 row_mask:0xf bank_mask:0xf
	v_cndmask_b32_e64 v88, 0, v88, s8
	s_delay_alu instid0(VALU_DEP_1) | instskip(NEXT) | instid1(VALU_DEP_1)
	v_add_nc_u32_e32 v36, v36, v88
	v_mov_b32_dpp v88, v36 row_shr:4 row_mask:0xf bank_mask:0xf
	s_delay_alu instid0(VALU_DEP_1) | instskip(NEXT) | instid1(VALU_DEP_1)
	v_cndmask_b32_e64 v88, 0, v88, s9
	v_add_nc_u32_e32 v36, v36, v88
	s_delay_alu instid0(VALU_DEP_1) | instskip(NEXT) | instid1(VALU_DEP_1)
	v_mov_b32_dpp v88, v36 row_shr:8 row_mask:0xf bank_mask:0xf
	v_cndmask_b32_e64 v88, 0, v88, s10
	s_delay_alu instid0(VALU_DEP_1)
	v_add_nc_u32_e32 v36, v36, v88
	ds_store_b32 v86, v36
.LBB160_51:
	s_wait_alu 0xfffe
	s_or_b32 exec_lo, exec_lo, s11
	v_sub_co_u32 v113, s11, v70, 1
	v_mul_u32_u24_e32 v36, 6, v71
	v_cmp_lt_u32_e64 s14, 31, v46
	v_add_nc_u32_e32 v88, -4, v87
	v_mov_b32_e32 v114, 0
	s_wait_loadcnt_dscnt 0x0
	s_barrier_signal -1
	s_barrier_wait -1
	global_inv scope:SCOPE_SE
	s_and_saveexec_b32 s16, s14
; %bb.52:
	ds_load_b32 v114, v88
; %bb.53:
	s_or_b32 exec_lo, exec_lo, s16
	v_cmp_gt_i32_e64 s16, 0, v113
	s_mov_b32 s20, 0
	s_min_u32 s17, s17, 8
	s_mov_b32 s21, s20
	s_mov_b32 s22, s20
	v_cndmask_b32_e64 v113, v113, v70, s16
	s_mov_b32 s23, s20
	s_wait_dscnt 0x0
	v_add_nc_u32_e32 v115, v114, v89
	v_cmp_eq_u32_e64 s16, 0, v46
	s_lshl_b32 s17, -1, s17
	v_lshlrev_b32_e32 v89, 2, v113
	s_wait_alu 0xfffe
	s_not_b32 s19, s17
	ds_bpermute_b32 v113, v89, v115
	s_wait_dscnt 0x0
	v_cndmask_b32_e64 v113, v113, v114, s11
	s_delay_alu instid0(VALU_DEP_1) | instskip(NEXT) | instid1(VALU_DEP_1)
	v_cndmask_b32_e64 v113, v113, 0, s16
	v_add_nc_u32_e32 v114, v113, v37
	s_delay_alu instid0(VALU_DEP_1) | instskip(NEXT) | instid1(VALU_DEP_1)
	v_add_nc_u32_e32 v115, v114, v38
	v_add_nc_u32_e32 v116, v115, v39
	s_delay_alu instid0(VALU_DEP_1) | instskip(NEXT) | instid1(VALU_DEP_1)
	v_add_nc_u32_e32 v37, v116, v40
	;; [unrolled: 3-line block ×3, first 2 shown]
	v_add_nc_u32_e32 v40, v39, v35
	ds_store_b128 v67, v[113:116] offset:64
	ds_store_b128 v67, v[37:40] offset:80
	s_wait_loadcnt_dscnt 0x0
	s_barrier_signal -1
	s_barrier_wait -1
	global_inv scope:SCOPE_SE
	ds_load_b32 v33, v91 offset:64
	ds_load_b32 v34, v94 offset:64
	;; [unrolled: 1-line block ×8, first 2 shown]
	v_add_nc_u32_e32 v94, v68, v36
	s_wait_loadcnt_dscnt 0x0
	s_barrier_signal -1
	s_barrier_wait -1
	global_inv scope:SCOPE_SE
	v_add_nc_u32_e32 v90, v33, v90
	v_add3_u32 v92, v93, v92, v34
	v_add3_u32 v93, v96, v95, v35
	;; [unrolled: 1-line block ×7, first 2 shown]
	v_lshlrev_b32_e32 v33, 1, v90
	v_lshlrev_b32_e32 v34, 1, v92
	v_lshlrev_b32_e32 v35, 1, v93
	v_lshlrev_b32_e32 v36, 1, v95
	v_lshlrev_b32_e32 v37, 1, v96
	v_lshlrev_b32_e32 v38, 1, v97
	v_lshlrev_b32_e32 v39, 1, v98
	v_lshlrev_b32_e32 v40, 1, v99
	ds_store_b16 v33, v78
	ds_store_b16 v34, v79
	;; [unrolled: 1-line block ×8, first 2 shown]
	s_wait_loadcnt_dscnt 0x0
	s_barrier_signal -1
	s_barrier_wait -1
	global_inv scope:SCOPE_SE
	ds_load_u16 v78, v68
	ds_load_u16 v79, v68 offset:64
	ds_load_u16 v80, v68 offset:128
	ds_load_u16 v81, v68 offset:192
	ds_load_u16 v82, v68 offset:256
	ds_load_u16 v83, v68 offset:320
	ds_load_u16 v84, v68 offset:384
	ds_load_u16 v85, v68 offset:448
	v_mad_co_u64_u32 v[90:91], null, v90, 6, v[33:34]
	v_mad_co_u64_u32 v[33:34], null, v92, 6, v[34:35]
	;; [unrolled: 1-line block ×3, first 2 shown]
	s_wait_loadcnt_dscnt 0x0
	s_barrier_signal -1
	s_barrier_wait -1
	global_inv scope:SCOPE_SE
	v_mad_co_u64_u32 v[35:36], null, v95, 6, v[36:37]
	v_lshrrev_b16 v91, 8, v78
	ds_store_b64 v90, v[21:22]
	v_mad_co_u64_u32 v[36:37], null, v96, 6, v[37:38]
	v_mad_co_u64_u32 v[37:38], null, v97, 6, v[38:39]
	v_and_b32_e32 v21, 0xffff, v91
	v_mad_co_u64_u32 v[38:39], null, v98, 6, v[39:40]
	v_mad_co_u64_u32 v[39:40], null, v99, 6, v[40:41]
	s_delay_alu instid0(VALU_DEP_3)
	v_and_b32_e32 v40, s19, v21
	ds_store_b64 v33, v[23:24]
	ds_store_b64 v34, v[17:18]
	;; [unrolled: 1-line block ×7, first 2 shown]
	v_and_b32_e32 v17, 1, v40
	v_lshlrev_b32_e32 v18, 30, v40
	v_lshlrev_b32_e32 v19, 29, v40
	;; [unrolled: 1-line block ×4, first 2 shown]
	v_add_co_u32 v17, s17, v17, -1
	s_wait_alu 0xf1ff
	v_cndmask_b32_e64 v21, 0, 1, s17
	v_not_b32_e32 v25, v18
	v_cmp_gt_i32_e64 s18, 0, v18
	v_not_b32_e32 v18, v19
	v_lshlrev_b32_e32 v23, 26, v40
	v_cmp_ne_u32_e64 s17, 0, v21
	v_ashrrev_i32_e32 v25, 31, v25
	v_lshlrev_b32_e32 v24, 25, v40
	v_ashrrev_i32_e32 v18, 31, v18
	v_lshlrev_b32_e32 v21, 24, v40
	s_wait_alu 0xf1ff
	v_xor_b32_e32 v17, s17, v17
	v_cmp_gt_i32_e64 s17, 0, v19
	v_not_b32_e32 v19, v20
	v_xor_b32_e32 v25, s18, v25
	v_cmp_gt_i32_e64 s18, 0, v20
	v_and_b32_e32 v17, exec_lo, v17
	v_not_b32_e32 v20, v22
	v_ashrrev_i32_e32 v19, 31, v19
	s_wait_alu 0xf1ff
	v_xor_b32_e32 v18, s17, v18
	v_cmp_gt_i32_e64 s17, 0, v22
	v_and_b32_e32 v17, v17, v25
	v_not_b32_e32 v22, v23
	v_ashrrev_i32_e32 v20, 31, v20
	v_xor_b32_e32 v19, s18, v19
	v_cmp_gt_i32_e64 s18, 0, v23
	v_and_b32_e32 v17, v17, v18
	v_not_b32_e32 v18, v24
	v_ashrrev_i32_e32 v22, 31, v22
	s_wait_alu 0xf1ff
	v_xor_b32_e32 v20, s17, v20
	v_cmp_gt_i32_e64 s17, 0, v24
	v_and_b32_e32 v17, v17, v19
	v_not_b32_e32 v19, v21
	v_ashrrev_i32_e32 v18, 31, v18
	v_xor_b32_e32 v22, s18, v22
	v_cmp_gt_i32_e64 s18, 0, v21
	v_and_b32_e32 v17, v17, v20
	v_ashrrev_i32_e32 v19, 31, v19
	s_wait_alu 0xf1ff
	v_xor_b32_e32 v18, s17, v18
	s_wait_loadcnt_dscnt 0x0
	s_barrier_signal -1
	v_and_b32_e32 v17, v17, v22
	v_xor_b32_e32 v33, s18, v19
	s_barrier_wait -1
	global_inv scope:SCOPE_SE
	ds_load_2addr_b64 v[21:24], v94 offset1:32
	v_and_b32_e32 v38, v17, v18
	ds_load_2addr_b64 v[29:32], v94 offset0:64 offset1:96
	ds_load_2addr_b64 v[25:28], v94 offset0:128 offset1:160
	;; [unrolled: 1-line block ×3, first 2 shown]
	v_dual_mov_b32 v37, s23 :: v_dual_mov_b32 v36, s22
	v_mov_b32_e32 v35, s21
	v_dual_mov_b32 v34, s20 :: v_dual_and_b32 v33, v38, v33
	v_lshl_add_u32 v91, v40, 6, v0
	s_wait_loadcnt_dscnt 0x0
	s_barrier_signal -1
	s_delay_alu instid0(VALU_DEP_2)
	v_mbcnt_lo_u32_b32 v90, v33, 0
	v_cmp_ne_u32_e64 s18, 0, v33
	s_barrier_wait -1
	global_inv scope:SCOPE_SE
	ds_store_b128 v67, v[34:37] offset:64
	ds_store_b128 v67, v[34:37] offset:80
	v_cmp_eq_u32_e64 s17, 0, v90
	s_wait_loadcnt_dscnt 0x0
	s_barrier_signal -1
	s_barrier_wait -1
	global_inv scope:SCOPE_SE
	s_and_b32 s18, s18, s17
	; wave barrier
	s_wait_alu 0xfffe
	s_and_saveexec_b32 s17, s18
; %bb.54:
	v_bcnt_u32_b32 v33, v33, 0
	ds_store_b32 v91, v33 offset:64
; %bb.55:
	s_wait_alu 0xfffe
	s_or_b32 exec_lo, exec_lo, s17
	v_lshrrev_b16 v33, 8, v79
	; wave barrier
	s_delay_alu instid0(VALU_DEP_1) | instskip(NEXT) | instid1(VALU_DEP_1)
	v_and_b32_e32 v33, s19, v33
	v_and_b32_e32 v34, 1, v33
	v_lshlrev_b32_e32 v35, 30, v33
	v_lshlrev_b32_e32 v36, 29, v33
	v_lshlrev_b32_e32 v37, 28, v33
	v_lshlrev_b32_e32 v39, 27, v33
	v_add_co_u32 v34, s17, v34, -1
	s_wait_alu 0xf1ff
	v_cndmask_b32_e64 v38, 0, 1, s17
	v_not_b32_e32 v93, v35
	v_cmp_gt_i32_e64 s18, 0, v35
	v_not_b32_e32 v35, v36
	v_lshlrev_b32_e32 v40, 26, v33
	v_cmp_ne_u32_e64 s17, 0, v38
	v_ashrrev_i32_e32 v93, 31, v93
	v_lshlrev_b32_e32 v92, 25, v33
	v_ashrrev_i32_e32 v35, 31, v35
	v_lshlrev_b32_e32 v38, 24, v33
	s_wait_alu 0xf1ff
	v_xor_b32_e32 v34, s17, v34
	v_cmp_gt_i32_e64 s17, 0, v36
	v_not_b32_e32 v36, v37
	v_xor_b32_e32 v93, s18, v93
	v_cmp_gt_i32_e64 s18, 0, v37
	v_and_b32_e32 v34, exec_lo, v34
	v_not_b32_e32 v37, v39
	v_ashrrev_i32_e32 v36, 31, v36
	s_wait_alu 0xf1ff
	v_xor_b32_e32 v35, s17, v35
	v_cmp_gt_i32_e64 s17, 0, v39
	v_and_b32_e32 v34, v34, v93
	v_not_b32_e32 v39, v40
	v_ashrrev_i32_e32 v37, 31, v37
	v_xor_b32_e32 v36, s18, v36
	v_cmp_gt_i32_e64 s18, 0, v40
	v_and_b32_e32 v34, v34, v35
	v_not_b32_e32 v35, v92
	v_ashrrev_i32_e32 v39, 31, v39
	s_wait_alu 0xf1ff
	v_xor_b32_e32 v37, s17, v37
	v_cmp_gt_i32_e64 s17, 0, v92
	v_and_b32_e32 v34, v34, v36
	v_not_b32_e32 v36, v38
	v_ashrrev_i32_e32 v35, 31, v35
	v_xor_b32_e32 v39, s18, v39
	v_cmp_gt_i32_e64 s18, 0, v38
	v_and_b32_e32 v34, v34, v37
	v_ashrrev_i32_e32 v36, 31, v36
	s_wait_alu 0xf1ff
	v_xor_b32_e32 v35, s17, v35
	v_lshl_add_u32 v94, v33, 6, v0
	v_and_b32_e32 v34, v34, v39
	v_xor_b32_e32 v33, s18, v36
	ds_load_b32 v92, v94 offset:64
	v_and_b32_e32 v34, v34, v35
	; wave barrier
	s_delay_alu instid0(VALU_DEP_1) | instskip(NEXT) | instid1(VALU_DEP_1)
	v_and_b32_e32 v33, v34, v33
	v_mbcnt_lo_u32_b32 v93, v33, 0
	v_cmp_ne_u32_e64 s18, 0, v33
	s_delay_alu instid0(VALU_DEP_2)
	v_cmp_eq_u32_e64 s17, 0, v93
	s_and_b32 s18, s18, s17
	s_wait_alu 0xfffe
	s_and_saveexec_b32 s17, s18
	s_cbranch_execz .LBB160_57
; %bb.56:
	s_wait_dscnt 0x0
	v_bcnt_u32_b32 v33, v33, v92
	ds_store_b32 v94, v33 offset:64
.LBB160_57:
	s_wait_alu 0xfffe
	s_or_b32 exec_lo, exec_lo, s17
	v_lshrrev_b16 v33, 8, v80
	; wave barrier
	s_delay_alu instid0(VALU_DEP_1) | instskip(NEXT) | instid1(VALU_DEP_1)
	v_and_b32_e32 v33, s19, v33
	v_and_b32_e32 v34, 1, v33
	v_lshlrev_b32_e32 v35, 30, v33
	v_lshlrev_b32_e32 v36, 29, v33
	;; [unrolled: 1-line block ×4, first 2 shown]
	v_add_co_u32 v34, s17, v34, -1
	s_wait_alu 0xf1ff
	v_cndmask_b32_e64 v38, 0, 1, s17
	v_not_b32_e32 v96, v35
	v_cmp_gt_i32_e64 s18, 0, v35
	v_not_b32_e32 v35, v36
	v_lshlrev_b32_e32 v40, 26, v33
	v_cmp_ne_u32_e64 s17, 0, v38
	v_ashrrev_i32_e32 v96, 31, v96
	v_lshlrev_b32_e32 v95, 25, v33
	v_ashrrev_i32_e32 v35, 31, v35
	v_lshlrev_b32_e32 v38, 24, v33
	s_wait_alu 0xf1ff
	v_xor_b32_e32 v34, s17, v34
	v_cmp_gt_i32_e64 s17, 0, v36
	v_not_b32_e32 v36, v37
	v_xor_b32_e32 v96, s18, v96
	v_cmp_gt_i32_e64 s18, 0, v37
	v_and_b32_e32 v34, exec_lo, v34
	v_not_b32_e32 v37, v39
	v_ashrrev_i32_e32 v36, 31, v36
	s_wait_alu 0xf1ff
	v_xor_b32_e32 v35, s17, v35
	v_cmp_gt_i32_e64 s17, 0, v39
	v_and_b32_e32 v34, v34, v96
	v_not_b32_e32 v39, v40
	v_ashrrev_i32_e32 v37, 31, v37
	v_xor_b32_e32 v36, s18, v36
	v_cmp_gt_i32_e64 s18, 0, v40
	v_and_b32_e32 v34, v34, v35
	v_not_b32_e32 v35, v95
	v_ashrrev_i32_e32 v39, 31, v39
	s_wait_alu 0xf1ff
	v_xor_b32_e32 v37, s17, v37
	v_cmp_gt_i32_e64 s17, 0, v95
	v_and_b32_e32 v34, v34, v36
	v_not_b32_e32 v36, v38
	v_ashrrev_i32_e32 v35, 31, v35
	v_xor_b32_e32 v39, s18, v39
	v_cmp_gt_i32_e64 s18, 0, v38
	v_and_b32_e32 v34, v34, v37
	v_ashrrev_i32_e32 v36, 31, v36
	s_wait_alu 0xf1ff
	v_xor_b32_e32 v35, s17, v35
	v_lshl_add_u32 v97, v33, 6, v0
	v_and_b32_e32 v34, v34, v39
	v_xor_b32_e32 v33, s18, v36
	ds_load_b32 v95, v97 offset:64
	v_and_b32_e32 v34, v34, v35
	; wave barrier
	s_delay_alu instid0(VALU_DEP_1) | instskip(NEXT) | instid1(VALU_DEP_1)
	v_and_b32_e32 v33, v34, v33
	v_mbcnt_lo_u32_b32 v96, v33, 0
	v_cmp_ne_u32_e64 s18, 0, v33
	s_delay_alu instid0(VALU_DEP_2)
	v_cmp_eq_u32_e64 s17, 0, v96
	s_and_b32 s18, s18, s17
	s_wait_alu 0xfffe
	s_and_saveexec_b32 s17, s18
	s_cbranch_execz .LBB160_59
; %bb.58:
	s_wait_dscnt 0x0
	v_bcnt_u32_b32 v33, v33, v95
	ds_store_b32 v97, v33 offset:64
.LBB160_59:
	s_wait_alu 0xfffe
	s_or_b32 exec_lo, exec_lo, s17
	v_lshrrev_b16 v33, 8, v81
	; wave barrier
	s_delay_alu instid0(VALU_DEP_1) | instskip(NEXT) | instid1(VALU_DEP_1)
	v_and_b32_e32 v33, s19, v33
	v_and_b32_e32 v34, 1, v33
	v_lshlrev_b32_e32 v35, 30, v33
	v_lshlrev_b32_e32 v36, 29, v33
	;; [unrolled: 1-line block ×4, first 2 shown]
	v_add_co_u32 v34, s17, v34, -1
	s_wait_alu 0xf1ff
	v_cndmask_b32_e64 v38, 0, 1, s17
	v_not_b32_e32 v99, v35
	v_cmp_gt_i32_e64 s18, 0, v35
	v_not_b32_e32 v35, v36
	v_lshlrev_b32_e32 v40, 26, v33
	v_cmp_ne_u32_e64 s17, 0, v38
	v_ashrrev_i32_e32 v99, 31, v99
	v_lshlrev_b32_e32 v98, 25, v33
	v_ashrrev_i32_e32 v35, 31, v35
	v_lshlrev_b32_e32 v38, 24, v33
	s_wait_alu 0xf1ff
	v_xor_b32_e32 v34, s17, v34
	v_cmp_gt_i32_e64 s17, 0, v36
	v_not_b32_e32 v36, v37
	v_xor_b32_e32 v99, s18, v99
	v_cmp_gt_i32_e64 s18, 0, v37
	v_and_b32_e32 v34, exec_lo, v34
	v_not_b32_e32 v37, v39
	v_ashrrev_i32_e32 v36, 31, v36
	s_wait_alu 0xf1ff
	v_xor_b32_e32 v35, s17, v35
	v_cmp_gt_i32_e64 s17, 0, v39
	v_and_b32_e32 v34, v34, v99
	v_not_b32_e32 v39, v40
	v_ashrrev_i32_e32 v37, 31, v37
	v_xor_b32_e32 v36, s18, v36
	v_cmp_gt_i32_e64 s18, 0, v40
	v_and_b32_e32 v34, v34, v35
	v_not_b32_e32 v35, v98
	v_ashrrev_i32_e32 v39, 31, v39
	s_wait_alu 0xf1ff
	v_xor_b32_e32 v37, s17, v37
	v_cmp_gt_i32_e64 s17, 0, v98
	v_and_b32_e32 v34, v34, v36
	v_not_b32_e32 v36, v38
	v_ashrrev_i32_e32 v35, 31, v35
	v_xor_b32_e32 v39, s18, v39
	v_cmp_gt_i32_e64 s18, 0, v38
	v_and_b32_e32 v34, v34, v37
	v_ashrrev_i32_e32 v36, 31, v36
	s_wait_alu 0xf1ff
	v_xor_b32_e32 v35, s17, v35
	v_lshl_add_u32 v100, v33, 6, v0
	v_and_b32_e32 v34, v34, v39
	v_xor_b32_e32 v33, s18, v36
	ds_load_b32 v98, v100 offset:64
	v_and_b32_e32 v34, v34, v35
	; wave barrier
	s_delay_alu instid0(VALU_DEP_1) | instskip(NEXT) | instid1(VALU_DEP_1)
	v_and_b32_e32 v33, v34, v33
	v_mbcnt_lo_u32_b32 v99, v33, 0
	v_cmp_ne_u32_e64 s18, 0, v33
	s_delay_alu instid0(VALU_DEP_2)
	v_cmp_eq_u32_e64 s17, 0, v99
	s_and_b32 s18, s18, s17
	s_wait_alu 0xfffe
	s_and_saveexec_b32 s17, s18
	s_cbranch_execz .LBB160_61
; %bb.60:
	s_wait_dscnt 0x0
	v_bcnt_u32_b32 v33, v33, v98
	ds_store_b32 v100, v33 offset:64
.LBB160_61:
	s_wait_alu 0xfffe
	s_or_b32 exec_lo, exec_lo, s17
	v_lshrrev_b16 v33, 8, v82
	; wave barrier
	s_delay_alu instid0(VALU_DEP_1) | instskip(NEXT) | instid1(VALU_DEP_1)
	v_and_b32_e32 v33, s19, v33
	v_and_b32_e32 v34, 1, v33
	v_lshlrev_b32_e32 v35, 30, v33
	v_lshlrev_b32_e32 v36, 29, v33
	;; [unrolled: 1-line block ×4, first 2 shown]
	v_add_co_u32 v34, s17, v34, -1
	s_wait_alu 0xf1ff
	v_cndmask_b32_e64 v38, 0, 1, s17
	v_not_b32_e32 v102, v35
	v_cmp_gt_i32_e64 s18, 0, v35
	v_not_b32_e32 v35, v36
	v_lshlrev_b32_e32 v40, 26, v33
	v_cmp_ne_u32_e64 s17, 0, v38
	v_ashrrev_i32_e32 v102, 31, v102
	v_lshlrev_b32_e32 v101, 25, v33
	v_ashrrev_i32_e32 v35, 31, v35
	v_lshlrev_b32_e32 v38, 24, v33
	s_wait_alu 0xf1ff
	v_xor_b32_e32 v34, s17, v34
	v_cmp_gt_i32_e64 s17, 0, v36
	v_not_b32_e32 v36, v37
	v_xor_b32_e32 v102, s18, v102
	v_cmp_gt_i32_e64 s18, 0, v37
	v_and_b32_e32 v34, exec_lo, v34
	v_not_b32_e32 v37, v39
	v_ashrrev_i32_e32 v36, 31, v36
	s_wait_alu 0xf1ff
	v_xor_b32_e32 v35, s17, v35
	v_cmp_gt_i32_e64 s17, 0, v39
	v_and_b32_e32 v34, v34, v102
	v_not_b32_e32 v39, v40
	v_ashrrev_i32_e32 v37, 31, v37
	v_xor_b32_e32 v36, s18, v36
	v_cmp_gt_i32_e64 s18, 0, v40
	v_and_b32_e32 v34, v34, v35
	v_not_b32_e32 v35, v101
	v_ashrrev_i32_e32 v39, 31, v39
	s_wait_alu 0xf1ff
	v_xor_b32_e32 v37, s17, v37
	v_cmp_gt_i32_e64 s17, 0, v101
	v_and_b32_e32 v34, v34, v36
	v_not_b32_e32 v36, v38
	v_ashrrev_i32_e32 v35, 31, v35
	v_xor_b32_e32 v39, s18, v39
	v_cmp_gt_i32_e64 s18, 0, v38
	v_and_b32_e32 v34, v34, v37
	v_ashrrev_i32_e32 v36, 31, v36
	s_wait_alu 0xf1ff
	v_xor_b32_e32 v35, s17, v35
	v_lshl_add_u32 v103, v33, 6, v0
	v_and_b32_e32 v34, v34, v39
	v_xor_b32_e32 v33, s18, v36
	ds_load_b32 v101, v103 offset:64
	v_and_b32_e32 v34, v34, v35
	; wave barrier
	s_delay_alu instid0(VALU_DEP_1) | instskip(NEXT) | instid1(VALU_DEP_1)
	v_and_b32_e32 v33, v34, v33
	v_mbcnt_lo_u32_b32 v102, v33, 0
	v_cmp_ne_u32_e64 s18, 0, v33
	s_delay_alu instid0(VALU_DEP_2)
	v_cmp_eq_u32_e64 s17, 0, v102
	s_and_b32 s18, s18, s17
	s_wait_alu 0xfffe
	s_and_saveexec_b32 s17, s18
	s_cbranch_execz .LBB160_63
; %bb.62:
	s_wait_dscnt 0x0
	v_bcnt_u32_b32 v33, v33, v101
	ds_store_b32 v103, v33 offset:64
.LBB160_63:
	s_wait_alu 0xfffe
	s_or_b32 exec_lo, exec_lo, s17
	v_lshrrev_b16 v33, 8, v83
	; wave barrier
	s_delay_alu instid0(VALU_DEP_1) | instskip(NEXT) | instid1(VALU_DEP_1)
	v_and_b32_e32 v33, s19, v33
	v_and_b32_e32 v34, 1, v33
	v_lshlrev_b32_e32 v35, 30, v33
	v_lshlrev_b32_e32 v36, 29, v33
	;; [unrolled: 1-line block ×4, first 2 shown]
	v_add_co_u32 v34, s17, v34, -1
	s_wait_alu 0xf1ff
	v_cndmask_b32_e64 v38, 0, 1, s17
	v_not_b32_e32 v105, v35
	v_cmp_gt_i32_e64 s18, 0, v35
	v_not_b32_e32 v35, v36
	v_lshlrev_b32_e32 v40, 26, v33
	v_cmp_ne_u32_e64 s17, 0, v38
	v_ashrrev_i32_e32 v105, 31, v105
	v_lshlrev_b32_e32 v104, 25, v33
	v_ashrrev_i32_e32 v35, 31, v35
	v_lshlrev_b32_e32 v38, 24, v33
	s_wait_alu 0xf1ff
	v_xor_b32_e32 v34, s17, v34
	v_cmp_gt_i32_e64 s17, 0, v36
	v_not_b32_e32 v36, v37
	v_xor_b32_e32 v105, s18, v105
	v_cmp_gt_i32_e64 s18, 0, v37
	v_and_b32_e32 v34, exec_lo, v34
	v_not_b32_e32 v37, v39
	v_ashrrev_i32_e32 v36, 31, v36
	s_wait_alu 0xf1ff
	v_xor_b32_e32 v35, s17, v35
	v_cmp_gt_i32_e64 s17, 0, v39
	v_and_b32_e32 v34, v34, v105
	v_not_b32_e32 v39, v40
	v_ashrrev_i32_e32 v37, 31, v37
	v_xor_b32_e32 v36, s18, v36
	v_cmp_gt_i32_e64 s18, 0, v40
	v_and_b32_e32 v34, v34, v35
	v_not_b32_e32 v35, v104
	v_ashrrev_i32_e32 v39, 31, v39
	s_wait_alu 0xf1ff
	v_xor_b32_e32 v37, s17, v37
	v_cmp_gt_i32_e64 s17, 0, v104
	v_and_b32_e32 v34, v34, v36
	v_not_b32_e32 v36, v38
	v_ashrrev_i32_e32 v35, 31, v35
	v_xor_b32_e32 v39, s18, v39
	v_cmp_gt_i32_e64 s18, 0, v38
	v_and_b32_e32 v34, v34, v37
	v_ashrrev_i32_e32 v36, 31, v36
	s_wait_alu 0xf1ff
	v_xor_b32_e32 v35, s17, v35
	v_lshl_add_u32 v106, v33, 6, v0
	v_and_b32_e32 v34, v34, v39
	v_xor_b32_e32 v33, s18, v36
	ds_load_b32 v104, v106 offset:64
	v_and_b32_e32 v34, v34, v35
	; wave barrier
	s_delay_alu instid0(VALU_DEP_1) | instskip(NEXT) | instid1(VALU_DEP_1)
	v_and_b32_e32 v33, v34, v33
	v_mbcnt_lo_u32_b32 v105, v33, 0
	v_cmp_ne_u32_e64 s18, 0, v33
	s_delay_alu instid0(VALU_DEP_2)
	v_cmp_eq_u32_e64 s17, 0, v105
	s_and_b32 s18, s18, s17
	s_wait_alu 0xfffe
	s_and_saveexec_b32 s17, s18
	s_cbranch_execz .LBB160_65
; %bb.64:
	s_wait_dscnt 0x0
	v_bcnt_u32_b32 v33, v33, v104
	ds_store_b32 v106, v33 offset:64
.LBB160_65:
	s_wait_alu 0xfffe
	s_or_b32 exec_lo, exec_lo, s17
	v_lshrrev_b16 v33, 8, v84
	; wave barrier
	s_delay_alu instid0(VALU_DEP_1) | instskip(NEXT) | instid1(VALU_DEP_1)
	v_and_b32_e32 v33, s19, v33
	v_and_b32_e32 v34, 1, v33
	v_lshlrev_b32_e32 v35, 30, v33
	v_lshlrev_b32_e32 v36, 29, v33
	;; [unrolled: 1-line block ×4, first 2 shown]
	v_add_co_u32 v34, s17, v34, -1
	s_wait_alu 0xf1ff
	v_cndmask_b32_e64 v38, 0, 1, s17
	v_not_b32_e32 v108, v35
	v_cmp_gt_i32_e64 s18, 0, v35
	v_not_b32_e32 v35, v36
	v_lshlrev_b32_e32 v40, 26, v33
	v_cmp_ne_u32_e64 s17, 0, v38
	v_ashrrev_i32_e32 v108, 31, v108
	v_lshlrev_b32_e32 v107, 25, v33
	v_ashrrev_i32_e32 v35, 31, v35
	v_lshlrev_b32_e32 v38, 24, v33
	s_wait_alu 0xf1ff
	v_xor_b32_e32 v34, s17, v34
	v_cmp_gt_i32_e64 s17, 0, v36
	v_not_b32_e32 v36, v37
	v_xor_b32_e32 v108, s18, v108
	v_cmp_gt_i32_e64 s18, 0, v37
	v_and_b32_e32 v34, exec_lo, v34
	v_not_b32_e32 v37, v39
	v_ashrrev_i32_e32 v36, 31, v36
	s_wait_alu 0xf1ff
	v_xor_b32_e32 v35, s17, v35
	v_cmp_gt_i32_e64 s17, 0, v39
	v_and_b32_e32 v34, v34, v108
	v_not_b32_e32 v39, v40
	v_ashrrev_i32_e32 v37, 31, v37
	v_xor_b32_e32 v36, s18, v36
	v_cmp_gt_i32_e64 s18, 0, v40
	v_and_b32_e32 v34, v34, v35
	v_not_b32_e32 v35, v107
	v_ashrrev_i32_e32 v39, 31, v39
	s_wait_alu 0xf1ff
	v_xor_b32_e32 v37, s17, v37
	v_cmp_gt_i32_e64 s17, 0, v107
	v_and_b32_e32 v34, v34, v36
	v_not_b32_e32 v36, v38
	v_ashrrev_i32_e32 v35, 31, v35
	v_xor_b32_e32 v39, s18, v39
	v_cmp_gt_i32_e64 s18, 0, v38
	v_and_b32_e32 v34, v34, v37
	v_ashrrev_i32_e32 v36, 31, v36
	s_wait_alu 0xf1ff
	v_xor_b32_e32 v35, s17, v35
	v_lshl_add_u32 v109, v33, 6, v0
	v_and_b32_e32 v34, v34, v39
	v_xor_b32_e32 v33, s18, v36
	ds_load_b32 v107, v109 offset:64
	v_and_b32_e32 v34, v34, v35
	; wave barrier
	s_delay_alu instid0(VALU_DEP_1) | instskip(NEXT) | instid1(VALU_DEP_1)
	v_and_b32_e32 v33, v34, v33
	v_mbcnt_lo_u32_b32 v108, v33, 0
	v_cmp_ne_u32_e64 s18, 0, v33
	s_delay_alu instid0(VALU_DEP_2)
	v_cmp_eq_u32_e64 s17, 0, v108
	s_and_b32 s18, s18, s17
	s_wait_alu 0xfffe
	s_and_saveexec_b32 s17, s18
	s_cbranch_execz .LBB160_67
; %bb.66:
	s_wait_dscnt 0x0
	v_bcnt_u32_b32 v33, v33, v107
	ds_store_b32 v109, v33 offset:64
.LBB160_67:
	s_wait_alu 0xfffe
	s_or_b32 exec_lo, exec_lo, s17
	v_lshrrev_b16 v33, 8, v85
	; wave barrier
	s_delay_alu instid0(VALU_DEP_1) | instskip(NEXT) | instid1(VALU_DEP_1)
	v_and_b32_e32 v33, s19, v33
	v_and_b32_e32 v34, 1, v33
	v_lshlrev_b32_e32 v35, 30, v33
	v_lshlrev_b32_e32 v36, 29, v33
	;; [unrolled: 1-line block ×4, first 2 shown]
	v_add_co_u32 v34, s17, v34, -1
	s_wait_alu 0xf1ff
	v_cndmask_b32_e64 v38, 0, 1, s17
	v_not_b32_e32 v111, v35
	v_cmp_gt_i32_e64 s18, 0, v35
	v_not_b32_e32 v35, v36
	v_lshlrev_b32_e32 v40, 26, v33
	v_cmp_ne_u32_e64 s17, 0, v38
	v_ashrrev_i32_e32 v111, 31, v111
	v_lshlrev_b32_e32 v110, 25, v33
	v_ashrrev_i32_e32 v35, 31, v35
	v_lshlrev_b32_e32 v38, 24, v33
	s_wait_alu 0xf1ff
	v_xor_b32_e32 v34, s17, v34
	v_cmp_gt_i32_e64 s17, 0, v36
	v_not_b32_e32 v36, v37
	v_xor_b32_e32 v111, s18, v111
	v_cmp_gt_i32_e64 s18, 0, v37
	v_and_b32_e32 v34, exec_lo, v34
	v_not_b32_e32 v37, v39
	v_ashrrev_i32_e32 v36, 31, v36
	s_wait_alu 0xf1ff
	v_xor_b32_e32 v35, s17, v35
	v_cmp_gt_i32_e64 s17, 0, v39
	v_and_b32_e32 v34, v34, v111
	v_not_b32_e32 v39, v40
	v_ashrrev_i32_e32 v37, 31, v37
	v_xor_b32_e32 v36, s18, v36
	v_cmp_gt_i32_e64 s18, 0, v40
	v_and_b32_e32 v34, v34, v35
	v_not_b32_e32 v35, v110
	v_ashrrev_i32_e32 v39, 31, v39
	s_wait_alu 0xf1ff
	v_xor_b32_e32 v37, s17, v37
	v_cmp_gt_i32_e64 s17, 0, v110
	v_and_b32_e32 v34, v34, v36
	v_not_b32_e32 v36, v38
	v_ashrrev_i32_e32 v35, 31, v35
	v_xor_b32_e32 v39, s18, v39
	v_cmp_gt_i32_e64 s18, 0, v38
	v_and_b32_e32 v34, v34, v37
	v_ashrrev_i32_e32 v36, 31, v36
	s_wait_alu 0xf1ff
	v_xor_b32_e32 v35, s17, v35
	v_lshl_add_u32 v111, v33, 6, v0
	v_and_b32_e32 v34, v34, v39
	v_xor_b32_e32 v33, s18, v36
	ds_load_b32 v0, v111 offset:64
	v_and_b32_e32 v34, v34, v35
	; wave barrier
	s_delay_alu instid0(VALU_DEP_1) | instskip(NEXT) | instid1(VALU_DEP_1)
	v_and_b32_e32 v33, v34, v33
	v_mbcnt_lo_u32_b32 v110, v33, 0
	v_cmp_ne_u32_e64 s18, 0, v33
	s_delay_alu instid0(VALU_DEP_2)
	v_cmp_eq_u32_e64 s17, 0, v110
	s_and_b32 s18, s18, s17
	s_wait_alu 0xfffe
	s_and_saveexec_b32 s17, s18
	s_cbranch_execz .LBB160_69
; %bb.68:
	s_wait_dscnt 0x0
	v_bcnt_u32_b32 v33, v33, v0
	ds_store_b32 v111, v33 offset:64
.LBB160_69:
	s_wait_alu 0xfffe
	s_or_b32 exec_lo, exec_lo, s17
	; wave barrier
	s_wait_loadcnt_dscnt 0x0
	s_barrier_signal -1
	s_barrier_wait -1
	global_inv scope:SCOPE_SE
	ds_load_b128 v[37:40], v67 offset:64
	ds_load_b128 v[33:36], v67 offset:80
	s_wait_dscnt 0x1
	v_add_nc_u32_e32 v112, v38, v37
	s_delay_alu instid0(VALU_DEP_1) | instskip(SKIP_1) | instid1(VALU_DEP_1)
	v_add3_u32 v112, v112, v39, v40
	s_wait_dscnt 0x0
	v_add3_u32 v112, v112, v33, v34
	s_delay_alu instid0(VALU_DEP_1) | instskip(NEXT) | instid1(VALU_DEP_1)
	v_add3_u32 v36, v112, v35, v36
	v_mov_b32_dpp v112, v36 row_shr:1 row_mask:0xf bank_mask:0xf
	s_delay_alu instid0(VALU_DEP_1) | instskip(NEXT) | instid1(VALU_DEP_1)
	v_cndmask_b32_e64 v112, v112, 0, vcc_lo
	v_add_nc_u32_e32 v36, v112, v36
	s_delay_alu instid0(VALU_DEP_1) | instskip(NEXT) | instid1(VALU_DEP_1)
	v_mov_b32_dpp v112, v36 row_shr:2 row_mask:0xf bank_mask:0xf
	v_cndmask_b32_e64 v112, 0, v112, s8
	s_delay_alu instid0(VALU_DEP_1) | instskip(NEXT) | instid1(VALU_DEP_1)
	v_add_nc_u32_e32 v36, v36, v112
	v_mov_b32_dpp v112, v36 row_shr:4 row_mask:0xf bank_mask:0xf
	s_delay_alu instid0(VALU_DEP_1) | instskip(NEXT) | instid1(VALU_DEP_1)
	v_cndmask_b32_e64 v112, 0, v112, s9
	v_add_nc_u32_e32 v36, v36, v112
	s_delay_alu instid0(VALU_DEP_1) | instskip(NEXT) | instid1(VALU_DEP_1)
	v_mov_b32_dpp v112, v36 row_shr:8 row_mask:0xf bank_mask:0xf
	v_cndmask_b32_e64 v112, 0, v112, s10
	s_delay_alu instid0(VALU_DEP_1) | instskip(SKIP_3) | instid1(VALU_DEP_1)
	v_add_nc_u32_e32 v36, v36, v112
	ds_swizzle_b32 v112, v36 offset:swizzle(BROADCAST,32,15)
	s_wait_dscnt 0x0
	v_cndmask_b32_e64 v112, v112, 0, s15
	v_add_nc_u32_e32 v36, v36, v112
	s_and_saveexec_b32 s15, s13
; %bb.70:
	ds_store_b32 v87, v36
; %bb.71:
	s_wait_alu 0xfffe
	s_or_b32 exec_lo, exec_lo, s15
	s_wait_loadcnt_dscnt 0x0
	s_barrier_signal -1
	s_barrier_wait -1
	global_inv scope:SCOPE_SE
	s_and_saveexec_b32 s13, s12
	s_cbranch_execz .LBB160_73
; %bb.72:
	ds_load_b32 v87, v86
	s_wait_dscnt 0x0
	v_mov_b32_dpp v112, v87 row_shr:1 row_mask:0xf bank_mask:0xf
	s_delay_alu instid0(VALU_DEP_1) | instskip(NEXT) | instid1(VALU_DEP_1)
	v_cndmask_b32_e64 v112, v112, 0, vcc_lo
	v_add_nc_u32_e32 v87, v112, v87
	s_delay_alu instid0(VALU_DEP_1) | instskip(NEXT) | instid1(VALU_DEP_1)
	v_mov_b32_dpp v112, v87 row_shr:2 row_mask:0xf bank_mask:0xf
	v_cndmask_b32_e64 v112, 0, v112, s8
	s_delay_alu instid0(VALU_DEP_1) | instskip(NEXT) | instid1(VALU_DEP_1)
	v_add_nc_u32_e32 v87, v87, v112
	v_mov_b32_dpp v112, v87 row_shr:4 row_mask:0xf bank_mask:0xf
	s_delay_alu instid0(VALU_DEP_1) | instskip(NEXT) | instid1(VALU_DEP_1)
	v_cndmask_b32_e64 v112, 0, v112, s9
	v_add_nc_u32_e32 v87, v87, v112
	s_delay_alu instid0(VALU_DEP_1) | instskip(NEXT) | instid1(VALU_DEP_1)
	v_mov_b32_dpp v112, v87 row_shr:8 row_mask:0xf bank_mask:0xf
	v_cndmask_b32_e64 v112, 0, v112, s10
	s_delay_alu instid0(VALU_DEP_1)
	v_add_nc_u32_e32 v87, v87, v112
	ds_store_b32 v86, v87
.LBB160_73:
	s_wait_alu 0xfffe
	s_or_b32 exec_lo, exec_lo, s13
	v_mov_b32_e32 v86, 0
	s_wait_loadcnt_dscnt 0x0
	s_barrier_signal -1
	s_barrier_wait -1
	global_inv scope:SCOPE_SE
	s_and_saveexec_b32 s8, s14
; %bb.74:
	ds_load_b32 v86, v88
; %bb.75:
	s_wait_alu 0xfffe
	s_or_b32 exec_lo, exec_lo, s8
	s_wait_dscnt 0x0
	v_add_nc_u32_e32 v36, v86, v36
	ds_bpermute_b32 v36, v89, v36
	s_wait_dscnt 0x0
	v_cndmask_b32_e64 v36, v36, v86, s11
	s_delay_alu instid0(VALU_DEP_1) | instskip(NEXT) | instid1(VALU_DEP_1)
	v_cndmask_b32_e64 v36, v36, 0, s16
	v_add_nc_u32_e32 v37, v36, v37
	s_delay_alu instid0(VALU_DEP_1) | instskip(NEXT) | instid1(VALU_DEP_1)
	v_add_nc_u32_e32 v38, v37, v38
	v_add_nc_u32_e32 v39, v38, v39
	s_delay_alu instid0(VALU_DEP_1) | instskip(NEXT) | instid1(VALU_DEP_1)
	v_add_nc_u32_e32 v86, v39, v40
	;; [unrolled: 3-line block ×3, first 2 shown]
	v_add_nc_u32_e32 v89, v88, v35
	ds_store_b128 v67, v[36:39] offset:64
	ds_store_b128 v67, v[86:89] offset:80
	s_wait_loadcnt_dscnt 0x0
	s_barrier_signal -1
	s_barrier_wait -1
	global_inv scope:SCOPE_SE
	ds_load_b32 v33, v111 offset:64
	ds_load_b32 v34, v109 offset:64
	;; [unrolled: 1-line block ×8, first 2 shown]
	v_lshlrev_b32_e32 v86, 1, v66
	s_wait_loadcnt_dscnt 0x0
	s_barrier_signal -1
	s_barrier_wait -1
	global_inv scope:SCOPE_SE
	v_mad_u32_u24 v87, v46, 48, v86
	v_add3_u32 v88, v110, v0, v33
	v_add3_u32 v89, v108, v107, v34
	;; [unrolled: 1-line block ×3, first 2 shown]
	v_add_nc_u32_e32 v90, v36, v90
	v_add3_u32 v92, v93, v92, v37
	v_add3_u32 v93, v96, v95, v38
	;; [unrolled: 1-line block ×4, first 2 shown]
	v_lshlrev_b32_e32 v0, 1, v90
	v_lshlrev_b32_e32 v33, 1, v92
	;; [unrolled: 1-line block ×8, first 2 shown]
	ds_store_b16 v0, v78
	ds_store_b16 v33, v79
	;; [unrolled: 1-line block ×8, first 2 shown]
	v_mad_co_u64_u32 v[78:79], null, v90, 6, v[0:1]
	v_mad_co_u64_u32 v[79:80], null, v92, 6, v[33:34]
	;; [unrolled: 1-line block ×5, first 2 shown]
	s_wait_loadcnt_dscnt 0x0
	s_barrier_signal -1
	s_barrier_wait -1
	global_inv scope:SCOPE_SE
	v_mad_co_u64_u32 v[83:84], null, v91, 6, v[37:38]
	ds_load_b128 v[33:36], v86
	v_mad_co_u64_u32 v[37:38], null, v89, 6, v[38:39]
	v_mad_co_u64_u32 v[38:39], null, v88, 6, v[39:40]
	s_wait_loadcnt_dscnt 0x0
	s_barrier_signal -1
	s_barrier_wait -1
	global_inv scope:SCOPE_SE
	ds_store_b64 v78, v[21:22]
	ds_store_b64 v79, v[23:24]
	;; [unrolled: 1-line block ×8, first 2 shown]
	s_wait_loadcnt_dscnt 0x0
	s_barrier_signal -1
	s_barrier_wait -1
	global_inv scope:SCOPE_SE
	ds_load_b128 v[29:32], v87
	ds_load_b128 v[25:28], v87 offset:16
	ds_load_b128 v[21:24], v87 offset:32
	;; [unrolled: 1-line block ×3, first 2 shown]
	v_xor_b32_e32 v0, 0x80008000, v33
	v_xor_b32_e32 v34, 0x80008000, v34
	v_xor_b32_e32 v33, 0x80008000, v35
	v_xor_b32_e32 v35, 0x80008000, v36
	s_branch .LBB160_128
.LBB160_76:
	v_lshlrev_b64_e32 v[1:2], 3, v[41:42]
	v_dual_mov_b32 v43, v42 :: v_dual_mov_b32 v10, v42
	v_dual_mov_b32 v9, v42 :: v_dual_mov_b32 v12, v42
	v_mov_b32_e32 v11, v42
	s_wait_alu 0xfffe
	s_delay_alu instid0(VALU_DEP_4)
	v_add_co_u32 v1, vcc_lo, s24, v1
	s_wait_alu 0xfffd
	v_add_co_ci_u32_e64 v2, null, s25, v2, vcc_lo
	v_dual_mov_b32 v3, v42 :: v_dual_mov_b32 v6, v42
	v_dual_mov_b32 v5, v42 :: v_dual_mov_b32 v8, v42
	global_load_b64 v[13:14], v[1:2], off
	v_dual_mov_b32 v1, v42 :: v_dual_mov_b32 v4, v42
	v_dual_mov_b32 v2, v42 :: v_dual_mov_b32 v7, v42
	s_or_b32 exec_lo, exec_lo, s9
	s_and_saveexec_b32 s9, s1
	s_cbranch_execz .LBB160_22
.LBB160_77:
	v_mul_lo_u32 v22, s28, v15
	v_mov_b32_e32 v23, 0
	s_delay_alu instid0(VALU_DEP_1) | instskip(NEXT) | instid1(VALU_DEP_1)
	v_lshlrev_b64_e32 v[22:23], 3, v[22:23]
	v_add_co_u32 v22, vcc_lo, s24, v22
	s_wait_alu 0xfffd
	s_delay_alu instid0(VALU_DEP_2)
	v_add_co_ci_u32_e64 v23, null, s25, v23, vcc_lo
	global_load_b64 v[42:43], v[22:23], off
	s_wait_alu 0xfffe
	s_or_b32 exec_lo, exec_lo, s9
	s_and_saveexec_b32 s9, s2
	s_cbranch_execz .LBB160_23
.LBB160_78:
	v_mul_lo_u32 v9, s28, v16
	v_mov_b32_e32 v10, 0
	s_delay_alu instid0(VALU_DEP_1) | instskip(NEXT) | instid1(VALU_DEP_1)
	v_lshlrev_b64_e32 v[9:10], 3, v[9:10]
	v_add_co_u32 v9, vcc_lo, s24, v9
	s_wait_alu 0xfffd
	s_delay_alu instid0(VALU_DEP_2)
	v_add_co_ci_u32_e64 v10, null, s25, v10, vcc_lo
	global_load_b64 v[9:10], v[9:10], off
	s_wait_alu 0xfffe
	s_or_b32 exec_lo, exec_lo, s9
	s_and_saveexec_b32 s9, s3
	s_cbranch_execz .LBB160_24
.LBB160_79:
	v_mul_lo_u32 v11, s28, v17
	v_mov_b32_e32 v12, 0
	s_delay_alu instid0(VALU_DEP_1) | instskip(NEXT) | instid1(VALU_DEP_1)
	v_lshlrev_b64_e32 v[11:12], 3, v[11:12]
	v_add_co_u32 v11, vcc_lo, s24, v11
	s_wait_alu 0xfffd
	s_delay_alu instid0(VALU_DEP_2)
	v_add_co_ci_u32_e64 v12, null, s25, v12, vcc_lo
	global_load_b64 v[11:12], v[11:12], off
	s_wait_alu 0xfffe
	s_or_b32 exec_lo, exec_lo, s9
	s_and_saveexec_b32 s9, s4
	s_cbranch_execz .LBB160_25
.LBB160_80:
	v_mul_lo_u32 v1, s28, v18
	v_mov_b32_e32 v2, 0
	s_delay_alu instid0(VALU_DEP_1) | instskip(NEXT) | instid1(VALU_DEP_1)
	v_lshlrev_b64_e32 v[1:2], 3, v[1:2]
	v_add_co_u32 v1, vcc_lo, s24, v1
	s_wait_alu 0xfffd
	s_delay_alu instid0(VALU_DEP_2)
	v_add_co_ci_u32_e64 v2, null, s25, v2, vcc_lo
	global_load_b64 v[1:2], v[1:2], off
	s_wait_alu 0xfffe
	s_or_b32 exec_lo, exec_lo, s9
	s_and_saveexec_b32 s9, s5
	s_cbranch_execz .LBB160_26
.LBB160_81:
	v_mul_lo_u32 v3, s28, v19
	v_mov_b32_e32 v4, 0
	s_delay_alu instid0(VALU_DEP_1) | instskip(NEXT) | instid1(VALU_DEP_1)
	v_lshlrev_b64_e32 v[3:4], 3, v[3:4]
	v_add_co_u32 v3, vcc_lo, s24, v3
	s_wait_alu 0xfffd
	s_delay_alu instid0(VALU_DEP_2)
	v_add_co_ci_u32_e64 v4, null, s25, v4, vcc_lo
	global_load_b64 v[3:4], v[3:4], off
	s_wait_alu 0xfffe
	s_or_b32 exec_lo, exec_lo, s9
	s_and_saveexec_b32 s9, s6
	s_cbranch_execnz .LBB160_27
	s_branch .LBB160_28
.LBB160_82:
                                        ; implicit-def: $vgpr33
                                        ; implicit-def: $vgpr34
                                        ; implicit-def: $vgpr0
                                        ; implicit-def: $vgpr19_vgpr20
                                        ; implicit-def: $vgpr23_vgpr24
                                        ; implicit-def: $vgpr27_vgpr28
                                        ; implicit-def: $vgpr31_vgpr32
                                        ; implicit-def: $vgpr35
	s_and_b32 vcc_lo, exec_lo, s8
	s_wait_alu 0xfffe
	s_cbranch_vccz .LBB160_128
; %bb.83:
	s_wait_dscnt 0x0
	v_xor_b32_e32 v17, 0x7fff7fff, v49
	v_xor_b32_e32 v18, 0x7fff7fff, v50
	v_xor_b32_e32 v19, 0x7fff7fff, v47
	v_xor_b32_e32 v20, 0x7fff7fff, v48
	s_getpc_b64 s[8:9]
	s_wait_alu 0xfffe
	s_sext_i32_i16 s9, s9
	s_add_co_u32 s8, s8, _ZN7rocprim17ROCPRIM_400000_NS16block_radix_sortIsLj512ELj8ElLj1ELj1ELj0ELNS0_26block_radix_rank_algorithmE1ELNS0_18block_padding_hintE2ELNS0_4arch9wavefront6targetE0EE19radix_bits_per_passE@rel32@lo+12
	s_wait_alu 0xfffe
	s_add_co_ci_u32 s9, s9, _ZN7rocprim17ROCPRIM_400000_NS16block_radix_sortIsLj512ELj8ElLj1ELj1ELj0ELNS0_26block_radix_rank_algorithmE1ELNS0_18block_padding_hintE2ELNS0_4arch9wavefront6targetE0EE19radix_bits_per_passE@rel32@hi+24
	s_mov_b32 s12, 0
	s_load_b32 s17, s[8:9], 0x0
	s_mov_b32 s13, s12
	ds_store_b128 v77, v[17:20]
	; wave barrier
	ds_load_u16 v25, v68
	s_mov_b32 s14, s12
	s_mov_b32 s15, s12
	v_mad_u32_u24 v0, v76, 6, v77
	ds_load_u16 v26, v68 offset:64
	ds_load_u16 v27, v68 offset:128
	;; [unrolled: 1-line block ×7, first 2 shown]
	s_wait_loadcnt_dscnt 0x0
	s_barrier_signal -1
	s_barrier_wait -1
	global_inv scope:SCOPE_SE
	ds_store_b128 v0, v[5:8]
	ds_store_b128 v0, v[1:4] offset:16
	ds_store_b128 v0, v[13:16] offset:32
	;; [unrolled: 1-line block ×3, first 2 shown]
	; wave barrier
	ds_load_2addr_b64 v[4:7], v75 offset1:32
	ds_load_2addr_b64 v[0:3], v75 offset0:64 offset1:96
	ds_load_2addr_b64 v[12:15], v75 offset0:128 offset1:160
	;; [unrolled: 1-line block ×3, first 2 shown]
	s_wait_kmcnt 0x0
	s_min_u32 s8, s17, 16
	s_wait_loadcnt_dscnt 0x0
	s_wait_alu 0xfffe
	s_lshl_b32 s8, -1, s8
	s_barrier_signal -1
	s_wait_alu 0xfffe
	s_not_b32 s9, s8
	v_and_b32_e32 v17, 0xffff, v25
	s_barrier_wait -1
	global_inv scope:SCOPE_SE
	s_load_b32 s10, s[34:35], 0xc
	v_and_b32_e32 v23, s9, v17
	s_delay_alu instid0(VALU_DEP_1) | instskip(SKIP_3) | instid1(VALU_DEP_4)
	v_and_b32_e32 v16, 1, v23
	v_lshlrev_b32_e32 v17, 30, v23
	v_lshlrev_b32_e32 v20, 28, v23
	;; [unrolled: 1-line block ×3, first 2 shown]
	v_add_co_u32 v16, s8, v16, -1
	s_wait_alu 0xf1ff
	v_cndmask_b32_e64 v18, 0, 1, s8
	v_not_b32_e32 v19, v17
	v_cmp_gt_i32_e64 s8, 0, v17
	s_delay_alu instid0(VALU_DEP_3) | instskip(SKIP_1) | instid1(VALU_DEP_4)
	v_cmp_ne_u32_e32 vcc_lo, 0, v18
	v_lshlrev_b32_e32 v18, 29, v23
	v_ashrrev_i32_e32 v17, 31, v19
	s_wait_alu 0xfffd
	v_xor_b32_e32 v16, vcc_lo, v16
	s_delay_alu instid0(VALU_DEP_3)
	v_not_b32_e32 v19, v18
	s_wait_alu 0xf1ff
	v_xor_b32_e32 v17, s8, v17
	v_cmp_gt_i32_e32 vcc_lo, 0, v18
	s_wait_kmcnt 0x0
	s_lshr_b32 s8, s10, 16
	v_and_b32_e32 v16, exec_lo, v16
	v_ashrrev_i32_e32 v18, 31, v19
	v_not_b32_e32 v19, v20
	s_and_b32 s10, s10, 0xffff
	s_delay_alu instid0(VALU_DEP_3)
	v_and_b32_e32 v16, v16, v17
	s_wait_alu 0xfffd
	v_xor_b32_e32 v17, vcc_lo, v18
	v_cmp_gt_i32_e32 vcc_lo, 0, v20
	v_ashrrev_i32_e32 v18, 31, v19
	v_not_b32_e32 v19, v21
	s_delay_alu instid0(VALU_DEP_4)
	v_and_b32_e32 v16, v16, v17
	v_lshlrev_b32_e32 v17, 26, v23
	s_wait_alu 0xfffd
	v_xor_b32_e32 v18, vcc_lo, v18
	v_cmp_gt_i32_e32 vcc_lo, 0, v21
	v_ashrrev_i32_e32 v19, 31, v19
	v_not_b32_e32 v20, v17
	s_delay_alu instid0(VALU_DEP_4)
	v_and_b32_e32 v16, v16, v18
	v_lshlrev_b32_e32 v18, 25, v23
	;; [unrolled: 8-line block ×3, first 2 shown]
	s_wait_alu 0xfffd
	v_xor_b32_e32 v17, vcc_lo, v17
	v_cmp_gt_i32_e32 vcc_lo, 0, v18
	v_ashrrev_i32_e32 v18, 31, v20
	s_wait_alu 0xfffe
	v_mad_u32_u24 v20, v74, s8, v73
	v_not_b32_e32 v21, v19
	v_and_b32_e32 v16, v16, v17
	s_wait_alu 0xfffd
	v_xor_b32_e32 v17, vcc_lo, v18
	v_cmp_gt_i32_e32 vcc_lo, 0, v19
	v_ashrrev_i32_e32 v18, 31, v21
	v_mad_co_u64_u32 v[21:22], null, v20, s10, v[46:47]
	s_delay_alu instid0(VALU_DEP_4) | instskip(SKIP_1) | instid1(VALU_DEP_3)
	v_and_b32_e32 v16, v16, v17
	s_wait_alu 0xfffd
	v_xor_b32_e32 v22, vcc_lo, v18
	v_dual_mov_b32 v20, s15 :: v_dual_mov_b32 v19, s14
	v_dual_mov_b32 v18, s13 :: v_dual_mov_b32 v17, s12
	s_delay_alu instid0(VALU_DEP_3)
	v_and_b32_e32 v16, v16, v22
	v_lshrrev_b32_e32 v21, 5, v21
	ds_store_b128 v67, v[17:20] offset:64
	ds_store_b128 v67, v[17:20] offset:80
	v_mbcnt_lo_u32_b32 v37, v16, 0
	v_lshlrev_b32_e32 v24, 2, v21
	v_lshlrev_b32_e32 v17, 6, v23
	v_cmp_ne_u32_e64 s8, 0, v16
	s_wait_loadcnt_dscnt 0x0
	v_cmp_eq_u32_e32 vcc_lo, 0, v37
	s_barrier_signal -1
	v_add_nc_u32_e32 v38, v24, v17
	s_barrier_wait -1
	global_inv scope:SCOPE_SE
	s_and_b32 s10, s8, vcc_lo
	; wave barrier
	s_wait_alu 0xfffe
	s_and_saveexec_b32 s8, s10
; %bb.84:
	v_bcnt_u32_b32 v16, v16, 0
	ds_store_b32 v38, v16 offset:64
; %bb.85:
	s_wait_alu 0xfffe
	s_or_b32 exec_lo, exec_lo, s8
	v_and_b32_e32 v16, 0xffff, v26
	; wave barrier
	s_delay_alu instid0(VALU_DEP_1) | instskip(NEXT) | instid1(VALU_DEP_1)
	v_and_b32_e32 v16, s9, v16
	v_and_b32_e32 v17, 1, v16
	v_lshlrev_b32_e32 v18, 30, v16
	v_lshlrev_b32_e32 v19, 29, v16
	v_lshlrev_b32_e32 v20, 28, v16
	v_lshlrev_b32_e32 v22, 27, v16
	v_add_co_u32 v17, s8, v17, -1
	s_wait_alu 0xf1ff
	v_cndmask_b32_e64 v21, 0, 1, s8
	v_not_b32_e32 v34, v18
	v_cmp_gt_i32_e64 s8, 0, v18
	v_not_b32_e32 v18, v19
	v_lshlrev_b32_e32 v23, 26, v16
	v_cmp_ne_u32_e32 vcc_lo, 0, v21
	v_ashrrev_i32_e32 v34, 31, v34
	v_lshlrev_b32_e32 v33, 25, v16
	v_ashrrev_i32_e32 v18, 31, v18
	v_lshlrev_b32_e32 v21, 24, v16
	s_wait_alu 0xfffd
	v_xor_b32_e32 v17, vcc_lo, v17
	v_cmp_gt_i32_e32 vcc_lo, 0, v19
	v_not_b32_e32 v19, v20
	s_wait_alu 0xf1ff
	v_xor_b32_e32 v34, s8, v34
	v_cmp_gt_i32_e64 s8, 0, v20
	v_and_b32_e32 v17, exec_lo, v17
	v_not_b32_e32 v20, v22
	v_ashrrev_i32_e32 v19, 31, v19
	s_wait_alu 0xfffd
	v_xor_b32_e32 v18, vcc_lo, v18
	v_cmp_gt_i32_e32 vcc_lo, 0, v22
	v_and_b32_e32 v17, v17, v34
	v_not_b32_e32 v22, v23
	v_ashrrev_i32_e32 v20, 31, v20
	s_wait_alu 0xf1ff
	v_xor_b32_e32 v19, s8, v19
	v_cmp_gt_i32_e64 s8, 0, v23
	v_and_b32_e32 v17, v17, v18
	v_not_b32_e32 v18, v33
	v_ashrrev_i32_e32 v22, 31, v22
	s_wait_alu 0xfffd
	v_xor_b32_e32 v20, vcc_lo, v20
	v_cmp_gt_i32_e32 vcc_lo, 0, v33
	v_and_b32_e32 v17, v17, v19
	v_not_b32_e32 v19, v21
	v_ashrrev_i32_e32 v18, 31, v18
	s_wait_alu 0xf1ff
	v_xor_b32_e32 v22, s8, v22
	v_lshlrev_b32_e32 v16, 6, v16
	v_and_b32_e32 v17, v17, v20
	v_cmp_gt_i32_e64 s8, 0, v21
	v_ashrrev_i32_e32 v19, 31, v19
	s_wait_alu 0xfffd
	v_xor_b32_e32 v18, vcc_lo, v18
	v_add_nc_u32_e32 v47, v24, v16
	v_and_b32_e32 v17, v17, v22
	s_wait_alu 0xf1ff
	v_xor_b32_e32 v16, s8, v19
	ds_load_b32 v39, v47 offset:64
	v_and_b32_e32 v17, v17, v18
	; wave barrier
	s_delay_alu instid0(VALU_DEP_1) | instskip(NEXT) | instid1(VALU_DEP_1)
	v_and_b32_e32 v16, v17, v16
	v_mbcnt_lo_u32_b32 v40, v16, 0
	v_cmp_ne_u32_e64 s8, 0, v16
	s_delay_alu instid0(VALU_DEP_2)
	v_cmp_eq_u32_e32 vcc_lo, 0, v40
	s_and_b32 s10, s8, vcc_lo
	s_wait_alu 0xfffe
	s_and_saveexec_b32 s8, s10
	s_cbranch_execz .LBB160_87
; %bb.86:
	s_wait_dscnt 0x0
	v_bcnt_u32_b32 v16, v16, v39
	ds_store_b32 v47, v16 offset:64
.LBB160_87:
	s_wait_alu 0xfffe
	s_or_b32 exec_lo, exec_lo, s8
	v_and_b32_e32 v16, 0xffff, v27
	; wave barrier
	s_delay_alu instid0(VALU_DEP_1) | instskip(NEXT) | instid1(VALU_DEP_1)
	v_and_b32_e32 v16, s9, v16
	v_and_b32_e32 v17, 1, v16
	v_lshlrev_b32_e32 v18, 30, v16
	v_lshlrev_b32_e32 v19, 29, v16
	;; [unrolled: 1-line block ×4, first 2 shown]
	v_add_co_u32 v17, s8, v17, -1
	s_wait_alu 0xf1ff
	v_cndmask_b32_e64 v21, 0, 1, s8
	v_not_b32_e32 v34, v18
	v_cmp_gt_i32_e64 s8, 0, v18
	v_not_b32_e32 v18, v19
	v_lshlrev_b32_e32 v23, 26, v16
	v_cmp_ne_u32_e32 vcc_lo, 0, v21
	v_ashrrev_i32_e32 v34, 31, v34
	v_lshlrev_b32_e32 v33, 25, v16
	v_ashrrev_i32_e32 v18, 31, v18
	v_lshlrev_b32_e32 v21, 24, v16
	s_wait_alu 0xfffd
	v_xor_b32_e32 v17, vcc_lo, v17
	v_cmp_gt_i32_e32 vcc_lo, 0, v19
	v_not_b32_e32 v19, v20
	s_wait_alu 0xf1ff
	v_xor_b32_e32 v34, s8, v34
	v_cmp_gt_i32_e64 s8, 0, v20
	v_and_b32_e32 v17, exec_lo, v17
	v_not_b32_e32 v20, v22
	v_ashrrev_i32_e32 v19, 31, v19
	s_wait_alu 0xfffd
	v_xor_b32_e32 v18, vcc_lo, v18
	v_cmp_gt_i32_e32 vcc_lo, 0, v22
	v_and_b32_e32 v17, v17, v34
	v_not_b32_e32 v22, v23
	v_ashrrev_i32_e32 v20, 31, v20
	s_wait_alu 0xf1ff
	v_xor_b32_e32 v19, s8, v19
	v_cmp_gt_i32_e64 s8, 0, v23
	v_and_b32_e32 v17, v17, v18
	v_not_b32_e32 v18, v33
	v_ashrrev_i32_e32 v22, 31, v22
	s_wait_alu 0xfffd
	v_xor_b32_e32 v20, vcc_lo, v20
	v_cmp_gt_i32_e32 vcc_lo, 0, v33
	v_and_b32_e32 v17, v17, v19
	v_not_b32_e32 v19, v21
	v_ashrrev_i32_e32 v18, 31, v18
	s_wait_alu 0xf1ff
	v_xor_b32_e32 v22, s8, v22
	v_lshlrev_b32_e32 v16, 6, v16
	v_and_b32_e32 v17, v17, v20
	v_cmp_gt_i32_e64 s8, 0, v21
	v_ashrrev_i32_e32 v19, 31, v19
	s_wait_alu 0xfffd
	v_xor_b32_e32 v18, vcc_lo, v18
	v_add_nc_u32_e32 v50, v24, v16
	v_and_b32_e32 v17, v17, v22
	s_wait_alu 0xf1ff
	v_xor_b32_e32 v16, s8, v19
	ds_load_b32 v48, v50 offset:64
	v_and_b32_e32 v17, v17, v18
	; wave barrier
	s_delay_alu instid0(VALU_DEP_1) | instskip(NEXT) | instid1(VALU_DEP_1)
	v_and_b32_e32 v16, v17, v16
	v_mbcnt_lo_u32_b32 v49, v16, 0
	v_cmp_ne_u32_e64 s8, 0, v16
	s_delay_alu instid0(VALU_DEP_2)
	v_cmp_eq_u32_e32 vcc_lo, 0, v49
	s_and_b32 s10, s8, vcc_lo
	s_wait_alu 0xfffe
	s_and_saveexec_b32 s8, s10
	s_cbranch_execz .LBB160_89
; %bb.88:
	s_wait_dscnt 0x0
	v_bcnt_u32_b32 v16, v16, v48
	ds_store_b32 v50, v16 offset:64
.LBB160_89:
	s_wait_alu 0xfffe
	s_or_b32 exec_lo, exec_lo, s8
	v_and_b32_e32 v16, 0xffff, v28
	; wave barrier
	s_delay_alu instid0(VALU_DEP_1) | instskip(NEXT) | instid1(VALU_DEP_1)
	v_and_b32_e32 v16, s9, v16
	v_and_b32_e32 v17, 1, v16
	v_lshlrev_b32_e32 v18, 30, v16
	v_lshlrev_b32_e32 v19, 29, v16
	;; [unrolled: 1-line block ×4, first 2 shown]
	v_add_co_u32 v17, s8, v17, -1
	s_wait_alu 0xf1ff
	v_cndmask_b32_e64 v21, 0, 1, s8
	v_not_b32_e32 v34, v18
	v_cmp_gt_i32_e64 s8, 0, v18
	v_not_b32_e32 v18, v19
	v_lshlrev_b32_e32 v23, 26, v16
	v_cmp_ne_u32_e32 vcc_lo, 0, v21
	v_ashrrev_i32_e32 v34, 31, v34
	v_lshlrev_b32_e32 v33, 25, v16
	v_ashrrev_i32_e32 v18, 31, v18
	v_lshlrev_b32_e32 v21, 24, v16
	s_wait_alu 0xfffd
	v_xor_b32_e32 v17, vcc_lo, v17
	v_cmp_gt_i32_e32 vcc_lo, 0, v19
	v_not_b32_e32 v19, v20
	s_wait_alu 0xf1ff
	v_xor_b32_e32 v34, s8, v34
	v_cmp_gt_i32_e64 s8, 0, v20
	v_and_b32_e32 v17, exec_lo, v17
	v_not_b32_e32 v20, v22
	v_ashrrev_i32_e32 v19, 31, v19
	s_wait_alu 0xfffd
	v_xor_b32_e32 v18, vcc_lo, v18
	v_cmp_gt_i32_e32 vcc_lo, 0, v22
	v_and_b32_e32 v17, v17, v34
	v_not_b32_e32 v22, v23
	v_ashrrev_i32_e32 v20, 31, v20
	s_wait_alu 0xf1ff
	v_xor_b32_e32 v19, s8, v19
	v_cmp_gt_i32_e64 s8, 0, v23
	v_and_b32_e32 v17, v17, v18
	v_not_b32_e32 v18, v33
	v_ashrrev_i32_e32 v22, 31, v22
	s_wait_alu 0xfffd
	v_xor_b32_e32 v20, vcc_lo, v20
	v_cmp_gt_i32_e32 vcc_lo, 0, v33
	v_and_b32_e32 v17, v17, v19
	v_not_b32_e32 v19, v21
	v_ashrrev_i32_e32 v18, 31, v18
	s_wait_alu 0xf1ff
	v_xor_b32_e32 v22, s8, v22
	v_lshlrev_b32_e32 v16, 6, v16
	v_and_b32_e32 v17, v17, v20
	v_cmp_gt_i32_e64 s8, 0, v21
	v_ashrrev_i32_e32 v19, 31, v19
	s_wait_alu 0xfffd
	v_xor_b32_e32 v18, vcc_lo, v18
	v_add_nc_u32_e32 v75, v24, v16
	v_and_b32_e32 v17, v17, v22
	s_wait_alu 0xf1ff
	v_xor_b32_e32 v16, s8, v19
	ds_load_b32 v73, v75 offset:64
	v_and_b32_e32 v17, v17, v18
	; wave barrier
	s_delay_alu instid0(VALU_DEP_1) | instskip(NEXT) | instid1(VALU_DEP_1)
	v_and_b32_e32 v16, v17, v16
	v_mbcnt_lo_u32_b32 v74, v16, 0
	v_cmp_ne_u32_e64 s8, 0, v16
	s_delay_alu instid0(VALU_DEP_2)
	v_cmp_eq_u32_e32 vcc_lo, 0, v74
	s_and_b32 s10, s8, vcc_lo
	s_wait_alu 0xfffe
	s_and_saveexec_b32 s8, s10
	s_cbranch_execz .LBB160_91
; %bb.90:
	s_wait_dscnt 0x0
	v_bcnt_u32_b32 v16, v16, v73
	ds_store_b32 v75, v16 offset:64
.LBB160_91:
	s_wait_alu 0xfffe
	s_or_b32 exec_lo, exec_lo, s8
	v_and_b32_e32 v16, 0xffff, v29
	; wave barrier
	s_delay_alu instid0(VALU_DEP_1) | instskip(NEXT) | instid1(VALU_DEP_1)
	v_and_b32_e32 v16, s9, v16
	v_and_b32_e32 v17, 1, v16
	v_lshlrev_b32_e32 v18, 30, v16
	v_lshlrev_b32_e32 v19, 29, v16
	;; [unrolled: 1-line block ×4, first 2 shown]
	v_add_co_u32 v17, s8, v17, -1
	s_wait_alu 0xf1ff
	v_cndmask_b32_e64 v21, 0, 1, s8
	v_not_b32_e32 v34, v18
	v_cmp_gt_i32_e64 s8, 0, v18
	v_not_b32_e32 v18, v19
	v_lshlrev_b32_e32 v23, 26, v16
	v_cmp_ne_u32_e32 vcc_lo, 0, v21
	v_ashrrev_i32_e32 v34, 31, v34
	v_lshlrev_b32_e32 v33, 25, v16
	v_ashrrev_i32_e32 v18, 31, v18
	v_lshlrev_b32_e32 v21, 24, v16
	s_wait_alu 0xfffd
	v_xor_b32_e32 v17, vcc_lo, v17
	v_cmp_gt_i32_e32 vcc_lo, 0, v19
	v_not_b32_e32 v19, v20
	s_wait_alu 0xf1ff
	v_xor_b32_e32 v34, s8, v34
	v_cmp_gt_i32_e64 s8, 0, v20
	v_and_b32_e32 v17, exec_lo, v17
	v_not_b32_e32 v20, v22
	v_ashrrev_i32_e32 v19, 31, v19
	s_wait_alu 0xfffd
	v_xor_b32_e32 v18, vcc_lo, v18
	v_cmp_gt_i32_e32 vcc_lo, 0, v22
	v_and_b32_e32 v17, v17, v34
	v_not_b32_e32 v22, v23
	v_ashrrev_i32_e32 v20, 31, v20
	s_wait_alu 0xf1ff
	v_xor_b32_e32 v19, s8, v19
	v_cmp_gt_i32_e64 s8, 0, v23
	v_and_b32_e32 v17, v17, v18
	v_not_b32_e32 v18, v33
	v_ashrrev_i32_e32 v22, 31, v22
	s_wait_alu 0xfffd
	v_xor_b32_e32 v20, vcc_lo, v20
	v_cmp_gt_i32_e32 vcc_lo, 0, v33
	v_and_b32_e32 v17, v17, v19
	v_not_b32_e32 v19, v21
	v_ashrrev_i32_e32 v18, 31, v18
	s_wait_alu 0xf1ff
	v_xor_b32_e32 v22, s8, v22
	v_lshlrev_b32_e32 v16, 6, v16
	v_and_b32_e32 v17, v17, v20
	v_cmp_gt_i32_e64 s8, 0, v21
	v_ashrrev_i32_e32 v19, 31, v19
	s_wait_alu 0xfffd
	v_xor_b32_e32 v18, vcc_lo, v18
	v_add_nc_u32_e32 v78, v24, v16
	v_and_b32_e32 v17, v17, v22
	s_wait_alu 0xf1ff
	v_xor_b32_e32 v16, s8, v19
	ds_load_b32 v76, v78 offset:64
	v_and_b32_e32 v17, v17, v18
	; wave barrier
	s_delay_alu instid0(VALU_DEP_1) | instskip(NEXT) | instid1(VALU_DEP_1)
	v_and_b32_e32 v16, v17, v16
	v_mbcnt_lo_u32_b32 v77, v16, 0
	v_cmp_ne_u32_e64 s8, 0, v16
	s_delay_alu instid0(VALU_DEP_2)
	v_cmp_eq_u32_e32 vcc_lo, 0, v77
	s_and_b32 s10, s8, vcc_lo
	s_wait_alu 0xfffe
	s_and_saveexec_b32 s8, s10
	s_cbranch_execz .LBB160_93
; %bb.92:
	s_wait_dscnt 0x0
	v_bcnt_u32_b32 v16, v16, v76
	ds_store_b32 v78, v16 offset:64
.LBB160_93:
	s_wait_alu 0xfffe
	s_or_b32 exec_lo, exec_lo, s8
	v_and_b32_e32 v16, 0xffff, v30
	; wave barrier
	s_delay_alu instid0(VALU_DEP_1) | instskip(NEXT) | instid1(VALU_DEP_1)
	v_and_b32_e32 v16, s9, v16
	v_and_b32_e32 v17, 1, v16
	v_lshlrev_b32_e32 v18, 30, v16
	v_lshlrev_b32_e32 v19, 29, v16
	;; [unrolled: 1-line block ×4, first 2 shown]
	v_add_co_u32 v17, s8, v17, -1
	s_wait_alu 0xf1ff
	v_cndmask_b32_e64 v21, 0, 1, s8
	v_not_b32_e32 v34, v18
	v_cmp_gt_i32_e64 s8, 0, v18
	v_not_b32_e32 v18, v19
	v_lshlrev_b32_e32 v23, 26, v16
	v_cmp_ne_u32_e32 vcc_lo, 0, v21
	v_ashrrev_i32_e32 v34, 31, v34
	v_lshlrev_b32_e32 v33, 25, v16
	v_ashrrev_i32_e32 v18, 31, v18
	v_lshlrev_b32_e32 v21, 24, v16
	s_wait_alu 0xfffd
	v_xor_b32_e32 v17, vcc_lo, v17
	v_cmp_gt_i32_e32 vcc_lo, 0, v19
	v_not_b32_e32 v19, v20
	s_wait_alu 0xf1ff
	v_xor_b32_e32 v34, s8, v34
	v_cmp_gt_i32_e64 s8, 0, v20
	v_and_b32_e32 v17, exec_lo, v17
	v_not_b32_e32 v20, v22
	v_ashrrev_i32_e32 v19, 31, v19
	s_wait_alu 0xfffd
	v_xor_b32_e32 v18, vcc_lo, v18
	v_cmp_gt_i32_e32 vcc_lo, 0, v22
	v_and_b32_e32 v17, v17, v34
	v_not_b32_e32 v22, v23
	v_ashrrev_i32_e32 v20, 31, v20
	s_wait_alu 0xf1ff
	v_xor_b32_e32 v19, s8, v19
	v_cmp_gt_i32_e64 s8, 0, v23
	v_and_b32_e32 v17, v17, v18
	v_not_b32_e32 v18, v33
	v_ashrrev_i32_e32 v22, 31, v22
	s_wait_alu 0xfffd
	v_xor_b32_e32 v20, vcc_lo, v20
	v_cmp_gt_i32_e32 vcc_lo, 0, v33
	v_and_b32_e32 v17, v17, v19
	v_not_b32_e32 v19, v21
	v_ashrrev_i32_e32 v18, 31, v18
	s_wait_alu 0xf1ff
	v_xor_b32_e32 v22, s8, v22
	v_lshlrev_b32_e32 v16, 6, v16
	v_and_b32_e32 v17, v17, v20
	v_cmp_gt_i32_e64 s8, 0, v21
	v_ashrrev_i32_e32 v19, 31, v19
	s_wait_alu 0xfffd
	v_xor_b32_e32 v18, vcc_lo, v18
	v_add_nc_u32_e32 v81, v24, v16
	v_and_b32_e32 v17, v17, v22
	s_wait_alu 0xf1ff
	v_xor_b32_e32 v16, s8, v19
	ds_load_b32 v79, v81 offset:64
	v_and_b32_e32 v17, v17, v18
	; wave barrier
	s_delay_alu instid0(VALU_DEP_1) | instskip(NEXT) | instid1(VALU_DEP_1)
	v_and_b32_e32 v16, v17, v16
	v_mbcnt_lo_u32_b32 v80, v16, 0
	v_cmp_ne_u32_e64 s8, 0, v16
	s_delay_alu instid0(VALU_DEP_2)
	v_cmp_eq_u32_e32 vcc_lo, 0, v80
	s_and_b32 s10, s8, vcc_lo
	s_wait_alu 0xfffe
	s_and_saveexec_b32 s8, s10
	s_cbranch_execz .LBB160_95
; %bb.94:
	s_wait_dscnt 0x0
	v_bcnt_u32_b32 v16, v16, v79
	ds_store_b32 v81, v16 offset:64
.LBB160_95:
	s_wait_alu 0xfffe
	s_or_b32 exec_lo, exec_lo, s8
	v_and_b32_e32 v16, 0xffff, v31
	; wave barrier
	s_delay_alu instid0(VALU_DEP_1) | instskip(NEXT) | instid1(VALU_DEP_1)
	v_and_b32_e32 v16, s9, v16
	v_and_b32_e32 v17, 1, v16
	v_lshlrev_b32_e32 v18, 30, v16
	v_lshlrev_b32_e32 v19, 29, v16
	;; [unrolled: 1-line block ×4, first 2 shown]
	v_add_co_u32 v17, s8, v17, -1
	s_wait_alu 0xf1ff
	v_cndmask_b32_e64 v21, 0, 1, s8
	v_not_b32_e32 v34, v18
	v_cmp_gt_i32_e64 s8, 0, v18
	v_not_b32_e32 v18, v19
	v_lshlrev_b32_e32 v23, 26, v16
	v_cmp_ne_u32_e32 vcc_lo, 0, v21
	v_ashrrev_i32_e32 v34, 31, v34
	v_lshlrev_b32_e32 v33, 25, v16
	v_ashrrev_i32_e32 v18, 31, v18
	v_lshlrev_b32_e32 v21, 24, v16
	s_wait_alu 0xfffd
	v_xor_b32_e32 v17, vcc_lo, v17
	v_cmp_gt_i32_e32 vcc_lo, 0, v19
	v_not_b32_e32 v19, v20
	s_wait_alu 0xf1ff
	v_xor_b32_e32 v34, s8, v34
	v_cmp_gt_i32_e64 s8, 0, v20
	v_and_b32_e32 v17, exec_lo, v17
	v_not_b32_e32 v20, v22
	v_ashrrev_i32_e32 v19, 31, v19
	s_wait_alu 0xfffd
	v_xor_b32_e32 v18, vcc_lo, v18
	v_cmp_gt_i32_e32 vcc_lo, 0, v22
	v_and_b32_e32 v17, v17, v34
	v_not_b32_e32 v22, v23
	v_ashrrev_i32_e32 v20, 31, v20
	s_wait_alu 0xf1ff
	v_xor_b32_e32 v19, s8, v19
	v_cmp_gt_i32_e64 s8, 0, v23
	v_and_b32_e32 v17, v17, v18
	v_not_b32_e32 v18, v33
	v_ashrrev_i32_e32 v22, 31, v22
	s_wait_alu 0xfffd
	v_xor_b32_e32 v20, vcc_lo, v20
	v_cmp_gt_i32_e32 vcc_lo, 0, v33
	v_and_b32_e32 v17, v17, v19
	v_not_b32_e32 v19, v21
	v_ashrrev_i32_e32 v18, 31, v18
	s_wait_alu 0xf1ff
	v_xor_b32_e32 v22, s8, v22
	v_lshlrev_b32_e32 v16, 6, v16
	v_and_b32_e32 v17, v17, v20
	v_cmp_gt_i32_e64 s8, 0, v21
	v_ashrrev_i32_e32 v19, 31, v19
	s_wait_alu 0xfffd
	v_xor_b32_e32 v18, vcc_lo, v18
	v_add_nc_u32_e32 v84, v24, v16
	v_and_b32_e32 v17, v17, v22
	s_wait_alu 0xf1ff
	v_xor_b32_e32 v16, s8, v19
	ds_load_b32 v82, v84 offset:64
	v_and_b32_e32 v17, v17, v18
	; wave barrier
	s_delay_alu instid0(VALU_DEP_1) | instskip(NEXT) | instid1(VALU_DEP_1)
	v_and_b32_e32 v16, v17, v16
	v_mbcnt_lo_u32_b32 v83, v16, 0
	v_cmp_ne_u32_e64 s8, 0, v16
	s_delay_alu instid0(VALU_DEP_2)
	v_cmp_eq_u32_e32 vcc_lo, 0, v83
	s_and_b32 s10, s8, vcc_lo
	s_wait_alu 0xfffe
	s_and_saveexec_b32 s8, s10
	s_cbranch_execz .LBB160_97
; %bb.96:
	s_wait_dscnt 0x0
	v_bcnt_u32_b32 v16, v16, v82
	ds_store_b32 v84, v16 offset:64
.LBB160_97:
	s_wait_alu 0xfffe
	s_or_b32 exec_lo, exec_lo, s8
	v_and_b32_e32 v16, 0xffff, v32
	; wave barrier
	s_delay_alu instid0(VALU_DEP_1) | instskip(NEXT) | instid1(VALU_DEP_1)
	v_and_b32_e32 v16, s9, v16
	v_and_b32_e32 v17, 1, v16
	v_lshlrev_b32_e32 v18, 30, v16
	v_lshlrev_b32_e32 v19, 29, v16
	;; [unrolled: 1-line block ×4, first 2 shown]
	v_add_co_u32 v17, s8, v17, -1
	s_wait_alu 0xf1ff
	v_cndmask_b32_e64 v21, 0, 1, s8
	v_not_b32_e32 v34, v18
	v_cmp_gt_i32_e64 s8, 0, v18
	v_not_b32_e32 v18, v19
	v_lshlrev_b32_e32 v23, 26, v16
	v_cmp_ne_u32_e32 vcc_lo, 0, v21
	v_ashrrev_i32_e32 v34, 31, v34
	v_lshlrev_b32_e32 v33, 25, v16
	v_ashrrev_i32_e32 v18, 31, v18
	v_lshlrev_b32_e32 v21, 24, v16
	s_wait_alu 0xfffd
	v_xor_b32_e32 v17, vcc_lo, v17
	v_cmp_gt_i32_e32 vcc_lo, 0, v19
	v_not_b32_e32 v19, v20
	s_wait_alu 0xf1ff
	v_xor_b32_e32 v34, s8, v34
	v_cmp_gt_i32_e64 s8, 0, v20
	v_and_b32_e32 v17, exec_lo, v17
	v_not_b32_e32 v20, v22
	v_ashrrev_i32_e32 v19, 31, v19
	s_wait_alu 0xfffd
	v_xor_b32_e32 v18, vcc_lo, v18
	v_cmp_gt_i32_e32 vcc_lo, 0, v22
	v_and_b32_e32 v17, v17, v34
	v_not_b32_e32 v22, v23
	v_ashrrev_i32_e32 v20, 31, v20
	s_wait_alu 0xf1ff
	v_xor_b32_e32 v19, s8, v19
	v_cmp_gt_i32_e64 s8, 0, v23
	v_and_b32_e32 v17, v17, v18
	v_not_b32_e32 v18, v33
	v_ashrrev_i32_e32 v22, 31, v22
	s_wait_alu 0xfffd
	v_xor_b32_e32 v20, vcc_lo, v20
	v_cmp_gt_i32_e32 vcc_lo, 0, v33
	v_and_b32_e32 v17, v17, v19
	v_not_b32_e32 v19, v21
	v_ashrrev_i32_e32 v18, 31, v18
	s_wait_alu 0xf1ff
	v_xor_b32_e32 v22, s8, v22
	v_lshlrev_b32_e32 v16, 6, v16
	v_and_b32_e32 v17, v17, v20
	v_cmp_gt_i32_e64 s8, 0, v21
	v_ashrrev_i32_e32 v19, 31, v19
	s_wait_alu 0xfffd
	v_xor_b32_e32 v18, vcc_lo, v18
	v_add_nc_u32_e32 v87, v24, v16
	v_and_b32_e32 v17, v17, v22
	v_min_u32_e32 v33, 0x1e0, v72
	s_wait_alu 0xf1ff
	v_xor_b32_e32 v16, s8, v19
	ds_load_b32 v85, v87 offset:64
	v_and_b32_e32 v17, v17, v18
	; wave barrier
	s_delay_alu instid0(VALU_DEP_1) | instskip(NEXT) | instid1(VALU_DEP_1)
	v_and_b32_e32 v16, v17, v16
	v_mbcnt_lo_u32_b32 v86, v16, 0
	v_cmp_ne_u32_e64 s8, 0, v16
	s_delay_alu instid0(VALU_DEP_2)
	v_cmp_eq_u32_e32 vcc_lo, 0, v86
	s_and_b32 s9, s8, vcc_lo
	s_wait_alu 0xfffe
	s_and_saveexec_b32 s8, s9
	s_cbranch_execz .LBB160_99
; %bb.98:
	s_wait_dscnt 0x0
	v_bcnt_u32_b32 v16, v16, v85
	ds_store_b32 v87, v16 offset:64
.LBB160_99:
	s_wait_alu 0xfffe
	s_or_b32 exec_lo, exec_lo, s8
	; wave barrier
	s_wait_loadcnt_dscnt 0x0
	s_barrier_signal -1
	s_barrier_wait -1
	global_inv scope:SCOPE_SE
	ds_load_b128 v[20:23], v67 offset:64
	ds_load_b128 v[16:19], v67 offset:80
	v_and_b32_e32 v36, 16, v70
	v_or_b32_e32 v33, 31, v33
	s_delay_alu instid0(VALU_DEP_2) | instskip(NEXT) | instid1(VALU_DEP_2)
	v_cmp_eq_u32_e64 s15, 0, v36
	v_cmp_eq_u32_e64 s13, v46, v33
	s_wait_dscnt 0x1
	v_add_nc_u32_e32 v34, v21, v20
	s_delay_alu instid0(VALU_DEP_1) | instskip(SKIP_1) | instid1(VALU_DEP_1)
	v_add3_u32 v34, v34, v22, v23
	s_wait_dscnt 0x0
	v_add3_u32 v34, v34, v16, v17
	s_delay_alu instid0(VALU_DEP_1) | instskip(SKIP_1) | instid1(VALU_DEP_2)
	v_add3_u32 v19, v34, v18, v19
	v_and_b32_e32 v34, 15, v70
	v_mov_b32_dpp v35, v19 row_shr:1 row_mask:0xf bank_mask:0xf
	s_delay_alu instid0(VALU_DEP_2)
	v_cmp_eq_u32_e32 vcc_lo, 0, v34
	v_cmp_lt_u32_e64 s8, 1, v34
	v_cmp_lt_u32_e64 s9, 3, v34
	;; [unrolled: 1-line block ×3, first 2 shown]
	s_wait_alu 0xfffd
	v_cndmask_b32_e64 v35, v35, 0, vcc_lo
	s_delay_alu instid0(VALU_DEP_1) | instskip(NEXT) | instid1(VALU_DEP_1)
	v_add_nc_u32_e32 v19, v35, v19
	v_mov_b32_dpp v35, v19 row_shr:2 row_mask:0xf bank_mask:0xf
	s_wait_alu 0xf1ff
	s_delay_alu instid0(VALU_DEP_1) | instskip(NEXT) | instid1(VALU_DEP_1)
	v_cndmask_b32_e64 v35, 0, v35, s8
	v_add_nc_u32_e32 v19, v19, v35
	s_delay_alu instid0(VALU_DEP_1) | instskip(NEXT) | instid1(VALU_DEP_1)
	v_mov_b32_dpp v35, v19 row_shr:4 row_mask:0xf bank_mask:0xf
	v_cndmask_b32_e64 v35, 0, v35, s9
	s_delay_alu instid0(VALU_DEP_1) | instskip(NEXT) | instid1(VALU_DEP_1)
	v_add_nc_u32_e32 v19, v19, v35
	v_mov_b32_dpp v35, v19 row_shr:8 row_mask:0xf bank_mask:0xf
	s_delay_alu instid0(VALU_DEP_1) | instskip(NEXT) | instid1(VALU_DEP_1)
	v_cndmask_b32_e64 v34, 0, v35, s10
	v_add_nc_u32_e32 v35, v19, v34
	v_bfe_i32 v34, v70, 4, 1
	ds_swizzle_b32 v19, v35 offset:swizzle(BROADCAST,32,15)
	s_wait_dscnt 0x0
	v_and_b32_e32 v72, v34, v19
	v_mul_i32_i24_e32 v19, 0xffffffe4, v46
	v_lshlrev_b32_e32 v34, 2, v69
	s_delay_alu instid0(VALU_DEP_3)
	v_add_nc_u32_e32 v36, v35, v72
	s_and_saveexec_b32 s11, s13
; %bb.100:
	ds_store_b32 v34, v36
; %bb.101:
	s_wait_alu 0xfffe
	s_or_b32 exec_lo, exec_lo, s11
	v_cmp_gt_u32_e64 s12, 16, v46
	v_add_nc_u32_e32 v33, v67, v19
	s_wait_loadcnt_dscnt 0x0
	s_barrier_signal -1
	s_barrier_wait -1
	global_inv scope:SCOPE_SE
	s_and_saveexec_b32 s11, s12
	s_cbranch_execz .LBB160_103
; %bb.102:
	ds_load_b32 v19, v33
	s_wait_dscnt 0x0
	v_mov_b32_dpp v35, v19 row_shr:1 row_mask:0xf bank_mask:0xf
	s_delay_alu instid0(VALU_DEP_1) | instskip(NEXT) | instid1(VALU_DEP_1)
	v_cndmask_b32_e64 v35, v35, 0, vcc_lo
	v_add_nc_u32_e32 v19, v35, v19
	s_delay_alu instid0(VALU_DEP_1) | instskip(NEXT) | instid1(VALU_DEP_1)
	v_mov_b32_dpp v35, v19 row_shr:2 row_mask:0xf bank_mask:0xf
	v_cndmask_b32_e64 v35, 0, v35, s8
	s_delay_alu instid0(VALU_DEP_1) | instskip(NEXT) | instid1(VALU_DEP_1)
	v_add_nc_u32_e32 v19, v19, v35
	v_mov_b32_dpp v35, v19 row_shr:4 row_mask:0xf bank_mask:0xf
	s_delay_alu instid0(VALU_DEP_1) | instskip(NEXT) | instid1(VALU_DEP_1)
	v_cndmask_b32_e64 v35, 0, v35, s9
	v_add_nc_u32_e32 v19, v19, v35
	s_delay_alu instid0(VALU_DEP_1) | instskip(NEXT) | instid1(VALU_DEP_1)
	v_mov_b32_dpp v35, v19 row_shr:8 row_mask:0xf bank_mask:0xf
	v_cndmask_b32_e64 v35, 0, v35, s10
	s_delay_alu instid0(VALU_DEP_1)
	v_add_nc_u32_e32 v19, v19, v35
	ds_store_b32 v33, v19
.LBB160_103:
	s_wait_alu 0xfffe
	s_or_b32 exec_lo, exec_lo, s11
	v_sub_co_u32 v69, s11, v70, 1
	v_mul_u32_u24_e32 v19, 6, v71
	v_cmp_lt_u32_e64 s14, 31, v46
	v_add_nc_u32_e32 v35, -4, v34
	v_mov_b32_e32 v71, 0
	s_wait_loadcnt_dscnt 0x0
	s_barrier_signal -1
	s_barrier_wait -1
	global_inv scope:SCOPE_SE
	s_and_saveexec_b32 s16, s14
; %bb.104:
	ds_load_b32 v71, v35
; %bb.105:
	s_or_b32 exec_lo, exec_lo, s16
	v_cmp_gt_i32_e64 s16, 0, v69
	s_mov_b32 s20, 0
	s_min_u32 s17, s17, 8
	s_mov_b32 s21, s20
	s_mov_b32 s22, s20
	v_cndmask_b32_e64 v69, v69, v70, s16
	s_mov_b32 s23, s20
	s_wait_dscnt 0x0
	v_add_nc_u32_e32 v70, v71, v36
	v_cmp_eq_u32_e64 s16, 0, v46
	s_lshl_b32 s17, -1, s17
	v_lshlrev_b32_e32 v36, 2, v69
	s_wait_alu 0xfffe
	s_not_b32 s19, s17
	ds_bpermute_b32 v69, v36, v70
	s_wait_dscnt 0x0
	v_cndmask_b32_e64 v69, v69, v71, s11
	s_delay_alu instid0(VALU_DEP_1) | instskip(NEXT) | instid1(VALU_DEP_1)
	v_cndmask_b32_e64 v69, v69, 0, s16
	v_add_nc_u32_e32 v70, v69, v20
	s_delay_alu instid0(VALU_DEP_1) | instskip(NEXT) | instid1(VALU_DEP_1)
	v_add_nc_u32_e32 v71, v70, v21
	v_add_nc_u32_e32 v72, v71, v22
	s_delay_alu instid0(VALU_DEP_1) | instskip(NEXT) | instid1(VALU_DEP_1)
	v_add_nc_u32_e32 v20, v72, v23
	;; [unrolled: 3-line block ×3, first 2 shown]
	v_add_nc_u32_e32 v23, v22, v18
	ds_store_b128 v67, v[69:72] offset:64
	ds_store_b128 v67, v[20:23] offset:80
	s_wait_loadcnt_dscnt 0x0
	s_barrier_signal -1
	s_barrier_wait -1
	global_inv scope:SCOPE_SE
	ds_load_b32 v16, v38 offset:64
	ds_load_b32 v17, v47 offset:64
	;; [unrolled: 1-line block ×8, first 2 shown]
	v_add_nc_u32_e32 v47, v68, v19
	s_wait_loadcnt_dscnt 0x0
	s_barrier_signal -1
	s_barrier_wait -1
	global_inv scope:SCOPE_SE
	v_add_nc_u32_e32 v37, v16, v37
	v_add3_u32 v39, v40, v39, v17
	v_add3_u32 v40, v49, v48, v18
	;; [unrolled: 1-line block ×7, first 2 shown]
	v_lshlrev_b32_e32 v16, 1, v37
	v_lshlrev_b32_e32 v17, 1, v39
	;; [unrolled: 1-line block ×8, first 2 shown]
	ds_store_b16 v16, v25
	ds_store_b16 v17, v26
	;; [unrolled: 1-line block ×8, first 2 shown]
	s_wait_loadcnt_dscnt 0x0
	s_barrier_signal -1
	s_barrier_wait -1
	global_inv scope:SCOPE_SE
	ds_load_u16 v25, v68
	ds_load_u16 v26, v68 offset:64
	ds_load_u16 v27, v68 offset:128
	;; [unrolled: 1-line block ×7, first 2 shown]
	v_mad_co_u64_u32 v[37:38], null, v37, 6, v[16:17]
	v_mad_co_u64_u32 v[16:17], null, v39, 6, v[17:18]
	;; [unrolled: 1-line block ×3, first 2 shown]
	s_wait_loadcnt_dscnt 0x0
	s_barrier_signal -1
	s_barrier_wait -1
	global_inv scope:SCOPE_SE
	v_mad_co_u64_u32 v[18:19], null, v48, 6, v[19:20]
	v_lshrrev_b16 v38, 8, v25
	ds_store_b64 v37, v[4:5]
	v_mad_co_u64_u32 v[19:20], null, v49, 6, v[20:21]
	v_mad_co_u64_u32 v[20:21], null, v50, 6, v[21:22]
	v_and_b32_e32 v4, 0xffff, v38
	v_mad_co_u64_u32 v[21:22], null, v69, 6, v[22:23]
	v_mad_co_u64_u32 v[22:23], null, v70, 6, v[23:24]
	s_delay_alu instid0(VALU_DEP_3)
	v_and_b32_e32 v23, s19, v4
	ds_store_b64 v16, v[6:7]
	ds_store_b64 v17, v[0:1]
	;; [unrolled: 1-line block ×7, first 2 shown]
	v_and_b32_e32 v0, 1, v23
	v_lshlrev_b32_e32 v1, 30, v23
	v_lshlrev_b32_e32 v2, 29, v23
	;; [unrolled: 1-line block ×4, first 2 shown]
	v_add_co_u32 v0, s17, v0, -1
	s_wait_alu 0xf1ff
	v_cndmask_b32_e64 v4, 0, 1, s17
	v_not_b32_e32 v8, v1
	v_cmp_gt_i32_e64 s18, 0, v1
	v_not_b32_e32 v1, v2
	v_lshlrev_b32_e32 v6, 26, v23
	v_cmp_ne_u32_e64 s17, 0, v4
	v_ashrrev_i32_e32 v8, 31, v8
	v_lshlrev_b32_e32 v7, 25, v23
	v_ashrrev_i32_e32 v1, 31, v1
	v_lshlrev_b32_e32 v4, 24, v23
	s_wait_alu 0xf1ff
	v_xor_b32_e32 v0, s17, v0
	v_cmp_gt_i32_e64 s17, 0, v2
	v_not_b32_e32 v2, v3
	v_xor_b32_e32 v8, s18, v8
	v_cmp_gt_i32_e64 s18, 0, v3
	v_and_b32_e32 v0, exec_lo, v0
	v_not_b32_e32 v3, v5
	v_ashrrev_i32_e32 v2, 31, v2
	s_wait_alu 0xf1ff
	v_xor_b32_e32 v1, s17, v1
	v_cmp_gt_i32_e64 s17, 0, v5
	v_and_b32_e32 v0, v0, v8
	v_not_b32_e32 v5, v6
	v_ashrrev_i32_e32 v3, 31, v3
	v_xor_b32_e32 v2, s18, v2
	v_cmp_gt_i32_e64 s18, 0, v6
	v_and_b32_e32 v0, v0, v1
	v_not_b32_e32 v1, v7
	v_ashrrev_i32_e32 v5, 31, v5
	s_wait_alu 0xf1ff
	v_xor_b32_e32 v3, s17, v3
	v_cmp_gt_i32_e64 s17, 0, v7
	v_and_b32_e32 v0, v0, v2
	v_not_b32_e32 v2, v4
	v_ashrrev_i32_e32 v1, 31, v1
	v_xor_b32_e32 v5, s18, v5
	v_cmp_gt_i32_e64 s18, 0, v4
	v_and_b32_e32 v0, v0, v3
	v_ashrrev_i32_e32 v2, 31, v2
	s_wait_alu 0xf1ff
	v_xor_b32_e32 v1, s17, v1
	s_wait_loadcnt_dscnt 0x0
	s_barrier_signal -1
	v_and_b32_e32 v0, v0, v5
	v_xor_b32_e32 v16, s18, v2
	s_barrier_wait -1
	global_inv scope:SCOPE_SE
	ds_load_2addr_b64 v[4:7], v47 offset1:32
	v_and_b32_e32 v21, v0, v1
	ds_load_2addr_b64 v[12:15], v47 offset0:64 offset1:96
	ds_load_2addr_b64 v[8:11], v47 offset0:128 offset1:160
	;; [unrolled: 1-line block ×3, first 2 shown]
	v_dual_mov_b32 v17, s20 :: v_dual_mov_b32 v18, s21
	v_dual_mov_b32 v19, s22 :: v_dual_and_b32 v16, v21, v16
	v_mov_b32_e32 v20, s23
	v_lshl_add_u32 v38, v23, 6, v24
	s_wait_loadcnt_dscnt 0x0
	s_barrier_signal -1
	v_mbcnt_lo_u32_b32 v37, v16, 0
	v_cmp_ne_u32_e64 s18, 0, v16
	s_barrier_wait -1
	global_inv scope:SCOPE_SE
	ds_store_b128 v67, v[17:20] offset:64
	ds_store_b128 v67, v[17:20] offset:80
	v_cmp_eq_u32_e64 s17, 0, v37
	s_wait_loadcnt_dscnt 0x0
	s_barrier_signal -1
	s_barrier_wait -1
	global_inv scope:SCOPE_SE
	s_and_b32 s18, s18, s17
	; wave barrier
	s_wait_alu 0xfffe
	s_and_saveexec_b32 s17, s18
; %bb.106:
	v_bcnt_u32_b32 v16, v16, 0
	ds_store_b32 v38, v16 offset:64
; %bb.107:
	s_wait_alu 0xfffe
	s_or_b32 exec_lo, exec_lo, s17
	v_lshrrev_b16 v16, 8, v26
	; wave barrier
	s_delay_alu instid0(VALU_DEP_1) | instskip(NEXT) | instid1(VALU_DEP_1)
	v_and_b32_e32 v16, s19, v16
	v_and_b32_e32 v17, 1, v16
	v_lshlrev_b32_e32 v18, 30, v16
	v_lshlrev_b32_e32 v19, 29, v16
	;; [unrolled: 1-line block ×4, first 2 shown]
	v_add_co_u32 v17, s17, v17, -1
	s_wait_alu 0xf1ff
	v_cndmask_b32_e64 v21, 0, 1, s17
	v_not_b32_e32 v40, v18
	v_cmp_gt_i32_e64 s18, 0, v18
	v_not_b32_e32 v18, v19
	v_lshlrev_b32_e32 v23, 26, v16
	v_cmp_ne_u32_e64 s17, 0, v21
	v_ashrrev_i32_e32 v40, 31, v40
	v_lshlrev_b32_e32 v39, 25, v16
	v_ashrrev_i32_e32 v18, 31, v18
	v_lshlrev_b32_e32 v21, 24, v16
	s_wait_alu 0xf1ff
	v_xor_b32_e32 v17, s17, v17
	v_cmp_gt_i32_e64 s17, 0, v19
	v_not_b32_e32 v19, v20
	v_xor_b32_e32 v40, s18, v40
	v_cmp_gt_i32_e64 s18, 0, v20
	v_and_b32_e32 v17, exec_lo, v17
	v_not_b32_e32 v20, v22
	v_ashrrev_i32_e32 v19, 31, v19
	s_wait_alu 0xf1ff
	v_xor_b32_e32 v18, s17, v18
	v_cmp_gt_i32_e64 s17, 0, v22
	v_and_b32_e32 v17, v17, v40
	v_not_b32_e32 v22, v23
	v_ashrrev_i32_e32 v20, 31, v20
	v_xor_b32_e32 v19, s18, v19
	v_cmp_gt_i32_e64 s18, 0, v23
	v_and_b32_e32 v17, v17, v18
	v_not_b32_e32 v18, v39
	v_ashrrev_i32_e32 v22, 31, v22
	s_wait_alu 0xf1ff
	v_xor_b32_e32 v20, s17, v20
	v_cmp_gt_i32_e64 s17, 0, v39
	v_and_b32_e32 v17, v17, v19
	v_not_b32_e32 v19, v21
	v_ashrrev_i32_e32 v18, 31, v18
	v_xor_b32_e32 v22, s18, v22
	v_cmp_gt_i32_e64 s18, 0, v21
	v_and_b32_e32 v17, v17, v20
	v_ashrrev_i32_e32 v19, 31, v19
	s_wait_alu 0xf1ff
	v_xor_b32_e32 v18, s17, v18
	v_lshl_add_u32 v47, v16, 6, v24
	v_and_b32_e32 v17, v17, v22
	v_xor_b32_e32 v16, s18, v19
	ds_load_b32 v39, v47 offset:64
	v_and_b32_e32 v17, v17, v18
	; wave barrier
	s_delay_alu instid0(VALU_DEP_1) | instskip(NEXT) | instid1(VALU_DEP_1)
	v_and_b32_e32 v16, v17, v16
	v_mbcnt_lo_u32_b32 v40, v16, 0
	v_cmp_ne_u32_e64 s18, 0, v16
	s_delay_alu instid0(VALU_DEP_2)
	v_cmp_eq_u32_e64 s17, 0, v40
	s_and_b32 s18, s18, s17
	s_wait_alu 0xfffe
	s_and_saveexec_b32 s17, s18
	s_cbranch_execz .LBB160_109
; %bb.108:
	s_wait_dscnt 0x0
	v_bcnt_u32_b32 v16, v16, v39
	ds_store_b32 v47, v16 offset:64
.LBB160_109:
	s_wait_alu 0xfffe
	s_or_b32 exec_lo, exec_lo, s17
	v_lshrrev_b16 v16, 8, v27
	; wave barrier
	s_delay_alu instid0(VALU_DEP_1) | instskip(NEXT) | instid1(VALU_DEP_1)
	v_and_b32_e32 v16, s19, v16
	v_and_b32_e32 v17, 1, v16
	v_lshlrev_b32_e32 v18, 30, v16
	v_lshlrev_b32_e32 v19, 29, v16
	;; [unrolled: 1-line block ×4, first 2 shown]
	v_add_co_u32 v17, s17, v17, -1
	s_wait_alu 0xf1ff
	v_cndmask_b32_e64 v21, 0, 1, s17
	v_not_b32_e32 v49, v18
	v_cmp_gt_i32_e64 s18, 0, v18
	v_not_b32_e32 v18, v19
	v_lshlrev_b32_e32 v23, 26, v16
	v_cmp_ne_u32_e64 s17, 0, v21
	v_ashrrev_i32_e32 v49, 31, v49
	v_lshlrev_b32_e32 v48, 25, v16
	v_ashrrev_i32_e32 v18, 31, v18
	v_lshlrev_b32_e32 v21, 24, v16
	s_wait_alu 0xf1ff
	v_xor_b32_e32 v17, s17, v17
	v_cmp_gt_i32_e64 s17, 0, v19
	v_not_b32_e32 v19, v20
	v_xor_b32_e32 v49, s18, v49
	v_cmp_gt_i32_e64 s18, 0, v20
	v_and_b32_e32 v17, exec_lo, v17
	v_not_b32_e32 v20, v22
	v_ashrrev_i32_e32 v19, 31, v19
	s_wait_alu 0xf1ff
	v_xor_b32_e32 v18, s17, v18
	v_cmp_gt_i32_e64 s17, 0, v22
	v_and_b32_e32 v17, v17, v49
	v_not_b32_e32 v22, v23
	v_ashrrev_i32_e32 v20, 31, v20
	v_xor_b32_e32 v19, s18, v19
	v_cmp_gt_i32_e64 s18, 0, v23
	v_and_b32_e32 v17, v17, v18
	v_not_b32_e32 v18, v48
	v_ashrrev_i32_e32 v22, 31, v22
	s_wait_alu 0xf1ff
	v_xor_b32_e32 v20, s17, v20
	v_cmp_gt_i32_e64 s17, 0, v48
	v_and_b32_e32 v17, v17, v19
	v_not_b32_e32 v19, v21
	v_ashrrev_i32_e32 v18, 31, v18
	v_xor_b32_e32 v22, s18, v22
	v_cmp_gt_i32_e64 s18, 0, v21
	v_and_b32_e32 v17, v17, v20
	v_ashrrev_i32_e32 v19, 31, v19
	s_wait_alu 0xf1ff
	v_xor_b32_e32 v18, s17, v18
	v_lshl_add_u32 v50, v16, 6, v24
	v_and_b32_e32 v17, v17, v22
	v_xor_b32_e32 v16, s18, v19
	ds_load_b32 v48, v50 offset:64
	v_and_b32_e32 v17, v17, v18
	; wave barrier
	s_delay_alu instid0(VALU_DEP_1) | instskip(NEXT) | instid1(VALU_DEP_1)
	v_and_b32_e32 v16, v17, v16
	v_mbcnt_lo_u32_b32 v49, v16, 0
	v_cmp_ne_u32_e64 s18, 0, v16
	s_delay_alu instid0(VALU_DEP_2)
	v_cmp_eq_u32_e64 s17, 0, v49
	s_and_b32 s18, s18, s17
	s_wait_alu 0xfffe
	s_and_saveexec_b32 s17, s18
	s_cbranch_execz .LBB160_111
; %bb.110:
	s_wait_dscnt 0x0
	v_bcnt_u32_b32 v16, v16, v48
	ds_store_b32 v50, v16 offset:64
.LBB160_111:
	s_wait_alu 0xfffe
	s_or_b32 exec_lo, exec_lo, s17
	v_lshrrev_b16 v16, 8, v28
	; wave barrier
	s_delay_alu instid0(VALU_DEP_1) | instskip(NEXT) | instid1(VALU_DEP_1)
	v_and_b32_e32 v16, s19, v16
	v_and_b32_e32 v17, 1, v16
	v_lshlrev_b32_e32 v18, 30, v16
	v_lshlrev_b32_e32 v19, 29, v16
	;; [unrolled: 1-line block ×4, first 2 shown]
	v_add_co_u32 v17, s17, v17, -1
	s_wait_alu 0xf1ff
	v_cndmask_b32_e64 v21, 0, 1, s17
	v_not_b32_e32 v69, v18
	v_cmp_gt_i32_e64 s18, 0, v18
	v_not_b32_e32 v18, v19
	v_lshlrev_b32_e32 v23, 26, v16
	v_cmp_ne_u32_e64 s17, 0, v21
	v_ashrrev_i32_e32 v69, 31, v69
	v_lshlrev_b32_e32 v68, 25, v16
	v_ashrrev_i32_e32 v18, 31, v18
	v_lshlrev_b32_e32 v21, 24, v16
	s_wait_alu 0xf1ff
	v_xor_b32_e32 v17, s17, v17
	v_cmp_gt_i32_e64 s17, 0, v19
	v_not_b32_e32 v19, v20
	v_xor_b32_e32 v69, s18, v69
	v_cmp_gt_i32_e64 s18, 0, v20
	v_and_b32_e32 v17, exec_lo, v17
	v_not_b32_e32 v20, v22
	v_ashrrev_i32_e32 v19, 31, v19
	s_wait_alu 0xf1ff
	v_xor_b32_e32 v18, s17, v18
	v_cmp_gt_i32_e64 s17, 0, v22
	v_and_b32_e32 v17, v17, v69
	v_not_b32_e32 v22, v23
	v_ashrrev_i32_e32 v20, 31, v20
	v_xor_b32_e32 v19, s18, v19
	v_cmp_gt_i32_e64 s18, 0, v23
	v_and_b32_e32 v17, v17, v18
	v_not_b32_e32 v18, v68
	v_ashrrev_i32_e32 v22, 31, v22
	s_wait_alu 0xf1ff
	v_xor_b32_e32 v20, s17, v20
	v_cmp_gt_i32_e64 s17, 0, v68
	v_and_b32_e32 v17, v17, v19
	v_not_b32_e32 v19, v21
	v_ashrrev_i32_e32 v18, 31, v18
	v_xor_b32_e32 v22, s18, v22
	v_cmp_gt_i32_e64 s18, 0, v21
	v_and_b32_e32 v17, v17, v20
	v_ashrrev_i32_e32 v19, 31, v19
	s_wait_alu 0xf1ff
	v_xor_b32_e32 v18, s17, v18
	v_lshl_add_u32 v70, v16, 6, v24
	v_and_b32_e32 v17, v17, v22
	v_xor_b32_e32 v16, s18, v19
	ds_load_b32 v68, v70 offset:64
	v_and_b32_e32 v17, v17, v18
	; wave barrier
	s_delay_alu instid0(VALU_DEP_1) | instskip(NEXT) | instid1(VALU_DEP_1)
	v_and_b32_e32 v16, v17, v16
	v_mbcnt_lo_u32_b32 v69, v16, 0
	v_cmp_ne_u32_e64 s18, 0, v16
	s_delay_alu instid0(VALU_DEP_2)
	v_cmp_eq_u32_e64 s17, 0, v69
	s_and_b32 s18, s18, s17
	s_wait_alu 0xfffe
	s_and_saveexec_b32 s17, s18
	s_cbranch_execz .LBB160_113
; %bb.112:
	s_wait_dscnt 0x0
	v_bcnt_u32_b32 v16, v16, v68
	ds_store_b32 v70, v16 offset:64
.LBB160_113:
	s_wait_alu 0xfffe
	s_or_b32 exec_lo, exec_lo, s17
	v_lshrrev_b16 v16, 8, v29
	; wave barrier
	s_delay_alu instid0(VALU_DEP_1) | instskip(NEXT) | instid1(VALU_DEP_1)
	v_and_b32_e32 v16, s19, v16
	v_and_b32_e32 v17, 1, v16
	v_lshlrev_b32_e32 v18, 30, v16
	v_lshlrev_b32_e32 v19, 29, v16
	;; [unrolled: 1-line block ×4, first 2 shown]
	v_add_co_u32 v17, s17, v17, -1
	s_wait_alu 0xf1ff
	v_cndmask_b32_e64 v21, 0, 1, s17
	v_not_b32_e32 v72, v18
	v_cmp_gt_i32_e64 s18, 0, v18
	v_not_b32_e32 v18, v19
	v_lshlrev_b32_e32 v23, 26, v16
	v_cmp_ne_u32_e64 s17, 0, v21
	v_ashrrev_i32_e32 v72, 31, v72
	v_lshlrev_b32_e32 v71, 25, v16
	v_ashrrev_i32_e32 v18, 31, v18
	v_lshlrev_b32_e32 v21, 24, v16
	s_wait_alu 0xf1ff
	v_xor_b32_e32 v17, s17, v17
	v_cmp_gt_i32_e64 s17, 0, v19
	v_not_b32_e32 v19, v20
	v_xor_b32_e32 v72, s18, v72
	v_cmp_gt_i32_e64 s18, 0, v20
	v_and_b32_e32 v17, exec_lo, v17
	v_not_b32_e32 v20, v22
	v_ashrrev_i32_e32 v19, 31, v19
	s_wait_alu 0xf1ff
	v_xor_b32_e32 v18, s17, v18
	v_cmp_gt_i32_e64 s17, 0, v22
	v_and_b32_e32 v17, v17, v72
	v_not_b32_e32 v22, v23
	v_ashrrev_i32_e32 v20, 31, v20
	v_xor_b32_e32 v19, s18, v19
	v_cmp_gt_i32_e64 s18, 0, v23
	v_and_b32_e32 v17, v17, v18
	v_not_b32_e32 v18, v71
	v_ashrrev_i32_e32 v22, 31, v22
	s_wait_alu 0xf1ff
	v_xor_b32_e32 v20, s17, v20
	v_cmp_gt_i32_e64 s17, 0, v71
	v_and_b32_e32 v17, v17, v19
	v_not_b32_e32 v19, v21
	v_ashrrev_i32_e32 v18, 31, v18
	v_xor_b32_e32 v22, s18, v22
	v_cmp_gt_i32_e64 s18, 0, v21
	v_and_b32_e32 v17, v17, v20
	v_ashrrev_i32_e32 v19, 31, v19
	s_wait_alu 0xf1ff
	v_xor_b32_e32 v18, s17, v18
	v_lshl_add_u32 v73, v16, 6, v24
	v_and_b32_e32 v17, v17, v22
	v_xor_b32_e32 v16, s18, v19
	ds_load_b32 v71, v73 offset:64
	v_and_b32_e32 v17, v17, v18
	; wave barrier
	s_delay_alu instid0(VALU_DEP_1) | instskip(NEXT) | instid1(VALU_DEP_1)
	v_and_b32_e32 v16, v17, v16
	v_mbcnt_lo_u32_b32 v72, v16, 0
	v_cmp_ne_u32_e64 s18, 0, v16
	s_delay_alu instid0(VALU_DEP_2)
	v_cmp_eq_u32_e64 s17, 0, v72
	s_and_b32 s18, s18, s17
	s_wait_alu 0xfffe
	s_and_saveexec_b32 s17, s18
	s_cbranch_execz .LBB160_115
; %bb.114:
	s_wait_dscnt 0x0
	v_bcnt_u32_b32 v16, v16, v71
	ds_store_b32 v73, v16 offset:64
.LBB160_115:
	s_wait_alu 0xfffe
	s_or_b32 exec_lo, exec_lo, s17
	v_lshrrev_b16 v16, 8, v30
	; wave barrier
	s_delay_alu instid0(VALU_DEP_1) | instskip(NEXT) | instid1(VALU_DEP_1)
	v_and_b32_e32 v16, s19, v16
	v_and_b32_e32 v17, 1, v16
	v_lshlrev_b32_e32 v18, 30, v16
	v_lshlrev_b32_e32 v19, 29, v16
	;; [unrolled: 1-line block ×4, first 2 shown]
	v_add_co_u32 v17, s17, v17, -1
	s_wait_alu 0xf1ff
	v_cndmask_b32_e64 v21, 0, 1, s17
	v_not_b32_e32 v75, v18
	v_cmp_gt_i32_e64 s18, 0, v18
	v_not_b32_e32 v18, v19
	v_lshlrev_b32_e32 v23, 26, v16
	v_cmp_ne_u32_e64 s17, 0, v21
	v_ashrrev_i32_e32 v75, 31, v75
	v_lshlrev_b32_e32 v74, 25, v16
	v_ashrrev_i32_e32 v18, 31, v18
	v_lshlrev_b32_e32 v21, 24, v16
	s_wait_alu 0xf1ff
	v_xor_b32_e32 v17, s17, v17
	v_cmp_gt_i32_e64 s17, 0, v19
	v_not_b32_e32 v19, v20
	v_xor_b32_e32 v75, s18, v75
	v_cmp_gt_i32_e64 s18, 0, v20
	v_and_b32_e32 v17, exec_lo, v17
	v_not_b32_e32 v20, v22
	v_ashrrev_i32_e32 v19, 31, v19
	s_wait_alu 0xf1ff
	v_xor_b32_e32 v18, s17, v18
	v_cmp_gt_i32_e64 s17, 0, v22
	v_and_b32_e32 v17, v17, v75
	v_not_b32_e32 v22, v23
	v_ashrrev_i32_e32 v20, 31, v20
	v_xor_b32_e32 v19, s18, v19
	v_cmp_gt_i32_e64 s18, 0, v23
	v_and_b32_e32 v17, v17, v18
	v_not_b32_e32 v18, v74
	v_ashrrev_i32_e32 v22, 31, v22
	s_wait_alu 0xf1ff
	v_xor_b32_e32 v20, s17, v20
	v_cmp_gt_i32_e64 s17, 0, v74
	v_and_b32_e32 v17, v17, v19
	v_not_b32_e32 v19, v21
	v_ashrrev_i32_e32 v18, 31, v18
	v_xor_b32_e32 v22, s18, v22
	v_cmp_gt_i32_e64 s18, 0, v21
	v_and_b32_e32 v17, v17, v20
	v_ashrrev_i32_e32 v19, 31, v19
	s_wait_alu 0xf1ff
	v_xor_b32_e32 v18, s17, v18
	v_lshl_add_u32 v76, v16, 6, v24
	v_and_b32_e32 v17, v17, v22
	v_xor_b32_e32 v16, s18, v19
	ds_load_b32 v74, v76 offset:64
	v_and_b32_e32 v17, v17, v18
	; wave barrier
	s_delay_alu instid0(VALU_DEP_1) | instskip(NEXT) | instid1(VALU_DEP_1)
	v_and_b32_e32 v16, v17, v16
	v_mbcnt_lo_u32_b32 v75, v16, 0
	v_cmp_ne_u32_e64 s18, 0, v16
	s_delay_alu instid0(VALU_DEP_2)
	v_cmp_eq_u32_e64 s17, 0, v75
	s_and_b32 s18, s18, s17
	s_wait_alu 0xfffe
	s_and_saveexec_b32 s17, s18
	s_cbranch_execz .LBB160_117
; %bb.116:
	s_wait_dscnt 0x0
	v_bcnt_u32_b32 v16, v16, v74
	ds_store_b32 v76, v16 offset:64
.LBB160_117:
	s_wait_alu 0xfffe
	s_or_b32 exec_lo, exec_lo, s17
	v_lshrrev_b16 v16, 8, v31
	; wave barrier
	s_delay_alu instid0(VALU_DEP_1) | instskip(NEXT) | instid1(VALU_DEP_1)
	v_and_b32_e32 v16, s19, v16
	v_and_b32_e32 v17, 1, v16
	v_lshlrev_b32_e32 v18, 30, v16
	v_lshlrev_b32_e32 v19, 29, v16
	;; [unrolled: 1-line block ×4, first 2 shown]
	v_add_co_u32 v17, s17, v17, -1
	s_wait_alu 0xf1ff
	v_cndmask_b32_e64 v21, 0, 1, s17
	v_not_b32_e32 v78, v18
	v_cmp_gt_i32_e64 s18, 0, v18
	v_not_b32_e32 v18, v19
	v_lshlrev_b32_e32 v23, 26, v16
	v_cmp_ne_u32_e64 s17, 0, v21
	v_ashrrev_i32_e32 v78, 31, v78
	v_lshlrev_b32_e32 v77, 25, v16
	v_ashrrev_i32_e32 v18, 31, v18
	v_lshlrev_b32_e32 v21, 24, v16
	s_wait_alu 0xf1ff
	v_xor_b32_e32 v17, s17, v17
	v_cmp_gt_i32_e64 s17, 0, v19
	v_not_b32_e32 v19, v20
	v_xor_b32_e32 v78, s18, v78
	v_cmp_gt_i32_e64 s18, 0, v20
	v_and_b32_e32 v17, exec_lo, v17
	v_not_b32_e32 v20, v22
	v_ashrrev_i32_e32 v19, 31, v19
	s_wait_alu 0xf1ff
	v_xor_b32_e32 v18, s17, v18
	v_cmp_gt_i32_e64 s17, 0, v22
	v_and_b32_e32 v17, v17, v78
	v_not_b32_e32 v22, v23
	v_ashrrev_i32_e32 v20, 31, v20
	v_xor_b32_e32 v19, s18, v19
	v_cmp_gt_i32_e64 s18, 0, v23
	v_and_b32_e32 v17, v17, v18
	v_not_b32_e32 v18, v77
	v_ashrrev_i32_e32 v22, 31, v22
	s_wait_alu 0xf1ff
	v_xor_b32_e32 v20, s17, v20
	v_cmp_gt_i32_e64 s17, 0, v77
	v_and_b32_e32 v17, v17, v19
	v_not_b32_e32 v19, v21
	v_ashrrev_i32_e32 v18, 31, v18
	v_xor_b32_e32 v22, s18, v22
	v_cmp_gt_i32_e64 s18, 0, v21
	v_and_b32_e32 v17, v17, v20
	v_ashrrev_i32_e32 v19, 31, v19
	s_wait_alu 0xf1ff
	v_xor_b32_e32 v18, s17, v18
	v_lshl_add_u32 v79, v16, 6, v24
	v_and_b32_e32 v17, v17, v22
	v_xor_b32_e32 v16, s18, v19
	ds_load_b32 v77, v79 offset:64
	v_and_b32_e32 v17, v17, v18
	; wave barrier
	s_delay_alu instid0(VALU_DEP_1) | instskip(NEXT) | instid1(VALU_DEP_1)
	v_and_b32_e32 v16, v17, v16
	v_mbcnt_lo_u32_b32 v78, v16, 0
	v_cmp_ne_u32_e64 s18, 0, v16
	s_delay_alu instid0(VALU_DEP_2)
	v_cmp_eq_u32_e64 s17, 0, v78
	s_and_b32 s18, s18, s17
	s_wait_alu 0xfffe
	s_and_saveexec_b32 s17, s18
	s_cbranch_execz .LBB160_119
; %bb.118:
	s_wait_dscnt 0x0
	v_bcnt_u32_b32 v16, v16, v77
	ds_store_b32 v79, v16 offset:64
.LBB160_119:
	s_wait_alu 0xfffe
	s_or_b32 exec_lo, exec_lo, s17
	v_lshrrev_b16 v16, 8, v32
	; wave barrier
	s_delay_alu instid0(VALU_DEP_1) | instskip(NEXT) | instid1(VALU_DEP_1)
	v_and_b32_e32 v16, s19, v16
	v_and_b32_e32 v17, 1, v16
	v_lshlrev_b32_e32 v18, 30, v16
	v_lshlrev_b32_e32 v19, 29, v16
	;; [unrolled: 1-line block ×4, first 2 shown]
	v_add_co_u32 v17, s17, v17, -1
	s_wait_alu 0xf1ff
	v_cndmask_b32_e64 v21, 0, 1, s17
	v_not_b32_e32 v81, v18
	v_cmp_gt_i32_e64 s18, 0, v18
	v_not_b32_e32 v18, v19
	v_lshlrev_b32_e32 v23, 26, v16
	v_cmp_ne_u32_e64 s17, 0, v21
	v_ashrrev_i32_e32 v81, 31, v81
	v_lshlrev_b32_e32 v80, 25, v16
	v_ashrrev_i32_e32 v18, 31, v18
	v_lshlrev_b32_e32 v21, 24, v16
	s_wait_alu 0xf1ff
	v_xor_b32_e32 v17, s17, v17
	v_cmp_gt_i32_e64 s17, 0, v19
	v_not_b32_e32 v19, v20
	v_xor_b32_e32 v81, s18, v81
	v_cmp_gt_i32_e64 s18, 0, v20
	v_and_b32_e32 v17, exec_lo, v17
	v_not_b32_e32 v20, v22
	v_ashrrev_i32_e32 v19, 31, v19
	s_wait_alu 0xf1ff
	v_xor_b32_e32 v18, s17, v18
	v_cmp_gt_i32_e64 s17, 0, v22
	v_and_b32_e32 v17, v17, v81
	v_not_b32_e32 v22, v23
	v_ashrrev_i32_e32 v20, 31, v20
	v_xor_b32_e32 v19, s18, v19
	v_cmp_gt_i32_e64 s18, 0, v23
	v_and_b32_e32 v17, v17, v18
	v_not_b32_e32 v18, v80
	v_ashrrev_i32_e32 v22, 31, v22
	s_wait_alu 0xf1ff
	v_xor_b32_e32 v20, s17, v20
	v_cmp_gt_i32_e64 s17, 0, v80
	v_and_b32_e32 v17, v17, v19
	v_not_b32_e32 v19, v21
	v_ashrrev_i32_e32 v18, 31, v18
	v_xor_b32_e32 v22, s18, v22
	v_cmp_gt_i32_e64 s18, 0, v21
	v_and_b32_e32 v17, v17, v20
	v_ashrrev_i32_e32 v19, 31, v19
	s_wait_alu 0xf1ff
	v_xor_b32_e32 v18, s17, v18
	v_lshl_add_u32 v81, v16, 6, v24
	v_and_b32_e32 v17, v17, v22
	v_xor_b32_e32 v16, s18, v19
	ds_load_b32 v24, v81 offset:64
	v_and_b32_e32 v17, v17, v18
	; wave barrier
	s_delay_alu instid0(VALU_DEP_1) | instskip(NEXT) | instid1(VALU_DEP_1)
	v_and_b32_e32 v16, v17, v16
	v_mbcnt_lo_u32_b32 v80, v16, 0
	v_cmp_ne_u32_e64 s18, 0, v16
	s_delay_alu instid0(VALU_DEP_2)
	v_cmp_eq_u32_e64 s17, 0, v80
	s_and_b32 s18, s18, s17
	s_wait_alu 0xfffe
	s_and_saveexec_b32 s17, s18
	s_cbranch_execz .LBB160_121
; %bb.120:
	s_wait_dscnt 0x0
	v_bcnt_u32_b32 v16, v16, v24
	ds_store_b32 v81, v16 offset:64
.LBB160_121:
	s_wait_alu 0xfffe
	s_or_b32 exec_lo, exec_lo, s17
	; wave barrier
	s_wait_loadcnt_dscnt 0x0
	s_barrier_signal -1
	s_barrier_wait -1
	global_inv scope:SCOPE_SE
	ds_load_b128 v[20:23], v67 offset:64
	ds_load_b128 v[16:19], v67 offset:80
	s_wait_dscnt 0x1
	v_add_nc_u32_e32 v82, v21, v20
	s_delay_alu instid0(VALU_DEP_1) | instskip(SKIP_1) | instid1(VALU_DEP_1)
	v_add3_u32 v82, v82, v22, v23
	s_wait_dscnt 0x0
	v_add3_u32 v82, v82, v16, v17
	s_delay_alu instid0(VALU_DEP_1) | instskip(NEXT) | instid1(VALU_DEP_1)
	v_add3_u32 v19, v82, v18, v19
	v_mov_b32_dpp v82, v19 row_shr:1 row_mask:0xf bank_mask:0xf
	s_delay_alu instid0(VALU_DEP_1) | instskip(NEXT) | instid1(VALU_DEP_1)
	v_cndmask_b32_e64 v82, v82, 0, vcc_lo
	v_add_nc_u32_e32 v19, v82, v19
	s_delay_alu instid0(VALU_DEP_1) | instskip(NEXT) | instid1(VALU_DEP_1)
	v_mov_b32_dpp v82, v19 row_shr:2 row_mask:0xf bank_mask:0xf
	v_cndmask_b32_e64 v82, 0, v82, s8
	s_delay_alu instid0(VALU_DEP_1) | instskip(NEXT) | instid1(VALU_DEP_1)
	v_add_nc_u32_e32 v19, v19, v82
	v_mov_b32_dpp v82, v19 row_shr:4 row_mask:0xf bank_mask:0xf
	s_delay_alu instid0(VALU_DEP_1) | instskip(NEXT) | instid1(VALU_DEP_1)
	v_cndmask_b32_e64 v82, 0, v82, s9
	v_add_nc_u32_e32 v19, v19, v82
	s_delay_alu instid0(VALU_DEP_1) | instskip(NEXT) | instid1(VALU_DEP_1)
	v_mov_b32_dpp v82, v19 row_shr:8 row_mask:0xf bank_mask:0xf
	v_cndmask_b32_e64 v82, 0, v82, s10
	s_delay_alu instid0(VALU_DEP_1) | instskip(SKIP_3) | instid1(VALU_DEP_1)
	v_add_nc_u32_e32 v19, v19, v82
	ds_swizzle_b32 v82, v19 offset:swizzle(BROADCAST,32,15)
	s_wait_dscnt 0x0
	v_cndmask_b32_e64 v82, v82, 0, s15
	v_add_nc_u32_e32 v19, v19, v82
	s_and_saveexec_b32 s15, s13
; %bb.122:
	ds_store_b32 v34, v19
; %bb.123:
	s_wait_alu 0xfffe
	s_or_b32 exec_lo, exec_lo, s15
	s_wait_loadcnt_dscnt 0x0
	s_barrier_signal -1
	s_barrier_wait -1
	global_inv scope:SCOPE_SE
	s_and_saveexec_b32 s13, s12
	s_cbranch_execz .LBB160_125
; %bb.124:
	ds_load_b32 v34, v33
	s_wait_dscnt 0x0
	v_mov_b32_dpp v82, v34 row_shr:1 row_mask:0xf bank_mask:0xf
	s_delay_alu instid0(VALU_DEP_1) | instskip(NEXT) | instid1(VALU_DEP_1)
	v_cndmask_b32_e64 v82, v82, 0, vcc_lo
	v_add_nc_u32_e32 v34, v82, v34
	s_delay_alu instid0(VALU_DEP_1) | instskip(NEXT) | instid1(VALU_DEP_1)
	v_mov_b32_dpp v82, v34 row_shr:2 row_mask:0xf bank_mask:0xf
	v_cndmask_b32_e64 v82, 0, v82, s8
	s_delay_alu instid0(VALU_DEP_1) | instskip(NEXT) | instid1(VALU_DEP_1)
	v_add_nc_u32_e32 v34, v34, v82
	v_mov_b32_dpp v82, v34 row_shr:4 row_mask:0xf bank_mask:0xf
	s_delay_alu instid0(VALU_DEP_1) | instskip(NEXT) | instid1(VALU_DEP_1)
	v_cndmask_b32_e64 v82, 0, v82, s9
	v_add_nc_u32_e32 v34, v34, v82
	s_delay_alu instid0(VALU_DEP_1) | instskip(NEXT) | instid1(VALU_DEP_1)
	v_mov_b32_dpp v82, v34 row_shr:8 row_mask:0xf bank_mask:0xf
	v_cndmask_b32_e64 v82, 0, v82, s10
	s_delay_alu instid0(VALU_DEP_1)
	v_add_nc_u32_e32 v34, v34, v82
	ds_store_b32 v33, v34
.LBB160_125:
	s_wait_alu 0xfffe
	s_or_b32 exec_lo, exec_lo, s13
	v_mov_b32_e32 v33, 0
	s_wait_loadcnt_dscnt 0x0
	s_barrier_signal -1
	s_barrier_wait -1
	global_inv scope:SCOPE_SE
	s_and_saveexec_b32 s8, s14
; %bb.126:
	ds_load_b32 v33, v35
; %bb.127:
	s_wait_alu 0xfffe
	s_or_b32 exec_lo, exec_lo, s8
	s_wait_dscnt 0x0
	v_add_nc_u32_e32 v19, v33, v19
	ds_bpermute_b32 v19, v36, v19
	s_wait_dscnt 0x0
	v_cndmask_b32_e64 v19, v19, v33, s11
	s_delay_alu instid0(VALU_DEP_1) | instskip(NEXT) | instid1(VALU_DEP_1)
	v_cndmask_b32_e64 v19, v19, 0, s16
	v_add_nc_u32_e32 v20, v19, v20
	s_delay_alu instid0(VALU_DEP_1) | instskip(NEXT) | instid1(VALU_DEP_1)
	v_add_nc_u32_e32 v21, v20, v21
	v_add_nc_u32_e32 v22, v21, v22
	s_delay_alu instid0(VALU_DEP_1) | instskip(NEXT) | instid1(VALU_DEP_1)
	v_add_nc_u32_e32 v33, v22, v23
	v_add_nc_u32_e32 v34, v33, v16
	s_delay_alu instid0(VALU_DEP_1) | instskip(NEXT) | instid1(VALU_DEP_1)
	v_add_nc_u32_e32 v35, v34, v17
	v_add_nc_u32_e32 v36, v35, v18
	ds_store_b128 v67, v[19:22] offset:64
	ds_store_b128 v67, v[33:36] offset:80
	s_wait_loadcnt_dscnt 0x0
	s_barrier_signal -1
	s_barrier_wait -1
	global_inv scope:SCOPE_SE
	ds_load_b32 v16, v81 offset:64
	ds_load_b32 v17, v79 offset:64
	ds_load_b32 v18, v76 offset:64
	ds_load_b32 v19, v38 offset:64
	ds_load_b32 v20, v47 offset:64
	ds_load_b32 v21, v50 offset:64
	ds_load_b32 v22, v70 offset:64
	ds_load_b32 v23, v73 offset:64
	v_lshlrev_b32_e32 v33, 1, v66
	s_wait_loadcnt_dscnt 0x0
	s_barrier_signal -1
	s_barrier_wait -1
	global_inv scope:SCOPE_SE
	v_mad_u32_u24 v38, v46, 48, v33
	v_add3_u32 v34, v80, v24, v16
	v_add3_u32 v35, v78, v77, v17
	;; [unrolled: 1-line block ×3, first 2 shown]
	v_add_nc_u32_e32 v24, v19, v37
	v_add3_u32 v37, v40, v39, v20
	v_add3_u32 v39, v49, v48, v21
	;; [unrolled: 1-line block ×4, first 2 shown]
	v_lshlrev_b32_e32 v16, 1, v24
	v_lshlrev_b32_e32 v17, 1, v37
	;; [unrolled: 1-line block ×8, first 2 shown]
	ds_store_b16 v16, v25
	ds_store_b16 v17, v26
	;; [unrolled: 1-line block ×8, first 2 shown]
	v_mad_co_u64_u32 v[24:25], null, v24, 6, v[16:17]
	v_mad_co_u64_u32 v[16:17], null, v37, 6, v[17:18]
	;; [unrolled: 1-line block ×8, first 2 shown]
	s_wait_loadcnt_dscnt 0x0
	s_barrier_signal -1
	s_barrier_wait -1
	global_inv scope:SCOPE_SE
	ds_load_b128 v[33:36], v33
	s_wait_loadcnt_dscnt 0x0
	s_barrier_signal -1
	s_barrier_wait -1
	global_inv scope:SCOPE_SE
	ds_store_b64 v24, v[4:5]
	ds_store_b64 v16, v[6:7]
	;; [unrolled: 1-line block ×8, first 2 shown]
	s_wait_loadcnt_dscnt 0x0
	s_barrier_signal -1
	s_barrier_wait -1
	global_inv scope:SCOPE_SE
	ds_load_b128 v[29:32], v38
	ds_load_b128 v[25:28], v38 offset:16
	ds_load_b128 v[21:24], v38 offset:32
	;; [unrolled: 1-line block ×3, first 2 shown]
	v_xor_b32_e32 v0, 0x7fff7fff, v33
	v_xor_b32_e32 v34, 0x7fff7fff, v34
	;; [unrolled: 1-line block ×4, first 2 shown]
.LBB160_128:
	s_wait_loadcnt_dscnt 0x0
	s_barrier_signal -1
	s_barrier_wait -1
	global_inv scope:SCOPE_SE
	ds_store_2addr_b32 v58, v0, v34 offset1:1
	ds_store_2addr_b32 v58, v33, v35 offset0:2 offset1:3
	s_wait_loadcnt_dscnt 0x0
	s_barrier_signal -1
	s_barrier_wait -1
	global_inv scope:SCOPE_SE
	ds_load_u16 v8, v45 offset:1024
	ds_load_u16 v7, v52 offset:2048
	;; [unrolled: 1-line block ×7, first 2 shown]
	v_mov_b32_e32 v45, 0
	s_delay_alu instid0(VALU_DEP_1) | instskip(NEXT) | instid1(VALU_DEP_1)
	v_lshlrev_b64_e32 v[0:1], 1, v[44:45]
	v_add_co_u32 v0, vcc_lo, s30, v0
	s_wait_alu 0xfffd
	s_delay_alu instid0(VALU_DEP_2)
	v_add_co_ci_u32_e64 v1, null, s31, v1, vcc_lo
	s_and_saveexec_b32 s8, s0
	s_cbranch_execnz .LBB160_147
; %bb.129:
	s_wait_alu 0xfffe
	s_or_b32 exec_lo, exec_lo, s8
	s_and_saveexec_b32 s8, s1
	s_cbranch_execnz .LBB160_148
.LBB160_130:
	s_wait_alu 0xfffe
	s_or_b32 exec_lo, exec_lo, s8
	s_and_saveexec_b32 s8, s2
	s_cbranch_execnz .LBB160_149
.LBB160_131:
	s_wait_alu 0xfffe
	s_or_b32 exec_lo, exec_lo, s8
	s_and_saveexec_b32 s8, s3
	s_cbranch_execnz .LBB160_150
.LBB160_132:
	s_wait_alu 0xfffe
	s_or_b32 exec_lo, exec_lo, s8
	s_and_saveexec_b32 s8, s4
	s_cbranch_execnz .LBB160_151
.LBB160_133:
	s_wait_alu 0xfffe
	s_or_b32 exec_lo, exec_lo, s8
	s_and_saveexec_b32 s8, s5
	s_cbranch_execnz .LBB160_152
.LBB160_134:
	s_wait_alu 0xfffe
	s_or_b32 exec_lo, exec_lo, s8
	s_and_saveexec_b32 s8, s6
	s_cbranch_execnz .LBB160_153
.LBB160_135:
	s_wait_alu 0xfffe
	s_or_b32 exec_lo, exec_lo, s8
	s_and_saveexec_b32 s8, s7
	s_cbranch_execz .LBB160_137
.LBB160_136:
	s_mul_i32 s10, s26, 0xe00
	s_mov_b32 s11, 0
	s_wait_alu 0xfffe
	s_lshl_b64 s[10:11], s[10:11], 1
	s_wait_alu 0xfffe
	v_add_co_u32 v0, vcc_lo, v0, s10
	s_wait_alu 0xfffd
	v_add_co_ci_u32_e64 v1, null, s11, v1, vcc_lo
	s_wait_dscnt 0x0
	global_store_b16 v[0:1], v2, off
.LBB160_137:
	s_wait_alu 0xfffe
	s_or_b32 exec_lo, exec_lo, s8
	s_wait_storecnt 0x0
	s_wait_loadcnt_dscnt 0x0
	s_barrier_signal -1
	s_barrier_wait -1
	global_inv scope:SCOPE_SE
	ds_store_2addr_b64 v65, v[29:30], v[31:32] offset1:1
	ds_store_2addr_b64 v65, v[25:26], v[27:28] offset0:2 offset1:3
	ds_store_2addr_b64 v65, v[21:22], v[23:24] offset0:4 offset1:5
	;; [unrolled: 1-line block ×3, first 2 shown]
	s_wait_loadcnt_dscnt 0x0
	s_barrier_signal -1
	s_barrier_wait -1
	global_inv scope:SCOPE_SE
	ds_load_b64 v[14:15], v60 offset:4096
	ds_load_b64 v[12:13], v61 offset:8192
	ds_load_b64 v[10:11], v62 offset:12288
	ds_load_b64 v[8:9], v42 offset:16384
	ds_load_b64 v[6:7], v43 offset:20480
	ds_load_b64 v[4:5], v63 offset:24576
	ds_load_b64 v[0:1], v64 offset:28672
	v_mov_b32_e32 v42, 0
	s_delay_alu instid0(VALU_DEP_1) | instskip(NEXT) | instid1(VALU_DEP_1)
	v_lshlrev_b64_e32 v[2:3], 3, v[41:42]
	v_add_co_u32 v2, vcc_lo, s24, v2
	s_wait_alu 0xfffd
	s_delay_alu instid0(VALU_DEP_2)
	v_add_co_ci_u32_e64 v3, null, s25, v3, vcc_lo
	s_and_saveexec_b32 s8, s0
	s_cbranch_execnz .LBB160_154
; %bb.138:
	s_wait_alu 0xfffe
	s_or_b32 exec_lo, exec_lo, s8
	s_and_saveexec_b32 s0, s1
	s_cbranch_execnz .LBB160_155
.LBB160_139:
	s_wait_alu 0xfffe
	s_or_b32 exec_lo, exec_lo, s0
	s_and_saveexec_b32 s0, s2
	s_cbranch_execnz .LBB160_156
.LBB160_140:
	s_wait_alu 0xfffe
	s_or_b32 exec_lo, exec_lo, s0
	s_and_saveexec_b32 s0, s3
	s_cbranch_execnz .LBB160_157
.LBB160_141:
	s_wait_alu 0xfffe
	s_or_b32 exec_lo, exec_lo, s0
	s_and_saveexec_b32 s0, s4
	s_cbranch_execnz .LBB160_158
.LBB160_142:
	s_wait_alu 0xfffe
	s_or_b32 exec_lo, exec_lo, s0
	s_and_saveexec_b32 s0, s5
	s_cbranch_execnz .LBB160_159
.LBB160_143:
	s_wait_alu 0xfffe
	s_or_b32 exec_lo, exec_lo, s0
	s_and_saveexec_b32 s0, s6
	s_cbranch_execnz .LBB160_160
.LBB160_144:
	s_wait_alu 0xfffe
	s_or_b32 exec_lo, exec_lo, s0
	s_and_saveexec_b32 s0, s7
	s_cbranch_execz .LBB160_146
.LBB160_145:
	s_mul_i32 s0, s28, 0xe00
	s_mov_b32 s1, 0
	s_wait_alu 0xfffe
	s_lshl_b64 s[0:1], s[0:1], 3
	s_wait_alu 0xfffe
	v_add_co_u32 v2, vcc_lo, v2, s0
	s_wait_alu 0xfffd
	v_add_co_ci_u32_e64 v3, null, s1, v3, vcc_lo
	s_wait_dscnt 0x0
	global_store_b64 v[2:3], v[0:1], off
.LBB160_146:
	s_nop 0
	s_sendmsg sendmsg(MSG_DEALLOC_VGPRS)
	s_endpgm
.LBB160_147:
	ds_load_u16 v9, v51
	s_wait_dscnt 0x0
	global_store_b16 v[0:1], v9, off
	s_wait_alu 0xfffe
	s_or_b32 exec_lo, exec_lo, s8
	s_and_saveexec_b32 s8, s1
	s_cbranch_execz .LBB160_130
.LBB160_148:
	s_lshl_b32 s10, s26, 9
	s_mov_b32 s11, 0
	s_wait_alu 0xfffe
	s_lshl_b64 s[10:11], s[10:11], 1
	s_wait_alu 0xfffe
	v_add_co_u32 v9, vcc_lo, v0, s10
	s_wait_alu 0xfffd
	v_add_co_ci_u32_e64 v10, null, s11, v1, vcc_lo
	s_wait_dscnt 0x6
	global_store_b16 v[9:10], v8, off
	s_or_b32 exec_lo, exec_lo, s8
	s_and_saveexec_b32 s8, s2
	s_cbranch_execz .LBB160_131
.LBB160_149:
	s_lshl_b32 s10, s26, 10
	s_mov_b32 s11, 0
	s_wait_alu 0xfffe
	s_lshl_b64 s[10:11], s[10:11], 1
	s_wait_dscnt 0x6
	s_wait_alu 0xfffe
	v_add_co_u32 v8, vcc_lo, v0, s10
	s_wait_alu 0xfffd
	v_add_co_ci_u32_e64 v9, null, s11, v1, vcc_lo
	s_wait_dscnt 0x5
	global_store_b16 v[8:9], v7, off
	s_or_b32 exec_lo, exec_lo, s8
	s_and_saveexec_b32 s8, s3
	s_cbranch_execz .LBB160_132
.LBB160_150:
	s_mul_i32 s10, s26, 0x600
	s_mov_b32 s11, 0
	s_wait_alu 0xfffe
	s_lshl_b64 s[10:11], s[10:11], 1
	s_wait_dscnt 0x5
	s_wait_alu 0xfffe
	v_add_co_u32 v7, vcc_lo, v0, s10
	s_wait_alu 0xfffd
	v_add_co_ci_u32_e64 v8, null, s11, v1, vcc_lo
	s_wait_dscnt 0x4
	global_store_b16 v[7:8], v6, off
	s_or_b32 exec_lo, exec_lo, s8
	s_and_saveexec_b32 s8, s4
	s_cbranch_execz .LBB160_133
.LBB160_151:
	s_lshl_b32 s10, s26, 11
	s_mov_b32 s11, 0
	s_wait_alu 0xfffe
	s_lshl_b64 s[10:11], s[10:11], 1
	s_wait_dscnt 0x4
	s_wait_alu 0xfffe
	v_add_co_u32 v6, vcc_lo, v0, s10
	s_wait_alu 0xfffd
	v_add_co_ci_u32_e64 v7, null, s11, v1, vcc_lo
	s_wait_dscnt 0x3
	global_store_b16 v[6:7], v5, off
	s_or_b32 exec_lo, exec_lo, s8
	s_and_saveexec_b32 s8, s5
	s_cbranch_execz .LBB160_134
.LBB160_152:
	s_mul_i32 s10, s26, 0xa00
	s_mov_b32 s11, 0
	s_wait_alu 0xfffe
	s_lshl_b64 s[10:11], s[10:11], 1
	s_wait_dscnt 0x3
	s_wait_alu 0xfffe
	v_add_co_u32 v5, vcc_lo, v0, s10
	s_wait_alu 0xfffd
	v_add_co_ci_u32_e64 v6, null, s11, v1, vcc_lo
	s_wait_dscnt 0x2
	global_store_b16 v[5:6], v4, off
	s_or_b32 exec_lo, exec_lo, s8
	s_and_saveexec_b32 s8, s6
	s_cbranch_execz .LBB160_135
.LBB160_153:
	s_mul_i32 s10, s26, 0xc00
	s_mov_b32 s11, 0
	s_wait_alu 0xfffe
	s_lshl_b64 s[10:11], s[10:11], 1
	s_wait_dscnt 0x2
	s_wait_alu 0xfffe
	v_add_co_u32 v4, vcc_lo, v0, s10
	s_wait_alu 0xfffd
	v_add_co_ci_u32_e64 v5, null, s11, v1, vcc_lo
	s_wait_dscnt 0x1
	global_store_b16 v[4:5], v3, off
	s_or_b32 exec_lo, exec_lo, s8
	s_and_saveexec_b32 s8, s7
	s_cbranch_execnz .LBB160_136
	s_branch .LBB160_137
.LBB160_154:
	ds_load_b64 v[16:17], v59
	s_wait_dscnt 0x0
	global_store_b64 v[2:3], v[16:17], off
	s_wait_alu 0xfffe
	s_or_b32 exec_lo, exec_lo, s8
	s_and_saveexec_b32 s0, s1
	s_cbranch_execz .LBB160_139
.LBB160_155:
	s_lshl_b32 s8, s28, 9
	s_mov_b32 s9, 0
	s_wait_alu 0xfffe
	s_lshl_b64 s[8:9], s[8:9], 3
	s_wait_alu 0xfffe
	v_add_co_u32 v16, vcc_lo, v2, s8
	s_wait_alu 0xfffd
	v_add_co_ci_u32_e64 v17, null, s9, v3, vcc_lo
	s_wait_dscnt 0x6
	global_store_b64 v[16:17], v[14:15], off
	s_or_b32 exec_lo, exec_lo, s0
	s_and_saveexec_b32 s0, s2
	s_cbranch_execz .LBB160_140
.LBB160_156:
	s_lshl_b32 s8, s28, 10
	s_mov_b32 s9, 0
	s_wait_alu 0xfffe
	s_lshl_b64 s[8:9], s[8:9], 3
	s_wait_dscnt 0x6
	s_wait_alu 0xfffe
	v_add_co_u32 v14, vcc_lo, v2, s8
	s_wait_alu 0xfffd
	v_add_co_ci_u32_e64 v15, null, s9, v3, vcc_lo
	s_wait_dscnt 0x5
	global_store_b64 v[14:15], v[12:13], off
	s_or_b32 exec_lo, exec_lo, s0
	s_and_saveexec_b32 s0, s3
	s_cbranch_execz .LBB160_141
.LBB160_157:
	s_mul_i32 s2, s28, 0x600
	s_mov_b32 s3, 0
	s_delay_alu instid0(SALU_CYCLE_1)
	s_lshl_b64 s[2:3], s[2:3], 3
	s_wait_dscnt 0x5
	v_add_co_u32 v12, vcc_lo, v2, s2
	s_wait_alu 0xfffd
	v_add_co_ci_u32_e64 v13, null, s3, v3, vcc_lo
	s_wait_dscnt 0x4
	global_store_b64 v[12:13], v[10:11], off
	s_wait_alu 0xfffe
	s_or_b32 exec_lo, exec_lo, s0
	s_and_saveexec_b32 s0, s4
	s_cbranch_execz .LBB160_142
.LBB160_158:
	s_lshl_b32 s2, s28, 11
	s_mov_b32 s3, 0
	s_wait_alu 0xfffe
	s_lshl_b64 s[2:3], s[2:3], 3
	s_wait_dscnt 0x4
	s_wait_alu 0xfffe
	v_add_co_u32 v10, vcc_lo, v2, s2
	s_wait_alu 0xfffd
	v_add_co_ci_u32_e64 v11, null, s3, v3, vcc_lo
	s_wait_dscnt 0x3
	global_store_b64 v[10:11], v[8:9], off
	s_or_b32 exec_lo, exec_lo, s0
	s_and_saveexec_b32 s0, s5
	s_cbranch_execz .LBB160_143
.LBB160_159:
	s_mul_i32 s2, s28, 0xa00
	s_mov_b32 s3, 0
	s_wait_alu 0xfffe
	s_lshl_b64 s[2:3], s[2:3], 3
	s_wait_dscnt 0x3
	s_wait_alu 0xfffe
	v_add_co_u32 v8, vcc_lo, v2, s2
	s_wait_alu 0xfffd
	v_add_co_ci_u32_e64 v9, null, s3, v3, vcc_lo
	s_wait_dscnt 0x2
	global_store_b64 v[8:9], v[6:7], off
	s_or_b32 exec_lo, exec_lo, s0
	s_and_saveexec_b32 s0, s6
	s_cbranch_execz .LBB160_144
.LBB160_160:
	s_mul_i32 s2, s28, 0xc00
	s_mov_b32 s3, 0
	s_wait_alu 0xfffe
	s_lshl_b64 s[2:3], s[2:3], 3
	s_wait_dscnt 0x2
	s_wait_alu 0xfffe
	v_add_co_u32 v6, vcc_lo, v2, s2
	s_wait_alu 0xfffd
	v_add_co_ci_u32_e64 v7, null, s3, v3, vcc_lo
	s_wait_dscnt 0x1
	global_store_b64 v[6:7], v[4:5], off
	s_or_b32 exec_lo, exec_lo, s0
	s_and_saveexec_b32 s0, s7
	s_cbranch_execnz .LBB160_145
	s_branch .LBB160_146
	.section	.rodata,"a",@progbits
	.p2align	6, 0x0
	.amdhsa_kernel _ZN2at6native18radixSortKVInPlaceILin2ELin1ELi512ELi8EsljEEvNS_4cuda6detail10TensorInfoIT3_T5_EES6_S6_S6_NS4_IT4_S6_EES6_b
		.amdhsa_group_segment_fixed_size 33792
		.amdhsa_private_segment_fixed_size 0
		.amdhsa_kernarg_size 712
		.amdhsa_user_sgpr_count 2
		.amdhsa_user_sgpr_dispatch_ptr 0
		.amdhsa_user_sgpr_queue_ptr 0
		.amdhsa_user_sgpr_kernarg_segment_ptr 1
		.amdhsa_user_sgpr_dispatch_id 0
		.amdhsa_user_sgpr_private_segment_size 0
		.amdhsa_wavefront_size32 1
		.amdhsa_uses_dynamic_stack 0
		.amdhsa_enable_private_segment 0
		.amdhsa_system_sgpr_workgroup_id_x 1
		.amdhsa_system_sgpr_workgroup_id_y 1
		.amdhsa_system_sgpr_workgroup_id_z 1
		.amdhsa_system_sgpr_workgroup_info 0
		.amdhsa_system_vgpr_workitem_id 2
		.amdhsa_next_free_vgpr 117
		.amdhsa_next_free_sgpr 36
		.amdhsa_reserve_vcc 1
		.amdhsa_float_round_mode_32 0
		.amdhsa_float_round_mode_16_64 0
		.amdhsa_float_denorm_mode_32 3
		.amdhsa_float_denorm_mode_16_64 3
		.amdhsa_fp16_overflow 0
		.amdhsa_workgroup_processor_mode 1
		.amdhsa_memory_ordered 1
		.amdhsa_forward_progress 1
		.amdhsa_inst_pref_size 169
		.amdhsa_round_robin_scheduling 0
		.amdhsa_exception_fp_ieee_invalid_op 0
		.amdhsa_exception_fp_denorm_src 0
		.amdhsa_exception_fp_ieee_div_zero 0
		.amdhsa_exception_fp_ieee_overflow 0
		.amdhsa_exception_fp_ieee_underflow 0
		.amdhsa_exception_fp_ieee_inexact 0
		.amdhsa_exception_int_div_zero 0
	.end_amdhsa_kernel
	.section	.text._ZN2at6native18radixSortKVInPlaceILin2ELin1ELi512ELi8EsljEEvNS_4cuda6detail10TensorInfoIT3_T5_EES6_S6_S6_NS4_IT4_S6_EES6_b,"axG",@progbits,_ZN2at6native18radixSortKVInPlaceILin2ELin1ELi512ELi8EsljEEvNS_4cuda6detail10TensorInfoIT3_T5_EES6_S6_S6_NS4_IT4_S6_EES6_b,comdat
.Lfunc_end160:
	.size	_ZN2at6native18radixSortKVInPlaceILin2ELin1ELi512ELi8EsljEEvNS_4cuda6detail10TensorInfoIT3_T5_EES6_S6_S6_NS4_IT4_S6_EES6_b, .Lfunc_end160-_ZN2at6native18radixSortKVInPlaceILin2ELin1ELi512ELi8EsljEEvNS_4cuda6detail10TensorInfoIT3_T5_EES6_S6_S6_NS4_IT4_S6_EES6_b
                                        ; -- End function
	.set _ZN2at6native18radixSortKVInPlaceILin2ELin1ELi512ELi8EsljEEvNS_4cuda6detail10TensorInfoIT3_T5_EES6_S6_S6_NS4_IT4_S6_EES6_b.num_vgpr, 117
	.set _ZN2at6native18radixSortKVInPlaceILin2ELin1ELi512ELi8EsljEEvNS_4cuda6detail10TensorInfoIT3_T5_EES6_S6_S6_NS4_IT4_S6_EES6_b.num_agpr, 0
	.set _ZN2at6native18radixSortKVInPlaceILin2ELin1ELi512ELi8EsljEEvNS_4cuda6detail10TensorInfoIT3_T5_EES6_S6_S6_NS4_IT4_S6_EES6_b.numbered_sgpr, 36
	.set _ZN2at6native18radixSortKVInPlaceILin2ELin1ELi512ELi8EsljEEvNS_4cuda6detail10TensorInfoIT3_T5_EES6_S6_S6_NS4_IT4_S6_EES6_b.num_named_barrier, 0
	.set _ZN2at6native18radixSortKVInPlaceILin2ELin1ELi512ELi8EsljEEvNS_4cuda6detail10TensorInfoIT3_T5_EES6_S6_S6_NS4_IT4_S6_EES6_b.private_seg_size, 0
	.set _ZN2at6native18radixSortKVInPlaceILin2ELin1ELi512ELi8EsljEEvNS_4cuda6detail10TensorInfoIT3_T5_EES6_S6_S6_NS4_IT4_S6_EES6_b.uses_vcc, 1
	.set _ZN2at6native18radixSortKVInPlaceILin2ELin1ELi512ELi8EsljEEvNS_4cuda6detail10TensorInfoIT3_T5_EES6_S6_S6_NS4_IT4_S6_EES6_b.uses_flat_scratch, 0
	.set _ZN2at6native18radixSortKVInPlaceILin2ELin1ELi512ELi8EsljEEvNS_4cuda6detail10TensorInfoIT3_T5_EES6_S6_S6_NS4_IT4_S6_EES6_b.has_dyn_sized_stack, 0
	.set _ZN2at6native18radixSortKVInPlaceILin2ELin1ELi512ELi8EsljEEvNS_4cuda6detail10TensorInfoIT3_T5_EES6_S6_S6_NS4_IT4_S6_EES6_b.has_recursion, 0
	.set _ZN2at6native18radixSortKVInPlaceILin2ELin1ELi512ELi8EsljEEvNS_4cuda6detail10TensorInfoIT3_T5_EES6_S6_S6_NS4_IT4_S6_EES6_b.has_indirect_call, 0
	.section	.AMDGPU.csdata,"",@progbits
; Kernel info:
; codeLenInByte = 21556
; TotalNumSgprs: 38
; NumVgprs: 117
; ScratchSize: 0
; MemoryBound: 0
; FloatMode: 240
; IeeeMode: 1
; LDSByteSize: 33792 bytes/workgroup (compile time only)
; SGPRBlocks: 0
; VGPRBlocks: 14
; NumSGPRsForWavesPerEU: 38
; NumVGPRsForWavesPerEU: 117
; Occupancy: 12
; WaveLimiterHint : 1
; COMPUTE_PGM_RSRC2:SCRATCH_EN: 0
; COMPUTE_PGM_RSRC2:USER_SGPR: 2
; COMPUTE_PGM_RSRC2:TRAP_HANDLER: 0
; COMPUTE_PGM_RSRC2:TGID_X_EN: 1
; COMPUTE_PGM_RSRC2:TGID_Y_EN: 1
; COMPUTE_PGM_RSRC2:TGID_Z_EN: 1
; COMPUTE_PGM_RSRC2:TIDIG_COMP_CNT: 2
	.section	.text._ZN2at6native18radixSortKVInPlaceILin2ELin1ELi256ELi8EsljEEvNS_4cuda6detail10TensorInfoIT3_T5_EES6_S6_S6_NS4_IT4_S6_EES6_b,"axG",@progbits,_ZN2at6native18radixSortKVInPlaceILin2ELin1ELi256ELi8EsljEEvNS_4cuda6detail10TensorInfoIT3_T5_EES6_S6_S6_NS4_IT4_S6_EES6_b,comdat
	.protected	_ZN2at6native18radixSortKVInPlaceILin2ELin1ELi256ELi8EsljEEvNS_4cuda6detail10TensorInfoIT3_T5_EES6_S6_S6_NS4_IT4_S6_EES6_b ; -- Begin function _ZN2at6native18radixSortKVInPlaceILin2ELin1ELi256ELi8EsljEEvNS_4cuda6detail10TensorInfoIT3_T5_EES6_S6_S6_NS4_IT4_S6_EES6_b
	.globl	_ZN2at6native18radixSortKVInPlaceILin2ELin1ELi256ELi8EsljEEvNS_4cuda6detail10TensorInfoIT3_T5_EES6_S6_S6_NS4_IT4_S6_EES6_b
	.p2align	8
	.type	_ZN2at6native18radixSortKVInPlaceILin2ELin1ELi256ELi8EsljEEvNS_4cuda6detail10TensorInfoIT3_T5_EES6_S6_S6_NS4_IT4_S6_EES6_b,@function
_ZN2at6native18radixSortKVInPlaceILin2ELin1ELi256ELi8EsljEEvNS_4cuda6detail10TensorInfoIT3_T5_EES6_S6_S6_NS4_IT4_S6_EES6_b: ; @_ZN2at6native18radixSortKVInPlaceILin2ELin1ELi256ELi8EsljEEvNS_4cuda6detail10TensorInfoIT3_T5_EES6_S6_S6_NS4_IT4_S6_EES6_b
; %bb.0:
	s_clause 0x1
	s_load_b64 s[2:3], s[0:1], 0x1c8
	s_load_b96 s[20:22], s[0:1], 0xd8
	s_lshr_b32 s4, ttmp7, 16
	s_wait_kmcnt 0x0
	s_mul_i32 s3, s3, s4
	s_and_b32 s4, ttmp7, 0xffff
	s_delay_alu instid0(SALU_CYCLE_1) | instskip(NEXT) | instid1(SALU_CYCLE_1)
	s_add_co_i32 s3, s3, s4
	s_mul_i32 s4, s3, s2
	s_delay_alu instid0(SALU_CYCLE_1) | instskip(NEXT) | instid1(SALU_CYCLE_1)
	s_add_co_i32 s4, s4, ttmp9
	s_cmp_ge_u32 s4, s20
	s_cbranch_scc1 .LBB161_146
; %bb.1:
	s_load_b32 s2, s[0:1], 0x1b8
	s_add_nc_u64 s[10:11], s[0:1], 0xe8
	s_mov_b32 s9, 0
	s_mov_b32 s12, s4
	s_wait_kmcnt 0x0
	s_cmp_lt_i32 s2, 2
	s_cbranch_scc1 .LBB161_4
; %bb.2:
	s_add_co_i32 s8, s2, -1
	s_add_co_i32 s5, s2, 1
	s_lshl_b64 s[6:7], s[8:9], 2
	s_mov_b32 s12, s4
	s_add_nc_u64 s[6:7], s[10:11], s[6:7]
	s_delay_alu instid0(SALU_CYCLE_1)
	s_add_nc_u64 s[2:3], s[6:7], 8
.LBB161_3:                              ; =>This Inner Loop Header: Depth=1
	s_clause 0x1
	s_load_b32 s6, s[2:3], 0x0
	s_load_b32 s7, s[2:3], 0x64
	s_mov_b32 s14, s12
	s_add_nc_u64 s[2:3], s[2:3], -4
	s_wait_kmcnt 0x0
	s_cvt_f32_u32 s8, s6
	s_sub_co_i32 s13, 0, s6
	s_wait_alu 0xfffe
	s_delay_alu instid0(SALU_CYCLE_1) | instskip(NEXT) | instid1(TRANS32_DEP_1)
	v_rcp_iflag_f32_e32 v1, s8
	v_readfirstlane_b32 s8, v1
	s_mul_f32 s8, s8, 0x4f7ffffe
	s_wait_alu 0xfffe
	s_delay_alu instid0(SALU_CYCLE_2) | instskip(SKIP_1) | instid1(SALU_CYCLE_2)
	s_cvt_u32_f32 s8, s8
	s_wait_alu 0xfffe
	s_mul_i32 s13, s13, s8
	s_delay_alu instid0(SALU_CYCLE_1) | instskip(NEXT) | instid1(SALU_CYCLE_1)
	s_mul_hi_u32 s13, s8, s13
	s_add_co_i32 s8, s8, s13
	s_wait_alu 0xfffe
	s_mul_hi_u32 s8, s12, s8
	s_wait_alu 0xfffe
	s_mul_i32 s12, s8, s6
	s_add_co_i32 s13, s8, 1
	s_sub_co_i32 s12, s14, s12
	s_delay_alu instid0(SALU_CYCLE_1)
	s_sub_co_i32 s15, s12, s6
	s_cmp_ge_u32 s12, s6
	s_cselect_b32 s8, s13, s8
	s_cselect_b32 s12, s15, s12
	s_wait_alu 0xfffe
	s_add_co_i32 s13, s8, 1
	s_cmp_ge_u32 s12, s6
	s_cselect_b32 s12, s13, s8
	s_add_co_i32 s5, s5, -1
	s_mul_i32 s6, s12, s6
	s_delay_alu instid0(SALU_CYCLE_1) | instskip(NEXT) | instid1(SALU_CYCLE_1)
	s_sub_co_i32 s6, s14, s6
	s_mul_i32 s6, s7, s6
	s_delay_alu instid0(SALU_CYCLE_1)
	s_add_co_i32 s9, s6, s9
	s_cmp_gt_u32 s5, 2
	s_cbranch_scc1 .LBB161_3
.LBB161_4:
	s_clause 0x2
	s_load_b64 s[28:29], s[0:1], 0x1c0
	s_load_b64 s[2:3], s[0:1], 0x0
	s_load_b32 s5, s[0:1], 0x6c
	s_add_nc_u64 s[36:37], s[0:1], 0x1c8
	s_mov_b32 s0, 0x8000
	s_mov_b32 s15, 0
	s_wait_kmcnt 0x0
	s_bitcmp1_b32 s29, 0
	s_mul_i32 s14, s5, s4
	s_cselect_b32 s8, -1, 0
	s_wait_alu 0xfffe
	s_and_b32 s1, s8, exec_lo
	s_cselect_b32 s1, s0, 0x7fff
	s_delay_alu instid0(SALU_CYCLE_1)
	s_pack_ll_b32_b16 s4, s1, s1
	v_mov_b32_e32 v5, s1
	s_mov_b32 s5, s4
	s_mov_b32 s6, s4
	;; [unrolled: 1-line block ×3, first 2 shown]
	v_dual_mov_b32 v1, s4 :: v_dual_and_b32 v46, 0x3ff, v0
	v_dual_mov_b32 v2, s5 :: v_dual_mov_b32 v3, s6
	v_mov_b32_e32 v4, s7
	s_delay_alu instid0(VALU_DEP_3)
	v_mul_lo_u32 v44, s22, v46
	v_cmp_gt_u32_e64 s0, s21, v46
	s_lshl_b64 s[6:7], s[14:15], 1
	s_wait_alu 0xfffe
	s_add_nc_u64 s[30:31], s[2:3], s[6:7]
	s_and_saveexec_b32 s1, s0
	s_cbranch_execz .LBB161_6
; %bb.5:
	v_mov_b32_e32 v45, 0
	v_dual_mov_b32 v3, s4 :: v_dual_mov_b32 v4, s4
	s_delay_alu instid0(VALU_DEP_2) | instskip(NEXT) | instid1(VALU_DEP_1)
	v_lshlrev_b64_e32 v[1:2], 1, v[44:45]
	v_add_co_u32 v1, vcc_lo, s30, v1
	s_delay_alu instid0(VALU_DEP_1)
	v_add_co_ci_u32_e64 v2, null, s31, v2, vcc_lo
	global_load_u16 v5, v[1:2], off
	v_mov_b32_e32 v2, s4
	s_wait_loadcnt 0x0
	v_bfi_b32 v1, 0xffff, v5, s4
.LBB161_6:
	s_wait_alu 0xfffe
	s_or_b32 exec_lo, exec_lo, s1
	v_add_nc_u32_e32 v15, 0x100, v46
	s_delay_alu instid0(VALU_DEP_1)
	v_cmp_gt_u32_e64 s1, s21, v15
	s_and_saveexec_b32 s2, s1
	s_cbranch_execz .LBB161_8
; %bb.7:
	v_mul_lo_u32 v6, s22, v15
	v_mov_b32_e32 v7, 0
	s_delay_alu instid0(VALU_DEP_1) | instskip(NEXT) | instid1(VALU_DEP_1)
	v_lshlrev_b64_e32 v[6:7], 1, v[6:7]
	v_add_co_u32 v6, vcc_lo, s30, v6
	s_wait_alu 0xfffd
	s_delay_alu instid0(VALU_DEP_2)
	v_add_co_ci_u32_e64 v7, null, s31, v7, vcc_lo
	global_load_d16_hi_b16 v1, v[6:7], off
.LBB161_8:
	s_or_b32 exec_lo, exec_lo, s2
	v_add_nc_u32_e32 v16, 0x200, v46
	s_delay_alu instid0(VALU_DEP_1)
	v_cmp_gt_u32_e64 s2, s21, v16
	s_and_saveexec_b32 s3, s2
	s_cbranch_execz .LBB161_10
; %bb.9:
	v_mul_lo_u32 v6, s22, v16
	v_mov_b32_e32 v7, 0
	s_delay_alu instid0(VALU_DEP_1) | instskip(NEXT) | instid1(VALU_DEP_1)
	v_lshlrev_b64_e32 v[6:7], 1, v[6:7]
	v_add_co_u32 v6, vcc_lo, s30, v6
	s_wait_alu 0xfffd
	s_delay_alu instid0(VALU_DEP_2)
	v_add_co_ci_u32_e64 v7, null, s31, v7, vcc_lo
	global_load_d16_b16 v2, v[6:7], off
.LBB161_10:
	s_or_b32 exec_lo, exec_lo, s3
	v_add_nc_u32_e32 v17, 0x300, v46
	s_delay_alu instid0(VALU_DEP_1)
	v_cmp_gt_u32_e64 s3, s21, v17
	s_and_saveexec_b32 s4, s3
	s_cbranch_execz .LBB161_12
; %bb.11:
	v_mul_lo_u32 v6, s22, v17
	v_mov_b32_e32 v7, 0
	s_delay_alu instid0(VALU_DEP_1) | instskip(NEXT) | instid1(VALU_DEP_1)
	v_lshlrev_b64_e32 v[6:7], 1, v[6:7]
	v_add_co_u32 v6, vcc_lo, s30, v6
	s_wait_alu 0xfffd
	s_delay_alu instid0(VALU_DEP_2)
	v_add_co_ci_u32_e64 v7, null, s31, v7, vcc_lo
	s_wait_loadcnt 0x0
	global_load_d16_hi_b16 v2, v[6:7], off
.LBB161_12:
	s_wait_alu 0xfffe
	s_or_b32 exec_lo, exec_lo, s4
	v_or_b32_e32 v18, 0x400, v46
	s_delay_alu instid0(VALU_DEP_1)
	v_cmp_gt_u32_e64 s4, s21, v18
	s_and_saveexec_b32 s5, s4
	s_cbranch_execz .LBB161_14
; %bb.13:
	v_mul_lo_u32 v6, s22, v18
	v_mov_b32_e32 v7, 0
	s_delay_alu instid0(VALU_DEP_1) | instskip(NEXT) | instid1(VALU_DEP_1)
	v_lshlrev_b64_e32 v[6:7], 1, v[6:7]
	v_add_co_u32 v6, vcc_lo, s30, v6
	s_wait_alu 0xfffd
	s_delay_alu instid0(VALU_DEP_2)
	v_add_co_ci_u32_e64 v7, null, s31, v7, vcc_lo
	global_load_d16_b16 v3, v[6:7], off
.LBB161_14:
	s_wait_alu 0xfffe
	s_or_b32 exec_lo, exec_lo, s5
	v_add_nc_u32_e32 v19, 0x500, v46
	s_delay_alu instid0(VALU_DEP_1)
	v_cmp_gt_u32_e64 s5, s21, v19
	s_and_saveexec_b32 s6, s5
	s_cbranch_execz .LBB161_16
; %bb.15:
	v_mul_lo_u32 v6, s22, v19
	v_mov_b32_e32 v7, 0
	s_delay_alu instid0(VALU_DEP_1) | instskip(NEXT) | instid1(VALU_DEP_1)
	v_lshlrev_b64_e32 v[6:7], 1, v[6:7]
	v_add_co_u32 v6, vcc_lo, s30, v6
	s_wait_alu 0xfffd
	s_delay_alu instid0(VALU_DEP_2)
	v_add_co_ci_u32_e64 v7, null, s31, v7, vcc_lo
	s_wait_loadcnt 0x0
	global_load_d16_hi_b16 v3, v[6:7], off
.LBB161_16:
	s_wait_alu 0xfffe
	s_or_b32 exec_lo, exec_lo, s6
	v_add_nc_u32_e32 v20, 0x600, v46
	s_delay_alu instid0(VALU_DEP_1)
	v_cmp_gt_u32_e64 s6, s21, v20
	s_and_saveexec_b32 s7, s6
	s_cbranch_execz .LBB161_18
; %bb.17:
	v_mul_lo_u32 v6, s22, v20
	v_mov_b32_e32 v7, 0
	s_delay_alu instid0(VALU_DEP_1) | instskip(NEXT) | instid1(VALU_DEP_1)
	v_lshlrev_b64_e32 v[6:7], 1, v[6:7]
	v_add_co_u32 v6, vcc_lo, s30, v6
	s_wait_alu 0xfffd
	s_delay_alu instid0(VALU_DEP_2)
	v_add_co_ci_u32_e64 v7, null, s31, v7, vcc_lo
	global_load_d16_b16 v4, v[6:7], off
.LBB161_18:
	s_wait_alu 0xfffe
	s_or_b32 exec_lo, exec_lo, s7
	s_clause 0x1
	s_load_b32 s13, s[10:11], 0x6c
	s_load_b64 s[10:11], s[10:11], 0x0
	v_add_nc_u32_e32 v21, 0x700, v46
	s_delay_alu instid0(VALU_DEP_1)
	v_cmp_gt_u32_e64 s7, s21, v21
	s_and_saveexec_b32 s14, s7
	s_cbranch_execz .LBB161_20
; %bb.19:
	v_mul_lo_u32 v6, s22, v21
	v_mov_b32_e32 v7, 0
	s_delay_alu instid0(VALU_DEP_1) | instskip(NEXT) | instid1(VALU_DEP_1)
	v_lshlrev_b64_e32 v[6:7], 1, v[6:7]
	v_add_co_u32 v6, vcc_lo, s30, v6
	s_wait_alu 0xfffd
	s_delay_alu instid0(VALU_DEP_2)
	v_add_co_ci_u32_e64 v7, null, s31, v7, vcc_lo
	s_wait_loadcnt 0x0
	global_load_d16_hi_b16 v4, v[6:7], off
.LBB161_20:
	s_or_b32 exec_lo, exec_lo, s14
	v_lshrrev_b32_e32 v6, 4, v46
	v_lshrrev_b32_e32 v7, 4, v15
	v_lshrrev_b32_e32 v8, 4, v16
	v_dual_mov_b32 v42, 0 :: v_dual_lshlrev_b32 v9, 1, v46
	s_delay_alu instid0(VALU_DEP_4) | instskip(NEXT) | instid1(VALU_DEP_4)
	v_and_b32_e32 v6, 60, v6
	v_and_b32_e32 v7, 0x7c, v7
	s_delay_alu instid0(VALU_DEP_4)
	v_and_b32_e32 v8, 0x7c, v8
	v_lshrrev_b32_e32 v10, 4, v17
	v_lshrrev_b32_e32 v11, 4, v21
	v_mov_b32_e32 v43, v42
	v_add_nc_u32_e32 v51, v6, v9
	v_dual_mov_b32 v12, v42 :: v_dual_add_nc_u32 v45, v7, v9
	v_add_nc_u32_e32 v52, v8, v9
	v_and_b32_e32 v6, 0x7c, v10
	v_lshrrev_b32_e32 v7, 4, v18
	v_lshrrev_b32_e32 v8, 4, v19
	;; [unrolled: 1-line block ×3, first 2 shown]
	s_wait_kmcnt 0x0
	s_mul_i32 s12, s13, s12
	v_add_nc_u32_e32 v53, v6, v9
	v_and_b32_e32 v6, 0x7c, v7
	v_and_b32_e32 v7, 0xfc, v8
	v_and_b32_e32 v8, 0xfc, v10
	v_and_b32_e32 v10, 0xfc, v11
	v_lshrrev_b32_e32 v11, 1, v46
	v_dual_mov_b32 v13, 0 :: v_dual_add_nc_u32 v54, v6, v9
	v_add_nc_u32_e32 v55, v7, v9
	v_add_nc_u32_e32 v56, v8, v9
	s_delay_alu instid0(VALU_DEP_4) | instskip(SKIP_2) | instid1(VALU_DEP_3)
	v_dual_mov_b32 v11, v42 :: v_dual_and_b32 v6, 0x1fc, v11
	v_mov_b32_e32 v7, v42
	v_dual_mov_b32 v14, 0 :: v_dual_add_nc_u32 v57, v10, v9
	v_lshl_add_u32 v58, v46, 4, v6
	ds_store_b16 v51, v5
	s_wait_loadcnt 0x0
	ds_store_b16_d16_hi v45, v1 offset:512
	ds_store_b16 v52, v2 offset:1024
	ds_store_b16_d16_hi v53, v2 offset:1536
	ds_store_b16 v54, v3 offset:2048
	;; [unrolled: 2-line block ×3, first 2 shown]
	ds_store_b16_d16_hi v57, v4 offset:3584
	s_wait_dscnt 0x0
	s_barrier_signal -1
	s_barrier_wait -1
	global_inv scope:SCOPE_SE
	ds_load_2addr_b32 v[49:50], v58 offset1:1
	ds_load_2addr_b32 v[47:48], v58 offset0:2 offset1:3
	v_mul_lo_u32 v41, s28, v46
	s_add_co_i32 s12, s12, s9
	s_mov_b32 s13, 0
	v_dual_mov_b32 v9, v42 :: v_dual_mov_b32 v10, v42
	v_dual_mov_b32 v1, v42 :: v_dual_mov_b32 v2, v42
	;; [unrolled: 1-line block ×4, first 2 shown]
	v_mov_b32_e32 v8, v42
	s_lshl_b64 s[12:13], s[12:13], 3
	s_wait_loadcnt_dscnt 0x0
	s_add_nc_u64 s[34:35], s[10:11], s[12:13]
	s_barrier_signal -1
	s_barrier_wait -1
	global_inv scope:SCOPE_SE
	s_and_saveexec_b32 s9, s0
	s_cbranch_execnz .LBB161_76
; %bb.21:
	s_wait_alu 0xfffe
	s_or_b32 exec_lo, exec_lo, s9
	s_and_saveexec_b32 s9, s1
	s_cbranch_execnz .LBB161_77
.LBB161_22:
	s_wait_alu 0xfffe
	s_or_b32 exec_lo, exec_lo, s9
	s_and_saveexec_b32 s9, s2
	s_cbranch_execnz .LBB161_78
.LBB161_23:
	s_wait_alu 0xfffe
	s_or_b32 exec_lo, exec_lo, s9
	s_and_saveexec_b32 s9, s3
	s_cbranch_execnz .LBB161_79
.LBB161_24:
	s_wait_alu 0xfffe
	s_or_b32 exec_lo, exec_lo, s9
	s_and_saveexec_b32 s9, s4
	s_cbranch_execnz .LBB161_80
.LBB161_25:
	s_wait_alu 0xfffe
	s_or_b32 exec_lo, exec_lo, s9
	s_and_saveexec_b32 s9, s5
	s_cbranch_execnz .LBB161_81
.LBB161_26:
	s_wait_alu 0xfffe
	s_or_b32 exec_lo, exec_lo, s9
	s_and_saveexec_b32 s9, s6
	s_cbranch_execz .LBB161_28
.LBB161_27:
	v_mul_lo_u32 v5, s28, v20
	v_mov_b32_e32 v6, 0
	s_delay_alu instid0(VALU_DEP_1) | instskip(NEXT) | instid1(VALU_DEP_1)
	v_lshlrev_b64_e32 v[5:6], 3, v[5:6]
	v_add_co_u32 v5, vcc_lo, s34, v5
	s_wait_alu 0xfffd
	s_delay_alu instid0(VALU_DEP_2)
	v_add_co_ci_u32_e64 v6, null, s35, v6, vcc_lo
	global_load_b64 v[5:6], v[5:6], off
.LBB161_28:
	s_wait_alu 0xfffe
	s_or_b32 exec_lo, exec_lo, s9
	v_lshrrev_b32_e32 v69, 5, v46
	v_lshrrev_b32_e32 v25, 5, v15
	;; [unrolled: 1-line block ×8, first 2 shown]
	v_lshlrev_b32_e32 v66, 3, v46
	v_lshrrev_b32_e32 v15, 2, v46
	s_xor_b32 s8, s8, -1
	s_and_saveexec_b32 s9, s7
	s_cbranch_execz .LBB161_30
; %bb.29:
	v_mul_lo_u32 v7, s28, v21
	v_mov_b32_e32 v8, 0
	s_delay_alu instid0(VALU_DEP_1) | instskip(NEXT) | instid1(VALU_DEP_1)
	v_lshlrev_b64_e32 v[7:8], 3, v[7:8]
	v_add_co_u32 v7, vcc_lo, s34, v7
	s_wait_alu 0xfffd
	s_delay_alu instid0(VALU_DEP_2)
	v_add_co_ci_u32_e64 v8, null, s35, v8, vcc_lo
	global_load_b64 v[7:8], v[7:8], off
.LBB161_30:
	s_wait_alu 0xfffe
	s_or_b32 exec_lo, exec_lo, s9
	v_lshl_add_u32 v59, v69, 3, v66
	v_lshl_add_u32 v60, v25, 3, v66
	;; [unrolled: 1-line block ×5, first 2 shown]
	s_wait_loadcnt 0x0
	ds_store_b64 v59, v[13:14]
	ds_store_b64 v60, v[42:43] offset:2048
	ds_store_b64 v61, v[9:10] offset:4096
	ds_store_b64 v62, v[11:12] offset:6144
	v_lshlrev_b32_e32 v9, 3, v66
	v_lshl_add_u32 v42, v22, 3, v66
	v_lshl_add_u32 v43, v18, 3, v66
	;; [unrolled: 1-line block ×3, first 2 shown]
	ds_store_b64 v42, v[1:2] offset:8192
	ds_store_b64 v43, v[3:4] offset:10240
	;; [unrolled: 1-line block ×4, first 2 shown]
	v_lshl_add_u32 v65, v15, 3, v9
	s_wait_dscnt 0x0
	s_barrier_signal -1
	s_barrier_wait -1
	global_inv scope:SCOPE_SE
	ds_load_2addr_b64 v[5:8], v65 offset1:1
	ds_load_2addr_b64 v[1:4], v65 offset0:2 offset1:3
	v_mbcnt_lo_u32_b32 v70, -1, 0
	v_and_b32_e32 v17, 0x1f00, v66
	ds_load_2addr_b64 v[13:16], v65 offset0:4 offset1:5
	ds_load_2addr_b64 v[9:12], v65 offset0:6 offset1:7
	v_and_b32_e32 v72, 0x3e0, v46
	v_bfe_u32 v73, v0, 10, 10
	v_bfe_u32 v74, v0, 20, 10
	v_or_b32_e32 v71, v70, v17
	v_lshlrev_b32_e32 v67, 2, v66
	v_or_b32_e32 v18, v70, v72
	s_mov_b32 s12, 0
	s_and_b32 vcc_lo, exec_lo, s8
	v_lshlrev_b32_e32 v68, 1, v71
	s_mov_b32 s8, -1
	v_lshlrev_b32_e32 v76, 3, v18
	v_lshlrev_b32_e32 v77, 4, v18
	s_wait_loadcnt_dscnt 0x0
	v_mad_u32_u24 v75, v71, 6, v68
	s_barrier_signal -1
	s_barrier_wait -1
	global_inv scope:SCOPE_SE
	s_wait_alu 0xfffe
	s_cbranch_vccz .LBB161_82
; %bb.31:
	v_xor_b32_e32 v17, 0x80008000, v49
	v_xor_b32_e32 v18, 0x80008000, v50
	;; [unrolled: 1-line block ×4, first 2 shown]
	s_getpc_b64 s[8:9]
	s_wait_alu 0xfffe
	s_sext_i32_i16 s9, s9
	s_add_co_u32 s8, s8, _ZN7rocprim17ROCPRIM_400000_NS16block_radix_sortIsLj256ELj8ElLj1ELj1ELj0ELNS0_26block_radix_rank_algorithmE1ELNS0_18block_padding_hintE2ELNS0_4arch9wavefront6targetE0EE19radix_bits_per_passE@rel32@lo+12
	s_wait_alu 0xfffe
	s_add_co_ci_u32 s9, s9, _ZN7rocprim17ROCPRIM_400000_NS16block_radix_sortIsLj256ELj8ElLj1ELj1ELj0ELNS0_26block_radix_rank_algorithmE1ELNS0_18block_padding_hintE2ELNS0_4arch9wavefront6targetE0EE19radix_bits_per_passE@rel32@hi+24
	s_mov_b32 s13, s12
	s_load_b32 s20, s[8:9], 0x0
	s_mov_b32 s14, s12
	ds_store_b128 v77, v[17:20]
	; wave barrier
	ds_load_u16 v78, v68
	s_mov_b32 s15, s12
	v_lshlrev_b32_e32 v0, 3, v76
	ds_load_u16 v79, v68 offset:64
	ds_load_u16 v80, v68 offset:128
	;; [unrolled: 1-line block ×7, first 2 shown]
	s_wait_loadcnt_dscnt 0x0
	s_barrier_signal -1
	s_barrier_wait -1
	global_inv scope:SCOPE_SE
	ds_store_b128 v0, v[5:8]
	ds_store_b128 v0, v[1:4] offset:16
	ds_store_b128 v0, v[13:16] offset:32
	;; [unrolled: 1-line block ×3, first 2 shown]
	; wave barrier
	s_wait_kmcnt 0x0
	s_min_u32 s8, s20, 16
	s_wait_alu 0xfffe
	s_lshl_b32 s8, -1, s8
	s_wait_alu 0xfffe
	s_not_b32 s9, s8
	v_and_b32_e32 v17, 0xffff, v78
	s_wait_alu 0xfffe
	s_delay_alu instid0(VALU_DEP_1)
	v_and_b32_e32 v40, s9, v17
	ds_load_2addr_b64 v[21:24], v75 offset1:32
	ds_load_2addr_b64 v[17:20], v75 offset0:64 offset1:96
	ds_load_2addr_b64 v[29:32], v75 offset0:128 offset1:160
	;; [unrolled: 1-line block ×3, first 2 shown]
	s_wait_loadcnt_dscnt 0x0
	s_barrier_signal -1
	v_and_b32_e32 v0, 1, v40
	v_lshlrev_b32_e32 v33, 30, v40
	v_lshlrev_b32_e32 v36, 28, v40
	;; [unrolled: 1-line block ×3, first 2 shown]
	s_barrier_wait -1
	v_add_co_u32 v0, s8, v0, -1
	s_wait_alu 0xf1ff
	v_cndmask_b32_e64 v34, 0, 1, s8
	v_not_b32_e32 v35, v33
	v_cmp_gt_i32_e64 s8, 0, v33
	global_inv scope:SCOPE_SE
	v_cmp_ne_u32_e32 vcc_lo, 0, v34
	v_lshlrev_b32_e32 v34, 29, v40
	v_ashrrev_i32_e32 v33, 31, v35
	s_wait_alu 0xfffd
	v_xor_b32_e32 v0, vcc_lo, v0
	s_delay_alu instid0(VALU_DEP_3)
	v_not_b32_e32 v35, v34
	v_cmp_gt_i32_e32 vcc_lo, 0, v34
	s_wait_alu 0xf1ff
	v_xor_b32_e32 v33, s8, v33
	s_load_b32 s8, s[36:37], 0xc
	v_and_b32_e32 v0, exec_lo, v0
	v_ashrrev_i32_e32 v34, 31, v35
	v_not_b32_e32 v35, v36
	s_delay_alu instid0(VALU_DEP_3) | instskip(NEXT) | instid1(VALU_DEP_3)
	v_and_b32_e32 v0, v0, v33
	v_xor_b32_e32 v33, vcc_lo, v34
	v_cmp_gt_i32_e32 vcc_lo, 0, v36
	s_delay_alu instid0(VALU_DEP_4) | instskip(SKIP_1) | instid1(VALU_DEP_4)
	v_ashrrev_i32_e32 v34, 31, v35
	v_not_b32_e32 v35, v37
	v_and_b32_e32 v0, v0, v33
	v_lshlrev_b32_e32 v33, 26, v40
	s_wait_alu 0xfffd
	v_xor_b32_e32 v34, vcc_lo, v34
	v_cmp_gt_i32_e32 vcc_lo, 0, v37
	v_ashrrev_i32_e32 v35, 31, v35
	v_not_b32_e32 v36, v33
	s_delay_alu instid0(VALU_DEP_4)
	v_and_b32_e32 v0, v0, v34
	v_lshlrev_b32_e32 v34, 25, v40
	s_wait_alu 0xfffd
	v_xor_b32_e32 v35, vcc_lo, v35
	v_cmp_gt_i32_e32 vcc_lo, 0, v33
	v_ashrrev_i32_e32 v33, 31, v36
	s_wait_kmcnt 0x0
	s_lshr_b32 s10, s8, 16
	v_not_b32_e32 v36, v34
	v_and_b32_e32 v0, v0, v35
	v_lshlrev_b32_e32 v35, 24, v40
	s_wait_alu 0xfffd
	v_xor_b32_e32 v33, vcc_lo, v33
	v_cmp_gt_i32_e32 vcc_lo, 0, v34
	v_ashrrev_i32_e32 v34, 31, v36
	v_mad_u32_u24 v37, v74, s10, v73
	v_not_b32_e32 v36, v35
	v_and_b32_e32 v0, v0, v33
	s_and_b32 s8, s8, 0xffff
	s_wait_alu 0xfffd
	v_xor_b32_e32 v33, vcc_lo, v34
	v_cmp_gt_i32_e32 vcc_lo, 0, v35
	v_ashrrev_i32_e32 v34, 31, v36
	s_wait_alu 0xfffe
	v_mad_co_u64_u32 v[38:39], null, v37, s8, v[46:47]
	v_and_b32_e32 v0, v0, v33
	s_wait_alu 0xfffd
	v_xor_b32_e32 v33, vcc_lo, v34
	v_dual_mov_b32 v37, s15 :: v_dual_mov_b32 v36, s14
	v_dual_mov_b32 v35, s13 :: v_dual_mov_b32 v34, s12
	s_delay_alu instid0(VALU_DEP_3)
	v_and_b32_e32 v33, v0, v33
	v_lshrrev_b32_e32 v0, 5, v38
	ds_store_b128 v67, v[34:37] offset:32
	ds_store_b128 v67, v[34:37] offset:48
	v_mbcnt_lo_u32_b32 v90, v33, 0
	v_lshlrev_b32_e32 v0, 2, v0
	v_lshlrev_b32_e32 v34, 5, v40
	v_cmp_ne_u32_e64 s8, 0, v33
	s_wait_loadcnt_dscnt 0x0
	v_cmp_eq_u32_e32 vcc_lo, 0, v90
	s_barrier_signal -1
	v_add_nc_u32_e32 v91, v0, v34
	s_barrier_wait -1
	global_inv scope:SCOPE_SE
	s_and_b32 s10, s8, vcc_lo
	; wave barrier
	s_wait_alu 0xfffe
	s_and_saveexec_b32 s8, s10
; %bb.32:
	v_bcnt_u32_b32 v33, v33, 0
	ds_store_b32 v91, v33 offset:32
; %bb.33:
	s_wait_alu 0xfffe
	s_or_b32 exec_lo, exec_lo, s8
	v_and_b32_e32 v33, 0xffff, v79
	; wave barrier
	s_delay_alu instid0(VALU_DEP_1) | instskip(NEXT) | instid1(VALU_DEP_1)
	v_and_b32_e32 v33, s9, v33
	v_and_b32_e32 v34, 1, v33
	v_lshlrev_b32_e32 v35, 30, v33
	v_lshlrev_b32_e32 v36, 29, v33
	;; [unrolled: 1-line block ×4, first 2 shown]
	v_add_co_u32 v34, s8, v34, -1
	s_wait_alu 0xf1ff
	v_cndmask_b32_e64 v38, 0, 1, s8
	v_not_b32_e32 v87, v35
	v_cmp_gt_i32_e64 s8, 0, v35
	v_not_b32_e32 v35, v36
	v_lshlrev_b32_e32 v40, 26, v33
	v_cmp_ne_u32_e32 vcc_lo, 0, v38
	v_ashrrev_i32_e32 v87, 31, v87
	v_lshlrev_b32_e32 v86, 25, v33
	v_ashrrev_i32_e32 v35, 31, v35
	v_lshlrev_b32_e32 v38, 24, v33
	s_wait_alu 0xfffd
	v_xor_b32_e32 v34, vcc_lo, v34
	v_cmp_gt_i32_e32 vcc_lo, 0, v36
	v_not_b32_e32 v36, v37
	s_wait_alu 0xf1ff
	v_xor_b32_e32 v87, s8, v87
	v_cmp_gt_i32_e64 s8, 0, v37
	v_and_b32_e32 v34, exec_lo, v34
	v_not_b32_e32 v37, v39
	v_ashrrev_i32_e32 v36, 31, v36
	s_wait_alu 0xfffd
	v_xor_b32_e32 v35, vcc_lo, v35
	v_cmp_gt_i32_e32 vcc_lo, 0, v39
	v_and_b32_e32 v34, v34, v87
	v_not_b32_e32 v39, v40
	v_ashrrev_i32_e32 v37, 31, v37
	s_wait_alu 0xf1ff
	v_xor_b32_e32 v36, s8, v36
	v_cmp_gt_i32_e64 s8, 0, v40
	v_and_b32_e32 v34, v34, v35
	v_not_b32_e32 v35, v86
	v_ashrrev_i32_e32 v39, 31, v39
	s_wait_alu 0xfffd
	v_xor_b32_e32 v37, vcc_lo, v37
	v_cmp_gt_i32_e32 vcc_lo, 0, v86
	v_and_b32_e32 v34, v34, v36
	v_not_b32_e32 v36, v38
	v_ashrrev_i32_e32 v35, 31, v35
	s_wait_alu 0xf1ff
	v_xor_b32_e32 v39, s8, v39
	v_lshlrev_b32_e32 v33, 5, v33
	v_and_b32_e32 v34, v34, v37
	v_cmp_gt_i32_e64 s8, 0, v38
	v_ashrrev_i32_e32 v36, 31, v36
	s_wait_alu 0xfffd
	v_xor_b32_e32 v35, vcc_lo, v35
	v_add_nc_u32_e32 v94, v0, v33
	v_and_b32_e32 v34, v34, v39
	s_wait_alu 0xf1ff
	v_xor_b32_e32 v33, s8, v36
	ds_load_b32 v92, v94 offset:32
	v_and_b32_e32 v34, v34, v35
	; wave barrier
	s_delay_alu instid0(VALU_DEP_1) | instskip(NEXT) | instid1(VALU_DEP_1)
	v_and_b32_e32 v33, v34, v33
	v_mbcnt_lo_u32_b32 v93, v33, 0
	v_cmp_ne_u32_e64 s8, 0, v33
	s_delay_alu instid0(VALU_DEP_2)
	v_cmp_eq_u32_e32 vcc_lo, 0, v93
	s_and_b32 s10, s8, vcc_lo
	s_wait_alu 0xfffe
	s_and_saveexec_b32 s8, s10
	s_cbranch_execz .LBB161_35
; %bb.34:
	s_wait_dscnt 0x0
	v_bcnt_u32_b32 v33, v33, v92
	ds_store_b32 v94, v33 offset:32
.LBB161_35:
	s_wait_alu 0xfffe
	s_or_b32 exec_lo, exec_lo, s8
	v_and_b32_e32 v33, 0xffff, v80
	; wave barrier
	s_delay_alu instid0(VALU_DEP_1) | instskip(NEXT) | instid1(VALU_DEP_1)
	v_and_b32_e32 v33, s9, v33
	v_and_b32_e32 v34, 1, v33
	v_lshlrev_b32_e32 v35, 30, v33
	v_lshlrev_b32_e32 v36, 29, v33
	;; [unrolled: 1-line block ×4, first 2 shown]
	v_add_co_u32 v34, s8, v34, -1
	s_wait_alu 0xf1ff
	v_cndmask_b32_e64 v38, 0, 1, s8
	v_not_b32_e32 v87, v35
	v_cmp_gt_i32_e64 s8, 0, v35
	v_not_b32_e32 v35, v36
	v_lshlrev_b32_e32 v40, 26, v33
	v_cmp_ne_u32_e32 vcc_lo, 0, v38
	v_ashrrev_i32_e32 v87, 31, v87
	v_lshlrev_b32_e32 v86, 25, v33
	v_ashrrev_i32_e32 v35, 31, v35
	v_lshlrev_b32_e32 v38, 24, v33
	s_wait_alu 0xfffd
	v_xor_b32_e32 v34, vcc_lo, v34
	v_cmp_gt_i32_e32 vcc_lo, 0, v36
	v_not_b32_e32 v36, v37
	s_wait_alu 0xf1ff
	v_xor_b32_e32 v87, s8, v87
	v_cmp_gt_i32_e64 s8, 0, v37
	v_and_b32_e32 v34, exec_lo, v34
	v_not_b32_e32 v37, v39
	v_ashrrev_i32_e32 v36, 31, v36
	s_wait_alu 0xfffd
	v_xor_b32_e32 v35, vcc_lo, v35
	v_cmp_gt_i32_e32 vcc_lo, 0, v39
	v_and_b32_e32 v34, v34, v87
	v_not_b32_e32 v39, v40
	v_ashrrev_i32_e32 v37, 31, v37
	s_wait_alu 0xf1ff
	v_xor_b32_e32 v36, s8, v36
	v_cmp_gt_i32_e64 s8, 0, v40
	v_and_b32_e32 v34, v34, v35
	v_not_b32_e32 v35, v86
	v_ashrrev_i32_e32 v39, 31, v39
	s_wait_alu 0xfffd
	v_xor_b32_e32 v37, vcc_lo, v37
	v_cmp_gt_i32_e32 vcc_lo, 0, v86
	v_and_b32_e32 v34, v34, v36
	v_not_b32_e32 v36, v38
	v_ashrrev_i32_e32 v35, 31, v35
	s_wait_alu 0xf1ff
	v_xor_b32_e32 v39, s8, v39
	v_lshlrev_b32_e32 v33, 5, v33
	v_and_b32_e32 v34, v34, v37
	v_cmp_gt_i32_e64 s8, 0, v38
	v_ashrrev_i32_e32 v36, 31, v36
	s_wait_alu 0xfffd
	v_xor_b32_e32 v35, vcc_lo, v35
	v_add_nc_u32_e32 v97, v0, v33
	v_and_b32_e32 v34, v34, v39
	s_wait_alu 0xf1ff
	v_xor_b32_e32 v33, s8, v36
	ds_load_b32 v95, v97 offset:32
	v_and_b32_e32 v34, v34, v35
	; wave barrier
	s_delay_alu instid0(VALU_DEP_1) | instskip(NEXT) | instid1(VALU_DEP_1)
	v_and_b32_e32 v33, v34, v33
	v_mbcnt_lo_u32_b32 v96, v33, 0
	v_cmp_ne_u32_e64 s8, 0, v33
	s_delay_alu instid0(VALU_DEP_2)
	v_cmp_eq_u32_e32 vcc_lo, 0, v96
	s_and_b32 s10, s8, vcc_lo
	s_wait_alu 0xfffe
	s_and_saveexec_b32 s8, s10
	s_cbranch_execz .LBB161_37
; %bb.36:
	s_wait_dscnt 0x0
	v_bcnt_u32_b32 v33, v33, v95
	ds_store_b32 v97, v33 offset:32
.LBB161_37:
	s_wait_alu 0xfffe
	s_or_b32 exec_lo, exec_lo, s8
	v_and_b32_e32 v33, 0xffff, v81
	; wave barrier
	s_delay_alu instid0(VALU_DEP_1) | instskip(NEXT) | instid1(VALU_DEP_1)
	v_and_b32_e32 v33, s9, v33
	v_and_b32_e32 v34, 1, v33
	v_lshlrev_b32_e32 v35, 30, v33
	v_lshlrev_b32_e32 v36, 29, v33
	v_lshlrev_b32_e32 v37, 28, v33
	v_lshlrev_b32_e32 v39, 27, v33
	v_add_co_u32 v34, s8, v34, -1
	s_wait_alu 0xf1ff
	v_cndmask_b32_e64 v38, 0, 1, s8
	v_not_b32_e32 v87, v35
	v_cmp_gt_i32_e64 s8, 0, v35
	v_not_b32_e32 v35, v36
	v_lshlrev_b32_e32 v40, 26, v33
	v_cmp_ne_u32_e32 vcc_lo, 0, v38
	v_ashrrev_i32_e32 v87, 31, v87
	v_lshlrev_b32_e32 v86, 25, v33
	v_ashrrev_i32_e32 v35, 31, v35
	v_lshlrev_b32_e32 v38, 24, v33
	s_wait_alu 0xfffd
	v_xor_b32_e32 v34, vcc_lo, v34
	v_cmp_gt_i32_e32 vcc_lo, 0, v36
	v_not_b32_e32 v36, v37
	s_wait_alu 0xf1ff
	v_xor_b32_e32 v87, s8, v87
	v_cmp_gt_i32_e64 s8, 0, v37
	v_and_b32_e32 v34, exec_lo, v34
	v_not_b32_e32 v37, v39
	v_ashrrev_i32_e32 v36, 31, v36
	s_wait_alu 0xfffd
	v_xor_b32_e32 v35, vcc_lo, v35
	v_cmp_gt_i32_e32 vcc_lo, 0, v39
	v_and_b32_e32 v34, v34, v87
	v_not_b32_e32 v39, v40
	v_ashrrev_i32_e32 v37, 31, v37
	s_wait_alu 0xf1ff
	v_xor_b32_e32 v36, s8, v36
	v_cmp_gt_i32_e64 s8, 0, v40
	v_and_b32_e32 v34, v34, v35
	v_not_b32_e32 v35, v86
	v_ashrrev_i32_e32 v39, 31, v39
	s_wait_alu 0xfffd
	v_xor_b32_e32 v37, vcc_lo, v37
	v_cmp_gt_i32_e32 vcc_lo, 0, v86
	v_and_b32_e32 v34, v34, v36
	v_not_b32_e32 v36, v38
	v_ashrrev_i32_e32 v35, 31, v35
	s_wait_alu 0xf1ff
	v_xor_b32_e32 v39, s8, v39
	v_lshlrev_b32_e32 v33, 5, v33
	v_and_b32_e32 v34, v34, v37
	v_cmp_gt_i32_e64 s8, 0, v38
	v_ashrrev_i32_e32 v36, 31, v36
	s_wait_alu 0xfffd
	v_xor_b32_e32 v35, vcc_lo, v35
	v_add_nc_u32_e32 v100, v0, v33
	v_and_b32_e32 v34, v34, v39
	s_wait_alu 0xf1ff
	v_xor_b32_e32 v33, s8, v36
	ds_load_b32 v98, v100 offset:32
	v_and_b32_e32 v34, v34, v35
	; wave barrier
	s_delay_alu instid0(VALU_DEP_1) | instskip(NEXT) | instid1(VALU_DEP_1)
	v_and_b32_e32 v33, v34, v33
	v_mbcnt_lo_u32_b32 v99, v33, 0
	v_cmp_ne_u32_e64 s8, 0, v33
	s_delay_alu instid0(VALU_DEP_2)
	v_cmp_eq_u32_e32 vcc_lo, 0, v99
	s_and_b32 s10, s8, vcc_lo
	s_wait_alu 0xfffe
	s_and_saveexec_b32 s8, s10
	s_cbranch_execz .LBB161_39
; %bb.38:
	s_wait_dscnt 0x0
	v_bcnt_u32_b32 v33, v33, v98
	ds_store_b32 v100, v33 offset:32
.LBB161_39:
	s_wait_alu 0xfffe
	s_or_b32 exec_lo, exec_lo, s8
	v_and_b32_e32 v33, 0xffff, v82
	; wave barrier
	s_delay_alu instid0(VALU_DEP_1) | instskip(NEXT) | instid1(VALU_DEP_1)
	v_and_b32_e32 v33, s9, v33
	v_and_b32_e32 v34, 1, v33
	v_lshlrev_b32_e32 v35, 30, v33
	v_lshlrev_b32_e32 v36, 29, v33
	v_lshlrev_b32_e32 v37, 28, v33
	v_lshlrev_b32_e32 v39, 27, v33
	v_add_co_u32 v34, s8, v34, -1
	s_wait_alu 0xf1ff
	v_cndmask_b32_e64 v38, 0, 1, s8
	v_not_b32_e32 v87, v35
	v_cmp_gt_i32_e64 s8, 0, v35
	v_not_b32_e32 v35, v36
	v_lshlrev_b32_e32 v40, 26, v33
	v_cmp_ne_u32_e32 vcc_lo, 0, v38
	v_ashrrev_i32_e32 v87, 31, v87
	v_lshlrev_b32_e32 v86, 25, v33
	v_ashrrev_i32_e32 v35, 31, v35
	v_lshlrev_b32_e32 v38, 24, v33
	s_wait_alu 0xfffd
	v_xor_b32_e32 v34, vcc_lo, v34
	v_cmp_gt_i32_e32 vcc_lo, 0, v36
	v_not_b32_e32 v36, v37
	s_wait_alu 0xf1ff
	v_xor_b32_e32 v87, s8, v87
	v_cmp_gt_i32_e64 s8, 0, v37
	v_and_b32_e32 v34, exec_lo, v34
	v_not_b32_e32 v37, v39
	v_ashrrev_i32_e32 v36, 31, v36
	s_wait_alu 0xfffd
	v_xor_b32_e32 v35, vcc_lo, v35
	v_cmp_gt_i32_e32 vcc_lo, 0, v39
	v_and_b32_e32 v34, v34, v87
	v_not_b32_e32 v39, v40
	v_ashrrev_i32_e32 v37, 31, v37
	s_wait_alu 0xf1ff
	v_xor_b32_e32 v36, s8, v36
	v_cmp_gt_i32_e64 s8, 0, v40
	v_and_b32_e32 v34, v34, v35
	v_not_b32_e32 v35, v86
	v_ashrrev_i32_e32 v39, 31, v39
	s_wait_alu 0xfffd
	v_xor_b32_e32 v37, vcc_lo, v37
	v_cmp_gt_i32_e32 vcc_lo, 0, v86
	v_and_b32_e32 v34, v34, v36
	v_not_b32_e32 v36, v38
	v_ashrrev_i32_e32 v35, 31, v35
	s_wait_alu 0xf1ff
	v_xor_b32_e32 v39, s8, v39
	v_lshlrev_b32_e32 v33, 5, v33
	v_and_b32_e32 v34, v34, v37
	v_cmp_gt_i32_e64 s8, 0, v38
	v_ashrrev_i32_e32 v36, 31, v36
	s_wait_alu 0xfffd
	v_xor_b32_e32 v35, vcc_lo, v35
	v_add_nc_u32_e32 v103, v0, v33
	v_and_b32_e32 v34, v34, v39
	s_wait_alu 0xf1ff
	v_xor_b32_e32 v33, s8, v36
	ds_load_b32 v101, v103 offset:32
	v_and_b32_e32 v34, v34, v35
	; wave barrier
	s_delay_alu instid0(VALU_DEP_1) | instskip(NEXT) | instid1(VALU_DEP_1)
	v_and_b32_e32 v33, v34, v33
	v_mbcnt_lo_u32_b32 v102, v33, 0
	v_cmp_ne_u32_e64 s8, 0, v33
	s_delay_alu instid0(VALU_DEP_2)
	v_cmp_eq_u32_e32 vcc_lo, 0, v102
	s_and_b32 s10, s8, vcc_lo
	s_wait_alu 0xfffe
	s_and_saveexec_b32 s8, s10
	s_cbranch_execz .LBB161_41
; %bb.40:
	s_wait_dscnt 0x0
	v_bcnt_u32_b32 v33, v33, v101
	ds_store_b32 v103, v33 offset:32
.LBB161_41:
	s_wait_alu 0xfffe
	s_or_b32 exec_lo, exec_lo, s8
	v_and_b32_e32 v33, 0xffff, v83
	; wave barrier
	s_delay_alu instid0(VALU_DEP_1) | instskip(NEXT) | instid1(VALU_DEP_1)
	v_and_b32_e32 v33, s9, v33
	v_and_b32_e32 v34, 1, v33
	v_lshlrev_b32_e32 v35, 30, v33
	v_lshlrev_b32_e32 v36, 29, v33
	v_lshlrev_b32_e32 v37, 28, v33
	v_lshlrev_b32_e32 v39, 27, v33
	v_add_co_u32 v34, s8, v34, -1
	s_wait_alu 0xf1ff
	v_cndmask_b32_e64 v38, 0, 1, s8
	v_not_b32_e32 v87, v35
	v_cmp_gt_i32_e64 s8, 0, v35
	v_not_b32_e32 v35, v36
	v_lshlrev_b32_e32 v40, 26, v33
	v_cmp_ne_u32_e32 vcc_lo, 0, v38
	v_ashrrev_i32_e32 v87, 31, v87
	v_lshlrev_b32_e32 v86, 25, v33
	v_ashrrev_i32_e32 v35, 31, v35
	v_lshlrev_b32_e32 v38, 24, v33
	s_wait_alu 0xfffd
	v_xor_b32_e32 v34, vcc_lo, v34
	v_cmp_gt_i32_e32 vcc_lo, 0, v36
	v_not_b32_e32 v36, v37
	s_wait_alu 0xf1ff
	v_xor_b32_e32 v87, s8, v87
	v_cmp_gt_i32_e64 s8, 0, v37
	v_and_b32_e32 v34, exec_lo, v34
	v_not_b32_e32 v37, v39
	v_ashrrev_i32_e32 v36, 31, v36
	s_wait_alu 0xfffd
	v_xor_b32_e32 v35, vcc_lo, v35
	v_cmp_gt_i32_e32 vcc_lo, 0, v39
	v_and_b32_e32 v34, v34, v87
	v_not_b32_e32 v39, v40
	v_ashrrev_i32_e32 v37, 31, v37
	s_wait_alu 0xf1ff
	v_xor_b32_e32 v36, s8, v36
	v_cmp_gt_i32_e64 s8, 0, v40
	v_and_b32_e32 v34, v34, v35
	v_not_b32_e32 v35, v86
	v_ashrrev_i32_e32 v39, 31, v39
	s_wait_alu 0xfffd
	v_xor_b32_e32 v37, vcc_lo, v37
	v_cmp_gt_i32_e32 vcc_lo, 0, v86
	v_and_b32_e32 v34, v34, v36
	v_not_b32_e32 v36, v38
	v_ashrrev_i32_e32 v35, 31, v35
	s_wait_alu 0xf1ff
	v_xor_b32_e32 v39, s8, v39
	v_lshlrev_b32_e32 v33, 5, v33
	v_and_b32_e32 v34, v34, v37
	v_cmp_gt_i32_e64 s8, 0, v38
	v_ashrrev_i32_e32 v36, 31, v36
	s_wait_alu 0xfffd
	v_xor_b32_e32 v35, vcc_lo, v35
	v_add_nc_u32_e32 v106, v0, v33
	v_and_b32_e32 v34, v34, v39
	s_wait_alu 0xf1ff
	v_xor_b32_e32 v33, s8, v36
	ds_load_b32 v104, v106 offset:32
	v_and_b32_e32 v34, v34, v35
	; wave barrier
	s_delay_alu instid0(VALU_DEP_1) | instskip(NEXT) | instid1(VALU_DEP_1)
	v_and_b32_e32 v33, v34, v33
	v_mbcnt_lo_u32_b32 v105, v33, 0
	v_cmp_ne_u32_e64 s8, 0, v33
	s_delay_alu instid0(VALU_DEP_2)
	v_cmp_eq_u32_e32 vcc_lo, 0, v105
	s_and_b32 s10, s8, vcc_lo
	s_wait_alu 0xfffe
	s_and_saveexec_b32 s8, s10
	s_cbranch_execz .LBB161_43
; %bb.42:
	s_wait_dscnt 0x0
	v_bcnt_u32_b32 v33, v33, v104
	ds_store_b32 v106, v33 offset:32
.LBB161_43:
	s_wait_alu 0xfffe
	s_or_b32 exec_lo, exec_lo, s8
	v_and_b32_e32 v33, 0xffff, v84
	; wave barrier
	s_delay_alu instid0(VALU_DEP_1) | instskip(NEXT) | instid1(VALU_DEP_1)
	v_and_b32_e32 v33, s9, v33
	v_and_b32_e32 v34, 1, v33
	v_lshlrev_b32_e32 v35, 30, v33
	v_lshlrev_b32_e32 v36, 29, v33
	;; [unrolled: 1-line block ×4, first 2 shown]
	v_add_co_u32 v34, s8, v34, -1
	s_wait_alu 0xf1ff
	v_cndmask_b32_e64 v38, 0, 1, s8
	v_not_b32_e32 v87, v35
	v_cmp_gt_i32_e64 s8, 0, v35
	v_not_b32_e32 v35, v36
	v_lshlrev_b32_e32 v40, 26, v33
	v_cmp_ne_u32_e32 vcc_lo, 0, v38
	v_ashrrev_i32_e32 v87, 31, v87
	v_lshlrev_b32_e32 v86, 25, v33
	v_ashrrev_i32_e32 v35, 31, v35
	v_lshlrev_b32_e32 v38, 24, v33
	s_wait_alu 0xfffd
	v_xor_b32_e32 v34, vcc_lo, v34
	v_cmp_gt_i32_e32 vcc_lo, 0, v36
	v_not_b32_e32 v36, v37
	s_wait_alu 0xf1ff
	v_xor_b32_e32 v87, s8, v87
	v_cmp_gt_i32_e64 s8, 0, v37
	v_and_b32_e32 v34, exec_lo, v34
	v_not_b32_e32 v37, v39
	v_ashrrev_i32_e32 v36, 31, v36
	s_wait_alu 0xfffd
	v_xor_b32_e32 v35, vcc_lo, v35
	v_cmp_gt_i32_e32 vcc_lo, 0, v39
	v_and_b32_e32 v34, v34, v87
	v_not_b32_e32 v39, v40
	v_ashrrev_i32_e32 v37, 31, v37
	s_wait_alu 0xf1ff
	v_xor_b32_e32 v36, s8, v36
	v_cmp_gt_i32_e64 s8, 0, v40
	v_and_b32_e32 v34, v34, v35
	v_not_b32_e32 v35, v86
	v_ashrrev_i32_e32 v39, 31, v39
	s_wait_alu 0xfffd
	v_xor_b32_e32 v37, vcc_lo, v37
	v_cmp_gt_i32_e32 vcc_lo, 0, v86
	v_and_b32_e32 v34, v34, v36
	v_not_b32_e32 v36, v38
	v_ashrrev_i32_e32 v35, 31, v35
	s_wait_alu 0xf1ff
	v_xor_b32_e32 v39, s8, v39
	v_lshlrev_b32_e32 v33, 5, v33
	v_and_b32_e32 v34, v34, v37
	v_cmp_gt_i32_e64 s8, 0, v38
	v_ashrrev_i32_e32 v36, 31, v36
	s_wait_alu 0xfffd
	v_xor_b32_e32 v35, vcc_lo, v35
	v_add_nc_u32_e32 v109, v0, v33
	v_and_b32_e32 v34, v34, v39
	s_wait_alu 0xf1ff
	v_xor_b32_e32 v33, s8, v36
	ds_load_b32 v107, v109 offset:32
	v_and_b32_e32 v34, v34, v35
	; wave barrier
	s_delay_alu instid0(VALU_DEP_1) | instskip(NEXT) | instid1(VALU_DEP_1)
	v_and_b32_e32 v33, v34, v33
	v_mbcnt_lo_u32_b32 v108, v33, 0
	v_cmp_ne_u32_e64 s8, 0, v33
	s_delay_alu instid0(VALU_DEP_2)
	v_cmp_eq_u32_e32 vcc_lo, 0, v108
	s_and_b32 s10, s8, vcc_lo
	s_wait_alu 0xfffe
	s_and_saveexec_b32 s8, s10
	s_cbranch_execz .LBB161_45
; %bb.44:
	s_wait_dscnt 0x0
	v_bcnt_u32_b32 v33, v33, v107
	ds_store_b32 v109, v33 offset:32
.LBB161_45:
	s_wait_alu 0xfffe
	s_or_b32 exec_lo, exec_lo, s8
	v_and_b32_e32 v33, 0xffff, v85
	; wave barrier
	s_delay_alu instid0(VALU_DEP_1) | instskip(NEXT) | instid1(VALU_DEP_1)
	v_and_b32_e32 v33, s9, v33
	v_and_b32_e32 v34, 1, v33
	v_lshlrev_b32_e32 v35, 30, v33
	v_lshlrev_b32_e32 v36, 29, v33
	;; [unrolled: 1-line block ×4, first 2 shown]
	v_add_co_u32 v34, s8, v34, -1
	s_wait_alu 0xf1ff
	v_cndmask_b32_e64 v38, 0, 1, s8
	v_not_b32_e32 v87, v35
	v_cmp_gt_i32_e64 s8, 0, v35
	v_not_b32_e32 v35, v36
	v_lshlrev_b32_e32 v40, 26, v33
	v_cmp_ne_u32_e32 vcc_lo, 0, v38
	v_ashrrev_i32_e32 v87, 31, v87
	v_lshlrev_b32_e32 v86, 25, v33
	v_ashrrev_i32_e32 v35, 31, v35
	v_lshlrev_b32_e32 v38, 24, v33
	s_wait_alu 0xfffd
	v_xor_b32_e32 v34, vcc_lo, v34
	v_cmp_gt_i32_e32 vcc_lo, 0, v36
	v_not_b32_e32 v36, v37
	s_wait_alu 0xf1ff
	v_xor_b32_e32 v87, s8, v87
	v_cmp_gt_i32_e64 s8, 0, v37
	v_and_b32_e32 v34, exec_lo, v34
	v_not_b32_e32 v37, v39
	v_ashrrev_i32_e32 v36, 31, v36
	s_wait_alu 0xfffd
	v_xor_b32_e32 v35, vcc_lo, v35
	v_cmp_gt_i32_e32 vcc_lo, 0, v39
	v_and_b32_e32 v34, v34, v87
	v_not_b32_e32 v39, v40
	v_ashrrev_i32_e32 v37, 31, v37
	s_wait_alu 0xf1ff
	v_xor_b32_e32 v36, s8, v36
	v_cmp_gt_i32_e64 s8, 0, v40
	v_and_b32_e32 v34, v34, v35
	v_not_b32_e32 v35, v86
	v_ashrrev_i32_e32 v39, 31, v39
	s_wait_alu 0xfffd
	v_xor_b32_e32 v37, vcc_lo, v37
	v_cmp_gt_i32_e32 vcc_lo, 0, v86
	v_and_b32_e32 v34, v34, v36
	v_not_b32_e32 v36, v38
	v_ashrrev_i32_e32 v35, 31, v35
	s_wait_alu 0xf1ff
	v_xor_b32_e32 v39, s8, v39
	v_lshlrev_b32_e32 v33, 5, v33
	v_and_b32_e32 v34, v34, v37
	v_cmp_gt_i32_e64 s8, 0, v38
	v_ashrrev_i32_e32 v36, 31, v36
	s_wait_alu 0xfffd
	v_xor_b32_e32 v35, vcc_lo, v35
	v_add_nc_u32_e32 v112, v0, v33
	v_and_b32_e32 v34, v34, v39
	v_min_u32_e32 v86, 0xe0, v72
	s_wait_alu 0xf1ff
	v_xor_b32_e32 v33, s8, v36
	ds_load_b32 v110, v112 offset:32
	v_and_b32_e32 v34, v34, v35
	; wave barrier
	s_delay_alu instid0(VALU_DEP_1) | instskip(NEXT) | instid1(VALU_DEP_1)
	v_and_b32_e32 v33, v34, v33
	v_mbcnt_lo_u32_b32 v111, v33, 0
	v_cmp_ne_u32_e64 s8, 0, v33
	s_delay_alu instid0(VALU_DEP_2)
	v_cmp_eq_u32_e32 vcc_lo, 0, v111
	s_and_b32 s9, s8, vcc_lo
	s_wait_alu 0xfffe
	s_and_saveexec_b32 s8, s9
	s_cbranch_execz .LBB161_47
; %bb.46:
	s_wait_dscnt 0x0
	v_bcnt_u32_b32 v33, v33, v110
	ds_store_b32 v112, v33 offset:32
.LBB161_47:
	s_wait_alu 0xfffe
	s_or_b32 exec_lo, exec_lo, s8
	; wave barrier
	s_wait_loadcnt_dscnt 0x0
	s_barrier_signal -1
	s_barrier_wait -1
	global_inv scope:SCOPE_SE
	ds_load_b128 v[37:40], v67 offset:32
	ds_load_b128 v[33:36], v67 offset:48
	v_and_b32_e32 v89, 16, v70
	v_or_b32_e32 v86, 31, v86
	s_delay_alu instid0(VALU_DEP_2) | instskip(NEXT) | instid1(VALU_DEP_2)
	v_cmp_eq_u32_e64 s17, 0, v89
	v_cmp_eq_u32_e64 s15, v46, v86
	s_wait_dscnt 0x1
	v_add_nc_u32_e32 v87, v38, v37
	s_delay_alu instid0(VALU_DEP_1) | instskip(SKIP_1) | instid1(VALU_DEP_1)
	v_add3_u32 v87, v87, v39, v40
	s_wait_dscnt 0x0
	v_add3_u32 v87, v87, v33, v34
	s_delay_alu instid0(VALU_DEP_1) | instskip(SKIP_1) | instid1(VALU_DEP_2)
	v_add3_u32 v36, v87, v35, v36
	v_and_b32_e32 v87, 15, v70
	v_mov_b32_dpp v88, v36 row_shr:1 row_mask:0xf bank_mask:0xf
	s_delay_alu instid0(VALU_DEP_2)
	v_cmp_eq_u32_e64 s9, 0, v87
	v_cmp_lt_u32_e64 s11, 1, v87
	v_cmp_lt_u32_e64 s12, 3, v87
	;; [unrolled: 1-line block ×3, first 2 shown]
	s_wait_alu 0xf1ff
	v_cndmask_b32_e64 v88, v88, 0, s9
	s_delay_alu instid0(VALU_DEP_1) | instskip(NEXT) | instid1(VALU_DEP_1)
	v_add_nc_u32_e32 v36, v88, v36
	v_mov_b32_dpp v88, v36 row_shr:2 row_mask:0xf bank_mask:0xf
	s_delay_alu instid0(VALU_DEP_1) | instskip(NEXT) | instid1(VALU_DEP_1)
	v_cndmask_b32_e64 v88, 0, v88, s11
	v_add_nc_u32_e32 v36, v36, v88
	s_delay_alu instid0(VALU_DEP_1) | instskip(NEXT) | instid1(VALU_DEP_1)
	v_mov_b32_dpp v88, v36 row_shr:4 row_mask:0xf bank_mask:0xf
	v_cndmask_b32_e64 v88, 0, v88, s12
	s_delay_alu instid0(VALU_DEP_1) | instskip(NEXT) | instid1(VALU_DEP_1)
	v_add_nc_u32_e32 v36, v36, v88
	v_mov_b32_dpp v88, v36 row_shr:8 row_mask:0xf bank_mask:0xf
	s_delay_alu instid0(VALU_DEP_1) | instskip(NEXT) | instid1(VALU_DEP_1)
	v_cndmask_b32_e64 v87, 0, v88, s14
	v_add_nc_u32_e32 v88, v36, v87
	v_bfe_i32 v87, v70, 4, 1
	ds_swizzle_b32 v36, v88 offset:swizzle(BROADCAST,32,15)
	s_wait_dscnt 0x0
	v_and_b32_e32 v113, v87, v36
	v_mul_i32_i24_e32 v36, 0xffffffe4, v46
	v_lshlrev_b32_e32 v87, 2, v69
	s_delay_alu instid0(VALU_DEP_3)
	v_add_nc_u32_e32 v89, v88, v113
	s_and_saveexec_b32 s8, s15
; %bb.48:
	ds_store_b32 v87, v89
; %bb.49:
	s_wait_alu 0xfffe
	s_or_b32 exec_lo, exec_lo, s8
	v_and_b32_e32 v86, 7, v70
	v_cmp_gt_u32_e64 s16, 8, v46
	s_wait_loadcnt_dscnt 0x0
	s_barrier_signal -1
	s_barrier_wait -1
	v_cmp_eq_u32_e64 s13, 0, v86
	v_cmp_lt_u32_e64 s10, 1, v86
	v_cmp_lt_u32_e32 vcc_lo, 3, v86
	v_add_nc_u32_e32 v86, v67, v36
	global_inv scope:SCOPE_SE
	s_and_saveexec_b32 s8, s16
	s_cbranch_execz .LBB161_51
; %bb.50:
	ds_load_b32 v36, v86
	s_wait_dscnt 0x0
	v_mov_b32_dpp v88, v36 row_shr:1 row_mask:0xf bank_mask:0xf
	s_wait_alu 0xf1ff
	s_delay_alu instid0(VALU_DEP_1) | instskip(NEXT) | instid1(VALU_DEP_1)
	v_cndmask_b32_e64 v88, v88, 0, s13
	v_add_nc_u32_e32 v36, v88, v36
	s_delay_alu instid0(VALU_DEP_1) | instskip(NEXT) | instid1(VALU_DEP_1)
	v_mov_b32_dpp v88, v36 row_shr:2 row_mask:0xf bank_mask:0xf
	v_cndmask_b32_e64 v88, 0, v88, s10
	s_delay_alu instid0(VALU_DEP_1) | instskip(NEXT) | instid1(VALU_DEP_1)
	v_add_nc_u32_e32 v36, v36, v88
	v_mov_b32_dpp v88, v36 row_shr:4 row_mask:0xf bank_mask:0xf
	s_wait_alu 0xfffd
	s_delay_alu instid0(VALU_DEP_1) | instskip(NEXT) | instid1(VALU_DEP_1)
	v_cndmask_b32_e32 v88, 0, v88, vcc_lo
	v_add_nc_u32_e32 v36, v36, v88
	ds_store_b32 v86, v36
.LBB161_51:
	s_wait_alu 0xfffe
	s_or_b32 exec_lo, exec_lo, s8
	v_sub_co_u32 v113, s8, v70, 1
	v_mul_u32_u24_e32 v36, 6, v71
	v_cmp_lt_u32_e64 s18, 31, v46
	v_add_nc_u32_e32 v88, -4, v87
	v_mov_b32_e32 v114, 0
	s_wait_loadcnt_dscnt 0x0
	s_barrier_signal -1
	s_barrier_wait -1
	global_inv scope:SCOPE_SE
	s_and_saveexec_b32 s19, s18
; %bb.52:
	ds_load_b32 v114, v88
; %bb.53:
	s_or_b32 exec_lo, exec_lo, s19
	v_cmp_gt_i32_e64 s19, 0, v113
	s_mov_b32 s24, 0
	s_min_u32 s20, s20, 8
	s_mov_b32 s25, s24
	s_mov_b32 s26, s24
	v_cndmask_b32_e64 v113, v113, v70, s19
	s_mov_b32 s27, s24
	s_wait_dscnt 0x0
	v_add_nc_u32_e32 v115, v114, v89
	v_cmp_eq_u32_e64 s19, 0, v46
	s_wait_alu 0xfffe
	s_lshl_b32 s20, -1, s20
	v_lshlrev_b32_e32 v89, 2, v113
	s_wait_alu 0xfffe
	s_not_b32 s23, s20
	ds_bpermute_b32 v113, v89, v115
	s_wait_dscnt 0x0
	v_cndmask_b32_e64 v113, v113, v114, s8
	s_delay_alu instid0(VALU_DEP_1) | instskip(NEXT) | instid1(VALU_DEP_1)
	v_cndmask_b32_e64 v113, v113, 0, s19
	v_add_nc_u32_e32 v114, v113, v37
	s_delay_alu instid0(VALU_DEP_1) | instskip(NEXT) | instid1(VALU_DEP_1)
	v_add_nc_u32_e32 v115, v114, v38
	v_add_nc_u32_e32 v116, v115, v39
	s_delay_alu instid0(VALU_DEP_1) | instskip(NEXT) | instid1(VALU_DEP_1)
	v_add_nc_u32_e32 v37, v116, v40
	;; [unrolled: 3-line block ×3, first 2 shown]
	v_add_nc_u32_e32 v40, v39, v35
	ds_store_b128 v67, v[113:116] offset:32
	ds_store_b128 v67, v[37:40] offset:48
	s_wait_loadcnt_dscnt 0x0
	s_barrier_signal -1
	s_barrier_wait -1
	global_inv scope:SCOPE_SE
	ds_load_b32 v33, v91 offset:32
	ds_load_b32 v34, v94 offset:32
	;; [unrolled: 1-line block ×8, first 2 shown]
	v_add_nc_u32_e32 v94, v68, v36
	s_wait_loadcnt_dscnt 0x0
	s_barrier_signal -1
	s_barrier_wait -1
	global_inv scope:SCOPE_SE
	v_add_nc_u32_e32 v90, v33, v90
	v_add3_u32 v92, v93, v92, v34
	v_add3_u32 v93, v96, v95, v35
	;; [unrolled: 1-line block ×7, first 2 shown]
	v_lshlrev_b32_e32 v33, 1, v90
	v_lshlrev_b32_e32 v34, 1, v92
	;; [unrolled: 1-line block ×8, first 2 shown]
	ds_store_b16 v33, v78
	ds_store_b16 v34, v79
	;; [unrolled: 1-line block ×8, first 2 shown]
	s_wait_loadcnt_dscnt 0x0
	s_barrier_signal -1
	s_barrier_wait -1
	global_inv scope:SCOPE_SE
	ds_load_u16 v78, v68
	ds_load_u16 v79, v68 offset:64
	ds_load_u16 v80, v68 offset:128
	;; [unrolled: 1-line block ×7, first 2 shown]
	v_mad_co_u64_u32 v[90:91], null, v90, 6, v[33:34]
	v_mad_co_u64_u32 v[33:34], null, v92, 6, v[34:35]
	;; [unrolled: 1-line block ×3, first 2 shown]
	s_wait_loadcnt_dscnt 0x0
	s_barrier_signal -1
	s_barrier_wait -1
	global_inv scope:SCOPE_SE
	v_mad_co_u64_u32 v[35:36], null, v95, 6, v[36:37]
	v_lshrrev_b16 v91, 8, v78
	ds_store_b64 v90, v[21:22]
	v_mad_co_u64_u32 v[36:37], null, v96, 6, v[37:38]
	v_mad_co_u64_u32 v[37:38], null, v97, 6, v[38:39]
	v_and_b32_e32 v21, 0xffff, v91
	v_mad_co_u64_u32 v[38:39], null, v98, 6, v[39:40]
	v_mad_co_u64_u32 v[39:40], null, v99, 6, v[40:41]
	s_wait_alu 0xfffe
	s_delay_alu instid0(VALU_DEP_3)
	v_and_b32_e32 v40, s23, v21
	ds_store_b64 v33, v[23:24]
	ds_store_b64 v34, v[17:18]
	;; [unrolled: 1-line block ×7, first 2 shown]
	v_and_b32_e32 v17, 1, v40
	v_lshlrev_b32_e32 v18, 30, v40
	v_lshlrev_b32_e32 v19, 29, v40
	;; [unrolled: 1-line block ×4, first 2 shown]
	v_add_co_u32 v17, s20, v17, -1
	s_wait_alu 0xf1ff
	v_cndmask_b32_e64 v21, 0, 1, s20
	v_not_b32_e32 v25, v18
	v_cmp_gt_i32_e64 s21, 0, v18
	v_not_b32_e32 v18, v19
	v_lshlrev_b32_e32 v23, 26, v40
	v_cmp_ne_u32_e64 s20, 0, v21
	v_ashrrev_i32_e32 v25, 31, v25
	v_lshlrev_b32_e32 v24, 25, v40
	v_ashrrev_i32_e32 v18, 31, v18
	v_lshlrev_b32_e32 v21, 24, v40
	s_wait_alu 0xf1ff
	v_xor_b32_e32 v17, s20, v17
	v_cmp_gt_i32_e64 s20, 0, v19
	v_not_b32_e32 v19, v20
	v_xor_b32_e32 v25, s21, v25
	v_cmp_gt_i32_e64 s21, 0, v20
	v_and_b32_e32 v17, exec_lo, v17
	v_not_b32_e32 v20, v22
	v_ashrrev_i32_e32 v19, 31, v19
	s_wait_alu 0xf1ff
	v_xor_b32_e32 v18, s20, v18
	v_cmp_gt_i32_e64 s20, 0, v22
	v_and_b32_e32 v17, v17, v25
	v_not_b32_e32 v22, v23
	v_ashrrev_i32_e32 v20, 31, v20
	v_xor_b32_e32 v19, s21, v19
	v_cmp_gt_i32_e64 s21, 0, v23
	v_and_b32_e32 v17, v17, v18
	v_not_b32_e32 v18, v24
	v_ashrrev_i32_e32 v22, 31, v22
	s_wait_alu 0xf1ff
	v_xor_b32_e32 v20, s20, v20
	v_cmp_gt_i32_e64 s20, 0, v24
	v_and_b32_e32 v17, v17, v19
	v_not_b32_e32 v19, v21
	v_ashrrev_i32_e32 v18, 31, v18
	v_xor_b32_e32 v22, s21, v22
	v_cmp_gt_i32_e64 s21, 0, v21
	v_and_b32_e32 v17, v17, v20
	v_ashrrev_i32_e32 v19, 31, v19
	s_wait_alu 0xf1ff
	v_xor_b32_e32 v18, s20, v18
	s_wait_loadcnt_dscnt 0x0
	s_barrier_signal -1
	v_and_b32_e32 v17, v17, v22
	v_xor_b32_e32 v33, s21, v19
	s_barrier_wait -1
	global_inv scope:SCOPE_SE
	ds_load_2addr_b64 v[21:24], v94 offset1:32
	v_and_b32_e32 v38, v17, v18
	ds_load_2addr_b64 v[29:32], v94 offset0:64 offset1:96
	ds_load_2addr_b64 v[25:28], v94 offset0:128 offset1:160
	;; [unrolled: 1-line block ×3, first 2 shown]
	v_dual_mov_b32 v37, s27 :: v_dual_mov_b32 v36, s26
	v_mov_b32_e32 v35, s25
	v_dual_mov_b32 v34, s24 :: v_dual_and_b32 v33, v38, v33
	v_lshl_add_u32 v91, v40, 5, v0
	s_wait_loadcnt_dscnt 0x0
	s_barrier_signal -1
	s_delay_alu instid0(VALU_DEP_2)
	v_mbcnt_lo_u32_b32 v90, v33, 0
	v_cmp_ne_u32_e64 s21, 0, v33
	s_barrier_wait -1
	global_inv scope:SCOPE_SE
	ds_store_b128 v67, v[34:37] offset:32
	ds_store_b128 v67, v[34:37] offset:48
	v_cmp_eq_u32_e64 s20, 0, v90
	s_wait_loadcnt_dscnt 0x0
	s_barrier_signal -1
	s_barrier_wait -1
	global_inv scope:SCOPE_SE
	s_and_b32 s21, s21, s20
	; wave barrier
	s_wait_alu 0xfffe
	s_and_saveexec_b32 s20, s21
; %bb.54:
	v_bcnt_u32_b32 v33, v33, 0
	ds_store_b32 v91, v33 offset:32
; %bb.55:
	s_wait_alu 0xfffe
	s_or_b32 exec_lo, exec_lo, s20
	v_lshrrev_b16 v33, 8, v79
	; wave barrier
	s_delay_alu instid0(VALU_DEP_1) | instskip(NEXT) | instid1(VALU_DEP_1)
	v_and_b32_e32 v33, s23, v33
	v_and_b32_e32 v34, 1, v33
	v_lshlrev_b32_e32 v35, 30, v33
	v_lshlrev_b32_e32 v36, 29, v33
	;; [unrolled: 1-line block ×4, first 2 shown]
	v_add_co_u32 v34, s20, v34, -1
	s_wait_alu 0xf1ff
	v_cndmask_b32_e64 v38, 0, 1, s20
	v_not_b32_e32 v93, v35
	v_cmp_gt_i32_e64 s21, 0, v35
	v_not_b32_e32 v35, v36
	v_lshlrev_b32_e32 v40, 26, v33
	v_cmp_ne_u32_e64 s20, 0, v38
	v_ashrrev_i32_e32 v93, 31, v93
	v_lshlrev_b32_e32 v92, 25, v33
	v_ashrrev_i32_e32 v35, 31, v35
	v_lshlrev_b32_e32 v38, 24, v33
	s_wait_alu 0xf1ff
	v_xor_b32_e32 v34, s20, v34
	v_cmp_gt_i32_e64 s20, 0, v36
	v_not_b32_e32 v36, v37
	v_xor_b32_e32 v93, s21, v93
	v_cmp_gt_i32_e64 s21, 0, v37
	v_and_b32_e32 v34, exec_lo, v34
	v_not_b32_e32 v37, v39
	v_ashrrev_i32_e32 v36, 31, v36
	s_wait_alu 0xf1ff
	v_xor_b32_e32 v35, s20, v35
	v_cmp_gt_i32_e64 s20, 0, v39
	v_and_b32_e32 v34, v34, v93
	v_not_b32_e32 v39, v40
	v_ashrrev_i32_e32 v37, 31, v37
	v_xor_b32_e32 v36, s21, v36
	v_cmp_gt_i32_e64 s21, 0, v40
	v_and_b32_e32 v34, v34, v35
	v_not_b32_e32 v35, v92
	v_ashrrev_i32_e32 v39, 31, v39
	s_wait_alu 0xf1ff
	v_xor_b32_e32 v37, s20, v37
	v_cmp_gt_i32_e64 s20, 0, v92
	v_and_b32_e32 v34, v34, v36
	v_not_b32_e32 v36, v38
	v_ashrrev_i32_e32 v35, 31, v35
	v_xor_b32_e32 v39, s21, v39
	v_cmp_gt_i32_e64 s21, 0, v38
	v_and_b32_e32 v34, v34, v37
	v_ashrrev_i32_e32 v36, 31, v36
	s_wait_alu 0xf1ff
	v_xor_b32_e32 v35, s20, v35
	v_lshl_add_u32 v94, v33, 5, v0
	v_and_b32_e32 v34, v34, v39
	v_xor_b32_e32 v33, s21, v36
	ds_load_b32 v92, v94 offset:32
	v_and_b32_e32 v34, v34, v35
	; wave barrier
	s_delay_alu instid0(VALU_DEP_1) | instskip(NEXT) | instid1(VALU_DEP_1)
	v_and_b32_e32 v33, v34, v33
	v_mbcnt_lo_u32_b32 v93, v33, 0
	v_cmp_ne_u32_e64 s21, 0, v33
	s_delay_alu instid0(VALU_DEP_2)
	v_cmp_eq_u32_e64 s20, 0, v93
	s_and_b32 s21, s21, s20
	s_wait_alu 0xfffe
	s_and_saveexec_b32 s20, s21
	s_cbranch_execz .LBB161_57
; %bb.56:
	s_wait_dscnt 0x0
	v_bcnt_u32_b32 v33, v33, v92
	ds_store_b32 v94, v33 offset:32
.LBB161_57:
	s_wait_alu 0xfffe
	s_or_b32 exec_lo, exec_lo, s20
	v_lshrrev_b16 v33, 8, v80
	; wave barrier
	s_delay_alu instid0(VALU_DEP_1) | instskip(NEXT) | instid1(VALU_DEP_1)
	v_and_b32_e32 v33, s23, v33
	v_and_b32_e32 v34, 1, v33
	v_lshlrev_b32_e32 v35, 30, v33
	v_lshlrev_b32_e32 v36, 29, v33
	v_lshlrev_b32_e32 v37, 28, v33
	v_lshlrev_b32_e32 v39, 27, v33
	v_add_co_u32 v34, s20, v34, -1
	s_wait_alu 0xf1ff
	v_cndmask_b32_e64 v38, 0, 1, s20
	v_not_b32_e32 v96, v35
	v_cmp_gt_i32_e64 s21, 0, v35
	v_not_b32_e32 v35, v36
	v_lshlrev_b32_e32 v40, 26, v33
	v_cmp_ne_u32_e64 s20, 0, v38
	v_ashrrev_i32_e32 v96, 31, v96
	v_lshlrev_b32_e32 v95, 25, v33
	v_ashrrev_i32_e32 v35, 31, v35
	v_lshlrev_b32_e32 v38, 24, v33
	s_wait_alu 0xf1ff
	v_xor_b32_e32 v34, s20, v34
	v_cmp_gt_i32_e64 s20, 0, v36
	v_not_b32_e32 v36, v37
	v_xor_b32_e32 v96, s21, v96
	v_cmp_gt_i32_e64 s21, 0, v37
	v_and_b32_e32 v34, exec_lo, v34
	v_not_b32_e32 v37, v39
	v_ashrrev_i32_e32 v36, 31, v36
	s_wait_alu 0xf1ff
	v_xor_b32_e32 v35, s20, v35
	v_cmp_gt_i32_e64 s20, 0, v39
	v_and_b32_e32 v34, v34, v96
	v_not_b32_e32 v39, v40
	v_ashrrev_i32_e32 v37, 31, v37
	v_xor_b32_e32 v36, s21, v36
	v_cmp_gt_i32_e64 s21, 0, v40
	v_and_b32_e32 v34, v34, v35
	v_not_b32_e32 v35, v95
	v_ashrrev_i32_e32 v39, 31, v39
	s_wait_alu 0xf1ff
	v_xor_b32_e32 v37, s20, v37
	v_cmp_gt_i32_e64 s20, 0, v95
	v_and_b32_e32 v34, v34, v36
	v_not_b32_e32 v36, v38
	v_ashrrev_i32_e32 v35, 31, v35
	v_xor_b32_e32 v39, s21, v39
	v_cmp_gt_i32_e64 s21, 0, v38
	v_and_b32_e32 v34, v34, v37
	v_ashrrev_i32_e32 v36, 31, v36
	s_wait_alu 0xf1ff
	v_xor_b32_e32 v35, s20, v35
	v_lshl_add_u32 v97, v33, 5, v0
	v_and_b32_e32 v34, v34, v39
	v_xor_b32_e32 v33, s21, v36
	ds_load_b32 v95, v97 offset:32
	v_and_b32_e32 v34, v34, v35
	; wave barrier
	s_delay_alu instid0(VALU_DEP_1) | instskip(NEXT) | instid1(VALU_DEP_1)
	v_and_b32_e32 v33, v34, v33
	v_mbcnt_lo_u32_b32 v96, v33, 0
	v_cmp_ne_u32_e64 s21, 0, v33
	s_delay_alu instid0(VALU_DEP_2)
	v_cmp_eq_u32_e64 s20, 0, v96
	s_and_b32 s21, s21, s20
	s_wait_alu 0xfffe
	s_and_saveexec_b32 s20, s21
	s_cbranch_execz .LBB161_59
; %bb.58:
	s_wait_dscnt 0x0
	v_bcnt_u32_b32 v33, v33, v95
	ds_store_b32 v97, v33 offset:32
.LBB161_59:
	s_wait_alu 0xfffe
	s_or_b32 exec_lo, exec_lo, s20
	v_lshrrev_b16 v33, 8, v81
	; wave barrier
	s_delay_alu instid0(VALU_DEP_1) | instskip(NEXT) | instid1(VALU_DEP_1)
	v_and_b32_e32 v33, s23, v33
	v_and_b32_e32 v34, 1, v33
	v_lshlrev_b32_e32 v35, 30, v33
	v_lshlrev_b32_e32 v36, 29, v33
	v_lshlrev_b32_e32 v37, 28, v33
	v_lshlrev_b32_e32 v39, 27, v33
	v_add_co_u32 v34, s20, v34, -1
	s_wait_alu 0xf1ff
	v_cndmask_b32_e64 v38, 0, 1, s20
	v_not_b32_e32 v99, v35
	v_cmp_gt_i32_e64 s21, 0, v35
	v_not_b32_e32 v35, v36
	v_lshlrev_b32_e32 v40, 26, v33
	v_cmp_ne_u32_e64 s20, 0, v38
	v_ashrrev_i32_e32 v99, 31, v99
	v_lshlrev_b32_e32 v98, 25, v33
	v_ashrrev_i32_e32 v35, 31, v35
	v_lshlrev_b32_e32 v38, 24, v33
	s_wait_alu 0xf1ff
	v_xor_b32_e32 v34, s20, v34
	v_cmp_gt_i32_e64 s20, 0, v36
	v_not_b32_e32 v36, v37
	v_xor_b32_e32 v99, s21, v99
	v_cmp_gt_i32_e64 s21, 0, v37
	v_and_b32_e32 v34, exec_lo, v34
	v_not_b32_e32 v37, v39
	v_ashrrev_i32_e32 v36, 31, v36
	s_wait_alu 0xf1ff
	v_xor_b32_e32 v35, s20, v35
	v_cmp_gt_i32_e64 s20, 0, v39
	v_and_b32_e32 v34, v34, v99
	v_not_b32_e32 v39, v40
	v_ashrrev_i32_e32 v37, 31, v37
	v_xor_b32_e32 v36, s21, v36
	v_cmp_gt_i32_e64 s21, 0, v40
	v_and_b32_e32 v34, v34, v35
	v_not_b32_e32 v35, v98
	v_ashrrev_i32_e32 v39, 31, v39
	s_wait_alu 0xf1ff
	v_xor_b32_e32 v37, s20, v37
	v_cmp_gt_i32_e64 s20, 0, v98
	v_and_b32_e32 v34, v34, v36
	v_not_b32_e32 v36, v38
	v_ashrrev_i32_e32 v35, 31, v35
	v_xor_b32_e32 v39, s21, v39
	v_cmp_gt_i32_e64 s21, 0, v38
	v_and_b32_e32 v34, v34, v37
	v_ashrrev_i32_e32 v36, 31, v36
	s_wait_alu 0xf1ff
	v_xor_b32_e32 v35, s20, v35
	v_lshl_add_u32 v100, v33, 5, v0
	v_and_b32_e32 v34, v34, v39
	v_xor_b32_e32 v33, s21, v36
	ds_load_b32 v98, v100 offset:32
	v_and_b32_e32 v34, v34, v35
	; wave barrier
	s_delay_alu instid0(VALU_DEP_1) | instskip(NEXT) | instid1(VALU_DEP_1)
	v_and_b32_e32 v33, v34, v33
	v_mbcnt_lo_u32_b32 v99, v33, 0
	v_cmp_ne_u32_e64 s21, 0, v33
	s_delay_alu instid0(VALU_DEP_2)
	v_cmp_eq_u32_e64 s20, 0, v99
	s_and_b32 s21, s21, s20
	s_wait_alu 0xfffe
	s_and_saveexec_b32 s20, s21
	s_cbranch_execz .LBB161_61
; %bb.60:
	s_wait_dscnt 0x0
	v_bcnt_u32_b32 v33, v33, v98
	ds_store_b32 v100, v33 offset:32
.LBB161_61:
	s_wait_alu 0xfffe
	s_or_b32 exec_lo, exec_lo, s20
	v_lshrrev_b16 v33, 8, v82
	; wave barrier
	s_delay_alu instid0(VALU_DEP_1) | instskip(NEXT) | instid1(VALU_DEP_1)
	v_and_b32_e32 v33, s23, v33
	v_and_b32_e32 v34, 1, v33
	v_lshlrev_b32_e32 v35, 30, v33
	v_lshlrev_b32_e32 v36, 29, v33
	v_lshlrev_b32_e32 v37, 28, v33
	v_lshlrev_b32_e32 v39, 27, v33
	v_add_co_u32 v34, s20, v34, -1
	s_wait_alu 0xf1ff
	v_cndmask_b32_e64 v38, 0, 1, s20
	v_not_b32_e32 v102, v35
	v_cmp_gt_i32_e64 s21, 0, v35
	v_not_b32_e32 v35, v36
	v_lshlrev_b32_e32 v40, 26, v33
	v_cmp_ne_u32_e64 s20, 0, v38
	v_ashrrev_i32_e32 v102, 31, v102
	v_lshlrev_b32_e32 v101, 25, v33
	v_ashrrev_i32_e32 v35, 31, v35
	v_lshlrev_b32_e32 v38, 24, v33
	s_wait_alu 0xf1ff
	v_xor_b32_e32 v34, s20, v34
	v_cmp_gt_i32_e64 s20, 0, v36
	v_not_b32_e32 v36, v37
	v_xor_b32_e32 v102, s21, v102
	v_cmp_gt_i32_e64 s21, 0, v37
	v_and_b32_e32 v34, exec_lo, v34
	v_not_b32_e32 v37, v39
	v_ashrrev_i32_e32 v36, 31, v36
	s_wait_alu 0xf1ff
	v_xor_b32_e32 v35, s20, v35
	v_cmp_gt_i32_e64 s20, 0, v39
	v_and_b32_e32 v34, v34, v102
	v_not_b32_e32 v39, v40
	v_ashrrev_i32_e32 v37, 31, v37
	v_xor_b32_e32 v36, s21, v36
	v_cmp_gt_i32_e64 s21, 0, v40
	v_and_b32_e32 v34, v34, v35
	v_not_b32_e32 v35, v101
	v_ashrrev_i32_e32 v39, 31, v39
	s_wait_alu 0xf1ff
	v_xor_b32_e32 v37, s20, v37
	v_cmp_gt_i32_e64 s20, 0, v101
	v_and_b32_e32 v34, v34, v36
	v_not_b32_e32 v36, v38
	v_ashrrev_i32_e32 v35, 31, v35
	v_xor_b32_e32 v39, s21, v39
	v_cmp_gt_i32_e64 s21, 0, v38
	v_and_b32_e32 v34, v34, v37
	v_ashrrev_i32_e32 v36, 31, v36
	s_wait_alu 0xf1ff
	v_xor_b32_e32 v35, s20, v35
	v_lshl_add_u32 v103, v33, 5, v0
	v_and_b32_e32 v34, v34, v39
	v_xor_b32_e32 v33, s21, v36
	ds_load_b32 v101, v103 offset:32
	v_and_b32_e32 v34, v34, v35
	; wave barrier
	s_delay_alu instid0(VALU_DEP_1) | instskip(NEXT) | instid1(VALU_DEP_1)
	v_and_b32_e32 v33, v34, v33
	v_mbcnt_lo_u32_b32 v102, v33, 0
	v_cmp_ne_u32_e64 s21, 0, v33
	s_delay_alu instid0(VALU_DEP_2)
	v_cmp_eq_u32_e64 s20, 0, v102
	s_and_b32 s21, s21, s20
	s_wait_alu 0xfffe
	s_and_saveexec_b32 s20, s21
	s_cbranch_execz .LBB161_63
; %bb.62:
	s_wait_dscnt 0x0
	v_bcnt_u32_b32 v33, v33, v101
	ds_store_b32 v103, v33 offset:32
.LBB161_63:
	s_wait_alu 0xfffe
	s_or_b32 exec_lo, exec_lo, s20
	v_lshrrev_b16 v33, 8, v83
	; wave barrier
	s_delay_alu instid0(VALU_DEP_1) | instskip(NEXT) | instid1(VALU_DEP_1)
	v_and_b32_e32 v33, s23, v33
	v_and_b32_e32 v34, 1, v33
	v_lshlrev_b32_e32 v35, 30, v33
	v_lshlrev_b32_e32 v36, 29, v33
	;; [unrolled: 1-line block ×4, first 2 shown]
	v_add_co_u32 v34, s20, v34, -1
	s_wait_alu 0xf1ff
	v_cndmask_b32_e64 v38, 0, 1, s20
	v_not_b32_e32 v105, v35
	v_cmp_gt_i32_e64 s21, 0, v35
	v_not_b32_e32 v35, v36
	v_lshlrev_b32_e32 v40, 26, v33
	v_cmp_ne_u32_e64 s20, 0, v38
	v_ashrrev_i32_e32 v105, 31, v105
	v_lshlrev_b32_e32 v104, 25, v33
	v_ashrrev_i32_e32 v35, 31, v35
	v_lshlrev_b32_e32 v38, 24, v33
	s_wait_alu 0xf1ff
	v_xor_b32_e32 v34, s20, v34
	v_cmp_gt_i32_e64 s20, 0, v36
	v_not_b32_e32 v36, v37
	v_xor_b32_e32 v105, s21, v105
	v_cmp_gt_i32_e64 s21, 0, v37
	v_and_b32_e32 v34, exec_lo, v34
	v_not_b32_e32 v37, v39
	v_ashrrev_i32_e32 v36, 31, v36
	s_wait_alu 0xf1ff
	v_xor_b32_e32 v35, s20, v35
	v_cmp_gt_i32_e64 s20, 0, v39
	v_and_b32_e32 v34, v34, v105
	v_not_b32_e32 v39, v40
	v_ashrrev_i32_e32 v37, 31, v37
	v_xor_b32_e32 v36, s21, v36
	v_cmp_gt_i32_e64 s21, 0, v40
	v_and_b32_e32 v34, v34, v35
	v_not_b32_e32 v35, v104
	v_ashrrev_i32_e32 v39, 31, v39
	s_wait_alu 0xf1ff
	v_xor_b32_e32 v37, s20, v37
	v_cmp_gt_i32_e64 s20, 0, v104
	v_and_b32_e32 v34, v34, v36
	v_not_b32_e32 v36, v38
	v_ashrrev_i32_e32 v35, 31, v35
	v_xor_b32_e32 v39, s21, v39
	v_cmp_gt_i32_e64 s21, 0, v38
	v_and_b32_e32 v34, v34, v37
	v_ashrrev_i32_e32 v36, 31, v36
	s_wait_alu 0xf1ff
	v_xor_b32_e32 v35, s20, v35
	v_lshl_add_u32 v106, v33, 5, v0
	v_and_b32_e32 v34, v34, v39
	v_xor_b32_e32 v33, s21, v36
	ds_load_b32 v104, v106 offset:32
	v_and_b32_e32 v34, v34, v35
	; wave barrier
	s_delay_alu instid0(VALU_DEP_1) | instskip(NEXT) | instid1(VALU_DEP_1)
	v_and_b32_e32 v33, v34, v33
	v_mbcnt_lo_u32_b32 v105, v33, 0
	v_cmp_ne_u32_e64 s21, 0, v33
	s_delay_alu instid0(VALU_DEP_2)
	v_cmp_eq_u32_e64 s20, 0, v105
	s_and_b32 s21, s21, s20
	s_wait_alu 0xfffe
	s_and_saveexec_b32 s20, s21
	s_cbranch_execz .LBB161_65
; %bb.64:
	s_wait_dscnt 0x0
	v_bcnt_u32_b32 v33, v33, v104
	ds_store_b32 v106, v33 offset:32
.LBB161_65:
	s_wait_alu 0xfffe
	s_or_b32 exec_lo, exec_lo, s20
	v_lshrrev_b16 v33, 8, v84
	; wave barrier
	s_delay_alu instid0(VALU_DEP_1) | instskip(NEXT) | instid1(VALU_DEP_1)
	v_and_b32_e32 v33, s23, v33
	v_and_b32_e32 v34, 1, v33
	v_lshlrev_b32_e32 v35, 30, v33
	v_lshlrev_b32_e32 v36, 29, v33
	;; [unrolled: 1-line block ×4, first 2 shown]
	v_add_co_u32 v34, s20, v34, -1
	s_wait_alu 0xf1ff
	v_cndmask_b32_e64 v38, 0, 1, s20
	v_not_b32_e32 v108, v35
	v_cmp_gt_i32_e64 s21, 0, v35
	v_not_b32_e32 v35, v36
	v_lshlrev_b32_e32 v40, 26, v33
	v_cmp_ne_u32_e64 s20, 0, v38
	v_ashrrev_i32_e32 v108, 31, v108
	v_lshlrev_b32_e32 v107, 25, v33
	v_ashrrev_i32_e32 v35, 31, v35
	v_lshlrev_b32_e32 v38, 24, v33
	s_wait_alu 0xf1ff
	v_xor_b32_e32 v34, s20, v34
	v_cmp_gt_i32_e64 s20, 0, v36
	v_not_b32_e32 v36, v37
	v_xor_b32_e32 v108, s21, v108
	v_cmp_gt_i32_e64 s21, 0, v37
	v_and_b32_e32 v34, exec_lo, v34
	v_not_b32_e32 v37, v39
	v_ashrrev_i32_e32 v36, 31, v36
	s_wait_alu 0xf1ff
	v_xor_b32_e32 v35, s20, v35
	v_cmp_gt_i32_e64 s20, 0, v39
	v_and_b32_e32 v34, v34, v108
	v_not_b32_e32 v39, v40
	v_ashrrev_i32_e32 v37, 31, v37
	v_xor_b32_e32 v36, s21, v36
	v_cmp_gt_i32_e64 s21, 0, v40
	v_and_b32_e32 v34, v34, v35
	v_not_b32_e32 v35, v107
	v_ashrrev_i32_e32 v39, 31, v39
	s_wait_alu 0xf1ff
	v_xor_b32_e32 v37, s20, v37
	v_cmp_gt_i32_e64 s20, 0, v107
	v_and_b32_e32 v34, v34, v36
	v_not_b32_e32 v36, v38
	v_ashrrev_i32_e32 v35, 31, v35
	v_xor_b32_e32 v39, s21, v39
	v_cmp_gt_i32_e64 s21, 0, v38
	v_and_b32_e32 v34, v34, v37
	v_ashrrev_i32_e32 v36, 31, v36
	s_wait_alu 0xf1ff
	v_xor_b32_e32 v35, s20, v35
	v_lshl_add_u32 v109, v33, 5, v0
	v_and_b32_e32 v34, v34, v39
	v_xor_b32_e32 v33, s21, v36
	ds_load_b32 v107, v109 offset:32
	v_and_b32_e32 v34, v34, v35
	; wave barrier
	s_delay_alu instid0(VALU_DEP_1) | instskip(NEXT) | instid1(VALU_DEP_1)
	v_and_b32_e32 v33, v34, v33
	v_mbcnt_lo_u32_b32 v108, v33, 0
	v_cmp_ne_u32_e64 s21, 0, v33
	s_delay_alu instid0(VALU_DEP_2)
	v_cmp_eq_u32_e64 s20, 0, v108
	s_and_b32 s21, s21, s20
	s_wait_alu 0xfffe
	s_and_saveexec_b32 s20, s21
	s_cbranch_execz .LBB161_67
; %bb.66:
	s_wait_dscnt 0x0
	v_bcnt_u32_b32 v33, v33, v107
	ds_store_b32 v109, v33 offset:32
.LBB161_67:
	s_wait_alu 0xfffe
	s_or_b32 exec_lo, exec_lo, s20
	v_lshrrev_b16 v33, 8, v85
	; wave barrier
	s_delay_alu instid0(VALU_DEP_1) | instskip(NEXT) | instid1(VALU_DEP_1)
	v_and_b32_e32 v33, s23, v33
	v_and_b32_e32 v34, 1, v33
	v_lshlrev_b32_e32 v35, 30, v33
	v_lshlrev_b32_e32 v36, 29, v33
	;; [unrolled: 1-line block ×4, first 2 shown]
	v_add_co_u32 v34, s20, v34, -1
	s_wait_alu 0xf1ff
	v_cndmask_b32_e64 v38, 0, 1, s20
	v_not_b32_e32 v111, v35
	v_cmp_gt_i32_e64 s21, 0, v35
	v_not_b32_e32 v35, v36
	v_lshlrev_b32_e32 v40, 26, v33
	v_cmp_ne_u32_e64 s20, 0, v38
	v_ashrrev_i32_e32 v111, 31, v111
	v_lshlrev_b32_e32 v110, 25, v33
	v_ashrrev_i32_e32 v35, 31, v35
	v_lshlrev_b32_e32 v38, 24, v33
	s_wait_alu 0xf1ff
	v_xor_b32_e32 v34, s20, v34
	v_cmp_gt_i32_e64 s20, 0, v36
	v_not_b32_e32 v36, v37
	v_xor_b32_e32 v111, s21, v111
	v_cmp_gt_i32_e64 s21, 0, v37
	v_and_b32_e32 v34, exec_lo, v34
	v_not_b32_e32 v37, v39
	v_ashrrev_i32_e32 v36, 31, v36
	s_wait_alu 0xf1ff
	v_xor_b32_e32 v35, s20, v35
	v_cmp_gt_i32_e64 s20, 0, v39
	v_and_b32_e32 v34, v34, v111
	v_not_b32_e32 v39, v40
	v_ashrrev_i32_e32 v37, 31, v37
	v_xor_b32_e32 v36, s21, v36
	v_cmp_gt_i32_e64 s21, 0, v40
	v_and_b32_e32 v34, v34, v35
	v_not_b32_e32 v35, v110
	v_ashrrev_i32_e32 v39, 31, v39
	s_wait_alu 0xf1ff
	v_xor_b32_e32 v37, s20, v37
	v_cmp_gt_i32_e64 s20, 0, v110
	v_and_b32_e32 v34, v34, v36
	v_not_b32_e32 v36, v38
	v_ashrrev_i32_e32 v35, 31, v35
	v_xor_b32_e32 v39, s21, v39
	v_cmp_gt_i32_e64 s21, 0, v38
	v_and_b32_e32 v34, v34, v37
	v_ashrrev_i32_e32 v36, 31, v36
	s_wait_alu 0xf1ff
	v_xor_b32_e32 v35, s20, v35
	v_lshl_add_u32 v111, v33, 5, v0
	v_and_b32_e32 v34, v34, v39
	v_xor_b32_e32 v33, s21, v36
	ds_load_b32 v0, v111 offset:32
	v_and_b32_e32 v34, v34, v35
	; wave barrier
	s_delay_alu instid0(VALU_DEP_1) | instskip(NEXT) | instid1(VALU_DEP_1)
	v_and_b32_e32 v33, v34, v33
	v_mbcnt_lo_u32_b32 v110, v33, 0
	v_cmp_ne_u32_e64 s21, 0, v33
	s_delay_alu instid0(VALU_DEP_2)
	v_cmp_eq_u32_e64 s20, 0, v110
	s_and_b32 s21, s21, s20
	s_wait_alu 0xfffe
	s_and_saveexec_b32 s20, s21
	s_cbranch_execz .LBB161_69
; %bb.68:
	s_wait_dscnt 0x0
	v_bcnt_u32_b32 v33, v33, v0
	ds_store_b32 v111, v33 offset:32
.LBB161_69:
	s_wait_alu 0xfffe
	s_or_b32 exec_lo, exec_lo, s20
	; wave barrier
	s_wait_loadcnt_dscnt 0x0
	s_barrier_signal -1
	s_barrier_wait -1
	global_inv scope:SCOPE_SE
	ds_load_b128 v[37:40], v67 offset:32
	ds_load_b128 v[33:36], v67 offset:48
	s_wait_dscnt 0x1
	v_add_nc_u32_e32 v112, v38, v37
	s_delay_alu instid0(VALU_DEP_1) | instskip(SKIP_1) | instid1(VALU_DEP_1)
	v_add3_u32 v112, v112, v39, v40
	s_wait_dscnt 0x0
	v_add3_u32 v112, v112, v33, v34
	s_delay_alu instid0(VALU_DEP_1) | instskip(NEXT) | instid1(VALU_DEP_1)
	v_add3_u32 v36, v112, v35, v36
	v_mov_b32_dpp v112, v36 row_shr:1 row_mask:0xf bank_mask:0xf
	s_delay_alu instid0(VALU_DEP_1) | instskip(NEXT) | instid1(VALU_DEP_1)
	v_cndmask_b32_e64 v112, v112, 0, s9
	v_add_nc_u32_e32 v36, v112, v36
	s_delay_alu instid0(VALU_DEP_1) | instskip(NEXT) | instid1(VALU_DEP_1)
	v_mov_b32_dpp v112, v36 row_shr:2 row_mask:0xf bank_mask:0xf
	v_cndmask_b32_e64 v112, 0, v112, s11
	s_delay_alu instid0(VALU_DEP_1) | instskip(NEXT) | instid1(VALU_DEP_1)
	v_add_nc_u32_e32 v36, v36, v112
	v_mov_b32_dpp v112, v36 row_shr:4 row_mask:0xf bank_mask:0xf
	s_delay_alu instid0(VALU_DEP_1) | instskip(NEXT) | instid1(VALU_DEP_1)
	v_cndmask_b32_e64 v112, 0, v112, s12
	v_add_nc_u32_e32 v36, v36, v112
	s_delay_alu instid0(VALU_DEP_1) | instskip(NEXT) | instid1(VALU_DEP_1)
	v_mov_b32_dpp v112, v36 row_shr:8 row_mask:0xf bank_mask:0xf
	v_cndmask_b32_e64 v112, 0, v112, s14
	s_delay_alu instid0(VALU_DEP_1) | instskip(SKIP_3) | instid1(VALU_DEP_1)
	v_add_nc_u32_e32 v36, v36, v112
	ds_swizzle_b32 v112, v36 offset:swizzle(BROADCAST,32,15)
	s_wait_dscnt 0x0
	v_cndmask_b32_e64 v112, v112, 0, s17
	v_add_nc_u32_e32 v36, v36, v112
	s_and_saveexec_b32 s9, s15
; %bb.70:
	ds_store_b32 v87, v36
; %bb.71:
	s_wait_alu 0xfffe
	s_or_b32 exec_lo, exec_lo, s9
	s_wait_loadcnt_dscnt 0x0
	s_barrier_signal -1
	s_barrier_wait -1
	global_inv scope:SCOPE_SE
	s_and_saveexec_b32 s9, s16
	s_cbranch_execz .LBB161_73
; %bb.72:
	ds_load_b32 v87, v86
	s_wait_dscnt 0x0
	v_mov_b32_dpp v112, v87 row_shr:1 row_mask:0xf bank_mask:0xf
	s_delay_alu instid0(VALU_DEP_1) | instskip(NEXT) | instid1(VALU_DEP_1)
	v_cndmask_b32_e64 v112, v112, 0, s13
	v_add_nc_u32_e32 v87, v112, v87
	s_delay_alu instid0(VALU_DEP_1) | instskip(NEXT) | instid1(VALU_DEP_1)
	v_mov_b32_dpp v112, v87 row_shr:2 row_mask:0xf bank_mask:0xf
	v_cndmask_b32_e64 v112, 0, v112, s10
	s_delay_alu instid0(VALU_DEP_1) | instskip(NEXT) | instid1(VALU_DEP_1)
	v_add_nc_u32_e32 v87, v87, v112
	v_mov_b32_dpp v112, v87 row_shr:4 row_mask:0xf bank_mask:0xf
	s_wait_alu 0xfffd
	s_delay_alu instid0(VALU_DEP_1) | instskip(NEXT) | instid1(VALU_DEP_1)
	v_cndmask_b32_e32 v112, 0, v112, vcc_lo
	v_add_nc_u32_e32 v87, v87, v112
	ds_store_b32 v86, v87
.LBB161_73:
	s_wait_alu 0xfffe
	s_or_b32 exec_lo, exec_lo, s9
	v_mov_b32_e32 v86, 0
	s_wait_loadcnt_dscnt 0x0
	s_barrier_signal -1
	s_barrier_wait -1
	global_inv scope:SCOPE_SE
	s_and_saveexec_b32 s9, s18
; %bb.74:
	ds_load_b32 v86, v88
; %bb.75:
	s_wait_alu 0xfffe
	s_or_b32 exec_lo, exec_lo, s9
	s_wait_dscnt 0x0
	v_add_nc_u32_e32 v36, v86, v36
	ds_bpermute_b32 v36, v89, v36
	s_wait_dscnt 0x0
	v_cndmask_b32_e64 v36, v36, v86, s8
	s_delay_alu instid0(VALU_DEP_1) | instskip(NEXT) | instid1(VALU_DEP_1)
	v_cndmask_b32_e64 v36, v36, 0, s19
	v_add_nc_u32_e32 v37, v36, v37
	s_delay_alu instid0(VALU_DEP_1) | instskip(NEXT) | instid1(VALU_DEP_1)
	v_add_nc_u32_e32 v38, v37, v38
	v_add_nc_u32_e32 v39, v38, v39
	s_delay_alu instid0(VALU_DEP_1) | instskip(NEXT) | instid1(VALU_DEP_1)
	v_add_nc_u32_e32 v86, v39, v40
	v_add_nc_u32_e32 v87, v86, v33
	s_delay_alu instid0(VALU_DEP_1) | instskip(NEXT) | instid1(VALU_DEP_1)
	v_add_nc_u32_e32 v88, v87, v34
	v_add_nc_u32_e32 v89, v88, v35
	ds_store_b128 v67, v[36:39] offset:32
	ds_store_b128 v67, v[86:89] offset:48
	s_wait_loadcnt_dscnt 0x0
	s_barrier_signal -1
	s_barrier_wait -1
	global_inv scope:SCOPE_SE
	ds_load_b32 v33, v111 offset:32
	ds_load_b32 v34, v109 offset:32
	;; [unrolled: 1-line block ×8, first 2 shown]
	v_lshlrev_b32_e32 v86, 1, v66
	s_wait_loadcnt_dscnt 0x0
	s_barrier_signal -1
	s_barrier_wait -1
	global_inv scope:SCOPE_SE
	v_mad_u32_u24 v87, v46, 48, v86
	v_add3_u32 v88, v110, v0, v33
	v_add3_u32 v89, v108, v107, v34
	;; [unrolled: 1-line block ×3, first 2 shown]
	v_add_nc_u32_e32 v90, v36, v90
	v_add3_u32 v92, v93, v92, v37
	v_add3_u32 v93, v96, v95, v38
	;; [unrolled: 1-line block ×4, first 2 shown]
	v_lshlrev_b32_e32 v0, 1, v90
	v_lshlrev_b32_e32 v33, 1, v92
	v_lshlrev_b32_e32 v34, 1, v93
	v_lshlrev_b32_e32 v35, 1, v94
	v_lshlrev_b32_e32 v36, 1, v40
	v_lshlrev_b32_e32 v37, 1, v91
	v_lshlrev_b32_e32 v38, 1, v89
	v_lshlrev_b32_e32 v39, 1, v88
	ds_store_b16 v0, v78
	ds_store_b16 v33, v79
	;; [unrolled: 1-line block ×8, first 2 shown]
	v_mad_co_u64_u32 v[78:79], null, v90, 6, v[0:1]
	v_mad_co_u64_u32 v[79:80], null, v92, 6, v[33:34]
	;; [unrolled: 1-line block ×5, first 2 shown]
	s_wait_loadcnt_dscnt 0x0
	s_barrier_signal -1
	s_barrier_wait -1
	global_inv scope:SCOPE_SE
	v_mad_co_u64_u32 v[83:84], null, v91, 6, v[37:38]
	ds_load_b128 v[33:36], v86
	v_mad_co_u64_u32 v[37:38], null, v89, 6, v[38:39]
	v_mad_co_u64_u32 v[38:39], null, v88, 6, v[39:40]
	s_wait_loadcnt_dscnt 0x0
	s_barrier_signal -1
	s_barrier_wait -1
	global_inv scope:SCOPE_SE
	ds_store_b64 v78, v[21:22]
	ds_store_b64 v79, v[23:24]
	;; [unrolled: 1-line block ×8, first 2 shown]
	s_wait_loadcnt_dscnt 0x0
	s_barrier_signal -1
	s_barrier_wait -1
	global_inv scope:SCOPE_SE
	ds_load_b128 v[29:32], v87
	ds_load_b128 v[25:28], v87 offset:16
	ds_load_b128 v[21:24], v87 offset:32
	;; [unrolled: 1-line block ×3, first 2 shown]
	v_xor_b32_e32 v0, 0x80008000, v33
	v_xor_b32_e32 v34, 0x80008000, v34
	;; [unrolled: 1-line block ×4, first 2 shown]
	s_branch .LBB161_128
.LBB161_76:
	v_lshlrev_b64_e32 v[1:2], 3, v[41:42]
	v_dual_mov_b32 v43, v42 :: v_dual_mov_b32 v10, v42
	v_dual_mov_b32 v9, v42 :: v_dual_mov_b32 v12, v42
	v_mov_b32_e32 v11, v42
	s_delay_alu instid0(VALU_DEP_4)
	v_add_co_u32 v1, vcc_lo, s34, v1
	s_wait_alu 0xfffd
	v_add_co_ci_u32_e64 v2, null, s35, v2, vcc_lo
	v_dual_mov_b32 v3, v42 :: v_dual_mov_b32 v6, v42
	v_dual_mov_b32 v5, v42 :: v_dual_mov_b32 v8, v42
	global_load_b64 v[13:14], v[1:2], off
	v_dual_mov_b32 v1, v42 :: v_dual_mov_b32 v4, v42
	v_dual_mov_b32 v2, v42 :: v_dual_mov_b32 v7, v42
	s_wait_alu 0xfffe
	s_or_b32 exec_lo, exec_lo, s9
	s_and_saveexec_b32 s9, s1
	s_cbranch_execz .LBB161_22
.LBB161_77:
	v_mul_lo_u32 v22, s28, v15
	v_mov_b32_e32 v23, 0
	s_delay_alu instid0(VALU_DEP_1) | instskip(NEXT) | instid1(VALU_DEP_1)
	v_lshlrev_b64_e32 v[22:23], 3, v[22:23]
	v_add_co_u32 v22, vcc_lo, s34, v22
	s_wait_alu 0xfffd
	s_delay_alu instid0(VALU_DEP_2)
	v_add_co_ci_u32_e64 v23, null, s35, v23, vcc_lo
	global_load_b64 v[42:43], v[22:23], off
	s_wait_alu 0xfffe
	s_or_b32 exec_lo, exec_lo, s9
	s_and_saveexec_b32 s9, s2
	s_cbranch_execz .LBB161_23
.LBB161_78:
	v_mul_lo_u32 v9, s28, v16
	v_mov_b32_e32 v10, 0
	s_delay_alu instid0(VALU_DEP_1) | instskip(NEXT) | instid1(VALU_DEP_1)
	v_lshlrev_b64_e32 v[9:10], 3, v[9:10]
	v_add_co_u32 v9, vcc_lo, s34, v9
	s_wait_alu 0xfffd
	s_delay_alu instid0(VALU_DEP_2)
	v_add_co_ci_u32_e64 v10, null, s35, v10, vcc_lo
	global_load_b64 v[9:10], v[9:10], off
	s_wait_alu 0xfffe
	s_or_b32 exec_lo, exec_lo, s9
	s_and_saveexec_b32 s9, s3
	s_cbranch_execz .LBB161_24
.LBB161_79:
	v_mul_lo_u32 v11, s28, v17
	v_mov_b32_e32 v12, 0
	s_delay_alu instid0(VALU_DEP_1) | instskip(NEXT) | instid1(VALU_DEP_1)
	v_lshlrev_b64_e32 v[11:12], 3, v[11:12]
	v_add_co_u32 v11, vcc_lo, s34, v11
	s_wait_alu 0xfffd
	s_delay_alu instid0(VALU_DEP_2)
	v_add_co_ci_u32_e64 v12, null, s35, v12, vcc_lo
	global_load_b64 v[11:12], v[11:12], off
	s_wait_alu 0xfffe
	s_or_b32 exec_lo, exec_lo, s9
	s_and_saveexec_b32 s9, s4
	s_cbranch_execz .LBB161_25
.LBB161_80:
	v_mul_lo_u32 v1, s28, v18
	v_mov_b32_e32 v2, 0
	s_delay_alu instid0(VALU_DEP_1) | instskip(NEXT) | instid1(VALU_DEP_1)
	v_lshlrev_b64_e32 v[1:2], 3, v[1:2]
	v_add_co_u32 v1, vcc_lo, s34, v1
	s_wait_alu 0xfffd
	s_delay_alu instid0(VALU_DEP_2)
	v_add_co_ci_u32_e64 v2, null, s35, v2, vcc_lo
	global_load_b64 v[1:2], v[1:2], off
	s_wait_alu 0xfffe
	s_or_b32 exec_lo, exec_lo, s9
	s_and_saveexec_b32 s9, s5
	s_cbranch_execz .LBB161_26
.LBB161_81:
	v_mul_lo_u32 v3, s28, v19
	v_mov_b32_e32 v4, 0
	s_delay_alu instid0(VALU_DEP_1) | instskip(NEXT) | instid1(VALU_DEP_1)
	v_lshlrev_b64_e32 v[3:4], 3, v[3:4]
	v_add_co_u32 v3, vcc_lo, s34, v3
	s_wait_alu 0xfffd
	s_delay_alu instid0(VALU_DEP_2)
	v_add_co_ci_u32_e64 v4, null, s35, v4, vcc_lo
	global_load_b64 v[3:4], v[3:4], off
	s_wait_alu 0xfffe
	s_or_b32 exec_lo, exec_lo, s9
	s_and_saveexec_b32 s9, s6
	s_cbranch_execnz .LBB161_27
	s_branch .LBB161_28
.LBB161_82:
                                        ; implicit-def: $vgpr33
                                        ; implicit-def: $vgpr34
                                        ; implicit-def: $vgpr0
                                        ; implicit-def: $vgpr19_vgpr20
                                        ; implicit-def: $vgpr23_vgpr24
                                        ; implicit-def: $vgpr27_vgpr28
                                        ; implicit-def: $vgpr31_vgpr32
                                        ; implicit-def: $vgpr35
	s_and_b32 vcc_lo, exec_lo, s8
	s_wait_alu 0xfffe
	s_cbranch_vccz .LBB161_128
; %bb.83:
	s_wait_dscnt 0x0
	v_xor_b32_e32 v17, 0x7fff7fff, v49
	v_xor_b32_e32 v18, 0x7fff7fff, v50
	v_xor_b32_e32 v19, 0x7fff7fff, v47
	v_xor_b32_e32 v20, 0x7fff7fff, v48
	s_getpc_b64 s[8:9]
	s_wait_alu 0xfffe
	s_sext_i32_i16 s9, s9
	s_add_co_u32 s8, s8, _ZN7rocprim17ROCPRIM_400000_NS16block_radix_sortIsLj256ELj8ElLj1ELj1ELj0ELNS0_26block_radix_rank_algorithmE1ELNS0_18block_padding_hintE2ELNS0_4arch9wavefront6targetE0EE19radix_bits_per_passE@rel32@lo+12
	s_wait_alu 0xfffe
	s_add_co_ci_u32 s9, s9, _ZN7rocprim17ROCPRIM_400000_NS16block_radix_sortIsLj256ELj8ElLj1ELj1ELj0ELNS0_26block_radix_rank_algorithmE1ELNS0_18block_padding_hintE2ELNS0_4arch9wavefront6targetE0EE19radix_bits_per_passE@rel32@hi+24
	s_mov_b32 s12, 0
	s_load_b32 s20, s[8:9], 0x0
	s_mov_b32 s13, s12
	ds_store_b128 v77, v[17:20]
	; wave barrier
	ds_load_u16 v25, v68
	s_mov_b32 s14, s12
	s_mov_b32 s15, s12
	v_mad_u32_u24 v0, v76, 6, v77
	ds_load_u16 v26, v68 offset:64
	ds_load_u16 v27, v68 offset:128
	;; [unrolled: 1-line block ×7, first 2 shown]
	s_wait_loadcnt_dscnt 0x0
	s_barrier_signal -1
	s_barrier_wait -1
	global_inv scope:SCOPE_SE
	ds_store_b128 v0, v[5:8]
	ds_store_b128 v0, v[1:4] offset:16
	ds_store_b128 v0, v[13:16] offset:32
	;; [unrolled: 1-line block ×3, first 2 shown]
	; wave barrier
	ds_load_2addr_b64 v[4:7], v75 offset1:32
	ds_load_2addr_b64 v[0:3], v75 offset0:64 offset1:96
	ds_load_2addr_b64 v[12:15], v75 offset0:128 offset1:160
	;; [unrolled: 1-line block ×3, first 2 shown]
	s_wait_kmcnt 0x0
	s_min_u32 s8, s20, 16
	s_wait_loadcnt_dscnt 0x0
	s_wait_alu 0xfffe
	s_lshl_b32 s8, -1, s8
	s_barrier_signal -1
	s_wait_alu 0xfffe
	s_not_b32 s9, s8
	v_and_b32_e32 v17, 0xffff, v25
	s_barrier_wait -1
	global_inv scope:SCOPE_SE
	s_load_b32 s10, s[36:37], 0xc
	v_and_b32_e32 v23, s9, v17
	s_delay_alu instid0(VALU_DEP_1) | instskip(SKIP_3) | instid1(VALU_DEP_4)
	v_and_b32_e32 v16, 1, v23
	v_lshlrev_b32_e32 v17, 30, v23
	v_lshlrev_b32_e32 v20, 28, v23
	;; [unrolled: 1-line block ×3, first 2 shown]
	v_add_co_u32 v16, s8, v16, -1
	s_wait_alu 0xf1ff
	v_cndmask_b32_e64 v18, 0, 1, s8
	v_not_b32_e32 v19, v17
	v_cmp_gt_i32_e64 s8, 0, v17
	s_delay_alu instid0(VALU_DEP_3) | instskip(SKIP_1) | instid1(VALU_DEP_4)
	v_cmp_ne_u32_e32 vcc_lo, 0, v18
	v_lshlrev_b32_e32 v18, 29, v23
	v_ashrrev_i32_e32 v17, 31, v19
	s_wait_alu 0xfffd
	v_xor_b32_e32 v16, vcc_lo, v16
	s_delay_alu instid0(VALU_DEP_3)
	v_not_b32_e32 v19, v18
	s_wait_alu 0xf1ff
	v_xor_b32_e32 v17, s8, v17
	v_cmp_gt_i32_e32 vcc_lo, 0, v18
	s_wait_kmcnt 0x0
	s_lshr_b32 s8, s10, 16
	v_and_b32_e32 v16, exec_lo, v16
	v_ashrrev_i32_e32 v18, 31, v19
	v_not_b32_e32 v19, v20
	s_and_b32 s10, s10, 0xffff
	s_delay_alu instid0(VALU_DEP_3)
	v_and_b32_e32 v16, v16, v17
	s_wait_alu 0xfffd
	v_xor_b32_e32 v17, vcc_lo, v18
	v_cmp_gt_i32_e32 vcc_lo, 0, v20
	v_ashrrev_i32_e32 v18, 31, v19
	v_not_b32_e32 v19, v21
	s_delay_alu instid0(VALU_DEP_4)
	v_and_b32_e32 v16, v16, v17
	v_lshlrev_b32_e32 v17, 26, v23
	s_wait_alu 0xfffd
	v_xor_b32_e32 v18, vcc_lo, v18
	v_cmp_gt_i32_e32 vcc_lo, 0, v21
	v_ashrrev_i32_e32 v19, 31, v19
	v_not_b32_e32 v20, v17
	s_delay_alu instid0(VALU_DEP_4)
	v_and_b32_e32 v16, v16, v18
	v_lshlrev_b32_e32 v18, 25, v23
	;; [unrolled: 8-line block ×3, first 2 shown]
	s_wait_alu 0xfffd
	v_xor_b32_e32 v17, vcc_lo, v17
	v_cmp_gt_i32_e32 vcc_lo, 0, v18
	v_ashrrev_i32_e32 v18, 31, v20
	s_wait_alu 0xfffe
	v_mad_u32_u24 v20, v74, s8, v73
	v_not_b32_e32 v21, v19
	v_and_b32_e32 v16, v16, v17
	s_wait_alu 0xfffd
	v_xor_b32_e32 v17, vcc_lo, v18
	v_cmp_gt_i32_e32 vcc_lo, 0, v19
	v_ashrrev_i32_e32 v18, 31, v21
	v_mad_co_u64_u32 v[21:22], null, v20, s10, v[46:47]
	s_delay_alu instid0(VALU_DEP_4) | instskip(SKIP_1) | instid1(VALU_DEP_3)
	v_and_b32_e32 v16, v16, v17
	s_wait_alu 0xfffd
	v_xor_b32_e32 v22, vcc_lo, v18
	v_dual_mov_b32 v20, s15 :: v_dual_mov_b32 v19, s14
	v_dual_mov_b32 v18, s13 :: v_dual_mov_b32 v17, s12
	s_delay_alu instid0(VALU_DEP_3)
	v_and_b32_e32 v16, v16, v22
	v_lshrrev_b32_e32 v21, 5, v21
	ds_store_b128 v67, v[17:20] offset:32
	ds_store_b128 v67, v[17:20] offset:48
	v_mbcnt_lo_u32_b32 v37, v16, 0
	v_lshlrev_b32_e32 v24, 2, v21
	v_lshlrev_b32_e32 v17, 5, v23
	v_cmp_ne_u32_e64 s8, 0, v16
	s_wait_loadcnt_dscnt 0x0
	v_cmp_eq_u32_e32 vcc_lo, 0, v37
	s_barrier_signal -1
	v_add_nc_u32_e32 v38, v24, v17
	s_barrier_wait -1
	global_inv scope:SCOPE_SE
	s_and_b32 s10, s8, vcc_lo
	; wave barrier
	s_wait_alu 0xfffe
	s_and_saveexec_b32 s8, s10
; %bb.84:
	v_bcnt_u32_b32 v16, v16, 0
	ds_store_b32 v38, v16 offset:32
; %bb.85:
	s_wait_alu 0xfffe
	s_or_b32 exec_lo, exec_lo, s8
	v_and_b32_e32 v16, 0xffff, v26
	; wave barrier
	s_delay_alu instid0(VALU_DEP_1) | instskip(NEXT) | instid1(VALU_DEP_1)
	v_and_b32_e32 v16, s9, v16
	v_and_b32_e32 v17, 1, v16
	v_lshlrev_b32_e32 v18, 30, v16
	v_lshlrev_b32_e32 v19, 29, v16
	;; [unrolled: 1-line block ×4, first 2 shown]
	v_add_co_u32 v17, s8, v17, -1
	s_wait_alu 0xf1ff
	v_cndmask_b32_e64 v21, 0, 1, s8
	v_not_b32_e32 v34, v18
	v_cmp_gt_i32_e64 s8, 0, v18
	v_not_b32_e32 v18, v19
	v_lshlrev_b32_e32 v23, 26, v16
	v_cmp_ne_u32_e32 vcc_lo, 0, v21
	v_ashrrev_i32_e32 v34, 31, v34
	v_lshlrev_b32_e32 v33, 25, v16
	v_ashrrev_i32_e32 v18, 31, v18
	v_lshlrev_b32_e32 v21, 24, v16
	s_wait_alu 0xfffd
	v_xor_b32_e32 v17, vcc_lo, v17
	v_cmp_gt_i32_e32 vcc_lo, 0, v19
	v_not_b32_e32 v19, v20
	s_wait_alu 0xf1ff
	v_xor_b32_e32 v34, s8, v34
	v_cmp_gt_i32_e64 s8, 0, v20
	v_and_b32_e32 v17, exec_lo, v17
	v_not_b32_e32 v20, v22
	v_ashrrev_i32_e32 v19, 31, v19
	s_wait_alu 0xfffd
	v_xor_b32_e32 v18, vcc_lo, v18
	v_cmp_gt_i32_e32 vcc_lo, 0, v22
	v_and_b32_e32 v17, v17, v34
	v_not_b32_e32 v22, v23
	v_ashrrev_i32_e32 v20, 31, v20
	s_wait_alu 0xf1ff
	v_xor_b32_e32 v19, s8, v19
	v_cmp_gt_i32_e64 s8, 0, v23
	v_and_b32_e32 v17, v17, v18
	v_not_b32_e32 v18, v33
	v_ashrrev_i32_e32 v22, 31, v22
	s_wait_alu 0xfffd
	v_xor_b32_e32 v20, vcc_lo, v20
	v_cmp_gt_i32_e32 vcc_lo, 0, v33
	v_and_b32_e32 v17, v17, v19
	v_not_b32_e32 v19, v21
	v_ashrrev_i32_e32 v18, 31, v18
	s_wait_alu 0xf1ff
	v_xor_b32_e32 v22, s8, v22
	v_lshlrev_b32_e32 v16, 5, v16
	v_and_b32_e32 v17, v17, v20
	v_cmp_gt_i32_e64 s8, 0, v21
	v_ashrrev_i32_e32 v19, 31, v19
	s_wait_alu 0xfffd
	v_xor_b32_e32 v18, vcc_lo, v18
	v_add_nc_u32_e32 v47, v24, v16
	v_and_b32_e32 v17, v17, v22
	s_wait_alu 0xf1ff
	v_xor_b32_e32 v16, s8, v19
	ds_load_b32 v39, v47 offset:32
	v_and_b32_e32 v17, v17, v18
	; wave barrier
	s_delay_alu instid0(VALU_DEP_1) | instskip(NEXT) | instid1(VALU_DEP_1)
	v_and_b32_e32 v16, v17, v16
	v_mbcnt_lo_u32_b32 v40, v16, 0
	v_cmp_ne_u32_e64 s8, 0, v16
	s_delay_alu instid0(VALU_DEP_2)
	v_cmp_eq_u32_e32 vcc_lo, 0, v40
	s_and_b32 s10, s8, vcc_lo
	s_wait_alu 0xfffe
	s_and_saveexec_b32 s8, s10
	s_cbranch_execz .LBB161_87
; %bb.86:
	s_wait_dscnt 0x0
	v_bcnt_u32_b32 v16, v16, v39
	ds_store_b32 v47, v16 offset:32
.LBB161_87:
	s_wait_alu 0xfffe
	s_or_b32 exec_lo, exec_lo, s8
	v_and_b32_e32 v16, 0xffff, v27
	; wave barrier
	s_delay_alu instid0(VALU_DEP_1) | instskip(NEXT) | instid1(VALU_DEP_1)
	v_and_b32_e32 v16, s9, v16
	v_and_b32_e32 v17, 1, v16
	v_lshlrev_b32_e32 v18, 30, v16
	v_lshlrev_b32_e32 v19, 29, v16
	;; [unrolled: 1-line block ×4, first 2 shown]
	v_add_co_u32 v17, s8, v17, -1
	s_wait_alu 0xf1ff
	v_cndmask_b32_e64 v21, 0, 1, s8
	v_not_b32_e32 v34, v18
	v_cmp_gt_i32_e64 s8, 0, v18
	v_not_b32_e32 v18, v19
	v_lshlrev_b32_e32 v23, 26, v16
	v_cmp_ne_u32_e32 vcc_lo, 0, v21
	v_ashrrev_i32_e32 v34, 31, v34
	v_lshlrev_b32_e32 v33, 25, v16
	v_ashrrev_i32_e32 v18, 31, v18
	v_lshlrev_b32_e32 v21, 24, v16
	s_wait_alu 0xfffd
	v_xor_b32_e32 v17, vcc_lo, v17
	v_cmp_gt_i32_e32 vcc_lo, 0, v19
	v_not_b32_e32 v19, v20
	s_wait_alu 0xf1ff
	v_xor_b32_e32 v34, s8, v34
	v_cmp_gt_i32_e64 s8, 0, v20
	v_and_b32_e32 v17, exec_lo, v17
	v_not_b32_e32 v20, v22
	v_ashrrev_i32_e32 v19, 31, v19
	s_wait_alu 0xfffd
	v_xor_b32_e32 v18, vcc_lo, v18
	v_cmp_gt_i32_e32 vcc_lo, 0, v22
	v_and_b32_e32 v17, v17, v34
	v_not_b32_e32 v22, v23
	v_ashrrev_i32_e32 v20, 31, v20
	s_wait_alu 0xf1ff
	v_xor_b32_e32 v19, s8, v19
	v_cmp_gt_i32_e64 s8, 0, v23
	v_and_b32_e32 v17, v17, v18
	v_not_b32_e32 v18, v33
	v_ashrrev_i32_e32 v22, 31, v22
	s_wait_alu 0xfffd
	v_xor_b32_e32 v20, vcc_lo, v20
	v_cmp_gt_i32_e32 vcc_lo, 0, v33
	v_and_b32_e32 v17, v17, v19
	v_not_b32_e32 v19, v21
	v_ashrrev_i32_e32 v18, 31, v18
	s_wait_alu 0xf1ff
	v_xor_b32_e32 v22, s8, v22
	v_lshlrev_b32_e32 v16, 5, v16
	v_and_b32_e32 v17, v17, v20
	v_cmp_gt_i32_e64 s8, 0, v21
	v_ashrrev_i32_e32 v19, 31, v19
	s_wait_alu 0xfffd
	v_xor_b32_e32 v18, vcc_lo, v18
	v_add_nc_u32_e32 v50, v24, v16
	v_and_b32_e32 v17, v17, v22
	s_wait_alu 0xf1ff
	v_xor_b32_e32 v16, s8, v19
	ds_load_b32 v48, v50 offset:32
	v_and_b32_e32 v17, v17, v18
	; wave barrier
	s_delay_alu instid0(VALU_DEP_1) | instskip(NEXT) | instid1(VALU_DEP_1)
	v_and_b32_e32 v16, v17, v16
	v_mbcnt_lo_u32_b32 v49, v16, 0
	v_cmp_ne_u32_e64 s8, 0, v16
	s_delay_alu instid0(VALU_DEP_2)
	v_cmp_eq_u32_e32 vcc_lo, 0, v49
	s_and_b32 s10, s8, vcc_lo
	s_wait_alu 0xfffe
	s_and_saveexec_b32 s8, s10
	s_cbranch_execz .LBB161_89
; %bb.88:
	s_wait_dscnt 0x0
	v_bcnt_u32_b32 v16, v16, v48
	ds_store_b32 v50, v16 offset:32
.LBB161_89:
	s_wait_alu 0xfffe
	s_or_b32 exec_lo, exec_lo, s8
	v_and_b32_e32 v16, 0xffff, v28
	; wave barrier
	s_delay_alu instid0(VALU_DEP_1) | instskip(NEXT) | instid1(VALU_DEP_1)
	v_and_b32_e32 v16, s9, v16
	v_and_b32_e32 v17, 1, v16
	v_lshlrev_b32_e32 v18, 30, v16
	v_lshlrev_b32_e32 v19, 29, v16
	;; [unrolled: 1-line block ×4, first 2 shown]
	v_add_co_u32 v17, s8, v17, -1
	s_wait_alu 0xf1ff
	v_cndmask_b32_e64 v21, 0, 1, s8
	v_not_b32_e32 v34, v18
	v_cmp_gt_i32_e64 s8, 0, v18
	v_not_b32_e32 v18, v19
	v_lshlrev_b32_e32 v23, 26, v16
	v_cmp_ne_u32_e32 vcc_lo, 0, v21
	v_ashrrev_i32_e32 v34, 31, v34
	v_lshlrev_b32_e32 v33, 25, v16
	v_ashrrev_i32_e32 v18, 31, v18
	v_lshlrev_b32_e32 v21, 24, v16
	s_wait_alu 0xfffd
	v_xor_b32_e32 v17, vcc_lo, v17
	v_cmp_gt_i32_e32 vcc_lo, 0, v19
	v_not_b32_e32 v19, v20
	s_wait_alu 0xf1ff
	v_xor_b32_e32 v34, s8, v34
	v_cmp_gt_i32_e64 s8, 0, v20
	v_and_b32_e32 v17, exec_lo, v17
	v_not_b32_e32 v20, v22
	v_ashrrev_i32_e32 v19, 31, v19
	s_wait_alu 0xfffd
	v_xor_b32_e32 v18, vcc_lo, v18
	v_cmp_gt_i32_e32 vcc_lo, 0, v22
	v_and_b32_e32 v17, v17, v34
	v_not_b32_e32 v22, v23
	v_ashrrev_i32_e32 v20, 31, v20
	s_wait_alu 0xf1ff
	v_xor_b32_e32 v19, s8, v19
	v_cmp_gt_i32_e64 s8, 0, v23
	v_and_b32_e32 v17, v17, v18
	v_not_b32_e32 v18, v33
	v_ashrrev_i32_e32 v22, 31, v22
	s_wait_alu 0xfffd
	v_xor_b32_e32 v20, vcc_lo, v20
	v_cmp_gt_i32_e32 vcc_lo, 0, v33
	v_and_b32_e32 v17, v17, v19
	v_not_b32_e32 v19, v21
	v_ashrrev_i32_e32 v18, 31, v18
	s_wait_alu 0xf1ff
	v_xor_b32_e32 v22, s8, v22
	v_lshlrev_b32_e32 v16, 5, v16
	v_and_b32_e32 v17, v17, v20
	v_cmp_gt_i32_e64 s8, 0, v21
	v_ashrrev_i32_e32 v19, 31, v19
	s_wait_alu 0xfffd
	v_xor_b32_e32 v18, vcc_lo, v18
	v_add_nc_u32_e32 v75, v24, v16
	v_and_b32_e32 v17, v17, v22
	s_wait_alu 0xf1ff
	v_xor_b32_e32 v16, s8, v19
	ds_load_b32 v73, v75 offset:32
	v_and_b32_e32 v17, v17, v18
	; wave barrier
	s_delay_alu instid0(VALU_DEP_1) | instskip(NEXT) | instid1(VALU_DEP_1)
	v_and_b32_e32 v16, v17, v16
	v_mbcnt_lo_u32_b32 v74, v16, 0
	v_cmp_ne_u32_e64 s8, 0, v16
	s_delay_alu instid0(VALU_DEP_2)
	v_cmp_eq_u32_e32 vcc_lo, 0, v74
	s_and_b32 s10, s8, vcc_lo
	s_wait_alu 0xfffe
	s_and_saveexec_b32 s8, s10
	s_cbranch_execz .LBB161_91
; %bb.90:
	s_wait_dscnt 0x0
	v_bcnt_u32_b32 v16, v16, v73
	ds_store_b32 v75, v16 offset:32
.LBB161_91:
	s_wait_alu 0xfffe
	s_or_b32 exec_lo, exec_lo, s8
	v_and_b32_e32 v16, 0xffff, v29
	; wave barrier
	s_delay_alu instid0(VALU_DEP_1) | instskip(NEXT) | instid1(VALU_DEP_1)
	v_and_b32_e32 v16, s9, v16
	v_and_b32_e32 v17, 1, v16
	v_lshlrev_b32_e32 v18, 30, v16
	v_lshlrev_b32_e32 v19, 29, v16
	;; [unrolled: 1-line block ×4, first 2 shown]
	v_add_co_u32 v17, s8, v17, -1
	s_wait_alu 0xf1ff
	v_cndmask_b32_e64 v21, 0, 1, s8
	v_not_b32_e32 v34, v18
	v_cmp_gt_i32_e64 s8, 0, v18
	v_not_b32_e32 v18, v19
	v_lshlrev_b32_e32 v23, 26, v16
	v_cmp_ne_u32_e32 vcc_lo, 0, v21
	v_ashrrev_i32_e32 v34, 31, v34
	v_lshlrev_b32_e32 v33, 25, v16
	v_ashrrev_i32_e32 v18, 31, v18
	v_lshlrev_b32_e32 v21, 24, v16
	s_wait_alu 0xfffd
	v_xor_b32_e32 v17, vcc_lo, v17
	v_cmp_gt_i32_e32 vcc_lo, 0, v19
	v_not_b32_e32 v19, v20
	s_wait_alu 0xf1ff
	v_xor_b32_e32 v34, s8, v34
	v_cmp_gt_i32_e64 s8, 0, v20
	v_and_b32_e32 v17, exec_lo, v17
	v_not_b32_e32 v20, v22
	v_ashrrev_i32_e32 v19, 31, v19
	s_wait_alu 0xfffd
	v_xor_b32_e32 v18, vcc_lo, v18
	v_cmp_gt_i32_e32 vcc_lo, 0, v22
	v_and_b32_e32 v17, v17, v34
	v_not_b32_e32 v22, v23
	v_ashrrev_i32_e32 v20, 31, v20
	s_wait_alu 0xf1ff
	v_xor_b32_e32 v19, s8, v19
	v_cmp_gt_i32_e64 s8, 0, v23
	v_and_b32_e32 v17, v17, v18
	v_not_b32_e32 v18, v33
	v_ashrrev_i32_e32 v22, 31, v22
	s_wait_alu 0xfffd
	v_xor_b32_e32 v20, vcc_lo, v20
	v_cmp_gt_i32_e32 vcc_lo, 0, v33
	v_and_b32_e32 v17, v17, v19
	v_not_b32_e32 v19, v21
	v_ashrrev_i32_e32 v18, 31, v18
	s_wait_alu 0xf1ff
	v_xor_b32_e32 v22, s8, v22
	v_lshlrev_b32_e32 v16, 5, v16
	v_and_b32_e32 v17, v17, v20
	v_cmp_gt_i32_e64 s8, 0, v21
	v_ashrrev_i32_e32 v19, 31, v19
	s_wait_alu 0xfffd
	v_xor_b32_e32 v18, vcc_lo, v18
	v_add_nc_u32_e32 v78, v24, v16
	v_and_b32_e32 v17, v17, v22
	s_wait_alu 0xf1ff
	v_xor_b32_e32 v16, s8, v19
	ds_load_b32 v76, v78 offset:32
	v_and_b32_e32 v17, v17, v18
	; wave barrier
	s_delay_alu instid0(VALU_DEP_1) | instskip(NEXT) | instid1(VALU_DEP_1)
	v_and_b32_e32 v16, v17, v16
	v_mbcnt_lo_u32_b32 v77, v16, 0
	v_cmp_ne_u32_e64 s8, 0, v16
	s_delay_alu instid0(VALU_DEP_2)
	v_cmp_eq_u32_e32 vcc_lo, 0, v77
	s_and_b32 s10, s8, vcc_lo
	s_wait_alu 0xfffe
	s_and_saveexec_b32 s8, s10
	s_cbranch_execz .LBB161_93
; %bb.92:
	s_wait_dscnt 0x0
	v_bcnt_u32_b32 v16, v16, v76
	ds_store_b32 v78, v16 offset:32
.LBB161_93:
	s_wait_alu 0xfffe
	s_or_b32 exec_lo, exec_lo, s8
	v_and_b32_e32 v16, 0xffff, v30
	; wave barrier
	s_delay_alu instid0(VALU_DEP_1) | instskip(NEXT) | instid1(VALU_DEP_1)
	v_and_b32_e32 v16, s9, v16
	v_and_b32_e32 v17, 1, v16
	v_lshlrev_b32_e32 v18, 30, v16
	v_lshlrev_b32_e32 v19, 29, v16
	;; [unrolled: 1-line block ×4, first 2 shown]
	v_add_co_u32 v17, s8, v17, -1
	s_wait_alu 0xf1ff
	v_cndmask_b32_e64 v21, 0, 1, s8
	v_not_b32_e32 v34, v18
	v_cmp_gt_i32_e64 s8, 0, v18
	v_not_b32_e32 v18, v19
	v_lshlrev_b32_e32 v23, 26, v16
	v_cmp_ne_u32_e32 vcc_lo, 0, v21
	v_ashrrev_i32_e32 v34, 31, v34
	v_lshlrev_b32_e32 v33, 25, v16
	v_ashrrev_i32_e32 v18, 31, v18
	v_lshlrev_b32_e32 v21, 24, v16
	s_wait_alu 0xfffd
	v_xor_b32_e32 v17, vcc_lo, v17
	v_cmp_gt_i32_e32 vcc_lo, 0, v19
	v_not_b32_e32 v19, v20
	s_wait_alu 0xf1ff
	v_xor_b32_e32 v34, s8, v34
	v_cmp_gt_i32_e64 s8, 0, v20
	v_and_b32_e32 v17, exec_lo, v17
	v_not_b32_e32 v20, v22
	v_ashrrev_i32_e32 v19, 31, v19
	s_wait_alu 0xfffd
	v_xor_b32_e32 v18, vcc_lo, v18
	v_cmp_gt_i32_e32 vcc_lo, 0, v22
	v_and_b32_e32 v17, v17, v34
	v_not_b32_e32 v22, v23
	v_ashrrev_i32_e32 v20, 31, v20
	s_wait_alu 0xf1ff
	v_xor_b32_e32 v19, s8, v19
	v_cmp_gt_i32_e64 s8, 0, v23
	v_and_b32_e32 v17, v17, v18
	v_not_b32_e32 v18, v33
	v_ashrrev_i32_e32 v22, 31, v22
	s_wait_alu 0xfffd
	v_xor_b32_e32 v20, vcc_lo, v20
	v_cmp_gt_i32_e32 vcc_lo, 0, v33
	v_and_b32_e32 v17, v17, v19
	v_not_b32_e32 v19, v21
	v_ashrrev_i32_e32 v18, 31, v18
	s_wait_alu 0xf1ff
	v_xor_b32_e32 v22, s8, v22
	v_lshlrev_b32_e32 v16, 5, v16
	v_and_b32_e32 v17, v17, v20
	v_cmp_gt_i32_e64 s8, 0, v21
	v_ashrrev_i32_e32 v19, 31, v19
	s_wait_alu 0xfffd
	v_xor_b32_e32 v18, vcc_lo, v18
	v_add_nc_u32_e32 v81, v24, v16
	v_and_b32_e32 v17, v17, v22
	s_wait_alu 0xf1ff
	v_xor_b32_e32 v16, s8, v19
	ds_load_b32 v79, v81 offset:32
	v_and_b32_e32 v17, v17, v18
	; wave barrier
	s_delay_alu instid0(VALU_DEP_1) | instskip(NEXT) | instid1(VALU_DEP_1)
	v_and_b32_e32 v16, v17, v16
	v_mbcnt_lo_u32_b32 v80, v16, 0
	v_cmp_ne_u32_e64 s8, 0, v16
	s_delay_alu instid0(VALU_DEP_2)
	v_cmp_eq_u32_e32 vcc_lo, 0, v80
	s_and_b32 s10, s8, vcc_lo
	s_wait_alu 0xfffe
	s_and_saveexec_b32 s8, s10
	s_cbranch_execz .LBB161_95
; %bb.94:
	s_wait_dscnt 0x0
	v_bcnt_u32_b32 v16, v16, v79
	ds_store_b32 v81, v16 offset:32
.LBB161_95:
	s_wait_alu 0xfffe
	s_or_b32 exec_lo, exec_lo, s8
	v_and_b32_e32 v16, 0xffff, v31
	; wave barrier
	s_delay_alu instid0(VALU_DEP_1) | instskip(NEXT) | instid1(VALU_DEP_1)
	v_and_b32_e32 v16, s9, v16
	v_and_b32_e32 v17, 1, v16
	v_lshlrev_b32_e32 v18, 30, v16
	v_lshlrev_b32_e32 v19, 29, v16
	v_lshlrev_b32_e32 v20, 28, v16
	v_lshlrev_b32_e32 v22, 27, v16
	v_add_co_u32 v17, s8, v17, -1
	s_wait_alu 0xf1ff
	v_cndmask_b32_e64 v21, 0, 1, s8
	v_not_b32_e32 v34, v18
	v_cmp_gt_i32_e64 s8, 0, v18
	v_not_b32_e32 v18, v19
	v_lshlrev_b32_e32 v23, 26, v16
	v_cmp_ne_u32_e32 vcc_lo, 0, v21
	v_ashrrev_i32_e32 v34, 31, v34
	v_lshlrev_b32_e32 v33, 25, v16
	v_ashrrev_i32_e32 v18, 31, v18
	v_lshlrev_b32_e32 v21, 24, v16
	s_wait_alu 0xfffd
	v_xor_b32_e32 v17, vcc_lo, v17
	v_cmp_gt_i32_e32 vcc_lo, 0, v19
	v_not_b32_e32 v19, v20
	s_wait_alu 0xf1ff
	v_xor_b32_e32 v34, s8, v34
	v_cmp_gt_i32_e64 s8, 0, v20
	v_and_b32_e32 v17, exec_lo, v17
	v_not_b32_e32 v20, v22
	v_ashrrev_i32_e32 v19, 31, v19
	s_wait_alu 0xfffd
	v_xor_b32_e32 v18, vcc_lo, v18
	v_cmp_gt_i32_e32 vcc_lo, 0, v22
	v_and_b32_e32 v17, v17, v34
	v_not_b32_e32 v22, v23
	v_ashrrev_i32_e32 v20, 31, v20
	s_wait_alu 0xf1ff
	v_xor_b32_e32 v19, s8, v19
	v_cmp_gt_i32_e64 s8, 0, v23
	v_and_b32_e32 v17, v17, v18
	v_not_b32_e32 v18, v33
	v_ashrrev_i32_e32 v22, 31, v22
	s_wait_alu 0xfffd
	v_xor_b32_e32 v20, vcc_lo, v20
	v_cmp_gt_i32_e32 vcc_lo, 0, v33
	v_and_b32_e32 v17, v17, v19
	v_not_b32_e32 v19, v21
	v_ashrrev_i32_e32 v18, 31, v18
	s_wait_alu 0xf1ff
	v_xor_b32_e32 v22, s8, v22
	v_lshlrev_b32_e32 v16, 5, v16
	v_and_b32_e32 v17, v17, v20
	v_cmp_gt_i32_e64 s8, 0, v21
	v_ashrrev_i32_e32 v19, 31, v19
	s_wait_alu 0xfffd
	v_xor_b32_e32 v18, vcc_lo, v18
	v_add_nc_u32_e32 v84, v24, v16
	v_and_b32_e32 v17, v17, v22
	s_wait_alu 0xf1ff
	v_xor_b32_e32 v16, s8, v19
	ds_load_b32 v82, v84 offset:32
	v_and_b32_e32 v17, v17, v18
	; wave barrier
	s_delay_alu instid0(VALU_DEP_1) | instskip(NEXT) | instid1(VALU_DEP_1)
	v_and_b32_e32 v16, v17, v16
	v_mbcnt_lo_u32_b32 v83, v16, 0
	v_cmp_ne_u32_e64 s8, 0, v16
	s_delay_alu instid0(VALU_DEP_2)
	v_cmp_eq_u32_e32 vcc_lo, 0, v83
	s_and_b32 s10, s8, vcc_lo
	s_wait_alu 0xfffe
	s_and_saveexec_b32 s8, s10
	s_cbranch_execz .LBB161_97
; %bb.96:
	s_wait_dscnt 0x0
	v_bcnt_u32_b32 v16, v16, v82
	ds_store_b32 v84, v16 offset:32
.LBB161_97:
	s_wait_alu 0xfffe
	s_or_b32 exec_lo, exec_lo, s8
	v_and_b32_e32 v16, 0xffff, v32
	; wave barrier
	s_delay_alu instid0(VALU_DEP_1) | instskip(NEXT) | instid1(VALU_DEP_1)
	v_and_b32_e32 v16, s9, v16
	v_and_b32_e32 v17, 1, v16
	v_lshlrev_b32_e32 v18, 30, v16
	v_lshlrev_b32_e32 v19, 29, v16
	v_lshlrev_b32_e32 v20, 28, v16
	v_lshlrev_b32_e32 v22, 27, v16
	v_add_co_u32 v17, s8, v17, -1
	s_wait_alu 0xf1ff
	v_cndmask_b32_e64 v21, 0, 1, s8
	v_not_b32_e32 v34, v18
	v_cmp_gt_i32_e64 s8, 0, v18
	v_not_b32_e32 v18, v19
	v_lshlrev_b32_e32 v23, 26, v16
	v_cmp_ne_u32_e32 vcc_lo, 0, v21
	v_ashrrev_i32_e32 v34, 31, v34
	v_lshlrev_b32_e32 v33, 25, v16
	v_ashrrev_i32_e32 v18, 31, v18
	v_lshlrev_b32_e32 v21, 24, v16
	s_wait_alu 0xfffd
	v_xor_b32_e32 v17, vcc_lo, v17
	v_cmp_gt_i32_e32 vcc_lo, 0, v19
	v_not_b32_e32 v19, v20
	s_wait_alu 0xf1ff
	v_xor_b32_e32 v34, s8, v34
	v_cmp_gt_i32_e64 s8, 0, v20
	v_and_b32_e32 v17, exec_lo, v17
	v_not_b32_e32 v20, v22
	v_ashrrev_i32_e32 v19, 31, v19
	s_wait_alu 0xfffd
	v_xor_b32_e32 v18, vcc_lo, v18
	v_cmp_gt_i32_e32 vcc_lo, 0, v22
	v_and_b32_e32 v17, v17, v34
	v_not_b32_e32 v22, v23
	v_ashrrev_i32_e32 v20, 31, v20
	s_wait_alu 0xf1ff
	v_xor_b32_e32 v19, s8, v19
	v_cmp_gt_i32_e64 s8, 0, v23
	v_and_b32_e32 v17, v17, v18
	v_not_b32_e32 v18, v33
	v_ashrrev_i32_e32 v22, 31, v22
	s_wait_alu 0xfffd
	v_xor_b32_e32 v20, vcc_lo, v20
	v_cmp_gt_i32_e32 vcc_lo, 0, v33
	v_and_b32_e32 v17, v17, v19
	v_not_b32_e32 v19, v21
	v_ashrrev_i32_e32 v18, 31, v18
	s_wait_alu 0xf1ff
	v_xor_b32_e32 v22, s8, v22
	v_lshlrev_b32_e32 v16, 5, v16
	v_and_b32_e32 v17, v17, v20
	v_cmp_gt_i32_e64 s8, 0, v21
	v_ashrrev_i32_e32 v19, 31, v19
	s_wait_alu 0xfffd
	v_xor_b32_e32 v18, vcc_lo, v18
	v_add_nc_u32_e32 v87, v24, v16
	v_and_b32_e32 v17, v17, v22
	v_min_u32_e32 v33, 0xe0, v72
	s_wait_alu 0xf1ff
	v_xor_b32_e32 v16, s8, v19
	ds_load_b32 v85, v87 offset:32
	v_and_b32_e32 v17, v17, v18
	; wave barrier
	s_delay_alu instid0(VALU_DEP_1) | instskip(NEXT) | instid1(VALU_DEP_1)
	v_and_b32_e32 v16, v17, v16
	v_mbcnt_lo_u32_b32 v86, v16, 0
	v_cmp_ne_u32_e64 s8, 0, v16
	s_delay_alu instid0(VALU_DEP_2)
	v_cmp_eq_u32_e32 vcc_lo, 0, v86
	s_and_b32 s9, s8, vcc_lo
	s_wait_alu 0xfffe
	s_and_saveexec_b32 s8, s9
	s_cbranch_execz .LBB161_99
; %bb.98:
	s_wait_dscnt 0x0
	v_bcnt_u32_b32 v16, v16, v85
	ds_store_b32 v87, v16 offset:32
.LBB161_99:
	s_wait_alu 0xfffe
	s_or_b32 exec_lo, exec_lo, s8
	; wave barrier
	s_wait_loadcnt_dscnt 0x0
	s_barrier_signal -1
	s_barrier_wait -1
	global_inv scope:SCOPE_SE
	ds_load_b128 v[20:23], v67 offset:32
	ds_load_b128 v[16:19], v67 offset:48
	v_and_b32_e32 v36, 16, v70
	v_or_b32_e32 v33, 31, v33
	s_delay_alu instid0(VALU_DEP_2) | instskip(NEXT) | instid1(VALU_DEP_2)
	v_cmp_eq_u32_e64 s17, 0, v36
	v_cmp_eq_u32_e64 s15, v46, v33
	s_wait_dscnt 0x1
	v_add_nc_u32_e32 v34, v21, v20
	s_delay_alu instid0(VALU_DEP_1) | instskip(SKIP_1) | instid1(VALU_DEP_1)
	v_add3_u32 v34, v34, v22, v23
	s_wait_dscnt 0x0
	v_add3_u32 v34, v34, v16, v17
	s_delay_alu instid0(VALU_DEP_1) | instskip(SKIP_1) | instid1(VALU_DEP_2)
	v_add3_u32 v19, v34, v18, v19
	v_and_b32_e32 v34, 15, v70
	v_mov_b32_dpp v35, v19 row_shr:1 row_mask:0xf bank_mask:0xf
	s_delay_alu instid0(VALU_DEP_2)
	v_cmp_eq_u32_e64 s9, 0, v34
	v_cmp_lt_u32_e64 s11, 1, v34
	v_cmp_lt_u32_e64 s12, 3, v34
	;; [unrolled: 1-line block ×3, first 2 shown]
	s_wait_alu 0xf1ff
	v_cndmask_b32_e64 v35, v35, 0, s9
	s_delay_alu instid0(VALU_DEP_1) | instskip(NEXT) | instid1(VALU_DEP_1)
	v_add_nc_u32_e32 v19, v35, v19
	v_mov_b32_dpp v35, v19 row_shr:2 row_mask:0xf bank_mask:0xf
	s_delay_alu instid0(VALU_DEP_1) | instskip(NEXT) | instid1(VALU_DEP_1)
	v_cndmask_b32_e64 v35, 0, v35, s11
	v_add_nc_u32_e32 v19, v19, v35
	s_delay_alu instid0(VALU_DEP_1) | instskip(NEXT) | instid1(VALU_DEP_1)
	v_mov_b32_dpp v35, v19 row_shr:4 row_mask:0xf bank_mask:0xf
	v_cndmask_b32_e64 v35, 0, v35, s12
	s_delay_alu instid0(VALU_DEP_1) | instskip(NEXT) | instid1(VALU_DEP_1)
	v_add_nc_u32_e32 v19, v19, v35
	v_mov_b32_dpp v35, v19 row_shr:8 row_mask:0xf bank_mask:0xf
	s_delay_alu instid0(VALU_DEP_1) | instskip(NEXT) | instid1(VALU_DEP_1)
	v_cndmask_b32_e64 v34, 0, v35, s14
	v_add_nc_u32_e32 v35, v19, v34
	v_bfe_i32 v34, v70, 4, 1
	ds_swizzle_b32 v19, v35 offset:swizzle(BROADCAST,32,15)
	s_wait_dscnt 0x0
	v_and_b32_e32 v72, v34, v19
	v_mul_i32_i24_e32 v19, 0xffffffe4, v46
	v_lshlrev_b32_e32 v34, 2, v69
	s_delay_alu instid0(VALU_DEP_3)
	v_add_nc_u32_e32 v36, v35, v72
	s_and_saveexec_b32 s8, s15
; %bb.100:
	ds_store_b32 v34, v36
; %bb.101:
	s_wait_alu 0xfffe
	s_or_b32 exec_lo, exec_lo, s8
	v_and_b32_e32 v33, 7, v70
	v_cmp_gt_u32_e64 s16, 8, v46
	s_wait_loadcnt_dscnt 0x0
	s_barrier_signal -1
	s_barrier_wait -1
	v_cmp_eq_u32_e64 s13, 0, v33
	v_cmp_lt_u32_e64 s10, 1, v33
	v_cmp_lt_u32_e32 vcc_lo, 3, v33
	v_add_nc_u32_e32 v33, v67, v19
	global_inv scope:SCOPE_SE
	s_and_saveexec_b32 s8, s16
	s_cbranch_execz .LBB161_103
; %bb.102:
	ds_load_b32 v19, v33
	s_wait_dscnt 0x0
	v_mov_b32_dpp v35, v19 row_shr:1 row_mask:0xf bank_mask:0xf
	s_wait_alu 0xf1ff
	s_delay_alu instid0(VALU_DEP_1) | instskip(NEXT) | instid1(VALU_DEP_1)
	v_cndmask_b32_e64 v35, v35, 0, s13
	v_add_nc_u32_e32 v19, v35, v19
	s_delay_alu instid0(VALU_DEP_1) | instskip(NEXT) | instid1(VALU_DEP_1)
	v_mov_b32_dpp v35, v19 row_shr:2 row_mask:0xf bank_mask:0xf
	v_cndmask_b32_e64 v35, 0, v35, s10
	s_delay_alu instid0(VALU_DEP_1) | instskip(NEXT) | instid1(VALU_DEP_1)
	v_add_nc_u32_e32 v19, v19, v35
	v_mov_b32_dpp v35, v19 row_shr:4 row_mask:0xf bank_mask:0xf
	s_wait_alu 0xfffd
	s_delay_alu instid0(VALU_DEP_1) | instskip(NEXT) | instid1(VALU_DEP_1)
	v_cndmask_b32_e32 v35, 0, v35, vcc_lo
	v_add_nc_u32_e32 v19, v19, v35
	ds_store_b32 v33, v19
.LBB161_103:
	s_wait_alu 0xfffe
	s_or_b32 exec_lo, exec_lo, s8
	v_sub_co_u32 v69, s8, v70, 1
	v_mul_u32_u24_e32 v19, 6, v71
	v_cmp_lt_u32_e64 s18, 31, v46
	v_add_nc_u32_e32 v35, -4, v34
	v_mov_b32_e32 v71, 0
	s_wait_loadcnt_dscnt 0x0
	s_barrier_signal -1
	s_barrier_wait -1
	global_inv scope:SCOPE_SE
	s_and_saveexec_b32 s19, s18
; %bb.104:
	ds_load_b32 v71, v35
; %bb.105:
	s_or_b32 exec_lo, exec_lo, s19
	v_cmp_gt_i32_e64 s19, 0, v69
	s_mov_b32 s24, 0
	s_min_u32 s20, s20, 8
	s_mov_b32 s25, s24
	s_mov_b32 s26, s24
	v_cndmask_b32_e64 v69, v69, v70, s19
	s_mov_b32 s27, s24
	s_wait_dscnt 0x0
	v_add_nc_u32_e32 v70, v71, v36
	v_cmp_eq_u32_e64 s19, 0, v46
	s_wait_alu 0xfffe
	s_lshl_b32 s20, -1, s20
	v_lshlrev_b32_e32 v36, 2, v69
	s_wait_alu 0xfffe
	s_not_b32 s23, s20
	ds_bpermute_b32 v69, v36, v70
	s_wait_dscnt 0x0
	v_cndmask_b32_e64 v69, v69, v71, s8
	s_delay_alu instid0(VALU_DEP_1) | instskip(NEXT) | instid1(VALU_DEP_1)
	v_cndmask_b32_e64 v69, v69, 0, s19
	v_add_nc_u32_e32 v70, v69, v20
	s_delay_alu instid0(VALU_DEP_1) | instskip(NEXT) | instid1(VALU_DEP_1)
	v_add_nc_u32_e32 v71, v70, v21
	v_add_nc_u32_e32 v72, v71, v22
	s_delay_alu instid0(VALU_DEP_1) | instskip(NEXT) | instid1(VALU_DEP_1)
	v_add_nc_u32_e32 v20, v72, v23
	;; [unrolled: 3-line block ×3, first 2 shown]
	v_add_nc_u32_e32 v23, v22, v18
	ds_store_b128 v67, v[69:72] offset:32
	ds_store_b128 v67, v[20:23] offset:48
	s_wait_loadcnt_dscnt 0x0
	s_barrier_signal -1
	s_barrier_wait -1
	global_inv scope:SCOPE_SE
	ds_load_b32 v16, v38 offset:32
	ds_load_b32 v17, v47 offset:32
	;; [unrolled: 1-line block ×8, first 2 shown]
	v_add_nc_u32_e32 v47, v68, v19
	s_wait_loadcnt_dscnt 0x0
	s_barrier_signal -1
	s_barrier_wait -1
	global_inv scope:SCOPE_SE
	v_add_nc_u32_e32 v37, v16, v37
	v_add3_u32 v39, v40, v39, v17
	v_add3_u32 v40, v49, v48, v18
	;; [unrolled: 1-line block ×7, first 2 shown]
	v_lshlrev_b32_e32 v16, 1, v37
	v_lshlrev_b32_e32 v17, 1, v39
	;; [unrolled: 1-line block ×8, first 2 shown]
	ds_store_b16 v16, v25
	ds_store_b16 v17, v26
	;; [unrolled: 1-line block ×8, first 2 shown]
	s_wait_loadcnt_dscnt 0x0
	s_barrier_signal -1
	s_barrier_wait -1
	global_inv scope:SCOPE_SE
	ds_load_u16 v25, v68
	ds_load_u16 v26, v68 offset:64
	ds_load_u16 v27, v68 offset:128
	;; [unrolled: 1-line block ×7, first 2 shown]
	v_mad_co_u64_u32 v[37:38], null, v37, 6, v[16:17]
	v_mad_co_u64_u32 v[16:17], null, v39, 6, v[17:18]
	;; [unrolled: 1-line block ×3, first 2 shown]
	s_wait_loadcnt_dscnt 0x0
	s_barrier_signal -1
	s_barrier_wait -1
	global_inv scope:SCOPE_SE
	v_mad_co_u64_u32 v[18:19], null, v48, 6, v[19:20]
	v_lshrrev_b16 v38, 8, v25
	ds_store_b64 v37, v[4:5]
	v_mad_co_u64_u32 v[19:20], null, v49, 6, v[20:21]
	v_mad_co_u64_u32 v[20:21], null, v50, 6, v[21:22]
	v_and_b32_e32 v4, 0xffff, v38
	v_mad_co_u64_u32 v[21:22], null, v69, 6, v[22:23]
	v_mad_co_u64_u32 v[22:23], null, v70, 6, v[23:24]
	s_wait_alu 0xfffe
	s_delay_alu instid0(VALU_DEP_3)
	v_and_b32_e32 v23, s23, v4
	ds_store_b64 v16, v[6:7]
	ds_store_b64 v17, v[0:1]
	;; [unrolled: 1-line block ×7, first 2 shown]
	v_and_b32_e32 v0, 1, v23
	v_lshlrev_b32_e32 v1, 30, v23
	v_lshlrev_b32_e32 v2, 29, v23
	;; [unrolled: 1-line block ×4, first 2 shown]
	v_add_co_u32 v0, s20, v0, -1
	s_wait_alu 0xf1ff
	v_cndmask_b32_e64 v4, 0, 1, s20
	v_not_b32_e32 v8, v1
	v_cmp_gt_i32_e64 s21, 0, v1
	v_not_b32_e32 v1, v2
	v_lshlrev_b32_e32 v6, 26, v23
	v_cmp_ne_u32_e64 s20, 0, v4
	v_ashrrev_i32_e32 v8, 31, v8
	v_lshlrev_b32_e32 v7, 25, v23
	v_ashrrev_i32_e32 v1, 31, v1
	v_lshlrev_b32_e32 v4, 24, v23
	s_wait_alu 0xf1ff
	v_xor_b32_e32 v0, s20, v0
	v_cmp_gt_i32_e64 s20, 0, v2
	v_not_b32_e32 v2, v3
	v_xor_b32_e32 v8, s21, v8
	v_cmp_gt_i32_e64 s21, 0, v3
	v_and_b32_e32 v0, exec_lo, v0
	v_not_b32_e32 v3, v5
	v_ashrrev_i32_e32 v2, 31, v2
	s_wait_alu 0xf1ff
	v_xor_b32_e32 v1, s20, v1
	v_cmp_gt_i32_e64 s20, 0, v5
	v_and_b32_e32 v0, v0, v8
	v_not_b32_e32 v5, v6
	v_ashrrev_i32_e32 v3, 31, v3
	v_xor_b32_e32 v2, s21, v2
	v_cmp_gt_i32_e64 s21, 0, v6
	v_and_b32_e32 v0, v0, v1
	v_not_b32_e32 v1, v7
	v_ashrrev_i32_e32 v5, 31, v5
	s_wait_alu 0xf1ff
	v_xor_b32_e32 v3, s20, v3
	v_cmp_gt_i32_e64 s20, 0, v7
	v_and_b32_e32 v0, v0, v2
	v_not_b32_e32 v2, v4
	v_ashrrev_i32_e32 v1, 31, v1
	v_xor_b32_e32 v5, s21, v5
	v_cmp_gt_i32_e64 s21, 0, v4
	v_and_b32_e32 v0, v0, v3
	v_ashrrev_i32_e32 v2, 31, v2
	s_wait_alu 0xf1ff
	v_xor_b32_e32 v1, s20, v1
	s_wait_loadcnt_dscnt 0x0
	s_barrier_signal -1
	v_and_b32_e32 v0, v0, v5
	v_xor_b32_e32 v16, s21, v2
	s_barrier_wait -1
	global_inv scope:SCOPE_SE
	ds_load_2addr_b64 v[4:7], v47 offset1:32
	v_and_b32_e32 v21, v0, v1
	ds_load_2addr_b64 v[12:15], v47 offset0:64 offset1:96
	ds_load_2addr_b64 v[8:11], v47 offset0:128 offset1:160
	;; [unrolled: 1-line block ×3, first 2 shown]
	v_dual_mov_b32 v17, s24 :: v_dual_mov_b32 v18, s25
	v_dual_mov_b32 v19, s26 :: v_dual_and_b32 v16, v21, v16
	v_mov_b32_e32 v20, s27
	v_lshl_add_u32 v38, v23, 5, v24
	s_wait_loadcnt_dscnt 0x0
	s_barrier_signal -1
	v_mbcnt_lo_u32_b32 v37, v16, 0
	v_cmp_ne_u32_e64 s21, 0, v16
	s_barrier_wait -1
	global_inv scope:SCOPE_SE
	ds_store_b128 v67, v[17:20] offset:32
	ds_store_b128 v67, v[17:20] offset:48
	v_cmp_eq_u32_e64 s20, 0, v37
	s_wait_loadcnt_dscnt 0x0
	s_barrier_signal -1
	s_barrier_wait -1
	global_inv scope:SCOPE_SE
	s_and_b32 s21, s21, s20
	; wave barrier
	s_wait_alu 0xfffe
	s_and_saveexec_b32 s20, s21
; %bb.106:
	v_bcnt_u32_b32 v16, v16, 0
	ds_store_b32 v38, v16 offset:32
; %bb.107:
	s_wait_alu 0xfffe
	s_or_b32 exec_lo, exec_lo, s20
	v_lshrrev_b16 v16, 8, v26
	; wave barrier
	s_delay_alu instid0(VALU_DEP_1) | instskip(NEXT) | instid1(VALU_DEP_1)
	v_and_b32_e32 v16, s23, v16
	v_and_b32_e32 v17, 1, v16
	v_lshlrev_b32_e32 v18, 30, v16
	v_lshlrev_b32_e32 v19, 29, v16
	;; [unrolled: 1-line block ×4, first 2 shown]
	v_add_co_u32 v17, s20, v17, -1
	s_wait_alu 0xf1ff
	v_cndmask_b32_e64 v21, 0, 1, s20
	v_not_b32_e32 v40, v18
	v_cmp_gt_i32_e64 s21, 0, v18
	v_not_b32_e32 v18, v19
	v_lshlrev_b32_e32 v23, 26, v16
	v_cmp_ne_u32_e64 s20, 0, v21
	v_ashrrev_i32_e32 v40, 31, v40
	v_lshlrev_b32_e32 v39, 25, v16
	v_ashrrev_i32_e32 v18, 31, v18
	v_lshlrev_b32_e32 v21, 24, v16
	s_wait_alu 0xf1ff
	v_xor_b32_e32 v17, s20, v17
	v_cmp_gt_i32_e64 s20, 0, v19
	v_not_b32_e32 v19, v20
	v_xor_b32_e32 v40, s21, v40
	v_cmp_gt_i32_e64 s21, 0, v20
	v_and_b32_e32 v17, exec_lo, v17
	v_not_b32_e32 v20, v22
	v_ashrrev_i32_e32 v19, 31, v19
	s_wait_alu 0xf1ff
	v_xor_b32_e32 v18, s20, v18
	v_cmp_gt_i32_e64 s20, 0, v22
	v_and_b32_e32 v17, v17, v40
	v_not_b32_e32 v22, v23
	v_ashrrev_i32_e32 v20, 31, v20
	v_xor_b32_e32 v19, s21, v19
	v_cmp_gt_i32_e64 s21, 0, v23
	v_and_b32_e32 v17, v17, v18
	v_not_b32_e32 v18, v39
	v_ashrrev_i32_e32 v22, 31, v22
	s_wait_alu 0xf1ff
	v_xor_b32_e32 v20, s20, v20
	v_cmp_gt_i32_e64 s20, 0, v39
	v_and_b32_e32 v17, v17, v19
	v_not_b32_e32 v19, v21
	v_ashrrev_i32_e32 v18, 31, v18
	v_xor_b32_e32 v22, s21, v22
	v_cmp_gt_i32_e64 s21, 0, v21
	v_and_b32_e32 v17, v17, v20
	v_ashrrev_i32_e32 v19, 31, v19
	s_wait_alu 0xf1ff
	v_xor_b32_e32 v18, s20, v18
	v_lshl_add_u32 v47, v16, 5, v24
	v_and_b32_e32 v17, v17, v22
	v_xor_b32_e32 v16, s21, v19
	ds_load_b32 v39, v47 offset:32
	v_and_b32_e32 v17, v17, v18
	; wave barrier
	s_delay_alu instid0(VALU_DEP_1) | instskip(NEXT) | instid1(VALU_DEP_1)
	v_and_b32_e32 v16, v17, v16
	v_mbcnt_lo_u32_b32 v40, v16, 0
	v_cmp_ne_u32_e64 s21, 0, v16
	s_delay_alu instid0(VALU_DEP_2)
	v_cmp_eq_u32_e64 s20, 0, v40
	s_and_b32 s21, s21, s20
	s_wait_alu 0xfffe
	s_and_saveexec_b32 s20, s21
	s_cbranch_execz .LBB161_109
; %bb.108:
	s_wait_dscnt 0x0
	v_bcnt_u32_b32 v16, v16, v39
	ds_store_b32 v47, v16 offset:32
.LBB161_109:
	s_wait_alu 0xfffe
	s_or_b32 exec_lo, exec_lo, s20
	v_lshrrev_b16 v16, 8, v27
	; wave barrier
	s_delay_alu instid0(VALU_DEP_1) | instskip(NEXT) | instid1(VALU_DEP_1)
	v_and_b32_e32 v16, s23, v16
	v_and_b32_e32 v17, 1, v16
	v_lshlrev_b32_e32 v18, 30, v16
	v_lshlrev_b32_e32 v19, 29, v16
	;; [unrolled: 1-line block ×4, first 2 shown]
	v_add_co_u32 v17, s20, v17, -1
	s_wait_alu 0xf1ff
	v_cndmask_b32_e64 v21, 0, 1, s20
	v_not_b32_e32 v49, v18
	v_cmp_gt_i32_e64 s21, 0, v18
	v_not_b32_e32 v18, v19
	v_lshlrev_b32_e32 v23, 26, v16
	v_cmp_ne_u32_e64 s20, 0, v21
	v_ashrrev_i32_e32 v49, 31, v49
	v_lshlrev_b32_e32 v48, 25, v16
	v_ashrrev_i32_e32 v18, 31, v18
	v_lshlrev_b32_e32 v21, 24, v16
	s_wait_alu 0xf1ff
	v_xor_b32_e32 v17, s20, v17
	v_cmp_gt_i32_e64 s20, 0, v19
	v_not_b32_e32 v19, v20
	v_xor_b32_e32 v49, s21, v49
	v_cmp_gt_i32_e64 s21, 0, v20
	v_and_b32_e32 v17, exec_lo, v17
	v_not_b32_e32 v20, v22
	v_ashrrev_i32_e32 v19, 31, v19
	s_wait_alu 0xf1ff
	v_xor_b32_e32 v18, s20, v18
	v_cmp_gt_i32_e64 s20, 0, v22
	v_and_b32_e32 v17, v17, v49
	v_not_b32_e32 v22, v23
	v_ashrrev_i32_e32 v20, 31, v20
	v_xor_b32_e32 v19, s21, v19
	v_cmp_gt_i32_e64 s21, 0, v23
	v_and_b32_e32 v17, v17, v18
	v_not_b32_e32 v18, v48
	v_ashrrev_i32_e32 v22, 31, v22
	s_wait_alu 0xf1ff
	v_xor_b32_e32 v20, s20, v20
	v_cmp_gt_i32_e64 s20, 0, v48
	v_and_b32_e32 v17, v17, v19
	v_not_b32_e32 v19, v21
	v_ashrrev_i32_e32 v18, 31, v18
	v_xor_b32_e32 v22, s21, v22
	v_cmp_gt_i32_e64 s21, 0, v21
	v_and_b32_e32 v17, v17, v20
	v_ashrrev_i32_e32 v19, 31, v19
	s_wait_alu 0xf1ff
	v_xor_b32_e32 v18, s20, v18
	v_lshl_add_u32 v50, v16, 5, v24
	v_and_b32_e32 v17, v17, v22
	v_xor_b32_e32 v16, s21, v19
	ds_load_b32 v48, v50 offset:32
	v_and_b32_e32 v17, v17, v18
	; wave barrier
	s_delay_alu instid0(VALU_DEP_1) | instskip(NEXT) | instid1(VALU_DEP_1)
	v_and_b32_e32 v16, v17, v16
	v_mbcnt_lo_u32_b32 v49, v16, 0
	v_cmp_ne_u32_e64 s21, 0, v16
	s_delay_alu instid0(VALU_DEP_2)
	v_cmp_eq_u32_e64 s20, 0, v49
	s_and_b32 s21, s21, s20
	s_wait_alu 0xfffe
	s_and_saveexec_b32 s20, s21
	s_cbranch_execz .LBB161_111
; %bb.110:
	s_wait_dscnt 0x0
	v_bcnt_u32_b32 v16, v16, v48
	ds_store_b32 v50, v16 offset:32
.LBB161_111:
	s_wait_alu 0xfffe
	s_or_b32 exec_lo, exec_lo, s20
	v_lshrrev_b16 v16, 8, v28
	; wave barrier
	s_delay_alu instid0(VALU_DEP_1) | instskip(NEXT) | instid1(VALU_DEP_1)
	v_and_b32_e32 v16, s23, v16
	v_and_b32_e32 v17, 1, v16
	v_lshlrev_b32_e32 v18, 30, v16
	v_lshlrev_b32_e32 v19, 29, v16
	;; [unrolled: 1-line block ×4, first 2 shown]
	v_add_co_u32 v17, s20, v17, -1
	s_wait_alu 0xf1ff
	v_cndmask_b32_e64 v21, 0, 1, s20
	v_not_b32_e32 v69, v18
	v_cmp_gt_i32_e64 s21, 0, v18
	v_not_b32_e32 v18, v19
	v_lshlrev_b32_e32 v23, 26, v16
	v_cmp_ne_u32_e64 s20, 0, v21
	v_ashrrev_i32_e32 v69, 31, v69
	v_lshlrev_b32_e32 v68, 25, v16
	v_ashrrev_i32_e32 v18, 31, v18
	v_lshlrev_b32_e32 v21, 24, v16
	s_wait_alu 0xf1ff
	v_xor_b32_e32 v17, s20, v17
	v_cmp_gt_i32_e64 s20, 0, v19
	v_not_b32_e32 v19, v20
	v_xor_b32_e32 v69, s21, v69
	v_cmp_gt_i32_e64 s21, 0, v20
	v_and_b32_e32 v17, exec_lo, v17
	v_not_b32_e32 v20, v22
	v_ashrrev_i32_e32 v19, 31, v19
	s_wait_alu 0xf1ff
	v_xor_b32_e32 v18, s20, v18
	v_cmp_gt_i32_e64 s20, 0, v22
	v_and_b32_e32 v17, v17, v69
	v_not_b32_e32 v22, v23
	v_ashrrev_i32_e32 v20, 31, v20
	v_xor_b32_e32 v19, s21, v19
	v_cmp_gt_i32_e64 s21, 0, v23
	v_and_b32_e32 v17, v17, v18
	v_not_b32_e32 v18, v68
	v_ashrrev_i32_e32 v22, 31, v22
	s_wait_alu 0xf1ff
	v_xor_b32_e32 v20, s20, v20
	v_cmp_gt_i32_e64 s20, 0, v68
	v_and_b32_e32 v17, v17, v19
	v_not_b32_e32 v19, v21
	v_ashrrev_i32_e32 v18, 31, v18
	v_xor_b32_e32 v22, s21, v22
	v_cmp_gt_i32_e64 s21, 0, v21
	v_and_b32_e32 v17, v17, v20
	v_ashrrev_i32_e32 v19, 31, v19
	s_wait_alu 0xf1ff
	v_xor_b32_e32 v18, s20, v18
	v_lshl_add_u32 v70, v16, 5, v24
	v_and_b32_e32 v17, v17, v22
	v_xor_b32_e32 v16, s21, v19
	ds_load_b32 v68, v70 offset:32
	v_and_b32_e32 v17, v17, v18
	; wave barrier
	s_delay_alu instid0(VALU_DEP_1) | instskip(NEXT) | instid1(VALU_DEP_1)
	v_and_b32_e32 v16, v17, v16
	v_mbcnt_lo_u32_b32 v69, v16, 0
	v_cmp_ne_u32_e64 s21, 0, v16
	s_delay_alu instid0(VALU_DEP_2)
	v_cmp_eq_u32_e64 s20, 0, v69
	s_and_b32 s21, s21, s20
	s_wait_alu 0xfffe
	s_and_saveexec_b32 s20, s21
	s_cbranch_execz .LBB161_113
; %bb.112:
	s_wait_dscnt 0x0
	v_bcnt_u32_b32 v16, v16, v68
	ds_store_b32 v70, v16 offset:32
.LBB161_113:
	s_wait_alu 0xfffe
	s_or_b32 exec_lo, exec_lo, s20
	v_lshrrev_b16 v16, 8, v29
	; wave barrier
	s_delay_alu instid0(VALU_DEP_1) | instskip(NEXT) | instid1(VALU_DEP_1)
	v_and_b32_e32 v16, s23, v16
	v_and_b32_e32 v17, 1, v16
	v_lshlrev_b32_e32 v18, 30, v16
	v_lshlrev_b32_e32 v19, 29, v16
	;; [unrolled: 1-line block ×4, first 2 shown]
	v_add_co_u32 v17, s20, v17, -1
	s_wait_alu 0xf1ff
	v_cndmask_b32_e64 v21, 0, 1, s20
	v_not_b32_e32 v72, v18
	v_cmp_gt_i32_e64 s21, 0, v18
	v_not_b32_e32 v18, v19
	v_lshlrev_b32_e32 v23, 26, v16
	v_cmp_ne_u32_e64 s20, 0, v21
	v_ashrrev_i32_e32 v72, 31, v72
	v_lshlrev_b32_e32 v71, 25, v16
	v_ashrrev_i32_e32 v18, 31, v18
	v_lshlrev_b32_e32 v21, 24, v16
	s_wait_alu 0xf1ff
	v_xor_b32_e32 v17, s20, v17
	v_cmp_gt_i32_e64 s20, 0, v19
	v_not_b32_e32 v19, v20
	v_xor_b32_e32 v72, s21, v72
	v_cmp_gt_i32_e64 s21, 0, v20
	v_and_b32_e32 v17, exec_lo, v17
	v_not_b32_e32 v20, v22
	v_ashrrev_i32_e32 v19, 31, v19
	s_wait_alu 0xf1ff
	v_xor_b32_e32 v18, s20, v18
	v_cmp_gt_i32_e64 s20, 0, v22
	v_and_b32_e32 v17, v17, v72
	v_not_b32_e32 v22, v23
	v_ashrrev_i32_e32 v20, 31, v20
	v_xor_b32_e32 v19, s21, v19
	v_cmp_gt_i32_e64 s21, 0, v23
	v_and_b32_e32 v17, v17, v18
	v_not_b32_e32 v18, v71
	v_ashrrev_i32_e32 v22, 31, v22
	s_wait_alu 0xf1ff
	v_xor_b32_e32 v20, s20, v20
	v_cmp_gt_i32_e64 s20, 0, v71
	v_and_b32_e32 v17, v17, v19
	v_not_b32_e32 v19, v21
	v_ashrrev_i32_e32 v18, 31, v18
	v_xor_b32_e32 v22, s21, v22
	v_cmp_gt_i32_e64 s21, 0, v21
	v_and_b32_e32 v17, v17, v20
	v_ashrrev_i32_e32 v19, 31, v19
	s_wait_alu 0xf1ff
	v_xor_b32_e32 v18, s20, v18
	v_lshl_add_u32 v73, v16, 5, v24
	v_and_b32_e32 v17, v17, v22
	v_xor_b32_e32 v16, s21, v19
	ds_load_b32 v71, v73 offset:32
	v_and_b32_e32 v17, v17, v18
	; wave barrier
	s_delay_alu instid0(VALU_DEP_1) | instskip(NEXT) | instid1(VALU_DEP_1)
	v_and_b32_e32 v16, v17, v16
	v_mbcnt_lo_u32_b32 v72, v16, 0
	v_cmp_ne_u32_e64 s21, 0, v16
	s_delay_alu instid0(VALU_DEP_2)
	v_cmp_eq_u32_e64 s20, 0, v72
	s_and_b32 s21, s21, s20
	s_wait_alu 0xfffe
	s_and_saveexec_b32 s20, s21
	s_cbranch_execz .LBB161_115
; %bb.114:
	s_wait_dscnt 0x0
	v_bcnt_u32_b32 v16, v16, v71
	ds_store_b32 v73, v16 offset:32
.LBB161_115:
	s_wait_alu 0xfffe
	s_or_b32 exec_lo, exec_lo, s20
	v_lshrrev_b16 v16, 8, v30
	; wave barrier
	s_delay_alu instid0(VALU_DEP_1) | instskip(NEXT) | instid1(VALU_DEP_1)
	v_and_b32_e32 v16, s23, v16
	v_and_b32_e32 v17, 1, v16
	v_lshlrev_b32_e32 v18, 30, v16
	v_lshlrev_b32_e32 v19, 29, v16
	;; [unrolled: 1-line block ×4, first 2 shown]
	v_add_co_u32 v17, s20, v17, -1
	s_wait_alu 0xf1ff
	v_cndmask_b32_e64 v21, 0, 1, s20
	v_not_b32_e32 v75, v18
	v_cmp_gt_i32_e64 s21, 0, v18
	v_not_b32_e32 v18, v19
	v_lshlrev_b32_e32 v23, 26, v16
	v_cmp_ne_u32_e64 s20, 0, v21
	v_ashrrev_i32_e32 v75, 31, v75
	v_lshlrev_b32_e32 v74, 25, v16
	v_ashrrev_i32_e32 v18, 31, v18
	v_lshlrev_b32_e32 v21, 24, v16
	s_wait_alu 0xf1ff
	v_xor_b32_e32 v17, s20, v17
	v_cmp_gt_i32_e64 s20, 0, v19
	v_not_b32_e32 v19, v20
	v_xor_b32_e32 v75, s21, v75
	v_cmp_gt_i32_e64 s21, 0, v20
	v_and_b32_e32 v17, exec_lo, v17
	v_not_b32_e32 v20, v22
	v_ashrrev_i32_e32 v19, 31, v19
	s_wait_alu 0xf1ff
	v_xor_b32_e32 v18, s20, v18
	v_cmp_gt_i32_e64 s20, 0, v22
	v_and_b32_e32 v17, v17, v75
	v_not_b32_e32 v22, v23
	v_ashrrev_i32_e32 v20, 31, v20
	v_xor_b32_e32 v19, s21, v19
	v_cmp_gt_i32_e64 s21, 0, v23
	v_and_b32_e32 v17, v17, v18
	v_not_b32_e32 v18, v74
	v_ashrrev_i32_e32 v22, 31, v22
	s_wait_alu 0xf1ff
	v_xor_b32_e32 v20, s20, v20
	v_cmp_gt_i32_e64 s20, 0, v74
	v_and_b32_e32 v17, v17, v19
	v_not_b32_e32 v19, v21
	v_ashrrev_i32_e32 v18, 31, v18
	v_xor_b32_e32 v22, s21, v22
	v_cmp_gt_i32_e64 s21, 0, v21
	v_and_b32_e32 v17, v17, v20
	v_ashrrev_i32_e32 v19, 31, v19
	s_wait_alu 0xf1ff
	v_xor_b32_e32 v18, s20, v18
	v_lshl_add_u32 v76, v16, 5, v24
	v_and_b32_e32 v17, v17, v22
	v_xor_b32_e32 v16, s21, v19
	ds_load_b32 v74, v76 offset:32
	v_and_b32_e32 v17, v17, v18
	; wave barrier
	s_delay_alu instid0(VALU_DEP_1) | instskip(NEXT) | instid1(VALU_DEP_1)
	v_and_b32_e32 v16, v17, v16
	v_mbcnt_lo_u32_b32 v75, v16, 0
	v_cmp_ne_u32_e64 s21, 0, v16
	s_delay_alu instid0(VALU_DEP_2)
	v_cmp_eq_u32_e64 s20, 0, v75
	s_and_b32 s21, s21, s20
	s_wait_alu 0xfffe
	s_and_saveexec_b32 s20, s21
	s_cbranch_execz .LBB161_117
; %bb.116:
	s_wait_dscnt 0x0
	v_bcnt_u32_b32 v16, v16, v74
	ds_store_b32 v76, v16 offset:32
.LBB161_117:
	s_wait_alu 0xfffe
	s_or_b32 exec_lo, exec_lo, s20
	v_lshrrev_b16 v16, 8, v31
	; wave barrier
	s_delay_alu instid0(VALU_DEP_1) | instskip(NEXT) | instid1(VALU_DEP_1)
	v_and_b32_e32 v16, s23, v16
	v_and_b32_e32 v17, 1, v16
	v_lshlrev_b32_e32 v18, 30, v16
	v_lshlrev_b32_e32 v19, 29, v16
	;; [unrolled: 1-line block ×4, first 2 shown]
	v_add_co_u32 v17, s20, v17, -1
	s_wait_alu 0xf1ff
	v_cndmask_b32_e64 v21, 0, 1, s20
	v_not_b32_e32 v78, v18
	v_cmp_gt_i32_e64 s21, 0, v18
	v_not_b32_e32 v18, v19
	v_lshlrev_b32_e32 v23, 26, v16
	v_cmp_ne_u32_e64 s20, 0, v21
	v_ashrrev_i32_e32 v78, 31, v78
	v_lshlrev_b32_e32 v77, 25, v16
	v_ashrrev_i32_e32 v18, 31, v18
	v_lshlrev_b32_e32 v21, 24, v16
	s_wait_alu 0xf1ff
	v_xor_b32_e32 v17, s20, v17
	v_cmp_gt_i32_e64 s20, 0, v19
	v_not_b32_e32 v19, v20
	v_xor_b32_e32 v78, s21, v78
	v_cmp_gt_i32_e64 s21, 0, v20
	v_and_b32_e32 v17, exec_lo, v17
	v_not_b32_e32 v20, v22
	v_ashrrev_i32_e32 v19, 31, v19
	s_wait_alu 0xf1ff
	v_xor_b32_e32 v18, s20, v18
	v_cmp_gt_i32_e64 s20, 0, v22
	v_and_b32_e32 v17, v17, v78
	v_not_b32_e32 v22, v23
	v_ashrrev_i32_e32 v20, 31, v20
	v_xor_b32_e32 v19, s21, v19
	v_cmp_gt_i32_e64 s21, 0, v23
	v_and_b32_e32 v17, v17, v18
	v_not_b32_e32 v18, v77
	v_ashrrev_i32_e32 v22, 31, v22
	s_wait_alu 0xf1ff
	v_xor_b32_e32 v20, s20, v20
	v_cmp_gt_i32_e64 s20, 0, v77
	v_and_b32_e32 v17, v17, v19
	v_not_b32_e32 v19, v21
	v_ashrrev_i32_e32 v18, 31, v18
	v_xor_b32_e32 v22, s21, v22
	v_cmp_gt_i32_e64 s21, 0, v21
	v_and_b32_e32 v17, v17, v20
	v_ashrrev_i32_e32 v19, 31, v19
	s_wait_alu 0xf1ff
	v_xor_b32_e32 v18, s20, v18
	v_lshl_add_u32 v79, v16, 5, v24
	v_and_b32_e32 v17, v17, v22
	v_xor_b32_e32 v16, s21, v19
	ds_load_b32 v77, v79 offset:32
	v_and_b32_e32 v17, v17, v18
	; wave barrier
	s_delay_alu instid0(VALU_DEP_1) | instskip(NEXT) | instid1(VALU_DEP_1)
	v_and_b32_e32 v16, v17, v16
	v_mbcnt_lo_u32_b32 v78, v16, 0
	v_cmp_ne_u32_e64 s21, 0, v16
	s_delay_alu instid0(VALU_DEP_2)
	v_cmp_eq_u32_e64 s20, 0, v78
	s_and_b32 s21, s21, s20
	s_wait_alu 0xfffe
	s_and_saveexec_b32 s20, s21
	s_cbranch_execz .LBB161_119
; %bb.118:
	s_wait_dscnt 0x0
	v_bcnt_u32_b32 v16, v16, v77
	ds_store_b32 v79, v16 offset:32
.LBB161_119:
	s_wait_alu 0xfffe
	s_or_b32 exec_lo, exec_lo, s20
	v_lshrrev_b16 v16, 8, v32
	; wave barrier
	s_delay_alu instid0(VALU_DEP_1) | instskip(NEXT) | instid1(VALU_DEP_1)
	v_and_b32_e32 v16, s23, v16
	v_and_b32_e32 v17, 1, v16
	v_lshlrev_b32_e32 v18, 30, v16
	v_lshlrev_b32_e32 v19, 29, v16
	;; [unrolled: 1-line block ×4, first 2 shown]
	v_add_co_u32 v17, s20, v17, -1
	s_wait_alu 0xf1ff
	v_cndmask_b32_e64 v21, 0, 1, s20
	v_not_b32_e32 v81, v18
	v_cmp_gt_i32_e64 s21, 0, v18
	v_not_b32_e32 v18, v19
	v_lshlrev_b32_e32 v23, 26, v16
	v_cmp_ne_u32_e64 s20, 0, v21
	v_ashrrev_i32_e32 v81, 31, v81
	v_lshlrev_b32_e32 v80, 25, v16
	v_ashrrev_i32_e32 v18, 31, v18
	v_lshlrev_b32_e32 v21, 24, v16
	s_wait_alu 0xf1ff
	v_xor_b32_e32 v17, s20, v17
	v_cmp_gt_i32_e64 s20, 0, v19
	v_not_b32_e32 v19, v20
	v_xor_b32_e32 v81, s21, v81
	v_cmp_gt_i32_e64 s21, 0, v20
	v_and_b32_e32 v17, exec_lo, v17
	v_not_b32_e32 v20, v22
	v_ashrrev_i32_e32 v19, 31, v19
	s_wait_alu 0xf1ff
	v_xor_b32_e32 v18, s20, v18
	v_cmp_gt_i32_e64 s20, 0, v22
	v_and_b32_e32 v17, v17, v81
	v_not_b32_e32 v22, v23
	v_ashrrev_i32_e32 v20, 31, v20
	v_xor_b32_e32 v19, s21, v19
	v_cmp_gt_i32_e64 s21, 0, v23
	v_and_b32_e32 v17, v17, v18
	v_not_b32_e32 v18, v80
	v_ashrrev_i32_e32 v22, 31, v22
	s_wait_alu 0xf1ff
	v_xor_b32_e32 v20, s20, v20
	v_cmp_gt_i32_e64 s20, 0, v80
	v_and_b32_e32 v17, v17, v19
	v_not_b32_e32 v19, v21
	v_ashrrev_i32_e32 v18, 31, v18
	v_xor_b32_e32 v22, s21, v22
	v_cmp_gt_i32_e64 s21, 0, v21
	v_and_b32_e32 v17, v17, v20
	v_ashrrev_i32_e32 v19, 31, v19
	s_wait_alu 0xf1ff
	v_xor_b32_e32 v18, s20, v18
	v_lshl_add_u32 v81, v16, 5, v24
	v_and_b32_e32 v17, v17, v22
	v_xor_b32_e32 v16, s21, v19
	ds_load_b32 v24, v81 offset:32
	v_and_b32_e32 v17, v17, v18
	; wave barrier
	s_delay_alu instid0(VALU_DEP_1) | instskip(NEXT) | instid1(VALU_DEP_1)
	v_and_b32_e32 v16, v17, v16
	v_mbcnt_lo_u32_b32 v80, v16, 0
	v_cmp_ne_u32_e64 s21, 0, v16
	s_delay_alu instid0(VALU_DEP_2)
	v_cmp_eq_u32_e64 s20, 0, v80
	s_and_b32 s21, s21, s20
	s_wait_alu 0xfffe
	s_and_saveexec_b32 s20, s21
	s_cbranch_execz .LBB161_121
; %bb.120:
	s_wait_dscnt 0x0
	v_bcnt_u32_b32 v16, v16, v24
	ds_store_b32 v81, v16 offset:32
.LBB161_121:
	s_wait_alu 0xfffe
	s_or_b32 exec_lo, exec_lo, s20
	; wave barrier
	s_wait_loadcnt_dscnt 0x0
	s_barrier_signal -1
	s_barrier_wait -1
	global_inv scope:SCOPE_SE
	ds_load_b128 v[20:23], v67 offset:32
	ds_load_b128 v[16:19], v67 offset:48
	s_wait_dscnt 0x1
	v_add_nc_u32_e32 v82, v21, v20
	s_delay_alu instid0(VALU_DEP_1) | instskip(SKIP_1) | instid1(VALU_DEP_1)
	v_add3_u32 v82, v82, v22, v23
	s_wait_dscnt 0x0
	v_add3_u32 v82, v82, v16, v17
	s_delay_alu instid0(VALU_DEP_1) | instskip(NEXT) | instid1(VALU_DEP_1)
	v_add3_u32 v19, v82, v18, v19
	v_mov_b32_dpp v82, v19 row_shr:1 row_mask:0xf bank_mask:0xf
	s_delay_alu instid0(VALU_DEP_1) | instskip(NEXT) | instid1(VALU_DEP_1)
	v_cndmask_b32_e64 v82, v82, 0, s9
	v_add_nc_u32_e32 v19, v82, v19
	s_delay_alu instid0(VALU_DEP_1) | instskip(NEXT) | instid1(VALU_DEP_1)
	v_mov_b32_dpp v82, v19 row_shr:2 row_mask:0xf bank_mask:0xf
	v_cndmask_b32_e64 v82, 0, v82, s11
	s_delay_alu instid0(VALU_DEP_1) | instskip(NEXT) | instid1(VALU_DEP_1)
	v_add_nc_u32_e32 v19, v19, v82
	v_mov_b32_dpp v82, v19 row_shr:4 row_mask:0xf bank_mask:0xf
	s_delay_alu instid0(VALU_DEP_1) | instskip(NEXT) | instid1(VALU_DEP_1)
	v_cndmask_b32_e64 v82, 0, v82, s12
	v_add_nc_u32_e32 v19, v19, v82
	s_delay_alu instid0(VALU_DEP_1) | instskip(NEXT) | instid1(VALU_DEP_1)
	v_mov_b32_dpp v82, v19 row_shr:8 row_mask:0xf bank_mask:0xf
	v_cndmask_b32_e64 v82, 0, v82, s14
	s_delay_alu instid0(VALU_DEP_1) | instskip(SKIP_3) | instid1(VALU_DEP_1)
	v_add_nc_u32_e32 v19, v19, v82
	ds_swizzle_b32 v82, v19 offset:swizzle(BROADCAST,32,15)
	s_wait_dscnt 0x0
	v_cndmask_b32_e64 v82, v82, 0, s17
	v_add_nc_u32_e32 v19, v19, v82
	s_and_saveexec_b32 s9, s15
; %bb.122:
	ds_store_b32 v34, v19
; %bb.123:
	s_wait_alu 0xfffe
	s_or_b32 exec_lo, exec_lo, s9
	s_wait_loadcnt_dscnt 0x0
	s_barrier_signal -1
	s_barrier_wait -1
	global_inv scope:SCOPE_SE
	s_and_saveexec_b32 s9, s16
	s_cbranch_execz .LBB161_125
; %bb.124:
	ds_load_b32 v34, v33
	s_wait_dscnt 0x0
	v_mov_b32_dpp v82, v34 row_shr:1 row_mask:0xf bank_mask:0xf
	s_delay_alu instid0(VALU_DEP_1) | instskip(NEXT) | instid1(VALU_DEP_1)
	v_cndmask_b32_e64 v82, v82, 0, s13
	v_add_nc_u32_e32 v34, v82, v34
	s_delay_alu instid0(VALU_DEP_1) | instskip(NEXT) | instid1(VALU_DEP_1)
	v_mov_b32_dpp v82, v34 row_shr:2 row_mask:0xf bank_mask:0xf
	v_cndmask_b32_e64 v82, 0, v82, s10
	s_delay_alu instid0(VALU_DEP_1) | instskip(NEXT) | instid1(VALU_DEP_1)
	v_add_nc_u32_e32 v34, v34, v82
	v_mov_b32_dpp v82, v34 row_shr:4 row_mask:0xf bank_mask:0xf
	s_wait_alu 0xfffd
	s_delay_alu instid0(VALU_DEP_1) | instskip(NEXT) | instid1(VALU_DEP_1)
	v_cndmask_b32_e32 v82, 0, v82, vcc_lo
	v_add_nc_u32_e32 v34, v34, v82
	ds_store_b32 v33, v34
.LBB161_125:
	s_wait_alu 0xfffe
	s_or_b32 exec_lo, exec_lo, s9
	v_mov_b32_e32 v33, 0
	s_wait_loadcnt_dscnt 0x0
	s_barrier_signal -1
	s_barrier_wait -1
	global_inv scope:SCOPE_SE
	s_and_saveexec_b32 s9, s18
; %bb.126:
	ds_load_b32 v33, v35
; %bb.127:
	s_wait_alu 0xfffe
	s_or_b32 exec_lo, exec_lo, s9
	s_wait_dscnt 0x0
	v_add_nc_u32_e32 v19, v33, v19
	ds_bpermute_b32 v19, v36, v19
	s_wait_dscnt 0x0
	v_cndmask_b32_e64 v19, v19, v33, s8
	s_delay_alu instid0(VALU_DEP_1) | instskip(NEXT) | instid1(VALU_DEP_1)
	v_cndmask_b32_e64 v19, v19, 0, s19
	v_add_nc_u32_e32 v20, v19, v20
	s_delay_alu instid0(VALU_DEP_1) | instskip(NEXT) | instid1(VALU_DEP_1)
	v_add_nc_u32_e32 v21, v20, v21
	v_add_nc_u32_e32 v22, v21, v22
	s_delay_alu instid0(VALU_DEP_1) | instskip(NEXT) | instid1(VALU_DEP_1)
	v_add_nc_u32_e32 v33, v22, v23
	;; [unrolled: 3-line block ×3, first 2 shown]
	v_add_nc_u32_e32 v36, v35, v18
	ds_store_b128 v67, v[19:22] offset:32
	ds_store_b128 v67, v[33:36] offset:48
	s_wait_loadcnt_dscnt 0x0
	s_barrier_signal -1
	s_barrier_wait -1
	global_inv scope:SCOPE_SE
	ds_load_b32 v16, v81 offset:32
	ds_load_b32 v17, v79 offset:32
	;; [unrolled: 1-line block ×8, first 2 shown]
	v_lshlrev_b32_e32 v33, 1, v66
	s_wait_loadcnt_dscnt 0x0
	s_barrier_signal -1
	s_barrier_wait -1
	global_inv scope:SCOPE_SE
	v_mad_u32_u24 v38, v46, 48, v33
	v_add3_u32 v34, v80, v24, v16
	v_add3_u32 v35, v78, v77, v17
	;; [unrolled: 1-line block ×3, first 2 shown]
	v_add_nc_u32_e32 v24, v19, v37
	v_add3_u32 v37, v40, v39, v20
	v_add3_u32 v39, v49, v48, v21
	v_add3_u32 v40, v69, v68, v22
	v_add3_u32 v46, v72, v71, v23
	v_lshlrev_b32_e32 v16, 1, v24
	v_lshlrev_b32_e32 v17, 1, v37
	;; [unrolled: 1-line block ×8, first 2 shown]
	ds_store_b16 v16, v25
	ds_store_b16 v17, v26
	;; [unrolled: 1-line block ×8, first 2 shown]
	v_mad_co_u64_u32 v[24:25], null, v24, 6, v[16:17]
	v_mad_co_u64_u32 v[16:17], null, v37, 6, v[17:18]
	;; [unrolled: 1-line block ×8, first 2 shown]
	s_wait_loadcnt_dscnt 0x0
	s_barrier_signal -1
	s_barrier_wait -1
	global_inv scope:SCOPE_SE
	ds_load_b128 v[33:36], v33
	s_wait_loadcnt_dscnt 0x0
	s_barrier_signal -1
	s_barrier_wait -1
	global_inv scope:SCOPE_SE
	ds_store_b64 v24, v[4:5]
	ds_store_b64 v16, v[6:7]
	;; [unrolled: 1-line block ×8, first 2 shown]
	s_wait_loadcnt_dscnt 0x0
	s_barrier_signal -1
	s_barrier_wait -1
	global_inv scope:SCOPE_SE
	ds_load_b128 v[29:32], v38
	ds_load_b128 v[25:28], v38 offset:16
	ds_load_b128 v[21:24], v38 offset:32
	;; [unrolled: 1-line block ×3, first 2 shown]
	v_xor_b32_e32 v0, 0x7fff7fff, v33
	v_xor_b32_e32 v34, 0x7fff7fff, v34
	;; [unrolled: 1-line block ×4, first 2 shown]
.LBB161_128:
	s_wait_loadcnt_dscnt 0x0
	s_barrier_signal -1
	s_barrier_wait -1
	global_inv scope:SCOPE_SE
	ds_store_2addr_b32 v58, v0, v34 offset1:1
	ds_store_2addr_b32 v58, v33, v35 offset0:2 offset1:3
	s_wait_loadcnt_dscnt 0x0
	s_barrier_signal -1
	s_barrier_wait -1
	global_inv scope:SCOPE_SE
	ds_load_u16 v8, v45 offset:512
	ds_load_u16 v7, v52 offset:1024
	;; [unrolled: 1-line block ×7, first 2 shown]
	v_mov_b32_e32 v45, 0
	s_delay_alu instid0(VALU_DEP_1) | instskip(NEXT) | instid1(VALU_DEP_1)
	v_lshlrev_b64_e32 v[0:1], 1, v[44:45]
	v_add_co_u32 v0, vcc_lo, s30, v0
	s_wait_alu 0xfffd
	s_delay_alu instid0(VALU_DEP_2)
	v_add_co_ci_u32_e64 v1, null, s31, v1, vcc_lo
	s_and_saveexec_b32 s8, s0
	s_cbranch_execnz .LBB161_147
; %bb.129:
	s_wait_alu 0xfffe
	s_or_b32 exec_lo, exec_lo, s8
	s_and_saveexec_b32 s8, s1
	s_cbranch_execnz .LBB161_148
.LBB161_130:
	s_wait_alu 0xfffe
	s_or_b32 exec_lo, exec_lo, s8
	s_and_saveexec_b32 s8, s2
	s_cbranch_execnz .LBB161_149
.LBB161_131:
	s_wait_alu 0xfffe
	s_or_b32 exec_lo, exec_lo, s8
	s_and_saveexec_b32 s8, s3
	s_cbranch_execnz .LBB161_150
.LBB161_132:
	s_wait_alu 0xfffe
	s_or_b32 exec_lo, exec_lo, s8
	s_and_saveexec_b32 s8, s4
	s_cbranch_execnz .LBB161_151
.LBB161_133:
	s_wait_alu 0xfffe
	s_or_b32 exec_lo, exec_lo, s8
	s_and_saveexec_b32 s8, s5
	s_cbranch_execnz .LBB161_152
.LBB161_134:
	s_wait_alu 0xfffe
	s_or_b32 exec_lo, exec_lo, s8
	s_and_saveexec_b32 s8, s6
	s_cbranch_execnz .LBB161_153
.LBB161_135:
	s_wait_alu 0xfffe
	s_or_b32 exec_lo, exec_lo, s8
	s_and_saveexec_b32 s8, s7
	s_cbranch_execz .LBB161_137
.LBB161_136:
	s_mul_i32 s10, s22, 0x700
	s_mov_b32 s11, 0
	s_wait_alu 0xfffe
	s_lshl_b64 s[10:11], s[10:11], 1
	s_wait_alu 0xfffe
	v_add_co_u32 v0, vcc_lo, v0, s10
	s_wait_alu 0xfffd
	v_add_co_ci_u32_e64 v1, null, s11, v1, vcc_lo
	s_wait_dscnt 0x0
	global_store_b16 v[0:1], v2, off
.LBB161_137:
	s_wait_alu 0xfffe
	s_or_b32 exec_lo, exec_lo, s8
	s_wait_storecnt 0x0
	s_wait_loadcnt_dscnt 0x0
	s_barrier_signal -1
	s_barrier_wait -1
	global_inv scope:SCOPE_SE
	ds_store_2addr_b64 v65, v[29:30], v[31:32] offset1:1
	ds_store_2addr_b64 v65, v[25:26], v[27:28] offset0:2 offset1:3
	ds_store_2addr_b64 v65, v[21:22], v[23:24] offset0:4 offset1:5
	;; [unrolled: 1-line block ×3, first 2 shown]
	s_wait_loadcnt_dscnt 0x0
	s_barrier_signal -1
	s_barrier_wait -1
	global_inv scope:SCOPE_SE
	ds_load_b64 v[14:15], v60 offset:2048
	ds_load_b64 v[12:13], v61 offset:4096
	;; [unrolled: 1-line block ×7, first 2 shown]
	v_mov_b32_e32 v42, 0
	s_delay_alu instid0(VALU_DEP_1) | instskip(NEXT) | instid1(VALU_DEP_1)
	v_lshlrev_b64_e32 v[2:3], 3, v[41:42]
	v_add_co_u32 v2, vcc_lo, s34, v2
	s_wait_alu 0xfffd
	s_delay_alu instid0(VALU_DEP_2)
	v_add_co_ci_u32_e64 v3, null, s35, v3, vcc_lo
	s_and_saveexec_b32 s8, s0
	s_cbranch_execnz .LBB161_154
; %bb.138:
	s_wait_alu 0xfffe
	s_or_b32 exec_lo, exec_lo, s8
	s_and_saveexec_b32 s0, s1
	s_cbranch_execnz .LBB161_155
.LBB161_139:
	s_wait_alu 0xfffe
	s_or_b32 exec_lo, exec_lo, s0
	s_and_saveexec_b32 s0, s2
	s_cbranch_execnz .LBB161_156
.LBB161_140:
	s_wait_alu 0xfffe
	s_or_b32 exec_lo, exec_lo, s0
	s_and_saveexec_b32 s0, s3
	s_cbranch_execnz .LBB161_157
.LBB161_141:
	s_wait_alu 0xfffe
	s_or_b32 exec_lo, exec_lo, s0
	s_and_saveexec_b32 s0, s4
	s_cbranch_execnz .LBB161_158
.LBB161_142:
	s_wait_alu 0xfffe
	s_or_b32 exec_lo, exec_lo, s0
	s_and_saveexec_b32 s0, s5
	s_cbranch_execnz .LBB161_159
.LBB161_143:
	s_wait_alu 0xfffe
	s_or_b32 exec_lo, exec_lo, s0
	s_and_saveexec_b32 s0, s6
	s_cbranch_execnz .LBB161_160
.LBB161_144:
	s_wait_alu 0xfffe
	s_or_b32 exec_lo, exec_lo, s0
	s_and_saveexec_b32 s0, s7
	s_cbranch_execz .LBB161_146
.LBB161_145:
	s_mul_i32 s0, s28, 0x700
	s_mov_b32 s1, 0
	s_wait_alu 0xfffe
	s_lshl_b64 s[0:1], s[0:1], 3
	s_wait_alu 0xfffe
	v_add_co_u32 v2, vcc_lo, v2, s0
	s_wait_alu 0xfffd
	v_add_co_ci_u32_e64 v3, null, s1, v3, vcc_lo
	s_wait_dscnt 0x0
	global_store_b64 v[2:3], v[0:1], off
.LBB161_146:
	s_nop 0
	s_sendmsg sendmsg(MSG_DEALLOC_VGPRS)
	s_endpgm
.LBB161_147:
	ds_load_u16 v9, v51
	s_wait_dscnt 0x0
	global_store_b16 v[0:1], v9, off
	s_wait_alu 0xfffe
	s_or_b32 exec_lo, exec_lo, s8
	s_and_saveexec_b32 s8, s1
	s_cbranch_execz .LBB161_130
.LBB161_148:
	s_lshl_b32 s10, s22, 8
	s_mov_b32 s11, 0
	s_wait_alu 0xfffe
	s_lshl_b64 s[10:11], s[10:11], 1
	s_wait_alu 0xfffe
	v_add_co_u32 v9, vcc_lo, v0, s10
	s_wait_alu 0xfffd
	v_add_co_ci_u32_e64 v10, null, s11, v1, vcc_lo
	s_wait_dscnt 0x6
	global_store_b16 v[9:10], v8, off
	s_or_b32 exec_lo, exec_lo, s8
	s_and_saveexec_b32 s8, s2
	s_cbranch_execz .LBB161_131
.LBB161_149:
	s_lshl_b32 s10, s22, 9
	s_mov_b32 s11, 0
	s_wait_alu 0xfffe
	s_lshl_b64 s[10:11], s[10:11], 1
	s_wait_dscnt 0x6
	s_wait_alu 0xfffe
	v_add_co_u32 v8, vcc_lo, v0, s10
	s_wait_alu 0xfffd
	v_add_co_ci_u32_e64 v9, null, s11, v1, vcc_lo
	s_wait_dscnt 0x5
	global_store_b16 v[8:9], v7, off
	s_or_b32 exec_lo, exec_lo, s8
	s_and_saveexec_b32 s8, s3
	s_cbranch_execz .LBB161_132
.LBB161_150:
	s_mul_i32 s10, s22, 0x300
	s_mov_b32 s11, 0
	s_wait_alu 0xfffe
	s_lshl_b64 s[10:11], s[10:11], 1
	s_wait_dscnt 0x5
	s_wait_alu 0xfffe
	v_add_co_u32 v7, vcc_lo, v0, s10
	s_wait_alu 0xfffd
	v_add_co_ci_u32_e64 v8, null, s11, v1, vcc_lo
	s_wait_dscnt 0x4
	global_store_b16 v[7:8], v6, off
	s_or_b32 exec_lo, exec_lo, s8
	s_and_saveexec_b32 s8, s4
	s_cbranch_execz .LBB161_133
.LBB161_151:
	s_lshl_b32 s10, s22, 10
	s_mov_b32 s11, 0
	s_wait_alu 0xfffe
	s_lshl_b64 s[10:11], s[10:11], 1
	s_wait_dscnt 0x4
	s_wait_alu 0xfffe
	v_add_co_u32 v6, vcc_lo, v0, s10
	s_wait_alu 0xfffd
	v_add_co_ci_u32_e64 v7, null, s11, v1, vcc_lo
	s_wait_dscnt 0x3
	global_store_b16 v[6:7], v5, off
	s_or_b32 exec_lo, exec_lo, s8
	s_and_saveexec_b32 s8, s5
	s_cbranch_execz .LBB161_134
.LBB161_152:
	s_mul_i32 s10, s22, 0x500
	s_mov_b32 s11, 0
	s_wait_alu 0xfffe
	s_lshl_b64 s[10:11], s[10:11], 1
	s_wait_dscnt 0x3
	s_wait_alu 0xfffe
	v_add_co_u32 v5, vcc_lo, v0, s10
	s_wait_alu 0xfffd
	v_add_co_ci_u32_e64 v6, null, s11, v1, vcc_lo
	s_wait_dscnt 0x2
	global_store_b16 v[5:6], v4, off
	s_or_b32 exec_lo, exec_lo, s8
	s_and_saveexec_b32 s8, s6
	s_cbranch_execz .LBB161_135
.LBB161_153:
	s_mul_i32 s10, s22, 0x600
	s_mov_b32 s11, 0
	s_wait_alu 0xfffe
	s_lshl_b64 s[10:11], s[10:11], 1
	s_wait_dscnt 0x2
	s_wait_alu 0xfffe
	v_add_co_u32 v4, vcc_lo, v0, s10
	s_wait_alu 0xfffd
	v_add_co_ci_u32_e64 v5, null, s11, v1, vcc_lo
	s_wait_dscnt 0x1
	global_store_b16 v[4:5], v3, off
	s_or_b32 exec_lo, exec_lo, s8
	s_and_saveexec_b32 s8, s7
	s_cbranch_execnz .LBB161_136
	s_branch .LBB161_137
.LBB161_154:
	ds_load_b64 v[16:17], v59
	s_wait_dscnt 0x0
	global_store_b64 v[2:3], v[16:17], off
	s_wait_alu 0xfffe
	s_or_b32 exec_lo, exec_lo, s8
	s_and_saveexec_b32 s0, s1
	s_cbranch_execz .LBB161_139
.LBB161_155:
	s_lshl_b32 s8, s28, 8
	s_mov_b32 s9, 0
	s_wait_alu 0xfffe
	s_lshl_b64 s[8:9], s[8:9], 3
	s_wait_alu 0xfffe
	v_add_co_u32 v16, vcc_lo, v2, s8
	s_wait_alu 0xfffd
	v_add_co_ci_u32_e64 v17, null, s9, v3, vcc_lo
	s_wait_dscnt 0x6
	global_store_b64 v[16:17], v[14:15], off
	s_or_b32 exec_lo, exec_lo, s0
	s_and_saveexec_b32 s0, s2
	s_cbranch_execz .LBB161_140
.LBB161_156:
	s_lshl_b32 s8, s28, 9
	s_mov_b32 s9, 0
	s_wait_alu 0xfffe
	s_lshl_b64 s[8:9], s[8:9], 3
	s_wait_dscnt 0x6
	s_wait_alu 0xfffe
	v_add_co_u32 v14, vcc_lo, v2, s8
	s_wait_alu 0xfffd
	v_add_co_ci_u32_e64 v15, null, s9, v3, vcc_lo
	s_wait_dscnt 0x5
	global_store_b64 v[14:15], v[12:13], off
	s_or_b32 exec_lo, exec_lo, s0
	s_and_saveexec_b32 s0, s3
	s_cbranch_execz .LBB161_141
.LBB161_157:
	s_mul_i32 s2, s28, 0x300
	s_mov_b32 s3, 0
	s_delay_alu instid0(SALU_CYCLE_1)
	s_lshl_b64 s[2:3], s[2:3], 3
	s_wait_dscnt 0x5
	v_add_co_u32 v12, vcc_lo, v2, s2
	s_wait_alu 0xfffd
	v_add_co_ci_u32_e64 v13, null, s3, v3, vcc_lo
	s_wait_dscnt 0x4
	global_store_b64 v[12:13], v[10:11], off
	s_wait_alu 0xfffe
	s_or_b32 exec_lo, exec_lo, s0
	s_and_saveexec_b32 s0, s4
	s_cbranch_execz .LBB161_142
.LBB161_158:
	s_lshl_b32 s2, s28, 10
	s_mov_b32 s3, 0
	s_wait_alu 0xfffe
	s_lshl_b64 s[2:3], s[2:3], 3
	s_wait_dscnt 0x4
	s_wait_alu 0xfffe
	v_add_co_u32 v10, vcc_lo, v2, s2
	s_wait_alu 0xfffd
	v_add_co_ci_u32_e64 v11, null, s3, v3, vcc_lo
	s_wait_dscnt 0x3
	global_store_b64 v[10:11], v[8:9], off
	s_or_b32 exec_lo, exec_lo, s0
	s_and_saveexec_b32 s0, s5
	s_cbranch_execz .LBB161_143
.LBB161_159:
	s_mul_i32 s2, s28, 0x500
	s_mov_b32 s3, 0
	s_wait_alu 0xfffe
	s_lshl_b64 s[2:3], s[2:3], 3
	s_wait_dscnt 0x3
	s_wait_alu 0xfffe
	v_add_co_u32 v8, vcc_lo, v2, s2
	s_wait_alu 0xfffd
	v_add_co_ci_u32_e64 v9, null, s3, v3, vcc_lo
	s_wait_dscnt 0x2
	global_store_b64 v[8:9], v[6:7], off
	s_or_b32 exec_lo, exec_lo, s0
	s_and_saveexec_b32 s0, s6
	s_cbranch_execz .LBB161_144
.LBB161_160:
	s_mul_i32 s2, s28, 0x600
	s_mov_b32 s3, 0
	s_wait_alu 0xfffe
	s_lshl_b64 s[2:3], s[2:3], 3
	s_wait_dscnt 0x2
	s_wait_alu 0xfffe
	v_add_co_u32 v6, vcc_lo, v2, s2
	s_wait_alu 0xfffd
	v_add_co_ci_u32_e64 v7, null, s3, v3, vcc_lo
	s_wait_dscnt 0x1
	global_store_b64 v[6:7], v[4:5], off
	s_or_b32 exec_lo, exec_lo, s0
	s_and_saveexec_b32 s0, s7
	s_cbranch_execnz .LBB161_145
	s_branch .LBB161_146
	.section	.rodata,"a",@progbits
	.p2align	6, 0x0
	.amdhsa_kernel _ZN2at6native18radixSortKVInPlaceILin2ELin1ELi256ELi8EsljEEvNS_4cuda6detail10TensorInfoIT3_T5_EES6_S6_S6_NS4_IT4_S6_EES6_b
		.amdhsa_group_segment_fixed_size 16896
		.amdhsa_private_segment_fixed_size 0
		.amdhsa_kernarg_size 712
		.amdhsa_user_sgpr_count 2
		.amdhsa_user_sgpr_dispatch_ptr 0
		.amdhsa_user_sgpr_queue_ptr 0
		.amdhsa_user_sgpr_kernarg_segment_ptr 1
		.amdhsa_user_sgpr_dispatch_id 0
		.amdhsa_user_sgpr_private_segment_size 0
		.amdhsa_wavefront_size32 1
		.amdhsa_uses_dynamic_stack 0
		.amdhsa_enable_private_segment 0
		.amdhsa_system_sgpr_workgroup_id_x 1
		.amdhsa_system_sgpr_workgroup_id_y 1
		.amdhsa_system_sgpr_workgroup_id_z 1
		.amdhsa_system_sgpr_workgroup_info 0
		.amdhsa_system_vgpr_workitem_id 2
		.amdhsa_next_free_vgpr 117
		.amdhsa_next_free_sgpr 38
		.amdhsa_reserve_vcc 1
		.amdhsa_float_round_mode_32 0
		.amdhsa_float_round_mode_16_64 0
		.amdhsa_float_denorm_mode_32 3
		.amdhsa_float_denorm_mode_16_64 3
		.amdhsa_fp16_overflow 0
		.amdhsa_workgroup_processor_mode 1
		.amdhsa_memory_ordered 1
		.amdhsa_forward_progress 1
		.amdhsa_inst_pref_size 169
		.amdhsa_round_robin_scheduling 0
		.amdhsa_exception_fp_ieee_invalid_op 0
		.amdhsa_exception_fp_denorm_src 0
		.amdhsa_exception_fp_ieee_div_zero 0
		.amdhsa_exception_fp_ieee_overflow 0
		.amdhsa_exception_fp_ieee_underflow 0
		.amdhsa_exception_fp_ieee_inexact 0
		.amdhsa_exception_int_div_zero 0
	.end_amdhsa_kernel
	.section	.text._ZN2at6native18radixSortKVInPlaceILin2ELin1ELi256ELi8EsljEEvNS_4cuda6detail10TensorInfoIT3_T5_EES6_S6_S6_NS4_IT4_S6_EES6_b,"axG",@progbits,_ZN2at6native18radixSortKVInPlaceILin2ELin1ELi256ELi8EsljEEvNS_4cuda6detail10TensorInfoIT3_T5_EES6_S6_S6_NS4_IT4_S6_EES6_b,comdat
.Lfunc_end161:
	.size	_ZN2at6native18radixSortKVInPlaceILin2ELin1ELi256ELi8EsljEEvNS_4cuda6detail10TensorInfoIT3_T5_EES6_S6_S6_NS4_IT4_S6_EES6_b, .Lfunc_end161-_ZN2at6native18radixSortKVInPlaceILin2ELin1ELi256ELi8EsljEEvNS_4cuda6detail10TensorInfoIT3_T5_EES6_S6_S6_NS4_IT4_S6_EES6_b
                                        ; -- End function
	.set _ZN2at6native18radixSortKVInPlaceILin2ELin1ELi256ELi8EsljEEvNS_4cuda6detail10TensorInfoIT3_T5_EES6_S6_S6_NS4_IT4_S6_EES6_b.num_vgpr, 117
	.set _ZN2at6native18radixSortKVInPlaceILin2ELin1ELi256ELi8EsljEEvNS_4cuda6detail10TensorInfoIT3_T5_EES6_S6_S6_NS4_IT4_S6_EES6_b.num_agpr, 0
	.set _ZN2at6native18radixSortKVInPlaceILin2ELin1ELi256ELi8EsljEEvNS_4cuda6detail10TensorInfoIT3_T5_EES6_S6_S6_NS4_IT4_S6_EES6_b.numbered_sgpr, 38
	.set _ZN2at6native18radixSortKVInPlaceILin2ELin1ELi256ELi8EsljEEvNS_4cuda6detail10TensorInfoIT3_T5_EES6_S6_S6_NS4_IT4_S6_EES6_b.num_named_barrier, 0
	.set _ZN2at6native18radixSortKVInPlaceILin2ELin1ELi256ELi8EsljEEvNS_4cuda6detail10TensorInfoIT3_T5_EES6_S6_S6_NS4_IT4_S6_EES6_b.private_seg_size, 0
	.set _ZN2at6native18radixSortKVInPlaceILin2ELin1ELi256ELi8EsljEEvNS_4cuda6detail10TensorInfoIT3_T5_EES6_S6_S6_NS4_IT4_S6_EES6_b.uses_vcc, 1
	.set _ZN2at6native18radixSortKVInPlaceILin2ELin1ELi256ELi8EsljEEvNS_4cuda6detail10TensorInfoIT3_T5_EES6_S6_S6_NS4_IT4_S6_EES6_b.uses_flat_scratch, 0
	.set _ZN2at6native18radixSortKVInPlaceILin2ELin1ELi256ELi8EsljEEvNS_4cuda6detail10TensorInfoIT3_T5_EES6_S6_S6_NS4_IT4_S6_EES6_b.has_dyn_sized_stack, 0
	.set _ZN2at6native18radixSortKVInPlaceILin2ELin1ELi256ELi8EsljEEvNS_4cuda6detail10TensorInfoIT3_T5_EES6_S6_S6_NS4_IT4_S6_EES6_b.has_recursion, 0
	.set _ZN2at6native18radixSortKVInPlaceILin2ELin1ELi256ELi8EsljEEvNS_4cuda6detail10TensorInfoIT3_T5_EES6_S6_S6_NS4_IT4_S6_EES6_b.has_indirect_call, 0
	.section	.AMDGPU.csdata,"",@progbits
; Kernel info:
; codeLenInByte = 21516
; TotalNumSgprs: 40
; NumVgprs: 117
; ScratchSize: 0
; MemoryBound: 0
; FloatMode: 240
; IeeeMode: 1
; LDSByteSize: 16896 bytes/workgroup (compile time only)
; SGPRBlocks: 0
; VGPRBlocks: 14
; NumSGPRsForWavesPerEU: 40
; NumVGPRsForWavesPerEU: 117
; Occupancy: 12
; WaveLimiterHint : 1
; COMPUTE_PGM_RSRC2:SCRATCH_EN: 0
; COMPUTE_PGM_RSRC2:USER_SGPR: 2
; COMPUTE_PGM_RSRC2:TRAP_HANDLER: 0
; COMPUTE_PGM_RSRC2:TGID_X_EN: 1
; COMPUTE_PGM_RSRC2:TGID_Y_EN: 1
; COMPUTE_PGM_RSRC2:TGID_Z_EN: 1
; COMPUTE_PGM_RSRC2:TIDIG_COMP_CNT: 2
	.section	.text._ZN2at6native18radixSortKVInPlaceILin2ELin1ELi128ELi8EsljEEvNS_4cuda6detail10TensorInfoIT3_T5_EES6_S6_S6_NS4_IT4_S6_EES6_b,"axG",@progbits,_ZN2at6native18radixSortKVInPlaceILin2ELin1ELi128ELi8EsljEEvNS_4cuda6detail10TensorInfoIT3_T5_EES6_S6_S6_NS4_IT4_S6_EES6_b,comdat
	.protected	_ZN2at6native18radixSortKVInPlaceILin2ELin1ELi128ELi8EsljEEvNS_4cuda6detail10TensorInfoIT3_T5_EES6_S6_S6_NS4_IT4_S6_EES6_b ; -- Begin function _ZN2at6native18radixSortKVInPlaceILin2ELin1ELi128ELi8EsljEEvNS_4cuda6detail10TensorInfoIT3_T5_EES6_S6_S6_NS4_IT4_S6_EES6_b
	.globl	_ZN2at6native18radixSortKVInPlaceILin2ELin1ELi128ELi8EsljEEvNS_4cuda6detail10TensorInfoIT3_T5_EES6_S6_S6_NS4_IT4_S6_EES6_b
	.p2align	8
	.type	_ZN2at6native18radixSortKVInPlaceILin2ELin1ELi128ELi8EsljEEvNS_4cuda6detail10TensorInfoIT3_T5_EES6_S6_S6_NS4_IT4_S6_EES6_b,@function
_ZN2at6native18radixSortKVInPlaceILin2ELin1ELi128ELi8EsljEEvNS_4cuda6detail10TensorInfoIT3_T5_EES6_S6_S6_NS4_IT4_S6_EES6_b: ; @_ZN2at6native18radixSortKVInPlaceILin2ELin1ELi128ELi8EsljEEvNS_4cuda6detail10TensorInfoIT3_T5_EES6_S6_S6_NS4_IT4_S6_EES6_b
; %bb.0:
	s_clause 0x1
	s_load_b64 s[2:3], s[0:1], 0x1c8
	s_load_b96 s[20:22], s[0:1], 0xd8
	s_lshr_b32 s4, ttmp7, 16
	s_wait_kmcnt 0x0
	s_mul_i32 s3, s3, s4
	s_and_b32 s4, ttmp7, 0xffff
	s_delay_alu instid0(SALU_CYCLE_1) | instskip(NEXT) | instid1(SALU_CYCLE_1)
	s_add_co_i32 s3, s3, s4
	s_mul_i32 s4, s3, s2
	s_delay_alu instid0(SALU_CYCLE_1) | instskip(NEXT) | instid1(SALU_CYCLE_1)
	s_add_co_i32 s4, s4, ttmp9
	s_cmp_ge_u32 s4, s20
	s_cbranch_scc1 .LBB162_146
; %bb.1:
	s_load_b32 s2, s[0:1], 0x1b8
	s_add_nc_u64 s[10:11], s[0:1], 0xe8
	s_mov_b32 s9, 0
	s_mov_b32 s12, s4
	s_wait_kmcnt 0x0
	s_cmp_lt_i32 s2, 2
	s_cbranch_scc1 .LBB162_4
; %bb.2:
	s_add_co_i32 s8, s2, -1
	s_add_co_i32 s5, s2, 1
	s_lshl_b64 s[6:7], s[8:9], 2
	s_mov_b32 s12, s4
	s_add_nc_u64 s[6:7], s[10:11], s[6:7]
	s_delay_alu instid0(SALU_CYCLE_1)
	s_add_nc_u64 s[2:3], s[6:7], 8
.LBB162_3:                              ; =>This Inner Loop Header: Depth=1
	s_clause 0x1
	s_load_b32 s6, s[2:3], 0x0
	s_load_b32 s7, s[2:3], 0x64
	s_mov_b32 s14, s12
	s_add_nc_u64 s[2:3], s[2:3], -4
	s_wait_kmcnt 0x0
	s_cvt_f32_u32 s8, s6
	s_sub_co_i32 s13, 0, s6
	s_wait_alu 0xfffe
	s_delay_alu instid0(SALU_CYCLE_1) | instskip(NEXT) | instid1(TRANS32_DEP_1)
	v_rcp_iflag_f32_e32 v1, s8
	v_readfirstlane_b32 s8, v1
	s_mul_f32 s8, s8, 0x4f7ffffe
	s_wait_alu 0xfffe
	s_delay_alu instid0(SALU_CYCLE_2) | instskip(SKIP_1) | instid1(SALU_CYCLE_2)
	s_cvt_u32_f32 s8, s8
	s_wait_alu 0xfffe
	s_mul_i32 s13, s13, s8
	s_delay_alu instid0(SALU_CYCLE_1) | instskip(NEXT) | instid1(SALU_CYCLE_1)
	s_mul_hi_u32 s13, s8, s13
	s_add_co_i32 s8, s8, s13
	s_wait_alu 0xfffe
	s_mul_hi_u32 s8, s12, s8
	s_wait_alu 0xfffe
	s_mul_i32 s12, s8, s6
	s_add_co_i32 s13, s8, 1
	s_sub_co_i32 s12, s14, s12
	s_delay_alu instid0(SALU_CYCLE_1)
	s_sub_co_i32 s15, s12, s6
	s_cmp_ge_u32 s12, s6
	s_cselect_b32 s8, s13, s8
	s_cselect_b32 s12, s15, s12
	s_wait_alu 0xfffe
	s_add_co_i32 s13, s8, 1
	s_cmp_ge_u32 s12, s6
	s_cselect_b32 s12, s13, s8
	s_add_co_i32 s5, s5, -1
	s_mul_i32 s6, s12, s6
	s_delay_alu instid0(SALU_CYCLE_1) | instskip(NEXT) | instid1(SALU_CYCLE_1)
	s_sub_co_i32 s6, s14, s6
	s_mul_i32 s6, s7, s6
	s_delay_alu instid0(SALU_CYCLE_1)
	s_add_co_i32 s9, s6, s9
	s_cmp_gt_u32 s5, 2
	s_cbranch_scc1 .LBB162_3
.LBB162_4:
	s_clause 0x2
	s_load_b64 s[28:29], s[0:1], 0x1c0
	s_load_b64 s[2:3], s[0:1], 0x0
	s_load_b32 s5, s[0:1], 0x6c
	s_add_nc_u64 s[36:37], s[0:1], 0x1c8
	s_mov_b32 s0, 0x8000
	s_mov_b32 s15, 0
	s_wait_kmcnt 0x0
	s_bitcmp1_b32 s29, 0
	s_mul_i32 s14, s5, s4
	s_cselect_b32 s8, -1, 0
	s_wait_alu 0xfffe
	s_and_b32 s1, s8, exec_lo
	s_cselect_b32 s1, s0, 0x7fff
	s_delay_alu instid0(SALU_CYCLE_1)
	s_pack_ll_b32_b16 s4, s1, s1
	v_mov_b32_e32 v5, s1
	s_mov_b32 s5, s4
	s_mov_b32 s6, s4
	;; [unrolled: 1-line block ×3, first 2 shown]
	v_dual_mov_b32 v1, s4 :: v_dual_and_b32 v46, 0x3ff, v0
	v_dual_mov_b32 v2, s5 :: v_dual_mov_b32 v3, s6
	v_mov_b32_e32 v4, s7
	s_delay_alu instid0(VALU_DEP_3)
	v_mul_lo_u32 v44, s22, v46
	v_cmp_gt_u32_e64 s0, s21, v46
	s_lshl_b64 s[6:7], s[14:15], 1
	s_wait_alu 0xfffe
	s_add_nc_u64 s[30:31], s[2:3], s[6:7]
	s_and_saveexec_b32 s1, s0
	s_cbranch_execz .LBB162_6
; %bb.5:
	v_mov_b32_e32 v45, 0
	v_dual_mov_b32 v3, s4 :: v_dual_mov_b32 v4, s4
	s_delay_alu instid0(VALU_DEP_2) | instskip(NEXT) | instid1(VALU_DEP_1)
	v_lshlrev_b64_e32 v[1:2], 1, v[44:45]
	v_add_co_u32 v1, vcc_lo, s30, v1
	s_delay_alu instid0(VALU_DEP_1)
	v_add_co_ci_u32_e64 v2, null, s31, v2, vcc_lo
	global_load_u16 v5, v[1:2], off
	v_mov_b32_e32 v2, s4
	s_wait_loadcnt 0x0
	v_bfi_b32 v1, 0xffff, v5, s4
.LBB162_6:
	s_wait_alu 0xfffe
	s_or_b32 exec_lo, exec_lo, s1
	v_add_nc_u32_e32 v15, 0x80, v46
	s_delay_alu instid0(VALU_DEP_1)
	v_cmp_gt_u32_e64 s1, s21, v15
	s_and_saveexec_b32 s2, s1
	s_cbranch_execz .LBB162_8
; %bb.7:
	v_mul_lo_u32 v6, s22, v15
	v_mov_b32_e32 v7, 0
	s_delay_alu instid0(VALU_DEP_1) | instskip(NEXT) | instid1(VALU_DEP_1)
	v_lshlrev_b64_e32 v[6:7], 1, v[6:7]
	v_add_co_u32 v6, vcc_lo, s30, v6
	s_wait_alu 0xfffd
	s_delay_alu instid0(VALU_DEP_2)
	v_add_co_ci_u32_e64 v7, null, s31, v7, vcc_lo
	global_load_d16_hi_b16 v1, v[6:7], off
.LBB162_8:
	s_or_b32 exec_lo, exec_lo, s2
	v_add_nc_u32_e32 v16, 0x100, v46
	s_delay_alu instid0(VALU_DEP_1)
	v_cmp_gt_u32_e64 s2, s21, v16
	s_and_saveexec_b32 s3, s2
	s_cbranch_execz .LBB162_10
; %bb.9:
	v_mul_lo_u32 v6, s22, v16
	v_mov_b32_e32 v7, 0
	s_delay_alu instid0(VALU_DEP_1) | instskip(NEXT) | instid1(VALU_DEP_1)
	v_lshlrev_b64_e32 v[6:7], 1, v[6:7]
	v_add_co_u32 v6, vcc_lo, s30, v6
	s_wait_alu 0xfffd
	s_delay_alu instid0(VALU_DEP_2)
	v_add_co_ci_u32_e64 v7, null, s31, v7, vcc_lo
	global_load_d16_b16 v2, v[6:7], off
.LBB162_10:
	s_or_b32 exec_lo, exec_lo, s3
	v_add_nc_u32_e32 v17, 0x180, v46
	s_delay_alu instid0(VALU_DEP_1)
	v_cmp_gt_u32_e64 s3, s21, v17
	s_and_saveexec_b32 s4, s3
	s_cbranch_execz .LBB162_12
; %bb.11:
	v_mul_lo_u32 v6, s22, v17
	v_mov_b32_e32 v7, 0
	s_delay_alu instid0(VALU_DEP_1) | instskip(NEXT) | instid1(VALU_DEP_1)
	v_lshlrev_b64_e32 v[6:7], 1, v[6:7]
	v_add_co_u32 v6, vcc_lo, s30, v6
	s_wait_alu 0xfffd
	s_delay_alu instid0(VALU_DEP_2)
	v_add_co_ci_u32_e64 v7, null, s31, v7, vcc_lo
	s_wait_loadcnt 0x0
	global_load_d16_hi_b16 v2, v[6:7], off
.LBB162_12:
	s_wait_alu 0xfffe
	s_or_b32 exec_lo, exec_lo, s4
	v_add_nc_u32_e32 v18, 0x200, v46
	s_delay_alu instid0(VALU_DEP_1)
	v_cmp_gt_u32_e64 s4, s21, v18
	s_and_saveexec_b32 s5, s4
	s_cbranch_execz .LBB162_14
; %bb.13:
	v_mul_lo_u32 v6, s22, v18
	v_mov_b32_e32 v7, 0
	s_delay_alu instid0(VALU_DEP_1) | instskip(NEXT) | instid1(VALU_DEP_1)
	v_lshlrev_b64_e32 v[6:7], 1, v[6:7]
	v_add_co_u32 v6, vcc_lo, s30, v6
	s_wait_alu 0xfffd
	s_delay_alu instid0(VALU_DEP_2)
	v_add_co_ci_u32_e64 v7, null, s31, v7, vcc_lo
	global_load_d16_b16 v3, v[6:7], off
.LBB162_14:
	s_wait_alu 0xfffe
	s_or_b32 exec_lo, exec_lo, s5
	v_add_nc_u32_e32 v19, 0x280, v46
	s_delay_alu instid0(VALU_DEP_1)
	v_cmp_gt_u32_e64 s5, s21, v19
	s_and_saveexec_b32 s6, s5
	s_cbranch_execz .LBB162_16
; %bb.15:
	v_mul_lo_u32 v6, s22, v19
	v_mov_b32_e32 v7, 0
	s_delay_alu instid0(VALU_DEP_1) | instskip(NEXT) | instid1(VALU_DEP_1)
	v_lshlrev_b64_e32 v[6:7], 1, v[6:7]
	v_add_co_u32 v6, vcc_lo, s30, v6
	s_wait_alu 0xfffd
	s_delay_alu instid0(VALU_DEP_2)
	v_add_co_ci_u32_e64 v7, null, s31, v7, vcc_lo
	s_wait_loadcnt 0x0
	global_load_d16_hi_b16 v3, v[6:7], off
.LBB162_16:
	s_wait_alu 0xfffe
	s_or_b32 exec_lo, exec_lo, s6
	v_add_nc_u32_e32 v20, 0x300, v46
	s_delay_alu instid0(VALU_DEP_1)
	v_cmp_gt_u32_e64 s6, s21, v20
	s_and_saveexec_b32 s7, s6
	s_cbranch_execz .LBB162_18
; %bb.17:
	v_mul_lo_u32 v6, s22, v20
	v_mov_b32_e32 v7, 0
	s_delay_alu instid0(VALU_DEP_1) | instskip(NEXT) | instid1(VALU_DEP_1)
	v_lshlrev_b64_e32 v[6:7], 1, v[6:7]
	v_add_co_u32 v6, vcc_lo, s30, v6
	s_wait_alu 0xfffd
	s_delay_alu instid0(VALU_DEP_2)
	v_add_co_ci_u32_e64 v7, null, s31, v7, vcc_lo
	global_load_d16_b16 v4, v[6:7], off
.LBB162_18:
	s_wait_alu 0xfffe
	s_or_b32 exec_lo, exec_lo, s7
	s_clause 0x1
	s_load_b32 s13, s[10:11], 0x6c
	s_load_b64 s[10:11], s[10:11], 0x0
	v_add_nc_u32_e32 v21, 0x380, v46
	s_delay_alu instid0(VALU_DEP_1)
	v_cmp_gt_u32_e64 s7, s21, v21
	s_and_saveexec_b32 s14, s7
	s_cbranch_execz .LBB162_20
; %bb.19:
	v_mul_lo_u32 v6, s22, v21
	v_mov_b32_e32 v7, 0
	s_delay_alu instid0(VALU_DEP_1) | instskip(NEXT) | instid1(VALU_DEP_1)
	v_lshlrev_b64_e32 v[6:7], 1, v[6:7]
	v_add_co_u32 v6, vcc_lo, s30, v6
	s_wait_alu 0xfffd
	s_delay_alu instid0(VALU_DEP_2)
	v_add_co_ci_u32_e64 v7, null, s31, v7, vcc_lo
	s_wait_loadcnt 0x0
	global_load_d16_hi_b16 v4, v[6:7], off
.LBB162_20:
	s_or_b32 exec_lo, exec_lo, s14
	v_lshrrev_b32_e32 v6, 4, v46
	v_lshrrev_b32_e32 v7, 4, v15
	;; [unrolled: 1-line block ×3, first 2 shown]
	v_dual_mov_b32 v42, 0 :: v_dual_lshlrev_b32 v9, 1, v46
	s_delay_alu instid0(VALU_DEP_4) | instskip(NEXT) | instid1(VALU_DEP_4)
	v_and_b32_e32 v6, 60, v6
	v_and_b32_e32 v7, 0x7c, v7
	s_delay_alu instid0(VALU_DEP_4)
	v_and_b32_e32 v8, 0x7c, v8
	v_lshrrev_b32_e32 v10, 4, v17
	v_lshrrev_b32_e32 v11, 4, v21
	v_mov_b32_e32 v43, v42
	v_add_nc_u32_e32 v51, v6, v9
	v_dual_mov_b32 v12, v42 :: v_dual_add_nc_u32 v45, v7, v9
	v_add_nc_u32_e32 v52, v8, v9
	v_and_b32_e32 v6, 0x7c, v10
	v_lshrrev_b32_e32 v7, 4, v18
	v_lshrrev_b32_e32 v8, 4, v19
	;; [unrolled: 1-line block ×3, first 2 shown]
	s_wait_kmcnt 0x0
	s_mul_i32 s12, s13, s12
	v_add_nc_u32_e32 v53, v6, v9
	v_and_b32_e32 v6, 0x7c, v7
	v_and_b32_e32 v7, 0x7c, v8
	;; [unrolled: 1-line block ×4, first 2 shown]
	v_lshrrev_b32_e32 v11, 1, v46
	v_dual_mov_b32 v13, 0 :: v_dual_add_nc_u32 v54, v6, v9
	v_add_nc_u32_e32 v55, v7, v9
	v_add_nc_u32_e32 v56, v8, v9
	s_delay_alu instid0(VALU_DEP_4) | instskip(SKIP_2) | instid1(VALU_DEP_3)
	v_dual_mov_b32 v11, v42 :: v_dual_and_b32 v6, 0x1fc, v11
	v_mov_b32_e32 v7, v42
	v_dual_mov_b32 v14, 0 :: v_dual_add_nc_u32 v57, v10, v9
	v_lshl_add_u32 v58, v46, 4, v6
	ds_store_b16 v51, v5
	s_wait_loadcnt 0x0
	ds_store_b16_d16_hi v45, v1 offset:256
	ds_store_b16 v52, v2 offset:512
	ds_store_b16_d16_hi v53, v2 offset:768
	ds_store_b16 v54, v3 offset:1024
	;; [unrolled: 2-line block ×3, first 2 shown]
	ds_store_b16_d16_hi v57, v4 offset:1792
	s_wait_dscnt 0x0
	s_barrier_signal -1
	s_barrier_wait -1
	global_inv scope:SCOPE_SE
	ds_load_2addr_b32 v[49:50], v58 offset1:1
	ds_load_2addr_b32 v[47:48], v58 offset0:2 offset1:3
	v_mul_lo_u32 v41, s28, v46
	s_add_co_i32 s12, s12, s9
	s_mov_b32 s13, 0
	v_dual_mov_b32 v9, v42 :: v_dual_mov_b32 v10, v42
	v_dual_mov_b32 v1, v42 :: v_dual_mov_b32 v2, v42
	;; [unrolled: 1-line block ×4, first 2 shown]
	v_mov_b32_e32 v8, v42
	s_lshl_b64 s[12:13], s[12:13], 3
	s_wait_loadcnt_dscnt 0x0
	s_add_nc_u64 s[34:35], s[10:11], s[12:13]
	s_barrier_signal -1
	s_barrier_wait -1
	global_inv scope:SCOPE_SE
	s_and_saveexec_b32 s9, s0
	s_cbranch_execnz .LBB162_76
; %bb.21:
	s_wait_alu 0xfffe
	s_or_b32 exec_lo, exec_lo, s9
	s_and_saveexec_b32 s9, s1
	s_cbranch_execnz .LBB162_77
.LBB162_22:
	s_wait_alu 0xfffe
	s_or_b32 exec_lo, exec_lo, s9
	s_and_saveexec_b32 s9, s2
	s_cbranch_execnz .LBB162_78
.LBB162_23:
	s_wait_alu 0xfffe
	s_or_b32 exec_lo, exec_lo, s9
	s_and_saveexec_b32 s9, s3
	s_cbranch_execnz .LBB162_79
.LBB162_24:
	s_wait_alu 0xfffe
	s_or_b32 exec_lo, exec_lo, s9
	s_and_saveexec_b32 s9, s4
	s_cbranch_execnz .LBB162_80
.LBB162_25:
	s_wait_alu 0xfffe
	s_or_b32 exec_lo, exec_lo, s9
	s_and_saveexec_b32 s9, s5
	s_cbranch_execnz .LBB162_81
.LBB162_26:
	s_wait_alu 0xfffe
	s_or_b32 exec_lo, exec_lo, s9
	s_and_saveexec_b32 s9, s6
	s_cbranch_execz .LBB162_28
.LBB162_27:
	v_mul_lo_u32 v5, s28, v20
	v_mov_b32_e32 v6, 0
	s_delay_alu instid0(VALU_DEP_1) | instskip(NEXT) | instid1(VALU_DEP_1)
	v_lshlrev_b64_e32 v[5:6], 3, v[5:6]
	v_add_co_u32 v5, vcc_lo, s34, v5
	s_wait_alu 0xfffd
	s_delay_alu instid0(VALU_DEP_2)
	v_add_co_ci_u32_e64 v6, null, s35, v6, vcc_lo
	global_load_b64 v[5:6], v[5:6], off
.LBB162_28:
	s_wait_alu 0xfffe
	s_or_b32 exec_lo, exec_lo, s9
	v_lshrrev_b32_e32 v69, 5, v46
	v_lshrrev_b32_e32 v25, 5, v15
	;; [unrolled: 1-line block ×8, first 2 shown]
	v_lshlrev_b32_e32 v66, 3, v46
	v_lshrrev_b32_e32 v15, 2, v46
	s_xor_b32 s8, s8, -1
	s_and_saveexec_b32 s9, s7
	s_cbranch_execz .LBB162_30
; %bb.29:
	v_mul_lo_u32 v7, s28, v21
	v_mov_b32_e32 v8, 0
	s_delay_alu instid0(VALU_DEP_1) | instskip(NEXT) | instid1(VALU_DEP_1)
	v_lshlrev_b64_e32 v[7:8], 3, v[7:8]
	v_add_co_u32 v7, vcc_lo, s34, v7
	s_wait_alu 0xfffd
	s_delay_alu instid0(VALU_DEP_2)
	v_add_co_ci_u32_e64 v8, null, s35, v8, vcc_lo
	global_load_b64 v[7:8], v[7:8], off
.LBB162_30:
	s_wait_alu 0xfffe
	s_or_b32 exec_lo, exec_lo, s9
	v_lshl_add_u32 v59, v69, 3, v66
	v_lshl_add_u32 v60, v25, 3, v66
	v_lshl_add_u32 v61, v24, 3, v66
	v_lshl_add_u32 v62, v23, 3, v66
	v_lshl_add_u32 v63, v17, 3, v66
	s_wait_loadcnt 0x0
	ds_store_b64 v59, v[13:14]
	ds_store_b64 v60, v[42:43] offset:1024
	ds_store_b64 v61, v[9:10] offset:2048
	;; [unrolled: 1-line block ×3, first 2 shown]
	v_lshlrev_b32_e32 v9, 3, v66
	v_lshl_add_u32 v42, v22, 3, v66
	v_lshl_add_u32 v43, v18, 3, v66
	;; [unrolled: 1-line block ×3, first 2 shown]
	ds_store_b64 v42, v[1:2] offset:4096
	ds_store_b64 v43, v[3:4] offset:5120
	;; [unrolled: 1-line block ×4, first 2 shown]
	v_lshl_add_u32 v65, v15, 3, v9
	s_wait_dscnt 0x0
	s_barrier_signal -1
	s_barrier_wait -1
	global_inv scope:SCOPE_SE
	ds_load_2addr_b64 v[5:8], v65 offset1:1
	ds_load_2addr_b64 v[1:4], v65 offset0:2 offset1:3
	v_mbcnt_lo_u32_b32 v70, -1, 0
	v_and_b32_e32 v17, 0x1f00, v66
	ds_load_2addr_b64 v[13:16], v65 offset0:4 offset1:5
	ds_load_2addr_b64 v[9:12], v65 offset0:6 offset1:7
	v_and_b32_e32 v72, 0x3e0, v46
	v_bfe_u32 v73, v0, 10, 10
	v_bfe_u32 v74, v0, 20, 10
	v_or_b32_e32 v71, v70, v17
	v_lshlrev_b32_e32 v67, 2, v66
	v_or_b32_e32 v18, v70, v72
	s_mov_b32 s12, 0
	s_and_b32 vcc_lo, exec_lo, s8
	v_lshlrev_b32_e32 v68, 1, v71
	s_mov_b32 s8, -1
	v_lshlrev_b32_e32 v76, 3, v18
	v_lshlrev_b32_e32 v77, 4, v18
	s_wait_loadcnt_dscnt 0x0
	v_mad_u32_u24 v75, v71, 6, v68
	s_barrier_signal -1
	s_barrier_wait -1
	global_inv scope:SCOPE_SE
	s_wait_alu 0xfffe
	s_cbranch_vccz .LBB162_82
; %bb.31:
	v_xor_b32_e32 v17, 0x80008000, v49
	v_xor_b32_e32 v18, 0x80008000, v50
	;; [unrolled: 1-line block ×4, first 2 shown]
	s_getpc_b64 s[8:9]
	s_wait_alu 0xfffe
	s_sext_i32_i16 s9, s9
	s_add_co_u32 s8, s8, _ZN7rocprim17ROCPRIM_400000_NS16block_radix_sortIsLj128ELj8ElLj1ELj1ELj0ELNS0_26block_radix_rank_algorithmE1ELNS0_18block_padding_hintE2ELNS0_4arch9wavefront6targetE0EE19radix_bits_per_passE@rel32@lo+12
	s_wait_alu 0xfffe
	s_add_co_ci_u32 s9, s9, _ZN7rocprim17ROCPRIM_400000_NS16block_radix_sortIsLj128ELj8ElLj1ELj1ELj0ELNS0_26block_radix_rank_algorithmE1ELNS0_18block_padding_hintE2ELNS0_4arch9wavefront6targetE0EE19radix_bits_per_passE@rel32@hi+24
	s_mov_b32 s13, s12
	s_load_b32 s19, s[8:9], 0x0
	s_mov_b32 s14, s12
	ds_store_b128 v77, v[17:20]
	; wave barrier
	ds_load_u16 v78, v68
	s_mov_b32 s15, s12
	v_lshlrev_b32_e32 v0, 3, v76
	ds_load_u16 v79, v68 offset:64
	ds_load_u16 v80, v68 offset:128
	;; [unrolled: 1-line block ×7, first 2 shown]
	s_wait_loadcnt_dscnt 0x0
	s_barrier_signal -1
	s_barrier_wait -1
	global_inv scope:SCOPE_SE
	ds_store_b128 v0, v[5:8]
	ds_store_b128 v0, v[1:4] offset:16
	ds_store_b128 v0, v[13:16] offset:32
	;; [unrolled: 1-line block ×3, first 2 shown]
	; wave barrier
	s_wait_kmcnt 0x0
	s_min_u32 s8, s19, 16
	s_wait_alu 0xfffe
	s_lshl_b32 s8, -1, s8
	s_wait_alu 0xfffe
	s_not_b32 s9, s8
	v_and_b32_e32 v17, 0xffff, v78
	s_wait_alu 0xfffe
	s_delay_alu instid0(VALU_DEP_1)
	v_and_b32_e32 v40, s9, v17
	ds_load_2addr_b64 v[21:24], v75 offset1:32
	ds_load_2addr_b64 v[17:20], v75 offset0:64 offset1:96
	ds_load_2addr_b64 v[29:32], v75 offset0:128 offset1:160
	;; [unrolled: 1-line block ×3, first 2 shown]
	s_wait_loadcnt_dscnt 0x0
	s_barrier_signal -1
	v_and_b32_e32 v0, 1, v40
	v_lshlrev_b32_e32 v33, 30, v40
	v_lshlrev_b32_e32 v36, 28, v40
	;; [unrolled: 1-line block ×3, first 2 shown]
	s_barrier_wait -1
	v_add_co_u32 v0, s8, v0, -1
	s_wait_alu 0xf1ff
	v_cndmask_b32_e64 v34, 0, 1, s8
	v_not_b32_e32 v35, v33
	v_cmp_gt_i32_e64 s8, 0, v33
	global_inv scope:SCOPE_SE
	v_cmp_ne_u32_e32 vcc_lo, 0, v34
	v_lshlrev_b32_e32 v34, 29, v40
	v_ashrrev_i32_e32 v33, 31, v35
	s_wait_alu 0xfffd
	v_xor_b32_e32 v0, vcc_lo, v0
	s_delay_alu instid0(VALU_DEP_3)
	v_not_b32_e32 v35, v34
	v_cmp_gt_i32_e32 vcc_lo, 0, v34
	s_wait_alu 0xf1ff
	v_xor_b32_e32 v33, s8, v33
	s_load_b32 s8, s[36:37], 0xc
	v_and_b32_e32 v0, exec_lo, v0
	v_ashrrev_i32_e32 v34, 31, v35
	v_not_b32_e32 v35, v36
	s_delay_alu instid0(VALU_DEP_3) | instskip(NEXT) | instid1(VALU_DEP_3)
	v_and_b32_e32 v0, v0, v33
	v_xor_b32_e32 v33, vcc_lo, v34
	v_cmp_gt_i32_e32 vcc_lo, 0, v36
	s_delay_alu instid0(VALU_DEP_4) | instskip(SKIP_1) | instid1(VALU_DEP_4)
	v_ashrrev_i32_e32 v34, 31, v35
	v_not_b32_e32 v35, v37
	v_and_b32_e32 v0, v0, v33
	v_lshlrev_b32_e32 v33, 26, v40
	s_wait_alu 0xfffd
	v_xor_b32_e32 v34, vcc_lo, v34
	v_cmp_gt_i32_e32 vcc_lo, 0, v37
	v_ashrrev_i32_e32 v35, 31, v35
	v_not_b32_e32 v36, v33
	s_delay_alu instid0(VALU_DEP_4)
	v_and_b32_e32 v0, v0, v34
	v_lshlrev_b32_e32 v34, 25, v40
	s_wait_alu 0xfffd
	v_xor_b32_e32 v35, vcc_lo, v35
	v_cmp_gt_i32_e32 vcc_lo, 0, v33
	v_ashrrev_i32_e32 v33, 31, v36
	s_wait_kmcnt 0x0
	s_lshr_b32 s10, s8, 16
	v_not_b32_e32 v36, v34
	v_and_b32_e32 v0, v0, v35
	v_lshlrev_b32_e32 v35, 24, v40
	s_wait_alu 0xfffd
	v_xor_b32_e32 v33, vcc_lo, v33
	v_cmp_gt_i32_e32 vcc_lo, 0, v34
	v_ashrrev_i32_e32 v34, 31, v36
	v_mad_u32_u24 v37, v74, s10, v73
	v_not_b32_e32 v36, v35
	v_and_b32_e32 v0, v0, v33
	s_and_b32 s8, s8, 0xffff
	s_wait_alu 0xfffd
	v_xor_b32_e32 v33, vcc_lo, v34
	v_cmp_gt_i32_e32 vcc_lo, 0, v35
	v_ashrrev_i32_e32 v34, 31, v36
	s_wait_alu 0xfffe
	v_mad_co_u64_u32 v[38:39], null, v37, s8, v[46:47]
	v_and_b32_e32 v0, v0, v33
	s_wait_alu 0xfffd
	v_xor_b32_e32 v33, vcc_lo, v34
	v_dual_mov_b32 v37, s15 :: v_dual_mov_b32 v36, s14
	v_dual_mov_b32 v35, s13 :: v_dual_mov_b32 v34, s12
	s_delay_alu instid0(VALU_DEP_3)
	v_and_b32_e32 v33, v0, v33
	v_lshrrev_b32_e32 v0, 5, v38
	ds_store_b128 v67, v[34:37] offset:16
	ds_store_b128 v67, v[34:37] offset:32
	v_mbcnt_lo_u32_b32 v90, v33, 0
	v_lshlrev_b32_e32 v0, 2, v0
	v_lshlrev_b32_e32 v34, 4, v40
	v_cmp_ne_u32_e64 s8, 0, v33
	s_wait_loadcnt_dscnt 0x0
	v_cmp_eq_u32_e32 vcc_lo, 0, v90
	s_barrier_signal -1
	v_add_nc_u32_e32 v91, v0, v34
	s_barrier_wait -1
	global_inv scope:SCOPE_SE
	s_and_b32 s10, s8, vcc_lo
	; wave barrier
	s_wait_alu 0xfffe
	s_and_saveexec_b32 s8, s10
; %bb.32:
	v_bcnt_u32_b32 v33, v33, 0
	ds_store_b32 v91, v33 offset:16
; %bb.33:
	s_wait_alu 0xfffe
	s_or_b32 exec_lo, exec_lo, s8
	v_and_b32_e32 v33, 0xffff, v79
	; wave barrier
	s_delay_alu instid0(VALU_DEP_1) | instskip(NEXT) | instid1(VALU_DEP_1)
	v_and_b32_e32 v33, s9, v33
	v_and_b32_e32 v34, 1, v33
	v_lshlrev_b32_e32 v35, 30, v33
	v_lshlrev_b32_e32 v36, 29, v33
	;; [unrolled: 1-line block ×4, first 2 shown]
	v_add_co_u32 v34, s8, v34, -1
	s_wait_alu 0xf1ff
	v_cndmask_b32_e64 v38, 0, 1, s8
	v_not_b32_e32 v87, v35
	v_cmp_gt_i32_e64 s8, 0, v35
	v_not_b32_e32 v35, v36
	v_lshlrev_b32_e32 v40, 26, v33
	v_cmp_ne_u32_e32 vcc_lo, 0, v38
	v_ashrrev_i32_e32 v87, 31, v87
	v_lshlrev_b32_e32 v86, 25, v33
	v_ashrrev_i32_e32 v35, 31, v35
	v_lshlrev_b32_e32 v38, 24, v33
	s_wait_alu 0xfffd
	v_xor_b32_e32 v34, vcc_lo, v34
	v_cmp_gt_i32_e32 vcc_lo, 0, v36
	v_not_b32_e32 v36, v37
	s_wait_alu 0xf1ff
	v_xor_b32_e32 v87, s8, v87
	v_cmp_gt_i32_e64 s8, 0, v37
	v_and_b32_e32 v34, exec_lo, v34
	v_not_b32_e32 v37, v39
	v_ashrrev_i32_e32 v36, 31, v36
	s_wait_alu 0xfffd
	v_xor_b32_e32 v35, vcc_lo, v35
	v_cmp_gt_i32_e32 vcc_lo, 0, v39
	v_and_b32_e32 v34, v34, v87
	v_not_b32_e32 v39, v40
	v_ashrrev_i32_e32 v37, 31, v37
	s_wait_alu 0xf1ff
	v_xor_b32_e32 v36, s8, v36
	v_cmp_gt_i32_e64 s8, 0, v40
	v_and_b32_e32 v34, v34, v35
	v_not_b32_e32 v35, v86
	v_ashrrev_i32_e32 v39, 31, v39
	s_wait_alu 0xfffd
	v_xor_b32_e32 v37, vcc_lo, v37
	v_cmp_gt_i32_e32 vcc_lo, 0, v86
	v_and_b32_e32 v34, v34, v36
	v_not_b32_e32 v36, v38
	v_ashrrev_i32_e32 v35, 31, v35
	s_wait_alu 0xf1ff
	v_xor_b32_e32 v39, s8, v39
	v_lshlrev_b32_e32 v33, 4, v33
	v_and_b32_e32 v34, v34, v37
	v_cmp_gt_i32_e64 s8, 0, v38
	v_ashrrev_i32_e32 v36, 31, v36
	s_wait_alu 0xfffd
	v_xor_b32_e32 v35, vcc_lo, v35
	v_add_nc_u32_e32 v94, v0, v33
	v_and_b32_e32 v34, v34, v39
	s_wait_alu 0xf1ff
	v_xor_b32_e32 v33, s8, v36
	ds_load_b32 v92, v94 offset:16
	v_and_b32_e32 v34, v34, v35
	; wave barrier
	s_delay_alu instid0(VALU_DEP_1) | instskip(NEXT) | instid1(VALU_DEP_1)
	v_and_b32_e32 v33, v34, v33
	v_mbcnt_lo_u32_b32 v93, v33, 0
	v_cmp_ne_u32_e64 s8, 0, v33
	s_delay_alu instid0(VALU_DEP_2)
	v_cmp_eq_u32_e32 vcc_lo, 0, v93
	s_and_b32 s10, s8, vcc_lo
	s_wait_alu 0xfffe
	s_and_saveexec_b32 s8, s10
	s_cbranch_execz .LBB162_35
; %bb.34:
	s_wait_dscnt 0x0
	v_bcnt_u32_b32 v33, v33, v92
	ds_store_b32 v94, v33 offset:16
.LBB162_35:
	s_wait_alu 0xfffe
	s_or_b32 exec_lo, exec_lo, s8
	v_and_b32_e32 v33, 0xffff, v80
	; wave barrier
	s_delay_alu instid0(VALU_DEP_1) | instskip(NEXT) | instid1(VALU_DEP_1)
	v_and_b32_e32 v33, s9, v33
	v_and_b32_e32 v34, 1, v33
	v_lshlrev_b32_e32 v35, 30, v33
	v_lshlrev_b32_e32 v36, 29, v33
	;; [unrolled: 1-line block ×4, first 2 shown]
	v_add_co_u32 v34, s8, v34, -1
	s_wait_alu 0xf1ff
	v_cndmask_b32_e64 v38, 0, 1, s8
	v_not_b32_e32 v87, v35
	v_cmp_gt_i32_e64 s8, 0, v35
	v_not_b32_e32 v35, v36
	v_lshlrev_b32_e32 v40, 26, v33
	v_cmp_ne_u32_e32 vcc_lo, 0, v38
	v_ashrrev_i32_e32 v87, 31, v87
	v_lshlrev_b32_e32 v86, 25, v33
	v_ashrrev_i32_e32 v35, 31, v35
	v_lshlrev_b32_e32 v38, 24, v33
	s_wait_alu 0xfffd
	v_xor_b32_e32 v34, vcc_lo, v34
	v_cmp_gt_i32_e32 vcc_lo, 0, v36
	v_not_b32_e32 v36, v37
	s_wait_alu 0xf1ff
	v_xor_b32_e32 v87, s8, v87
	v_cmp_gt_i32_e64 s8, 0, v37
	v_and_b32_e32 v34, exec_lo, v34
	v_not_b32_e32 v37, v39
	v_ashrrev_i32_e32 v36, 31, v36
	s_wait_alu 0xfffd
	v_xor_b32_e32 v35, vcc_lo, v35
	v_cmp_gt_i32_e32 vcc_lo, 0, v39
	v_and_b32_e32 v34, v34, v87
	v_not_b32_e32 v39, v40
	v_ashrrev_i32_e32 v37, 31, v37
	s_wait_alu 0xf1ff
	v_xor_b32_e32 v36, s8, v36
	v_cmp_gt_i32_e64 s8, 0, v40
	v_and_b32_e32 v34, v34, v35
	v_not_b32_e32 v35, v86
	v_ashrrev_i32_e32 v39, 31, v39
	s_wait_alu 0xfffd
	v_xor_b32_e32 v37, vcc_lo, v37
	v_cmp_gt_i32_e32 vcc_lo, 0, v86
	v_and_b32_e32 v34, v34, v36
	v_not_b32_e32 v36, v38
	v_ashrrev_i32_e32 v35, 31, v35
	s_wait_alu 0xf1ff
	v_xor_b32_e32 v39, s8, v39
	v_lshlrev_b32_e32 v33, 4, v33
	v_and_b32_e32 v34, v34, v37
	v_cmp_gt_i32_e64 s8, 0, v38
	v_ashrrev_i32_e32 v36, 31, v36
	s_wait_alu 0xfffd
	v_xor_b32_e32 v35, vcc_lo, v35
	v_add_nc_u32_e32 v97, v0, v33
	v_and_b32_e32 v34, v34, v39
	s_wait_alu 0xf1ff
	v_xor_b32_e32 v33, s8, v36
	ds_load_b32 v95, v97 offset:16
	v_and_b32_e32 v34, v34, v35
	; wave barrier
	s_delay_alu instid0(VALU_DEP_1) | instskip(NEXT) | instid1(VALU_DEP_1)
	v_and_b32_e32 v33, v34, v33
	v_mbcnt_lo_u32_b32 v96, v33, 0
	v_cmp_ne_u32_e64 s8, 0, v33
	s_delay_alu instid0(VALU_DEP_2)
	v_cmp_eq_u32_e32 vcc_lo, 0, v96
	s_and_b32 s10, s8, vcc_lo
	s_wait_alu 0xfffe
	s_and_saveexec_b32 s8, s10
	s_cbranch_execz .LBB162_37
; %bb.36:
	s_wait_dscnt 0x0
	v_bcnt_u32_b32 v33, v33, v95
	ds_store_b32 v97, v33 offset:16
.LBB162_37:
	s_wait_alu 0xfffe
	s_or_b32 exec_lo, exec_lo, s8
	v_and_b32_e32 v33, 0xffff, v81
	; wave barrier
	s_delay_alu instid0(VALU_DEP_1) | instskip(NEXT) | instid1(VALU_DEP_1)
	v_and_b32_e32 v33, s9, v33
	v_and_b32_e32 v34, 1, v33
	v_lshlrev_b32_e32 v35, 30, v33
	v_lshlrev_b32_e32 v36, 29, v33
	;; [unrolled: 1-line block ×4, first 2 shown]
	v_add_co_u32 v34, s8, v34, -1
	s_wait_alu 0xf1ff
	v_cndmask_b32_e64 v38, 0, 1, s8
	v_not_b32_e32 v87, v35
	v_cmp_gt_i32_e64 s8, 0, v35
	v_not_b32_e32 v35, v36
	v_lshlrev_b32_e32 v40, 26, v33
	v_cmp_ne_u32_e32 vcc_lo, 0, v38
	v_ashrrev_i32_e32 v87, 31, v87
	v_lshlrev_b32_e32 v86, 25, v33
	v_ashrrev_i32_e32 v35, 31, v35
	v_lshlrev_b32_e32 v38, 24, v33
	s_wait_alu 0xfffd
	v_xor_b32_e32 v34, vcc_lo, v34
	v_cmp_gt_i32_e32 vcc_lo, 0, v36
	v_not_b32_e32 v36, v37
	s_wait_alu 0xf1ff
	v_xor_b32_e32 v87, s8, v87
	v_cmp_gt_i32_e64 s8, 0, v37
	v_and_b32_e32 v34, exec_lo, v34
	v_not_b32_e32 v37, v39
	v_ashrrev_i32_e32 v36, 31, v36
	s_wait_alu 0xfffd
	v_xor_b32_e32 v35, vcc_lo, v35
	v_cmp_gt_i32_e32 vcc_lo, 0, v39
	v_and_b32_e32 v34, v34, v87
	v_not_b32_e32 v39, v40
	v_ashrrev_i32_e32 v37, 31, v37
	s_wait_alu 0xf1ff
	v_xor_b32_e32 v36, s8, v36
	v_cmp_gt_i32_e64 s8, 0, v40
	v_and_b32_e32 v34, v34, v35
	v_not_b32_e32 v35, v86
	v_ashrrev_i32_e32 v39, 31, v39
	s_wait_alu 0xfffd
	v_xor_b32_e32 v37, vcc_lo, v37
	v_cmp_gt_i32_e32 vcc_lo, 0, v86
	v_and_b32_e32 v34, v34, v36
	v_not_b32_e32 v36, v38
	v_ashrrev_i32_e32 v35, 31, v35
	s_wait_alu 0xf1ff
	v_xor_b32_e32 v39, s8, v39
	v_lshlrev_b32_e32 v33, 4, v33
	v_and_b32_e32 v34, v34, v37
	v_cmp_gt_i32_e64 s8, 0, v38
	v_ashrrev_i32_e32 v36, 31, v36
	s_wait_alu 0xfffd
	v_xor_b32_e32 v35, vcc_lo, v35
	v_add_nc_u32_e32 v100, v0, v33
	v_and_b32_e32 v34, v34, v39
	s_wait_alu 0xf1ff
	v_xor_b32_e32 v33, s8, v36
	ds_load_b32 v98, v100 offset:16
	v_and_b32_e32 v34, v34, v35
	; wave barrier
	s_delay_alu instid0(VALU_DEP_1) | instskip(NEXT) | instid1(VALU_DEP_1)
	v_and_b32_e32 v33, v34, v33
	v_mbcnt_lo_u32_b32 v99, v33, 0
	v_cmp_ne_u32_e64 s8, 0, v33
	s_delay_alu instid0(VALU_DEP_2)
	v_cmp_eq_u32_e32 vcc_lo, 0, v99
	s_and_b32 s10, s8, vcc_lo
	s_wait_alu 0xfffe
	s_and_saveexec_b32 s8, s10
	s_cbranch_execz .LBB162_39
; %bb.38:
	s_wait_dscnt 0x0
	v_bcnt_u32_b32 v33, v33, v98
	ds_store_b32 v100, v33 offset:16
.LBB162_39:
	s_wait_alu 0xfffe
	s_or_b32 exec_lo, exec_lo, s8
	v_and_b32_e32 v33, 0xffff, v82
	; wave barrier
	s_delay_alu instid0(VALU_DEP_1) | instskip(NEXT) | instid1(VALU_DEP_1)
	v_and_b32_e32 v33, s9, v33
	v_and_b32_e32 v34, 1, v33
	v_lshlrev_b32_e32 v35, 30, v33
	v_lshlrev_b32_e32 v36, 29, v33
	;; [unrolled: 1-line block ×4, first 2 shown]
	v_add_co_u32 v34, s8, v34, -1
	s_wait_alu 0xf1ff
	v_cndmask_b32_e64 v38, 0, 1, s8
	v_not_b32_e32 v87, v35
	v_cmp_gt_i32_e64 s8, 0, v35
	v_not_b32_e32 v35, v36
	v_lshlrev_b32_e32 v40, 26, v33
	v_cmp_ne_u32_e32 vcc_lo, 0, v38
	v_ashrrev_i32_e32 v87, 31, v87
	v_lshlrev_b32_e32 v86, 25, v33
	v_ashrrev_i32_e32 v35, 31, v35
	v_lshlrev_b32_e32 v38, 24, v33
	s_wait_alu 0xfffd
	v_xor_b32_e32 v34, vcc_lo, v34
	v_cmp_gt_i32_e32 vcc_lo, 0, v36
	v_not_b32_e32 v36, v37
	s_wait_alu 0xf1ff
	v_xor_b32_e32 v87, s8, v87
	v_cmp_gt_i32_e64 s8, 0, v37
	v_and_b32_e32 v34, exec_lo, v34
	v_not_b32_e32 v37, v39
	v_ashrrev_i32_e32 v36, 31, v36
	s_wait_alu 0xfffd
	v_xor_b32_e32 v35, vcc_lo, v35
	v_cmp_gt_i32_e32 vcc_lo, 0, v39
	v_and_b32_e32 v34, v34, v87
	v_not_b32_e32 v39, v40
	v_ashrrev_i32_e32 v37, 31, v37
	s_wait_alu 0xf1ff
	v_xor_b32_e32 v36, s8, v36
	v_cmp_gt_i32_e64 s8, 0, v40
	v_and_b32_e32 v34, v34, v35
	v_not_b32_e32 v35, v86
	v_ashrrev_i32_e32 v39, 31, v39
	s_wait_alu 0xfffd
	v_xor_b32_e32 v37, vcc_lo, v37
	v_cmp_gt_i32_e32 vcc_lo, 0, v86
	v_and_b32_e32 v34, v34, v36
	v_not_b32_e32 v36, v38
	v_ashrrev_i32_e32 v35, 31, v35
	s_wait_alu 0xf1ff
	v_xor_b32_e32 v39, s8, v39
	v_lshlrev_b32_e32 v33, 4, v33
	v_and_b32_e32 v34, v34, v37
	v_cmp_gt_i32_e64 s8, 0, v38
	v_ashrrev_i32_e32 v36, 31, v36
	s_wait_alu 0xfffd
	v_xor_b32_e32 v35, vcc_lo, v35
	v_add_nc_u32_e32 v103, v0, v33
	v_and_b32_e32 v34, v34, v39
	s_wait_alu 0xf1ff
	v_xor_b32_e32 v33, s8, v36
	ds_load_b32 v101, v103 offset:16
	v_and_b32_e32 v34, v34, v35
	; wave barrier
	s_delay_alu instid0(VALU_DEP_1) | instskip(NEXT) | instid1(VALU_DEP_1)
	v_and_b32_e32 v33, v34, v33
	v_mbcnt_lo_u32_b32 v102, v33, 0
	v_cmp_ne_u32_e64 s8, 0, v33
	s_delay_alu instid0(VALU_DEP_2)
	v_cmp_eq_u32_e32 vcc_lo, 0, v102
	s_and_b32 s10, s8, vcc_lo
	s_wait_alu 0xfffe
	s_and_saveexec_b32 s8, s10
	s_cbranch_execz .LBB162_41
; %bb.40:
	s_wait_dscnt 0x0
	v_bcnt_u32_b32 v33, v33, v101
	ds_store_b32 v103, v33 offset:16
.LBB162_41:
	s_wait_alu 0xfffe
	s_or_b32 exec_lo, exec_lo, s8
	v_and_b32_e32 v33, 0xffff, v83
	; wave barrier
	s_delay_alu instid0(VALU_DEP_1) | instskip(NEXT) | instid1(VALU_DEP_1)
	v_and_b32_e32 v33, s9, v33
	v_and_b32_e32 v34, 1, v33
	v_lshlrev_b32_e32 v35, 30, v33
	v_lshlrev_b32_e32 v36, 29, v33
	;; [unrolled: 1-line block ×4, first 2 shown]
	v_add_co_u32 v34, s8, v34, -1
	s_wait_alu 0xf1ff
	v_cndmask_b32_e64 v38, 0, 1, s8
	v_not_b32_e32 v87, v35
	v_cmp_gt_i32_e64 s8, 0, v35
	v_not_b32_e32 v35, v36
	v_lshlrev_b32_e32 v40, 26, v33
	v_cmp_ne_u32_e32 vcc_lo, 0, v38
	v_ashrrev_i32_e32 v87, 31, v87
	v_lshlrev_b32_e32 v86, 25, v33
	v_ashrrev_i32_e32 v35, 31, v35
	v_lshlrev_b32_e32 v38, 24, v33
	s_wait_alu 0xfffd
	v_xor_b32_e32 v34, vcc_lo, v34
	v_cmp_gt_i32_e32 vcc_lo, 0, v36
	v_not_b32_e32 v36, v37
	s_wait_alu 0xf1ff
	v_xor_b32_e32 v87, s8, v87
	v_cmp_gt_i32_e64 s8, 0, v37
	v_and_b32_e32 v34, exec_lo, v34
	v_not_b32_e32 v37, v39
	v_ashrrev_i32_e32 v36, 31, v36
	s_wait_alu 0xfffd
	v_xor_b32_e32 v35, vcc_lo, v35
	v_cmp_gt_i32_e32 vcc_lo, 0, v39
	v_and_b32_e32 v34, v34, v87
	v_not_b32_e32 v39, v40
	v_ashrrev_i32_e32 v37, 31, v37
	s_wait_alu 0xf1ff
	v_xor_b32_e32 v36, s8, v36
	v_cmp_gt_i32_e64 s8, 0, v40
	v_and_b32_e32 v34, v34, v35
	v_not_b32_e32 v35, v86
	v_ashrrev_i32_e32 v39, 31, v39
	s_wait_alu 0xfffd
	v_xor_b32_e32 v37, vcc_lo, v37
	v_cmp_gt_i32_e32 vcc_lo, 0, v86
	v_and_b32_e32 v34, v34, v36
	v_not_b32_e32 v36, v38
	v_ashrrev_i32_e32 v35, 31, v35
	s_wait_alu 0xf1ff
	v_xor_b32_e32 v39, s8, v39
	v_lshlrev_b32_e32 v33, 4, v33
	v_and_b32_e32 v34, v34, v37
	v_cmp_gt_i32_e64 s8, 0, v38
	v_ashrrev_i32_e32 v36, 31, v36
	s_wait_alu 0xfffd
	v_xor_b32_e32 v35, vcc_lo, v35
	v_add_nc_u32_e32 v106, v0, v33
	v_and_b32_e32 v34, v34, v39
	s_wait_alu 0xf1ff
	v_xor_b32_e32 v33, s8, v36
	ds_load_b32 v104, v106 offset:16
	v_and_b32_e32 v34, v34, v35
	; wave barrier
	s_delay_alu instid0(VALU_DEP_1) | instskip(NEXT) | instid1(VALU_DEP_1)
	v_and_b32_e32 v33, v34, v33
	v_mbcnt_lo_u32_b32 v105, v33, 0
	v_cmp_ne_u32_e64 s8, 0, v33
	s_delay_alu instid0(VALU_DEP_2)
	v_cmp_eq_u32_e32 vcc_lo, 0, v105
	s_and_b32 s10, s8, vcc_lo
	s_wait_alu 0xfffe
	s_and_saveexec_b32 s8, s10
	s_cbranch_execz .LBB162_43
; %bb.42:
	s_wait_dscnt 0x0
	v_bcnt_u32_b32 v33, v33, v104
	ds_store_b32 v106, v33 offset:16
.LBB162_43:
	s_wait_alu 0xfffe
	s_or_b32 exec_lo, exec_lo, s8
	v_and_b32_e32 v33, 0xffff, v84
	; wave barrier
	s_delay_alu instid0(VALU_DEP_1) | instskip(NEXT) | instid1(VALU_DEP_1)
	v_and_b32_e32 v33, s9, v33
	v_and_b32_e32 v34, 1, v33
	v_lshlrev_b32_e32 v35, 30, v33
	v_lshlrev_b32_e32 v36, 29, v33
	;; [unrolled: 1-line block ×4, first 2 shown]
	v_add_co_u32 v34, s8, v34, -1
	s_wait_alu 0xf1ff
	v_cndmask_b32_e64 v38, 0, 1, s8
	v_not_b32_e32 v87, v35
	v_cmp_gt_i32_e64 s8, 0, v35
	v_not_b32_e32 v35, v36
	v_lshlrev_b32_e32 v40, 26, v33
	v_cmp_ne_u32_e32 vcc_lo, 0, v38
	v_ashrrev_i32_e32 v87, 31, v87
	v_lshlrev_b32_e32 v86, 25, v33
	v_ashrrev_i32_e32 v35, 31, v35
	v_lshlrev_b32_e32 v38, 24, v33
	s_wait_alu 0xfffd
	v_xor_b32_e32 v34, vcc_lo, v34
	v_cmp_gt_i32_e32 vcc_lo, 0, v36
	v_not_b32_e32 v36, v37
	s_wait_alu 0xf1ff
	v_xor_b32_e32 v87, s8, v87
	v_cmp_gt_i32_e64 s8, 0, v37
	v_and_b32_e32 v34, exec_lo, v34
	v_not_b32_e32 v37, v39
	v_ashrrev_i32_e32 v36, 31, v36
	s_wait_alu 0xfffd
	v_xor_b32_e32 v35, vcc_lo, v35
	v_cmp_gt_i32_e32 vcc_lo, 0, v39
	v_and_b32_e32 v34, v34, v87
	v_not_b32_e32 v39, v40
	v_ashrrev_i32_e32 v37, 31, v37
	s_wait_alu 0xf1ff
	v_xor_b32_e32 v36, s8, v36
	v_cmp_gt_i32_e64 s8, 0, v40
	v_and_b32_e32 v34, v34, v35
	v_not_b32_e32 v35, v86
	v_ashrrev_i32_e32 v39, 31, v39
	s_wait_alu 0xfffd
	v_xor_b32_e32 v37, vcc_lo, v37
	v_cmp_gt_i32_e32 vcc_lo, 0, v86
	v_and_b32_e32 v34, v34, v36
	v_not_b32_e32 v36, v38
	v_ashrrev_i32_e32 v35, 31, v35
	s_wait_alu 0xf1ff
	v_xor_b32_e32 v39, s8, v39
	v_lshlrev_b32_e32 v33, 4, v33
	v_and_b32_e32 v34, v34, v37
	v_cmp_gt_i32_e64 s8, 0, v38
	v_ashrrev_i32_e32 v36, 31, v36
	s_wait_alu 0xfffd
	v_xor_b32_e32 v35, vcc_lo, v35
	v_add_nc_u32_e32 v109, v0, v33
	v_and_b32_e32 v34, v34, v39
	s_wait_alu 0xf1ff
	v_xor_b32_e32 v33, s8, v36
	ds_load_b32 v107, v109 offset:16
	v_and_b32_e32 v34, v34, v35
	; wave barrier
	s_delay_alu instid0(VALU_DEP_1) | instskip(NEXT) | instid1(VALU_DEP_1)
	v_and_b32_e32 v33, v34, v33
	v_mbcnt_lo_u32_b32 v108, v33, 0
	v_cmp_ne_u32_e64 s8, 0, v33
	s_delay_alu instid0(VALU_DEP_2)
	v_cmp_eq_u32_e32 vcc_lo, 0, v108
	s_and_b32 s10, s8, vcc_lo
	s_wait_alu 0xfffe
	s_and_saveexec_b32 s8, s10
	s_cbranch_execz .LBB162_45
; %bb.44:
	s_wait_dscnt 0x0
	v_bcnt_u32_b32 v33, v33, v107
	ds_store_b32 v109, v33 offset:16
.LBB162_45:
	s_wait_alu 0xfffe
	s_or_b32 exec_lo, exec_lo, s8
	v_and_b32_e32 v33, 0xffff, v85
	; wave barrier
	s_delay_alu instid0(VALU_DEP_1) | instskip(NEXT) | instid1(VALU_DEP_1)
	v_and_b32_e32 v33, s9, v33
	v_and_b32_e32 v34, 1, v33
	v_lshlrev_b32_e32 v35, 30, v33
	v_lshlrev_b32_e32 v36, 29, v33
	;; [unrolled: 1-line block ×4, first 2 shown]
	v_add_co_u32 v34, s8, v34, -1
	s_wait_alu 0xf1ff
	v_cndmask_b32_e64 v38, 0, 1, s8
	v_not_b32_e32 v87, v35
	v_cmp_gt_i32_e64 s8, 0, v35
	v_not_b32_e32 v35, v36
	v_lshlrev_b32_e32 v40, 26, v33
	v_cmp_ne_u32_e32 vcc_lo, 0, v38
	v_ashrrev_i32_e32 v87, 31, v87
	v_lshlrev_b32_e32 v86, 25, v33
	v_ashrrev_i32_e32 v35, 31, v35
	v_lshlrev_b32_e32 v38, 24, v33
	s_wait_alu 0xfffd
	v_xor_b32_e32 v34, vcc_lo, v34
	v_cmp_gt_i32_e32 vcc_lo, 0, v36
	v_not_b32_e32 v36, v37
	s_wait_alu 0xf1ff
	v_xor_b32_e32 v87, s8, v87
	v_cmp_gt_i32_e64 s8, 0, v37
	v_and_b32_e32 v34, exec_lo, v34
	v_not_b32_e32 v37, v39
	v_ashrrev_i32_e32 v36, 31, v36
	s_wait_alu 0xfffd
	v_xor_b32_e32 v35, vcc_lo, v35
	v_cmp_gt_i32_e32 vcc_lo, 0, v39
	v_and_b32_e32 v34, v34, v87
	v_not_b32_e32 v39, v40
	v_ashrrev_i32_e32 v37, 31, v37
	s_wait_alu 0xf1ff
	v_xor_b32_e32 v36, s8, v36
	v_cmp_gt_i32_e64 s8, 0, v40
	v_and_b32_e32 v34, v34, v35
	v_not_b32_e32 v35, v86
	v_ashrrev_i32_e32 v39, 31, v39
	s_wait_alu 0xfffd
	v_xor_b32_e32 v37, vcc_lo, v37
	v_cmp_gt_i32_e32 vcc_lo, 0, v86
	v_and_b32_e32 v34, v34, v36
	v_not_b32_e32 v36, v38
	v_ashrrev_i32_e32 v35, 31, v35
	s_wait_alu 0xf1ff
	v_xor_b32_e32 v39, s8, v39
	v_lshlrev_b32_e32 v33, 4, v33
	v_and_b32_e32 v34, v34, v37
	v_cmp_gt_i32_e64 s8, 0, v38
	v_ashrrev_i32_e32 v36, 31, v36
	s_wait_alu 0xfffd
	v_xor_b32_e32 v35, vcc_lo, v35
	v_add_nc_u32_e32 v112, v0, v33
	v_and_b32_e32 v34, v34, v39
	v_min_u32_e32 v86, 0x60, v72
	s_wait_alu 0xf1ff
	v_xor_b32_e32 v33, s8, v36
	ds_load_b32 v110, v112 offset:16
	v_and_b32_e32 v34, v34, v35
	; wave barrier
	s_delay_alu instid0(VALU_DEP_1) | instskip(NEXT) | instid1(VALU_DEP_1)
	v_and_b32_e32 v33, v34, v33
	v_mbcnt_lo_u32_b32 v111, v33, 0
	v_cmp_ne_u32_e64 s8, 0, v33
	s_delay_alu instid0(VALU_DEP_2)
	v_cmp_eq_u32_e32 vcc_lo, 0, v111
	s_and_b32 s9, s8, vcc_lo
	s_wait_alu 0xfffe
	s_and_saveexec_b32 s8, s9
	s_cbranch_execz .LBB162_47
; %bb.46:
	s_wait_dscnt 0x0
	v_bcnt_u32_b32 v33, v33, v110
	ds_store_b32 v112, v33 offset:16
.LBB162_47:
	s_wait_alu 0xfffe
	s_or_b32 exec_lo, exec_lo, s8
	; wave barrier
	s_wait_loadcnt_dscnt 0x0
	s_barrier_signal -1
	s_barrier_wait -1
	global_inv scope:SCOPE_SE
	ds_load_b128 v[37:40], v67 offset:16
	ds_load_b128 v[33:36], v67 offset:32
	v_and_b32_e32 v89, 16, v70
	v_or_b32_e32 v86, 31, v86
	s_delay_alu instid0(VALU_DEP_2) | instskip(NEXT) | instid1(VALU_DEP_2)
	v_cmp_eq_u32_e64 s16, 0, v89
	v_cmp_eq_u32_e64 s14, v46, v86
	v_lshlrev_b32_e32 v86, 2, v69
	s_wait_dscnt 0x1
	v_add_nc_u32_e32 v87, v38, v37
	s_delay_alu instid0(VALU_DEP_1) | instskip(SKIP_1) | instid1(VALU_DEP_1)
	v_add3_u32 v87, v87, v39, v40
	s_wait_dscnt 0x0
	v_add3_u32 v87, v87, v33, v34
	s_delay_alu instid0(VALU_DEP_1) | instskip(SKIP_1) | instid1(VALU_DEP_2)
	v_add3_u32 v36, v87, v35, v36
	v_and_b32_e32 v87, 15, v70
	v_mov_b32_dpp v88, v36 row_shr:1 row_mask:0xf bank_mask:0xf
	s_delay_alu instid0(VALU_DEP_2)
	v_cmp_eq_u32_e64 s8, 0, v87
	v_cmp_lt_u32_e64 s10, 1, v87
	v_cmp_lt_u32_e64 s11, 3, v87
	;; [unrolled: 1-line block ×3, first 2 shown]
	s_wait_alu 0xf1ff
	v_cndmask_b32_e64 v88, v88, 0, s8
	s_delay_alu instid0(VALU_DEP_1) | instskip(NEXT) | instid1(VALU_DEP_1)
	v_add_nc_u32_e32 v36, v88, v36
	v_mov_b32_dpp v88, v36 row_shr:2 row_mask:0xf bank_mask:0xf
	s_delay_alu instid0(VALU_DEP_1) | instskip(NEXT) | instid1(VALU_DEP_1)
	v_cndmask_b32_e64 v88, 0, v88, s10
	v_add_nc_u32_e32 v36, v36, v88
	s_delay_alu instid0(VALU_DEP_1) | instskip(NEXT) | instid1(VALU_DEP_1)
	v_mov_b32_dpp v88, v36 row_shr:4 row_mask:0xf bank_mask:0xf
	v_cndmask_b32_e64 v88, 0, v88, s11
	s_delay_alu instid0(VALU_DEP_1) | instskip(NEXT) | instid1(VALU_DEP_1)
	v_add_nc_u32_e32 v36, v36, v88
	v_mov_b32_dpp v88, v36 row_shr:8 row_mask:0xf bank_mask:0xf
	s_delay_alu instid0(VALU_DEP_1) | instskip(SKIP_1) | instid1(VALU_DEP_2)
	v_cndmask_b32_e64 v87, 0, v88, s13
	v_bfe_i32 v88, v70, 4, 1
	v_add_nc_u32_e32 v87, v36, v87
	ds_swizzle_b32 v36, v87 offset:swizzle(BROADCAST,32,15)
	s_wait_dscnt 0x0
	v_and_b32_e32 v88, v88, v36
	v_mul_i32_i24_e32 v36, 0xffffffe4, v46
	s_delay_alu instid0(VALU_DEP_2)
	v_add_nc_u32_e32 v89, v87, v88
	s_and_saveexec_b32 s9, s14
; %bb.48:
	ds_store_b32 v86, v89
; %bb.49:
	s_wait_alu 0xfffe
	s_or_b32 exec_lo, exec_lo, s9
	v_and_b32_e32 v87, 3, v70
	v_cmp_gt_u32_e64 s15, 4, v46
	s_wait_loadcnt_dscnt 0x0
	s_barrier_signal -1
	s_barrier_wait -1
	v_cmp_eq_u32_e64 s12, 0, v87
	v_cmp_lt_u32_e64 s9, 1, v87
	v_add_nc_u32_e32 v87, v67, v36
	global_inv scope:SCOPE_SE
	s_and_saveexec_b32 s17, s15
	s_cbranch_execz .LBB162_51
; %bb.50:
	ds_load_b32 v36, v87
	s_wait_dscnt 0x0
	v_mov_b32_dpp v88, v36 row_shr:1 row_mask:0xf bank_mask:0xf
	s_delay_alu instid0(VALU_DEP_1) | instskip(NEXT) | instid1(VALU_DEP_1)
	v_cndmask_b32_e64 v88, v88, 0, s12
	v_add_nc_u32_e32 v36, v88, v36
	s_delay_alu instid0(VALU_DEP_1) | instskip(NEXT) | instid1(VALU_DEP_1)
	v_mov_b32_dpp v88, v36 row_shr:2 row_mask:0xf bank_mask:0xf
	v_cndmask_b32_e64 v88, 0, v88, s9
	s_delay_alu instid0(VALU_DEP_1)
	v_add_nc_u32_e32 v36, v36, v88
	ds_store_b32 v87, v36
.LBB162_51:
	s_or_b32 exec_lo, exec_lo, s17
	v_sub_co_u32 v113, vcc_lo, v70, 1
	v_mul_u32_u24_e32 v36, 6, v71
	v_cmp_lt_u32_e64 s17, 31, v46
	v_add_nc_u32_e32 v88, -4, v86
	v_mov_b32_e32 v114, 0
	s_wait_loadcnt_dscnt 0x0
	s_barrier_signal -1
	s_barrier_wait -1
	global_inv scope:SCOPE_SE
	s_and_saveexec_b32 s18, s17
; %bb.52:
	ds_load_b32 v114, v88
; %bb.53:
	s_or_b32 exec_lo, exec_lo, s18
	v_cmp_gt_i32_e64 s18, 0, v113
	s_mov_b32 s24, 0
	s_min_u32 s19, s19, 8
	s_mov_b32 s25, s24
	s_mov_b32 s26, s24
	v_cndmask_b32_e64 v113, v113, v70, s18
	s_mov_b32 s27, s24
	s_wait_dscnt 0x0
	v_add_nc_u32_e32 v115, v114, v89
	v_cmp_eq_u32_e64 s18, 0, v46
	s_lshl_b32 s19, -1, s19
	v_lshlrev_b32_e32 v89, 2, v113
	s_wait_alu 0xfffe
	s_not_b32 s21, s19
	ds_bpermute_b32 v113, v89, v115
	s_wait_dscnt 0x0
	s_wait_alu 0xfffd
	v_cndmask_b32_e32 v113, v113, v114, vcc_lo
	s_delay_alu instid0(VALU_DEP_1) | instskip(NEXT) | instid1(VALU_DEP_1)
	v_cndmask_b32_e64 v113, v113, 0, s18
	v_add_nc_u32_e32 v114, v113, v37
	s_delay_alu instid0(VALU_DEP_1) | instskip(NEXT) | instid1(VALU_DEP_1)
	v_add_nc_u32_e32 v115, v114, v38
	v_add_nc_u32_e32 v116, v115, v39
	s_delay_alu instid0(VALU_DEP_1) | instskip(NEXT) | instid1(VALU_DEP_1)
	v_add_nc_u32_e32 v37, v116, v40
	v_add_nc_u32_e32 v38, v37, v33
	s_delay_alu instid0(VALU_DEP_1) | instskip(NEXT) | instid1(VALU_DEP_1)
	v_add_nc_u32_e32 v39, v38, v34
	v_add_nc_u32_e32 v40, v39, v35
	ds_store_b128 v67, v[113:116] offset:16
	ds_store_b128 v67, v[37:40] offset:32
	s_wait_loadcnt_dscnt 0x0
	s_barrier_signal -1
	s_barrier_wait -1
	global_inv scope:SCOPE_SE
	ds_load_b32 v33, v91 offset:16
	ds_load_b32 v34, v94 offset:16
	;; [unrolled: 1-line block ×8, first 2 shown]
	v_add_nc_u32_e32 v94, v68, v36
	s_wait_loadcnt_dscnt 0x0
	s_barrier_signal -1
	s_barrier_wait -1
	global_inv scope:SCOPE_SE
	v_add_nc_u32_e32 v90, v33, v90
	v_add3_u32 v92, v93, v92, v34
	v_add3_u32 v93, v96, v95, v35
	;; [unrolled: 1-line block ×7, first 2 shown]
	v_lshlrev_b32_e32 v33, 1, v90
	v_lshlrev_b32_e32 v34, 1, v92
	;; [unrolled: 1-line block ×8, first 2 shown]
	ds_store_b16 v33, v78
	ds_store_b16 v34, v79
	;; [unrolled: 1-line block ×8, first 2 shown]
	s_wait_loadcnt_dscnt 0x0
	s_barrier_signal -1
	s_barrier_wait -1
	global_inv scope:SCOPE_SE
	ds_load_u16 v78, v68
	ds_load_u16 v79, v68 offset:64
	ds_load_u16 v80, v68 offset:128
	;; [unrolled: 1-line block ×7, first 2 shown]
	v_mad_co_u64_u32 v[90:91], null, v90, 6, v[33:34]
	v_mad_co_u64_u32 v[33:34], null, v92, 6, v[34:35]
	;; [unrolled: 1-line block ×3, first 2 shown]
	s_wait_loadcnt_dscnt 0x0
	s_barrier_signal -1
	s_barrier_wait -1
	global_inv scope:SCOPE_SE
	v_mad_co_u64_u32 v[35:36], null, v95, 6, v[36:37]
	v_lshrrev_b16 v91, 8, v78
	ds_store_b64 v90, v[21:22]
	v_mad_co_u64_u32 v[36:37], null, v96, 6, v[37:38]
	v_mad_co_u64_u32 v[37:38], null, v97, 6, v[38:39]
	v_and_b32_e32 v21, 0xffff, v91
	v_mad_co_u64_u32 v[38:39], null, v98, 6, v[39:40]
	v_mad_co_u64_u32 v[39:40], null, v99, 6, v[40:41]
	s_wait_alu 0xfffe
	s_delay_alu instid0(VALU_DEP_3)
	v_and_b32_e32 v40, s21, v21
	ds_store_b64 v33, v[23:24]
	ds_store_b64 v34, v[17:18]
	;; [unrolled: 1-line block ×7, first 2 shown]
	v_and_b32_e32 v17, 1, v40
	v_lshlrev_b32_e32 v18, 30, v40
	v_lshlrev_b32_e32 v19, 29, v40
	;; [unrolled: 1-line block ×4, first 2 shown]
	v_add_co_u32 v17, s19, v17, -1
	s_wait_alu 0xf1ff
	v_cndmask_b32_e64 v21, 0, 1, s19
	v_not_b32_e32 v25, v18
	v_cmp_gt_i32_e64 s20, 0, v18
	v_not_b32_e32 v18, v19
	v_lshlrev_b32_e32 v23, 26, v40
	v_cmp_ne_u32_e64 s19, 0, v21
	v_ashrrev_i32_e32 v25, 31, v25
	v_lshlrev_b32_e32 v24, 25, v40
	v_ashrrev_i32_e32 v18, 31, v18
	v_lshlrev_b32_e32 v21, 24, v40
	s_wait_alu 0xf1ff
	v_xor_b32_e32 v17, s19, v17
	v_cmp_gt_i32_e64 s19, 0, v19
	v_not_b32_e32 v19, v20
	v_xor_b32_e32 v25, s20, v25
	v_cmp_gt_i32_e64 s20, 0, v20
	v_and_b32_e32 v17, exec_lo, v17
	v_not_b32_e32 v20, v22
	v_ashrrev_i32_e32 v19, 31, v19
	s_wait_alu 0xf1ff
	v_xor_b32_e32 v18, s19, v18
	v_cmp_gt_i32_e64 s19, 0, v22
	v_and_b32_e32 v17, v17, v25
	v_not_b32_e32 v22, v23
	v_ashrrev_i32_e32 v20, 31, v20
	v_xor_b32_e32 v19, s20, v19
	v_cmp_gt_i32_e64 s20, 0, v23
	v_and_b32_e32 v17, v17, v18
	v_not_b32_e32 v18, v24
	v_ashrrev_i32_e32 v22, 31, v22
	s_wait_alu 0xf1ff
	v_xor_b32_e32 v20, s19, v20
	v_cmp_gt_i32_e64 s19, 0, v24
	v_and_b32_e32 v17, v17, v19
	v_not_b32_e32 v19, v21
	v_ashrrev_i32_e32 v18, 31, v18
	v_xor_b32_e32 v22, s20, v22
	v_cmp_gt_i32_e64 s20, 0, v21
	v_and_b32_e32 v17, v17, v20
	v_ashrrev_i32_e32 v19, 31, v19
	s_wait_alu 0xf1ff
	v_xor_b32_e32 v18, s19, v18
	s_wait_loadcnt_dscnt 0x0
	s_barrier_signal -1
	v_and_b32_e32 v17, v17, v22
	v_xor_b32_e32 v33, s20, v19
	s_barrier_wait -1
	global_inv scope:SCOPE_SE
	ds_load_2addr_b64 v[21:24], v94 offset1:32
	v_and_b32_e32 v38, v17, v18
	ds_load_2addr_b64 v[29:32], v94 offset0:64 offset1:96
	ds_load_2addr_b64 v[25:28], v94 offset0:128 offset1:160
	;; [unrolled: 1-line block ×3, first 2 shown]
	v_dual_mov_b32 v37, s27 :: v_dual_mov_b32 v36, s26
	v_mov_b32_e32 v35, s25
	v_dual_mov_b32 v34, s24 :: v_dual_and_b32 v33, v38, v33
	v_lshl_add_u32 v91, v40, 4, v0
	s_wait_loadcnt_dscnt 0x0
	s_barrier_signal -1
	s_delay_alu instid0(VALU_DEP_2)
	v_mbcnt_lo_u32_b32 v90, v33, 0
	v_cmp_ne_u32_e64 s20, 0, v33
	s_barrier_wait -1
	global_inv scope:SCOPE_SE
	ds_store_b128 v67, v[34:37] offset:16
	ds_store_b128 v67, v[34:37] offset:32
	v_cmp_eq_u32_e64 s19, 0, v90
	s_wait_loadcnt_dscnt 0x0
	s_barrier_signal -1
	s_barrier_wait -1
	global_inv scope:SCOPE_SE
	s_and_b32 s20, s20, s19
	; wave barrier
	s_wait_alu 0xfffe
	s_and_saveexec_b32 s19, s20
; %bb.54:
	v_bcnt_u32_b32 v33, v33, 0
	ds_store_b32 v91, v33 offset:16
; %bb.55:
	s_wait_alu 0xfffe
	s_or_b32 exec_lo, exec_lo, s19
	v_lshrrev_b16 v33, 8, v79
	; wave barrier
	s_delay_alu instid0(VALU_DEP_1) | instskip(NEXT) | instid1(VALU_DEP_1)
	v_and_b32_e32 v33, s21, v33
	v_and_b32_e32 v34, 1, v33
	v_lshlrev_b32_e32 v35, 30, v33
	v_lshlrev_b32_e32 v36, 29, v33
	;; [unrolled: 1-line block ×4, first 2 shown]
	v_add_co_u32 v34, s19, v34, -1
	s_wait_alu 0xf1ff
	v_cndmask_b32_e64 v38, 0, 1, s19
	v_not_b32_e32 v93, v35
	v_cmp_gt_i32_e64 s20, 0, v35
	v_not_b32_e32 v35, v36
	v_lshlrev_b32_e32 v40, 26, v33
	v_cmp_ne_u32_e64 s19, 0, v38
	v_ashrrev_i32_e32 v93, 31, v93
	v_lshlrev_b32_e32 v92, 25, v33
	v_ashrrev_i32_e32 v35, 31, v35
	v_lshlrev_b32_e32 v38, 24, v33
	s_wait_alu 0xf1ff
	v_xor_b32_e32 v34, s19, v34
	v_cmp_gt_i32_e64 s19, 0, v36
	v_not_b32_e32 v36, v37
	v_xor_b32_e32 v93, s20, v93
	v_cmp_gt_i32_e64 s20, 0, v37
	v_and_b32_e32 v34, exec_lo, v34
	v_not_b32_e32 v37, v39
	v_ashrrev_i32_e32 v36, 31, v36
	s_wait_alu 0xf1ff
	v_xor_b32_e32 v35, s19, v35
	v_cmp_gt_i32_e64 s19, 0, v39
	v_and_b32_e32 v34, v34, v93
	v_not_b32_e32 v39, v40
	v_ashrrev_i32_e32 v37, 31, v37
	v_xor_b32_e32 v36, s20, v36
	v_cmp_gt_i32_e64 s20, 0, v40
	v_and_b32_e32 v34, v34, v35
	v_not_b32_e32 v35, v92
	v_ashrrev_i32_e32 v39, 31, v39
	s_wait_alu 0xf1ff
	v_xor_b32_e32 v37, s19, v37
	v_cmp_gt_i32_e64 s19, 0, v92
	v_and_b32_e32 v34, v34, v36
	v_not_b32_e32 v36, v38
	v_ashrrev_i32_e32 v35, 31, v35
	v_xor_b32_e32 v39, s20, v39
	v_cmp_gt_i32_e64 s20, 0, v38
	v_and_b32_e32 v34, v34, v37
	v_ashrrev_i32_e32 v36, 31, v36
	s_wait_alu 0xf1ff
	v_xor_b32_e32 v35, s19, v35
	v_lshl_add_u32 v94, v33, 4, v0
	v_and_b32_e32 v34, v34, v39
	v_xor_b32_e32 v33, s20, v36
	ds_load_b32 v92, v94 offset:16
	v_and_b32_e32 v34, v34, v35
	; wave barrier
	s_delay_alu instid0(VALU_DEP_1) | instskip(NEXT) | instid1(VALU_DEP_1)
	v_and_b32_e32 v33, v34, v33
	v_mbcnt_lo_u32_b32 v93, v33, 0
	v_cmp_ne_u32_e64 s20, 0, v33
	s_delay_alu instid0(VALU_DEP_2)
	v_cmp_eq_u32_e64 s19, 0, v93
	s_and_b32 s20, s20, s19
	s_wait_alu 0xfffe
	s_and_saveexec_b32 s19, s20
	s_cbranch_execz .LBB162_57
; %bb.56:
	s_wait_dscnt 0x0
	v_bcnt_u32_b32 v33, v33, v92
	ds_store_b32 v94, v33 offset:16
.LBB162_57:
	s_wait_alu 0xfffe
	s_or_b32 exec_lo, exec_lo, s19
	v_lshrrev_b16 v33, 8, v80
	; wave barrier
	s_delay_alu instid0(VALU_DEP_1) | instskip(NEXT) | instid1(VALU_DEP_1)
	v_and_b32_e32 v33, s21, v33
	v_and_b32_e32 v34, 1, v33
	v_lshlrev_b32_e32 v35, 30, v33
	v_lshlrev_b32_e32 v36, 29, v33
	;; [unrolled: 1-line block ×4, first 2 shown]
	v_add_co_u32 v34, s19, v34, -1
	s_wait_alu 0xf1ff
	v_cndmask_b32_e64 v38, 0, 1, s19
	v_not_b32_e32 v96, v35
	v_cmp_gt_i32_e64 s20, 0, v35
	v_not_b32_e32 v35, v36
	v_lshlrev_b32_e32 v40, 26, v33
	v_cmp_ne_u32_e64 s19, 0, v38
	v_ashrrev_i32_e32 v96, 31, v96
	v_lshlrev_b32_e32 v95, 25, v33
	v_ashrrev_i32_e32 v35, 31, v35
	v_lshlrev_b32_e32 v38, 24, v33
	s_wait_alu 0xf1ff
	v_xor_b32_e32 v34, s19, v34
	v_cmp_gt_i32_e64 s19, 0, v36
	v_not_b32_e32 v36, v37
	v_xor_b32_e32 v96, s20, v96
	v_cmp_gt_i32_e64 s20, 0, v37
	v_and_b32_e32 v34, exec_lo, v34
	v_not_b32_e32 v37, v39
	v_ashrrev_i32_e32 v36, 31, v36
	s_wait_alu 0xf1ff
	v_xor_b32_e32 v35, s19, v35
	v_cmp_gt_i32_e64 s19, 0, v39
	v_and_b32_e32 v34, v34, v96
	v_not_b32_e32 v39, v40
	v_ashrrev_i32_e32 v37, 31, v37
	v_xor_b32_e32 v36, s20, v36
	v_cmp_gt_i32_e64 s20, 0, v40
	v_and_b32_e32 v34, v34, v35
	v_not_b32_e32 v35, v95
	v_ashrrev_i32_e32 v39, 31, v39
	s_wait_alu 0xf1ff
	v_xor_b32_e32 v37, s19, v37
	v_cmp_gt_i32_e64 s19, 0, v95
	v_and_b32_e32 v34, v34, v36
	v_not_b32_e32 v36, v38
	v_ashrrev_i32_e32 v35, 31, v35
	v_xor_b32_e32 v39, s20, v39
	v_cmp_gt_i32_e64 s20, 0, v38
	v_and_b32_e32 v34, v34, v37
	v_ashrrev_i32_e32 v36, 31, v36
	s_wait_alu 0xf1ff
	v_xor_b32_e32 v35, s19, v35
	v_lshl_add_u32 v97, v33, 4, v0
	v_and_b32_e32 v34, v34, v39
	v_xor_b32_e32 v33, s20, v36
	ds_load_b32 v95, v97 offset:16
	v_and_b32_e32 v34, v34, v35
	; wave barrier
	s_delay_alu instid0(VALU_DEP_1) | instskip(NEXT) | instid1(VALU_DEP_1)
	v_and_b32_e32 v33, v34, v33
	v_mbcnt_lo_u32_b32 v96, v33, 0
	v_cmp_ne_u32_e64 s20, 0, v33
	s_delay_alu instid0(VALU_DEP_2)
	v_cmp_eq_u32_e64 s19, 0, v96
	s_and_b32 s20, s20, s19
	s_wait_alu 0xfffe
	s_and_saveexec_b32 s19, s20
	s_cbranch_execz .LBB162_59
; %bb.58:
	s_wait_dscnt 0x0
	v_bcnt_u32_b32 v33, v33, v95
	ds_store_b32 v97, v33 offset:16
.LBB162_59:
	s_wait_alu 0xfffe
	s_or_b32 exec_lo, exec_lo, s19
	v_lshrrev_b16 v33, 8, v81
	; wave barrier
	s_delay_alu instid0(VALU_DEP_1) | instskip(NEXT) | instid1(VALU_DEP_1)
	v_and_b32_e32 v33, s21, v33
	v_and_b32_e32 v34, 1, v33
	v_lshlrev_b32_e32 v35, 30, v33
	v_lshlrev_b32_e32 v36, 29, v33
	;; [unrolled: 1-line block ×4, first 2 shown]
	v_add_co_u32 v34, s19, v34, -1
	s_wait_alu 0xf1ff
	v_cndmask_b32_e64 v38, 0, 1, s19
	v_not_b32_e32 v99, v35
	v_cmp_gt_i32_e64 s20, 0, v35
	v_not_b32_e32 v35, v36
	v_lshlrev_b32_e32 v40, 26, v33
	v_cmp_ne_u32_e64 s19, 0, v38
	v_ashrrev_i32_e32 v99, 31, v99
	v_lshlrev_b32_e32 v98, 25, v33
	v_ashrrev_i32_e32 v35, 31, v35
	v_lshlrev_b32_e32 v38, 24, v33
	s_wait_alu 0xf1ff
	v_xor_b32_e32 v34, s19, v34
	v_cmp_gt_i32_e64 s19, 0, v36
	v_not_b32_e32 v36, v37
	v_xor_b32_e32 v99, s20, v99
	v_cmp_gt_i32_e64 s20, 0, v37
	v_and_b32_e32 v34, exec_lo, v34
	v_not_b32_e32 v37, v39
	v_ashrrev_i32_e32 v36, 31, v36
	s_wait_alu 0xf1ff
	v_xor_b32_e32 v35, s19, v35
	v_cmp_gt_i32_e64 s19, 0, v39
	v_and_b32_e32 v34, v34, v99
	v_not_b32_e32 v39, v40
	v_ashrrev_i32_e32 v37, 31, v37
	v_xor_b32_e32 v36, s20, v36
	v_cmp_gt_i32_e64 s20, 0, v40
	v_and_b32_e32 v34, v34, v35
	v_not_b32_e32 v35, v98
	v_ashrrev_i32_e32 v39, 31, v39
	s_wait_alu 0xf1ff
	v_xor_b32_e32 v37, s19, v37
	v_cmp_gt_i32_e64 s19, 0, v98
	v_and_b32_e32 v34, v34, v36
	v_not_b32_e32 v36, v38
	v_ashrrev_i32_e32 v35, 31, v35
	v_xor_b32_e32 v39, s20, v39
	v_cmp_gt_i32_e64 s20, 0, v38
	v_and_b32_e32 v34, v34, v37
	v_ashrrev_i32_e32 v36, 31, v36
	s_wait_alu 0xf1ff
	v_xor_b32_e32 v35, s19, v35
	v_lshl_add_u32 v100, v33, 4, v0
	v_and_b32_e32 v34, v34, v39
	v_xor_b32_e32 v33, s20, v36
	ds_load_b32 v98, v100 offset:16
	v_and_b32_e32 v34, v34, v35
	; wave barrier
	s_delay_alu instid0(VALU_DEP_1) | instskip(NEXT) | instid1(VALU_DEP_1)
	v_and_b32_e32 v33, v34, v33
	v_mbcnt_lo_u32_b32 v99, v33, 0
	v_cmp_ne_u32_e64 s20, 0, v33
	s_delay_alu instid0(VALU_DEP_2)
	v_cmp_eq_u32_e64 s19, 0, v99
	s_and_b32 s20, s20, s19
	s_wait_alu 0xfffe
	s_and_saveexec_b32 s19, s20
	s_cbranch_execz .LBB162_61
; %bb.60:
	s_wait_dscnt 0x0
	v_bcnt_u32_b32 v33, v33, v98
	ds_store_b32 v100, v33 offset:16
.LBB162_61:
	s_wait_alu 0xfffe
	s_or_b32 exec_lo, exec_lo, s19
	v_lshrrev_b16 v33, 8, v82
	; wave barrier
	s_delay_alu instid0(VALU_DEP_1) | instskip(NEXT) | instid1(VALU_DEP_1)
	v_and_b32_e32 v33, s21, v33
	v_and_b32_e32 v34, 1, v33
	v_lshlrev_b32_e32 v35, 30, v33
	v_lshlrev_b32_e32 v36, 29, v33
	;; [unrolled: 1-line block ×4, first 2 shown]
	v_add_co_u32 v34, s19, v34, -1
	s_wait_alu 0xf1ff
	v_cndmask_b32_e64 v38, 0, 1, s19
	v_not_b32_e32 v102, v35
	v_cmp_gt_i32_e64 s20, 0, v35
	v_not_b32_e32 v35, v36
	v_lshlrev_b32_e32 v40, 26, v33
	v_cmp_ne_u32_e64 s19, 0, v38
	v_ashrrev_i32_e32 v102, 31, v102
	v_lshlrev_b32_e32 v101, 25, v33
	v_ashrrev_i32_e32 v35, 31, v35
	v_lshlrev_b32_e32 v38, 24, v33
	s_wait_alu 0xf1ff
	v_xor_b32_e32 v34, s19, v34
	v_cmp_gt_i32_e64 s19, 0, v36
	v_not_b32_e32 v36, v37
	v_xor_b32_e32 v102, s20, v102
	v_cmp_gt_i32_e64 s20, 0, v37
	v_and_b32_e32 v34, exec_lo, v34
	v_not_b32_e32 v37, v39
	v_ashrrev_i32_e32 v36, 31, v36
	s_wait_alu 0xf1ff
	v_xor_b32_e32 v35, s19, v35
	v_cmp_gt_i32_e64 s19, 0, v39
	v_and_b32_e32 v34, v34, v102
	v_not_b32_e32 v39, v40
	v_ashrrev_i32_e32 v37, 31, v37
	v_xor_b32_e32 v36, s20, v36
	v_cmp_gt_i32_e64 s20, 0, v40
	v_and_b32_e32 v34, v34, v35
	v_not_b32_e32 v35, v101
	v_ashrrev_i32_e32 v39, 31, v39
	s_wait_alu 0xf1ff
	v_xor_b32_e32 v37, s19, v37
	v_cmp_gt_i32_e64 s19, 0, v101
	v_and_b32_e32 v34, v34, v36
	v_not_b32_e32 v36, v38
	v_ashrrev_i32_e32 v35, 31, v35
	v_xor_b32_e32 v39, s20, v39
	v_cmp_gt_i32_e64 s20, 0, v38
	v_and_b32_e32 v34, v34, v37
	v_ashrrev_i32_e32 v36, 31, v36
	s_wait_alu 0xf1ff
	v_xor_b32_e32 v35, s19, v35
	v_lshl_add_u32 v103, v33, 4, v0
	v_and_b32_e32 v34, v34, v39
	v_xor_b32_e32 v33, s20, v36
	ds_load_b32 v101, v103 offset:16
	v_and_b32_e32 v34, v34, v35
	; wave barrier
	s_delay_alu instid0(VALU_DEP_1) | instskip(NEXT) | instid1(VALU_DEP_1)
	v_and_b32_e32 v33, v34, v33
	v_mbcnt_lo_u32_b32 v102, v33, 0
	v_cmp_ne_u32_e64 s20, 0, v33
	s_delay_alu instid0(VALU_DEP_2)
	v_cmp_eq_u32_e64 s19, 0, v102
	s_and_b32 s20, s20, s19
	s_wait_alu 0xfffe
	s_and_saveexec_b32 s19, s20
	s_cbranch_execz .LBB162_63
; %bb.62:
	s_wait_dscnt 0x0
	v_bcnt_u32_b32 v33, v33, v101
	ds_store_b32 v103, v33 offset:16
.LBB162_63:
	s_wait_alu 0xfffe
	s_or_b32 exec_lo, exec_lo, s19
	v_lshrrev_b16 v33, 8, v83
	; wave barrier
	s_delay_alu instid0(VALU_DEP_1) | instskip(NEXT) | instid1(VALU_DEP_1)
	v_and_b32_e32 v33, s21, v33
	v_and_b32_e32 v34, 1, v33
	v_lshlrev_b32_e32 v35, 30, v33
	v_lshlrev_b32_e32 v36, 29, v33
	;; [unrolled: 1-line block ×4, first 2 shown]
	v_add_co_u32 v34, s19, v34, -1
	s_wait_alu 0xf1ff
	v_cndmask_b32_e64 v38, 0, 1, s19
	v_not_b32_e32 v105, v35
	v_cmp_gt_i32_e64 s20, 0, v35
	v_not_b32_e32 v35, v36
	v_lshlrev_b32_e32 v40, 26, v33
	v_cmp_ne_u32_e64 s19, 0, v38
	v_ashrrev_i32_e32 v105, 31, v105
	v_lshlrev_b32_e32 v104, 25, v33
	v_ashrrev_i32_e32 v35, 31, v35
	v_lshlrev_b32_e32 v38, 24, v33
	s_wait_alu 0xf1ff
	v_xor_b32_e32 v34, s19, v34
	v_cmp_gt_i32_e64 s19, 0, v36
	v_not_b32_e32 v36, v37
	v_xor_b32_e32 v105, s20, v105
	v_cmp_gt_i32_e64 s20, 0, v37
	v_and_b32_e32 v34, exec_lo, v34
	v_not_b32_e32 v37, v39
	v_ashrrev_i32_e32 v36, 31, v36
	s_wait_alu 0xf1ff
	v_xor_b32_e32 v35, s19, v35
	v_cmp_gt_i32_e64 s19, 0, v39
	v_and_b32_e32 v34, v34, v105
	v_not_b32_e32 v39, v40
	v_ashrrev_i32_e32 v37, 31, v37
	v_xor_b32_e32 v36, s20, v36
	v_cmp_gt_i32_e64 s20, 0, v40
	v_and_b32_e32 v34, v34, v35
	v_not_b32_e32 v35, v104
	v_ashrrev_i32_e32 v39, 31, v39
	s_wait_alu 0xf1ff
	v_xor_b32_e32 v37, s19, v37
	v_cmp_gt_i32_e64 s19, 0, v104
	v_and_b32_e32 v34, v34, v36
	v_not_b32_e32 v36, v38
	v_ashrrev_i32_e32 v35, 31, v35
	v_xor_b32_e32 v39, s20, v39
	v_cmp_gt_i32_e64 s20, 0, v38
	v_and_b32_e32 v34, v34, v37
	v_ashrrev_i32_e32 v36, 31, v36
	s_wait_alu 0xf1ff
	v_xor_b32_e32 v35, s19, v35
	v_lshl_add_u32 v106, v33, 4, v0
	v_and_b32_e32 v34, v34, v39
	v_xor_b32_e32 v33, s20, v36
	ds_load_b32 v104, v106 offset:16
	v_and_b32_e32 v34, v34, v35
	; wave barrier
	s_delay_alu instid0(VALU_DEP_1) | instskip(NEXT) | instid1(VALU_DEP_1)
	v_and_b32_e32 v33, v34, v33
	v_mbcnt_lo_u32_b32 v105, v33, 0
	v_cmp_ne_u32_e64 s20, 0, v33
	s_delay_alu instid0(VALU_DEP_2)
	v_cmp_eq_u32_e64 s19, 0, v105
	s_and_b32 s20, s20, s19
	s_wait_alu 0xfffe
	s_and_saveexec_b32 s19, s20
	s_cbranch_execz .LBB162_65
; %bb.64:
	s_wait_dscnt 0x0
	v_bcnt_u32_b32 v33, v33, v104
	ds_store_b32 v106, v33 offset:16
.LBB162_65:
	s_wait_alu 0xfffe
	s_or_b32 exec_lo, exec_lo, s19
	v_lshrrev_b16 v33, 8, v84
	; wave barrier
	s_delay_alu instid0(VALU_DEP_1) | instskip(NEXT) | instid1(VALU_DEP_1)
	v_and_b32_e32 v33, s21, v33
	v_and_b32_e32 v34, 1, v33
	v_lshlrev_b32_e32 v35, 30, v33
	v_lshlrev_b32_e32 v36, 29, v33
	;; [unrolled: 1-line block ×4, first 2 shown]
	v_add_co_u32 v34, s19, v34, -1
	s_wait_alu 0xf1ff
	v_cndmask_b32_e64 v38, 0, 1, s19
	v_not_b32_e32 v108, v35
	v_cmp_gt_i32_e64 s20, 0, v35
	v_not_b32_e32 v35, v36
	v_lshlrev_b32_e32 v40, 26, v33
	v_cmp_ne_u32_e64 s19, 0, v38
	v_ashrrev_i32_e32 v108, 31, v108
	v_lshlrev_b32_e32 v107, 25, v33
	v_ashrrev_i32_e32 v35, 31, v35
	v_lshlrev_b32_e32 v38, 24, v33
	s_wait_alu 0xf1ff
	v_xor_b32_e32 v34, s19, v34
	v_cmp_gt_i32_e64 s19, 0, v36
	v_not_b32_e32 v36, v37
	v_xor_b32_e32 v108, s20, v108
	v_cmp_gt_i32_e64 s20, 0, v37
	v_and_b32_e32 v34, exec_lo, v34
	v_not_b32_e32 v37, v39
	v_ashrrev_i32_e32 v36, 31, v36
	s_wait_alu 0xf1ff
	v_xor_b32_e32 v35, s19, v35
	v_cmp_gt_i32_e64 s19, 0, v39
	v_and_b32_e32 v34, v34, v108
	v_not_b32_e32 v39, v40
	v_ashrrev_i32_e32 v37, 31, v37
	v_xor_b32_e32 v36, s20, v36
	v_cmp_gt_i32_e64 s20, 0, v40
	v_and_b32_e32 v34, v34, v35
	v_not_b32_e32 v35, v107
	v_ashrrev_i32_e32 v39, 31, v39
	s_wait_alu 0xf1ff
	v_xor_b32_e32 v37, s19, v37
	v_cmp_gt_i32_e64 s19, 0, v107
	v_and_b32_e32 v34, v34, v36
	v_not_b32_e32 v36, v38
	v_ashrrev_i32_e32 v35, 31, v35
	v_xor_b32_e32 v39, s20, v39
	v_cmp_gt_i32_e64 s20, 0, v38
	v_and_b32_e32 v34, v34, v37
	v_ashrrev_i32_e32 v36, 31, v36
	s_wait_alu 0xf1ff
	v_xor_b32_e32 v35, s19, v35
	v_lshl_add_u32 v109, v33, 4, v0
	v_and_b32_e32 v34, v34, v39
	v_xor_b32_e32 v33, s20, v36
	ds_load_b32 v107, v109 offset:16
	v_and_b32_e32 v34, v34, v35
	; wave barrier
	s_delay_alu instid0(VALU_DEP_1) | instskip(NEXT) | instid1(VALU_DEP_1)
	v_and_b32_e32 v33, v34, v33
	v_mbcnt_lo_u32_b32 v108, v33, 0
	v_cmp_ne_u32_e64 s20, 0, v33
	s_delay_alu instid0(VALU_DEP_2)
	v_cmp_eq_u32_e64 s19, 0, v108
	s_and_b32 s20, s20, s19
	s_wait_alu 0xfffe
	s_and_saveexec_b32 s19, s20
	s_cbranch_execz .LBB162_67
; %bb.66:
	s_wait_dscnt 0x0
	v_bcnt_u32_b32 v33, v33, v107
	ds_store_b32 v109, v33 offset:16
.LBB162_67:
	s_wait_alu 0xfffe
	s_or_b32 exec_lo, exec_lo, s19
	v_lshrrev_b16 v33, 8, v85
	; wave barrier
	s_delay_alu instid0(VALU_DEP_1) | instskip(NEXT) | instid1(VALU_DEP_1)
	v_and_b32_e32 v33, s21, v33
	v_and_b32_e32 v34, 1, v33
	v_lshlrev_b32_e32 v35, 30, v33
	v_lshlrev_b32_e32 v36, 29, v33
	;; [unrolled: 1-line block ×4, first 2 shown]
	v_add_co_u32 v34, s19, v34, -1
	s_wait_alu 0xf1ff
	v_cndmask_b32_e64 v38, 0, 1, s19
	v_not_b32_e32 v111, v35
	v_cmp_gt_i32_e64 s20, 0, v35
	v_not_b32_e32 v35, v36
	v_lshlrev_b32_e32 v40, 26, v33
	v_cmp_ne_u32_e64 s19, 0, v38
	v_ashrrev_i32_e32 v111, 31, v111
	v_lshlrev_b32_e32 v110, 25, v33
	v_ashrrev_i32_e32 v35, 31, v35
	v_lshlrev_b32_e32 v38, 24, v33
	s_wait_alu 0xf1ff
	v_xor_b32_e32 v34, s19, v34
	v_cmp_gt_i32_e64 s19, 0, v36
	v_not_b32_e32 v36, v37
	v_xor_b32_e32 v111, s20, v111
	v_cmp_gt_i32_e64 s20, 0, v37
	v_and_b32_e32 v34, exec_lo, v34
	v_not_b32_e32 v37, v39
	v_ashrrev_i32_e32 v36, 31, v36
	s_wait_alu 0xf1ff
	v_xor_b32_e32 v35, s19, v35
	v_cmp_gt_i32_e64 s19, 0, v39
	v_and_b32_e32 v34, v34, v111
	v_not_b32_e32 v39, v40
	v_ashrrev_i32_e32 v37, 31, v37
	v_xor_b32_e32 v36, s20, v36
	v_cmp_gt_i32_e64 s20, 0, v40
	v_and_b32_e32 v34, v34, v35
	v_not_b32_e32 v35, v110
	v_ashrrev_i32_e32 v39, 31, v39
	s_wait_alu 0xf1ff
	v_xor_b32_e32 v37, s19, v37
	v_cmp_gt_i32_e64 s19, 0, v110
	v_and_b32_e32 v34, v34, v36
	v_not_b32_e32 v36, v38
	v_ashrrev_i32_e32 v35, 31, v35
	v_xor_b32_e32 v39, s20, v39
	v_cmp_gt_i32_e64 s20, 0, v38
	v_and_b32_e32 v34, v34, v37
	v_ashrrev_i32_e32 v36, 31, v36
	s_wait_alu 0xf1ff
	v_xor_b32_e32 v35, s19, v35
	v_lshl_add_u32 v111, v33, 4, v0
	v_and_b32_e32 v34, v34, v39
	v_xor_b32_e32 v33, s20, v36
	ds_load_b32 v0, v111 offset:16
	v_and_b32_e32 v34, v34, v35
	; wave barrier
	s_delay_alu instid0(VALU_DEP_1) | instskip(NEXT) | instid1(VALU_DEP_1)
	v_and_b32_e32 v33, v34, v33
	v_mbcnt_lo_u32_b32 v110, v33, 0
	v_cmp_ne_u32_e64 s20, 0, v33
	s_delay_alu instid0(VALU_DEP_2)
	v_cmp_eq_u32_e64 s19, 0, v110
	s_and_b32 s20, s20, s19
	s_wait_alu 0xfffe
	s_and_saveexec_b32 s19, s20
	s_cbranch_execz .LBB162_69
; %bb.68:
	s_wait_dscnt 0x0
	v_bcnt_u32_b32 v33, v33, v0
	ds_store_b32 v111, v33 offset:16
.LBB162_69:
	s_wait_alu 0xfffe
	s_or_b32 exec_lo, exec_lo, s19
	; wave barrier
	s_wait_loadcnt_dscnt 0x0
	s_barrier_signal -1
	s_barrier_wait -1
	global_inv scope:SCOPE_SE
	ds_load_b128 v[37:40], v67 offset:16
	ds_load_b128 v[33:36], v67 offset:32
	s_wait_dscnt 0x1
	v_add_nc_u32_e32 v112, v38, v37
	s_delay_alu instid0(VALU_DEP_1) | instskip(SKIP_1) | instid1(VALU_DEP_1)
	v_add3_u32 v112, v112, v39, v40
	s_wait_dscnt 0x0
	v_add3_u32 v112, v112, v33, v34
	s_delay_alu instid0(VALU_DEP_1) | instskip(NEXT) | instid1(VALU_DEP_1)
	v_add3_u32 v36, v112, v35, v36
	v_mov_b32_dpp v112, v36 row_shr:1 row_mask:0xf bank_mask:0xf
	s_delay_alu instid0(VALU_DEP_1) | instskip(NEXT) | instid1(VALU_DEP_1)
	v_cndmask_b32_e64 v112, v112, 0, s8
	v_add_nc_u32_e32 v36, v112, v36
	s_delay_alu instid0(VALU_DEP_1) | instskip(NEXT) | instid1(VALU_DEP_1)
	v_mov_b32_dpp v112, v36 row_shr:2 row_mask:0xf bank_mask:0xf
	v_cndmask_b32_e64 v112, 0, v112, s10
	s_delay_alu instid0(VALU_DEP_1) | instskip(NEXT) | instid1(VALU_DEP_1)
	v_add_nc_u32_e32 v36, v36, v112
	v_mov_b32_dpp v112, v36 row_shr:4 row_mask:0xf bank_mask:0xf
	s_delay_alu instid0(VALU_DEP_1) | instskip(NEXT) | instid1(VALU_DEP_1)
	v_cndmask_b32_e64 v112, 0, v112, s11
	v_add_nc_u32_e32 v36, v36, v112
	s_delay_alu instid0(VALU_DEP_1) | instskip(NEXT) | instid1(VALU_DEP_1)
	v_mov_b32_dpp v112, v36 row_shr:8 row_mask:0xf bank_mask:0xf
	v_cndmask_b32_e64 v112, 0, v112, s13
	s_delay_alu instid0(VALU_DEP_1) | instskip(SKIP_3) | instid1(VALU_DEP_1)
	v_add_nc_u32_e32 v36, v36, v112
	ds_swizzle_b32 v112, v36 offset:swizzle(BROADCAST,32,15)
	s_wait_dscnt 0x0
	v_cndmask_b32_e64 v112, v112, 0, s16
	v_add_nc_u32_e32 v36, v36, v112
	s_and_saveexec_b32 s8, s14
; %bb.70:
	ds_store_b32 v86, v36
; %bb.71:
	s_wait_alu 0xfffe
	s_or_b32 exec_lo, exec_lo, s8
	s_wait_loadcnt_dscnt 0x0
	s_barrier_signal -1
	s_barrier_wait -1
	global_inv scope:SCOPE_SE
	s_and_saveexec_b32 s8, s15
	s_cbranch_execz .LBB162_73
; %bb.72:
	ds_load_b32 v86, v87
	s_wait_dscnt 0x0
	v_mov_b32_dpp v112, v86 row_shr:1 row_mask:0xf bank_mask:0xf
	s_delay_alu instid0(VALU_DEP_1) | instskip(NEXT) | instid1(VALU_DEP_1)
	v_cndmask_b32_e64 v112, v112, 0, s12
	v_add_nc_u32_e32 v86, v112, v86
	s_delay_alu instid0(VALU_DEP_1) | instskip(NEXT) | instid1(VALU_DEP_1)
	v_mov_b32_dpp v112, v86 row_shr:2 row_mask:0xf bank_mask:0xf
	v_cndmask_b32_e64 v112, 0, v112, s9
	s_delay_alu instid0(VALU_DEP_1)
	v_add_nc_u32_e32 v86, v86, v112
	ds_store_b32 v87, v86
.LBB162_73:
	s_wait_alu 0xfffe
	s_or_b32 exec_lo, exec_lo, s8
	v_mov_b32_e32 v86, 0
	s_wait_loadcnt_dscnt 0x0
	s_barrier_signal -1
	s_barrier_wait -1
	global_inv scope:SCOPE_SE
	s_and_saveexec_b32 s8, s17
; %bb.74:
	ds_load_b32 v86, v88
; %bb.75:
	s_wait_alu 0xfffe
	s_or_b32 exec_lo, exec_lo, s8
	s_wait_dscnt 0x0
	v_add_nc_u32_e32 v36, v86, v36
	ds_bpermute_b32 v36, v89, v36
	s_wait_dscnt 0x0
	v_cndmask_b32_e32 v36, v36, v86, vcc_lo
	s_delay_alu instid0(VALU_DEP_1) | instskip(NEXT) | instid1(VALU_DEP_1)
	v_cndmask_b32_e64 v36, v36, 0, s18
	v_add_nc_u32_e32 v37, v36, v37
	s_delay_alu instid0(VALU_DEP_1) | instskip(NEXT) | instid1(VALU_DEP_1)
	v_add_nc_u32_e32 v38, v37, v38
	v_add_nc_u32_e32 v39, v38, v39
	s_delay_alu instid0(VALU_DEP_1) | instskip(NEXT) | instid1(VALU_DEP_1)
	v_add_nc_u32_e32 v86, v39, v40
	v_add_nc_u32_e32 v87, v86, v33
	s_delay_alu instid0(VALU_DEP_1) | instskip(NEXT) | instid1(VALU_DEP_1)
	v_add_nc_u32_e32 v88, v87, v34
	v_add_nc_u32_e32 v89, v88, v35
	ds_store_b128 v67, v[36:39] offset:16
	ds_store_b128 v67, v[86:89] offset:32
	s_wait_loadcnt_dscnt 0x0
	s_barrier_signal -1
	s_barrier_wait -1
	global_inv scope:SCOPE_SE
	ds_load_b32 v33, v111 offset:16
	ds_load_b32 v34, v109 offset:16
	;; [unrolled: 1-line block ×8, first 2 shown]
	v_lshlrev_b32_e32 v86, 1, v66
	s_wait_loadcnt_dscnt 0x0
	s_barrier_signal -1
	s_barrier_wait -1
	global_inv scope:SCOPE_SE
	v_mad_u32_u24 v87, v46, 48, v86
	v_add3_u32 v88, v110, v0, v33
	v_add3_u32 v89, v108, v107, v34
	v_add3_u32 v91, v105, v104, v35
	v_add_nc_u32_e32 v90, v36, v90
	v_add3_u32 v92, v93, v92, v37
	v_add3_u32 v93, v96, v95, v38
	;; [unrolled: 1-line block ×4, first 2 shown]
	v_lshlrev_b32_e32 v0, 1, v90
	v_lshlrev_b32_e32 v33, 1, v92
	;; [unrolled: 1-line block ×8, first 2 shown]
	ds_store_b16 v0, v78
	ds_store_b16 v33, v79
	;; [unrolled: 1-line block ×8, first 2 shown]
	v_mad_co_u64_u32 v[78:79], null, v90, 6, v[0:1]
	v_mad_co_u64_u32 v[79:80], null, v92, 6, v[33:34]
	;; [unrolled: 1-line block ×5, first 2 shown]
	s_wait_loadcnt_dscnt 0x0
	s_barrier_signal -1
	s_barrier_wait -1
	global_inv scope:SCOPE_SE
	v_mad_co_u64_u32 v[83:84], null, v91, 6, v[37:38]
	ds_load_b128 v[33:36], v86
	v_mad_co_u64_u32 v[37:38], null, v89, 6, v[38:39]
	v_mad_co_u64_u32 v[38:39], null, v88, 6, v[39:40]
	s_wait_loadcnt_dscnt 0x0
	s_barrier_signal -1
	s_barrier_wait -1
	global_inv scope:SCOPE_SE
	ds_store_b64 v78, v[21:22]
	ds_store_b64 v79, v[23:24]
	;; [unrolled: 1-line block ×8, first 2 shown]
	s_wait_loadcnt_dscnt 0x0
	s_barrier_signal -1
	s_barrier_wait -1
	global_inv scope:SCOPE_SE
	ds_load_b128 v[29:32], v87
	ds_load_b128 v[25:28], v87 offset:16
	ds_load_b128 v[21:24], v87 offset:32
	;; [unrolled: 1-line block ×3, first 2 shown]
	v_xor_b32_e32 v0, 0x80008000, v33
	v_xor_b32_e32 v34, 0x80008000, v34
	;; [unrolled: 1-line block ×4, first 2 shown]
	s_branch .LBB162_128
.LBB162_76:
	v_lshlrev_b64_e32 v[1:2], 3, v[41:42]
	v_dual_mov_b32 v43, v42 :: v_dual_mov_b32 v10, v42
	v_dual_mov_b32 v9, v42 :: v_dual_mov_b32 v12, v42
	v_mov_b32_e32 v11, v42
	s_delay_alu instid0(VALU_DEP_4)
	v_add_co_u32 v1, vcc_lo, s34, v1
	s_wait_alu 0xfffd
	v_add_co_ci_u32_e64 v2, null, s35, v2, vcc_lo
	v_dual_mov_b32 v3, v42 :: v_dual_mov_b32 v6, v42
	v_dual_mov_b32 v5, v42 :: v_dual_mov_b32 v8, v42
	global_load_b64 v[13:14], v[1:2], off
	v_dual_mov_b32 v1, v42 :: v_dual_mov_b32 v4, v42
	v_dual_mov_b32 v2, v42 :: v_dual_mov_b32 v7, v42
	s_wait_alu 0xfffe
	s_or_b32 exec_lo, exec_lo, s9
	s_and_saveexec_b32 s9, s1
	s_cbranch_execz .LBB162_22
.LBB162_77:
	v_mul_lo_u32 v22, s28, v15
	v_mov_b32_e32 v23, 0
	s_delay_alu instid0(VALU_DEP_1) | instskip(NEXT) | instid1(VALU_DEP_1)
	v_lshlrev_b64_e32 v[22:23], 3, v[22:23]
	v_add_co_u32 v22, vcc_lo, s34, v22
	s_wait_alu 0xfffd
	s_delay_alu instid0(VALU_DEP_2)
	v_add_co_ci_u32_e64 v23, null, s35, v23, vcc_lo
	global_load_b64 v[42:43], v[22:23], off
	s_wait_alu 0xfffe
	s_or_b32 exec_lo, exec_lo, s9
	s_and_saveexec_b32 s9, s2
	s_cbranch_execz .LBB162_23
.LBB162_78:
	v_mul_lo_u32 v9, s28, v16
	v_mov_b32_e32 v10, 0
	s_delay_alu instid0(VALU_DEP_1) | instskip(NEXT) | instid1(VALU_DEP_1)
	v_lshlrev_b64_e32 v[9:10], 3, v[9:10]
	v_add_co_u32 v9, vcc_lo, s34, v9
	s_wait_alu 0xfffd
	s_delay_alu instid0(VALU_DEP_2)
	v_add_co_ci_u32_e64 v10, null, s35, v10, vcc_lo
	global_load_b64 v[9:10], v[9:10], off
	s_wait_alu 0xfffe
	s_or_b32 exec_lo, exec_lo, s9
	s_and_saveexec_b32 s9, s3
	s_cbranch_execz .LBB162_24
.LBB162_79:
	v_mul_lo_u32 v11, s28, v17
	v_mov_b32_e32 v12, 0
	s_delay_alu instid0(VALU_DEP_1) | instskip(NEXT) | instid1(VALU_DEP_1)
	v_lshlrev_b64_e32 v[11:12], 3, v[11:12]
	v_add_co_u32 v11, vcc_lo, s34, v11
	s_wait_alu 0xfffd
	s_delay_alu instid0(VALU_DEP_2)
	v_add_co_ci_u32_e64 v12, null, s35, v12, vcc_lo
	global_load_b64 v[11:12], v[11:12], off
	s_wait_alu 0xfffe
	s_or_b32 exec_lo, exec_lo, s9
	s_and_saveexec_b32 s9, s4
	s_cbranch_execz .LBB162_25
.LBB162_80:
	v_mul_lo_u32 v1, s28, v18
	v_mov_b32_e32 v2, 0
	s_delay_alu instid0(VALU_DEP_1) | instskip(NEXT) | instid1(VALU_DEP_1)
	v_lshlrev_b64_e32 v[1:2], 3, v[1:2]
	v_add_co_u32 v1, vcc_lo, s34, v1
	s_wait_alu 0xfffd
	s_delay_alu instid0(VALU_DEP_2)
	v_add_co_ci_u32_e64 v2, null, s35, v2, vcc_lo
	global_load_b64 v[1:2], v[1:2], off
	s_wait_alu 0xfffe
	s_or_b32 exec_lo, exec_lo, s9
	s_and_saveexec_b32 s9, s5
	s_cbranch_execz .LBB162_26
.LBB162_81:
	v_mul_lo_u32 v3, s28, v19
	v_mov_b32_e32 v4, 0
	s_delay_alu instid0(VALU_DEP_1) | instskip(NEXT) | instid1(VALU_DEP_1)
	v_lshlrev_b64_e32 v[3:4], 3, v[3:4]
	v_add_co_u32 v3, vcc_lo, s34, v3
	s_wait_alu 0xfffd
	s_delay_alu instid0(VALU_DEP_2)
	v_add_co_ci_u32_e64 v4, null, s35, v4, vcc_lo
	global_load_b64 v[3:4], v[3:4], off
	s_wait_alu 0xfffe
	s_or_b32 exec_lo, exec_lo, s9
	s_and_saveexec_b32 s9, s6
	s_cbranch_execnz .LBB162_27
	s_branch .LBB162_28
.LBB162_82:
                                        ; implicit-def: $vgpr33
                                        ; implicit-def: $vgpr34
                                        ; implicit-def: $vgpr0
                                        ; implicit-def: $vgpr19_vgpr20
                                        ; implicit-def: $vgpr23_vgpr24
                                        ; implicit-def: $vgpr27_vgpr28
                                        ; implicit-def: $vgpr31_vgpr32
                                        ; implicit-def: $vgpr35
	s_and_b32 vcc_lo, exec_lo, s8
	s_wait_alu 0xfffe
	s_cbranch_vccz .LBB162_128
; %bb.83:
	s_wait_dscnt 0x0
	v_xor_b32_e32 v17, 0x7fff7fff, v49
	v_xor_b32_e32 v18, 0x7fff7fff, v50
	;; [unrolled: 1-line block ×4, first 2 shown]
	s_getpc_b64 s[8:9]
	s_wait_alu 0xfffe
	s_sext_i32_i16 s9, s9
	s_add_co_u32 s8, s8, _ZN7rocprim17ROCPRIM_400000_NS16block_radix_sortIsLj128ELj8ElLj1ELj1ELj0ELNS0_26block_radix_rank_algorithmE1ELNS0_18block_padding_hintE2ELNS0_4arch9wavefront6targetE0EE19radix_bits_per_passE@rel32@lo+12
	s_wait_alu 0xfffe
	s_add_co_ci_u32 s9, s9, _ZN7rocprim17ROCPRIM_400000_NS16block_radix_sortIsLj128ELj8ElLj1ELj1ELj0ELNS0_26block_radix_rank_algorithmE1ELNS0_18block_padding_hintE2ELNS0_4arch9wavefront6targetE0EE19radix_bits_per_passE@rel32@hi+24
	s_mov_b32 s12, 0
	s_load_b32 s19, s[8:9], 0x0
	s_mov_b32 s13, s12
	ds_store_b128 v77, v[17:20]
	; wave barrier
	ds_load_u16 v25, v68
	s_mov_b32 s14, s12
	s_mov_b32 s15, s12
	v_mad_u32_u24 v0, v76, 6, v77
	ds_load_u16 v26, v68 offset:64
	ds_load_u16 v27, v68 offset:128
	;; [unrolled: 1-line block ×7, first 2 shown]
	s_wait_loadcnt_dscnt 0x0
	s_barrier_signal -1
	s_barrier_wait -1
	global_inv scope:SCOPE_SE
	ds_store_b128 v0, v[5:8]
	ds_store_b128 v0, v[1:4] offset:16
	ds_store_b128 v0, v[13:16] offset:32
	;; [unrolled: 1-line block ×3, first 2 shown]
	; wave barrier
	ds_load_2addr_b64 v[4:7], v75 offset1:32
	ds_load_2addr_b64 v[0:3], v75 offset0:64 offset1:96
	ds_load_2addr_b64 v[12:15], v75 offset0:128 offset1:160
	;; [unrolled: 1-line block ×3, first 2 shown]
	s_wait_kmcnt 0x0
	s_min_u32 s8, s19, 16
	s_wait_loadcnt_dscnt 0x0
	s_wait_alu 0xfffe
	s_lshl_b32 s8, -1, s8
	s_barrier_signal -1
	s_wait_alu 0xfffe
	s_not_b32 s9, s8
	v_and_b32_e32 v17, 0xffff, v25
	s_barrier_wait -1
	global_inv scope:SCOPE_SE
	s_load_b32 s10, s[36:37], 0xc
	v_and_b32_e32 v23, s9, v17
	s_delay_alu instid0(VALU_DEP_1) | instskip(SKIP_3) | instid1(VALU_DEP_4)
	v_and_b32_e32 v16, 1, v23
	v_lshlrev_b32_e32 v17, 30, v23
	v_lshlrev_b32_e32 v20, 28, v23
	;; [unrolled: 1-line block ×3, first 2 shown]
	v_add_co_u32 v16, s8, v16, -1
	s_wait_alu 0xf1ff
	v_cndmask_b32_e64 v18, 0, 1, s8
	v_not_b32_e32 v19, v17
	v_cmp_gt_i32_e64 s8, 0, v17
	s_delay_alu instid0(VALU_DEP_3) | instskip(SKIP_1) | instid1(VALU_DEP_4)
	v_cmp_ne_u32_e32 vcc_lo, 0, v18
	v_lshlrev_b32_e32 v18, 29, v23
	v_ashrrev_i32_e32 v17, 31, v19
	s_wait_alu 0xfffd
	v_xor_b32_e32 v16, vcc_lo, v16
	s_delay_alu instid0(VALU_DEP_3)
	v_not_b32_e32 v19, v18
	s_wait_alu 0xf1ff
	v_xor_b32_e32 v17, s8, v17
	v_cmp_gt_i32_e32 vcc_lo, 0, v18
	s_wait_kmcnt 0x0
	s_lshr_b32 s8, s10, 16
	v_and_b32_e32 v16, exec_lo, v16
	v_ashrrev_i32_e32 v18, 31, v19
	v_not_b32_e32 v19, v20
	s_and_b32 s10, s10, 0xffff
	s_delay_alu instid0(VALU_DEP_3)
	v_and_b32_e32 v16, v16, v17
	s_wait_alu 0xfffd
	v_xor_b32_e32 v17, vcc_lo, v18
	v_cmp_gt_i32_e32 vcc_lo, 0, v20
	v_ashrrev_i32_e32 v18, 31, v19
	v_not_b32_e32 v19, v21
	s_delay_alu instid0(VALU_DEP_4)
	v_and_b32_e32 v16, v16, v17
	v_lshlrev_b32_e32 v17, 26, v23
	s_wait_alu 0xfffd
	v_xor_b32_e32 v18, vcc_lo, v18
	v_cmp_gt_i32_e32 vcc_lo, 0, v21
	v_ashrrev_i32_e32 v19, 31, v19
	v_not_b32_e32 v20, v17
	s_delay_alu instid0(VALU_DEP_4)
	v_and_b32_e32 v16, v16, v18
	v_lshlrev_b32_e32 v18, 25, v23
	;; [unrolled: 8-line block ×3, first 2 shown]
	s_wait_alu 0xfffd
	v_xor_b32_e32 v17, vcc_lo, v17
	v_cmp_gt_i32_e32 vcc_lo, 0, v18
	v_ashrrev_i32_e32 v18, 31, v20
	s_wait_alu 0xfffe
	v_mad_u32_u24 v20, v74, s8, v73
	v_not_b32_e32 v21, v19
	v_and_b32_e32 v16, v16, v17
	s_wait_alu 0xfffd
	v_xor_b32_e32 v17, vcc_lo, v18
	v_cmp_gt_i32_e32 vcc_lo, 0, v19
	v_ashrrev_i32_e32 v18, 31, v21
	v_mad_co_u64_u32 v[21:22], null, v20, s10, v[46:47]
	s_delay_alu instid0(VALU_DEP_4) | instskip(SKIP_1) | instid1(VALU_DEP_3)
	v_and_b32_e32 v16, v16, v17
	s_wait_alu 0xfffd
	v_xor_b32_e32 v22, vcc_lo, v18
	v_dual_mov_b32 v20, s15 :: v_dual_mov_b32 v19, s14
	v_dual_mov_b32 v18, s13 :: v_dual_mov_b32 v17, s12
	s_delay_alu instid0(VALU_DEP_3)
	v_and_b32_e32 v16, v16, v22
	v_lshrrev_b32_e32 v21, 5, v21
	ds_store_b128 v67, v[17:20] offset:16
	ds_store_b128 v67, v[17:20] offset:32
	v_mbcnt_lo_u32_b32 v37, v16, 0
	v_lshlrev_b32_e32 v24, 2, v21
	v_lshlrev_b32_e32 v17, 4, v23
	v_cmp_ne_u32_e64 s8, 0, v16
	s_wait_loadcnt_dscnt 0x0
	v_cmp_eq_u32_e32 vcc_lo, 0, v37
	s_barrier_signal -1
	v_add_nc_u32_e32 v38, v24, v17
	s_barrier_wait -1
	global_inv scope:SCOPE_SE
	s_and_b32 s10, s8, vcc_lo
	; wave barrier
	s_wait_alu 0xfffe
	s_and_saveexec_b32 s8, s10
; %bb.84:
	v_bcnt_u32_b32 v16, v16, 0
	ds_store_b32 v38, v16 offset:16
; %bb.85:
	s_wait_alu 0xfffe
	s_or_b32 exec_lo, exec_lo, s8
	v_and_b32_e32 v16, 0xffff, v26
	; wave barrier
	s_delay_alu instid0(VALU_DEP_1) | instskip(NEXT) | instid1(VALU_DEP_1)
	v_and_b32_e32 v16, s9, v16
	v_and_b32_e32 v17, 1, v16
	v_lshlrev_b32_e32 v18, 30, v16
	v_lshlrev_b32_e32 v19, 29, v16
	;; [unrolled: 1-line block ×4, first 2 shown]
	v_add_co_u32 v17, s8, v17, -1
	s_wait_alu 0xf1ff
	v_cndmask_b32_e64 v21, 0, 1, s8
	v_not_b32_e32 v34, v18
	v_cmp_gt_i32_e64 s8, 0, v18
	v_not_b32_e32 v18, v19
	v_lshlrev_b32_e32 v23, 26, v16
	v_cmp_ne_u32_e32 vcc_lo, 0, v21
	v_ashrrev_i32_e32 v34, 31, v34
	v_lshlrev_b32_e32 v33, 25, v16
	v_ashrrev_i32_e32 v18, 31, v18
	v_lshlrev_b32_e32 v21, 24, v16
	s_wait_alu 0xfffd
	v_xor_b32_e32 v17, vcc_lo, v17
	v_cmp_gt_i32_e32 vcc_lo, 0, v19
	v_not_b32_e32 v19, v20
	s_wait_alu 0xf1ff
	v_xor_b32_e32 v34, s8, v34
	v_cmp_gt_i32_e64 s8, 0, v20
	v_and_b32_e32 v17, exec_lo, v17
	v_not_b32_e32 v20, v22
	v_ashrrev_i32_e32 v19, 31, v19
	s_wait_alu 0xfffd
	v_xor_b32_e32 v18, vcc_lo, v18
	v_cmp_gt_i32_e32 vcc_lo, 0, v22
	v_and_b32_e32 v17, v17, v34
	v_not_b32_e32 v22, v23
	v_ashrrev_i32_e32 v20, 31, v20
	s_wait_alu 0xf1ff
	v_xor_b32_e32 v19, s8, v19
	v_cmp_gt_i32_e64 s8, 0, v23
	v_and_b32_e32 v17, v17, v18
	v_not_b32_e32 v18, v33
	v_ashrrev_i32_e32 v22, 31, v22
	s_wait_alu 0xfffd
	v_xor_b32_e32 v20, vcc_lo, v20
	v_cmp_gt_i32_e32 vcc_lo, 0, v33
	v_and_b32_e32 v17, v17, v19
	v_not_b32_e32 v19, v21
	v_ashrrev_i32_e32 v18, 31, v18
	s_wait_alu 0xf1ff
	v_xor_b32_e32 v22, s8, v22
	v_lshlrev_b32_e32 v16, 4, v16
	v_and_b32_e32 v17, v17, v20
	v_cmp_gt_i32_e64 s8, 0, v21
	v_ashrrev_i32_e32 v19, 31, v19
	s_wait_alu 0xfffd
	v_xor_b32_e32 v18, vcc_lo, v18
	v_add_nc_u32_e32 v47, v24, v16
	v_and_b32_e32 v17, v17, v22
	s_wait_alu 0xf1ff
	v_xor_b32_e32 v16, s8, v19
	ds_load_b32 v39, v47 offset:16
	v_and_b32_e32 v17, v17, v18
	; wave barrier
	s_delay_alu instid0(VALU_DEP_1) | instskip(NEXT) | instid1(VALU_DEP_1)
	v_and_b32_e32 v16, v17, v16
	v_mbcnt_lo_u32_b32 v40, v16, 0
	v_cmp_ne_u32_e64 s8, 0, v16
	s_delay_alu instid0(VALU_DEP_2)
	v_cmp_eq_u32_e32 vcc_lo, 0, v40
	s_and_b32 s10, s8, vcc_lo
	s_wait_alu 0xfffe
	s_and_saveexec_b32 s8, s10
	s_cbranch_execz .LBB162_87
; %bb.86:
	s_wait_dscnt 0x0
	v_bcnt_u32_b32 v16, v16, v39
	ds_store_b32 v47, v16 offset:16
.LBB162_87:
	s_wait_alu 0xfffe
	s_or_b32 exec_lo, exec_lo, s8
	v_and_b32_e32 v16, 0xffff, v27
	; wave barrier
	s_delay_alu instid0(VALU_DEP_1) | instskip(NEXT) | instid1(VALU_DEP_1)
	v_and_b32_e32 v16, s9, v16
	v_and_b32_e32 v17, 1, v16
	v_lshlrev_b32_e32 v18, 30, v16
	v_lshlrev_b32_e32 v19, 29, v16
	;; [unrolled: 1-line block ×4, first 2 shown]
	v_add_co_u32 v17, s8, v17, -1
	s_wait_alu 0xf1ff
	v_cndmask_b32_e64 v21, 0, 1, s8
	v_not_b32_e32 v34, v18
	v_cmp_gt_i32_e64 s8, 0, v18
	v_not_b32_e32 v18, v19
	v_lshlrev_b32_e32 v23, 26, v16
	v_cmp_ne_u32_e32 vcc_lo, 0, v21
	v_ashrrev_i32_e32 v34, 31, v34
	v_lshlrev_b32_e32 v33, 25, v16
	v_ashrrev_i32_e32 v18, 31, v18
	v_lshlrev_b32_e32 v21, 24, v16
	s_wait_alu 0xfffd
	v_xor_b32_e32 v17, vcc_lo, v17
	v_cmp_gt_i32_e32 vcc_lo, 0, v19
	v_not_b32_e32 v19, v20
	s_wait_alu 0xf1ff
	v_xor_b32_e32 v34, s8, v34
	v_cmp_gt_i32_e64 s8, 0, v20
	v_and_b32_e32 v17, exec_lo, v17
	v_not_b32_e32 v20, v22
	v_ashrrev_i32_e32 v19, 31, v19
	s_wait_alu 0xfffd
	v_xor_b32_e32 v18, vcc_lo, v18
	v_cmp_gt_i32_e32 vcc_lo, 0, v22
	v_and_b32_e32 v17, v17, v34
	v_not_b32_e32 v22, v23
	v_ashrrev_i32_e32 v20, 31, v20
	s_wait_alu 0xf1ff
	v_xor_b32_e32 v19, s8, v19
	v_cmp_gt_i32_e64 s8, 0, v23
	v_and_b32_e32 v17, v17, v18
	v_not_b32_e32 v18, v33
	v_ashrrev_i32_e32 v22, 31, v22
	s_wait_alu 0xfffd
	v_xor_b32_e32 v20, vcc_lo, v20
	v_cmp_gt_i32_e32 vcc_lo, 0, v33
	v_and_b32_e32 v17, v17, v19
	v_not_b32_e32 v19, v21
	v_ashrrev_i32_e32 v18, 31, v18
	s_wait_alu 0xf1ff
	v_xor_b32_e32 v22, s8, v22
	v_lshlrev_b32_e32 v16, 4, v16
	v_and_b32_e32 v17, v17, v20
	v_cmp_gt_i32_e64 s8, 0, v21
	v_ashrrev_i32_e32 v19, 31, v19
	s_wait_alu 0xfffd
	v_xor_b32_e32 v18, vcc_lo, v18
	v_add_nc_u32_e32 v50, v24, v16
	v_and_b32_e32 v17, v17, v22
	s_wait_alu 0xf1ff
	v_xor_b32_e32 v16, s8, v19
	ds_load_b32 v48, v50 offset:16
	v_and_b32_e32 v17, v17, v18
	; wave barrier
	s_delay_alu instid0(VALU_DEP_1) | instskip(NEXT) | instid1(VALU_DEP_1)
	v_and_b32_e32 v16, v17, v16
	v_mbcnt_lo_u32_b32 v49, v16, 0
	v_cmp_ne_u32_e64 s8, 0, v16
	s_delay_alu instid0(VALU_DEP_2)
	v_cmp_eq_u32_e32 vcc_lo, 0, v49
	s_and_b32 s10, s8, vcc_lo
	s_wait_alu 0xfffe
	s_and_saveexec_b32 s8, s10
	s_cbranch_execz .LBB162_89
; %bb.88:
	s_wait_dscnt 0x0
	v_bcnt_u32_b32 v16, v16, v48
	ds_store_b32 v50, v16 offset:16
.LBB162_89:
	s_wait_alu 0xfffe
	s_or_b32 exec_lo, exec_lo, s8
	v_and_b32_e32 v16, 0xffff, v28
	; wave barrier
	s_delay_alu instid0(VALU_DEP_1) | instskip(NEXT) | instid1(VALU_DEP_1)
	v_and_b32_e32 v16, s9, v16
	v_and_b32_e32 v17, 1, v16
	v_lshlrev_b32_e32 v18, 30, v16
	v_lshlrev_b32_e32 v19, 29, v16
	;; [unrolled: 1-line block ×4, first 2 shown]
	v_add_co_u32 v17, s8, v17, -1
	s_wait_alu 0xf1ff
	v_cndmask_b32_e64 v21, 0, 1, s8
	v_not_b32_e32 v34, v18
	v_cmp_gt_i32_e64 s8, 0, v18
	v_not_b32_e32 v18, v19
	v_lshlrev_b32_e32 v23, 26, v16
	v_cmp_ne_u32_e32 vcc_lo, 0, v21
	v_ashrrev_i32_e32 v34, 31, v34
	v_lshlrev_b32_e32 v33, 25, v16
	v_ashrrev_i32_e32 v18, 31, v18
	v_lshlrev_b32_e32 v21, 24, v16
	s_wait_alu 0xfffd
	v_xor_b32_e32 v17, vcc_lo, v17
	v_cmp_gt_i32_e32 vcc_lo, 0, v19
	v_not_b32_e32 v19, v20
	s_wait_alu 0xf1ff
	v_xor_b32_e32 v34, s8, v34
	v_cmp_gt_i32_e64 s8, 0, v20
	v_and_b32_e32 v17, exec_lo, v17
	v_not_b32_e32 v20, v22
	v_ashrrev_i32_e32 v19, 31, v19
	s_wait_alu 0xfffd
	v_xor_b32_e32 v18, vcc_lo, v18
	v_cmp_gt_i32_e32 vcc_lo, 0, v22
	v_and_b32_e32 v17, v17, v34
	v_not_b32_e32 v22, v23
	v_ashrrev_i32_e32 v20, 31, v20
	s_wait_alu 0xf1ff
	v_xor_b32_e32 v19, s8, v19
	v_cmp_gt_i32_e64 s8, 0, v23
	v_and_b32_e32 v17, v17, v18
	v_not_b32_e32 v18, v33
	v_ashrrev_i32_e32 v22, 31, v22
	s_wait_alu 0xfffd
	v_xor_b32_e32 v20, vcc_lo, v20
	v_cmp_gt_i32_e32 vcc_lo, 0, v33
	v_and_b32_e32 v17, v17, v19
	v_not_b32_e32 v19, v21
	v_ashrrev_i32_e32 v18, 31, v18
	s_wait_alu 0xf1ff
	v_xor_b32_e32 v22, s8, v22
	v_lshlrev_b32_e32 v16, 4, v16
	v_and_b32_e32 v17, v17, v20
	v_cmp_gt_i32_e64 s8, 0, v21
	v_ashrrev_i32_e32 v19, 31, v19
	s_wait_alu 0xfffd
	v_xor_b32_e32 v18, vcc_lo, v18
	v_add_nc_u32_e32 v75, v24, v16
	v_and_b32_e32 v17, v17, v22
	s_wait_alu 0xf1ff
	v_xor_b32_e32 v16, s8, v19
	ds_load_b32 v73, v75 offset:16
	v_and_b32_e32 v17, v17, v18
	; wave barrier
	s_delay_alu instid0(VALU_DEP_1) | instskip(NEXT) | instid1(VALU_DEP_1)
	v_and_b32_e32 v16, v17, v16
	v_mbcnt_lo_u32_b32 v74, v16, 0
	v_cmp_ne_u32_e64 s8, 0, v16
	s_delay_alu instid0(VALU_DEP_2)
	v_cmp_eq_u32_e32 vcc_lo, 0, v74
	s_and_b32 s10, s8, vcc_lo
	s_wait_alu 0xfffe
	s_and_saveexec_b32 s8, s10
	s_cbranch_execz .LBB162_91
; %bb.90:
	s_wait_dscnt 0x0
	v_bcnt_u32_b32 v16, v16, v73
	ds_store_b32 v75, v16 offset:16
.LBB162_91:
	s_wait_alu 0xfffe
	s_or_b32 exec_lo, exec_lo, s8
	v_and_b32_e32 v16, 0xffff, v29
	; wave barrier
	s_delay_alu instid0(VALU_DEP_1) | instskip(NEXT) | instid1(VALU_DEP_1)
	v_and_b32_e32 v16, s9, v16
	v_and_b32_e32 v17, 1, v16
	v_lshlrev_b32_e32 v18, 30, v16
	v_lshlrev_b32_e32 v19, 29, v16
	;; [unrolled: 1-line block ×4, first 2 shown]
	v_add_co_u32 v17, s8, v17, -1
	s_wait_alu 0xf1ff
	v_cndmask_b32_e64 v21, 0, 1, s8
	v_not_b32_e32 v34, v18
	v_cmp_gt_i32_e64 s8, 0, v18
	v_not_b32_e32 v18, v19
	v_lshlrev_b32_e32 v23, 26, v16
	v_cmp_ne_u32_e32 vcc_lo, 0, v21
	v_ashrrev_i32_e32 v34, 31, v34
	v_lshlrev_b32_e32 v33, 25, v16
	v_ashrrev_i32_e32 v18, 31, v18
	v_lshlrev_b32_e32 v21, 24, v16
	s_wait_alu 0xfffd
	v_xor_b32_e32 v17, vcc_lo, v17
	v_cmp_gt_i32_e32 vcc_lo, 0, v19
	v_not_b32_e32 v19, v20
	s_wait_alu 0xf1ff
	v_xor_b32_e32 v34, s8, v34
	v_cmp_gt_i32_e64 s8, 0, v20
	v_and_b32_e32 v17, exec_lo, v17
	v_not_b32_e32 v20, v22
	v_ashrrev_i32_e32 v19, 31, v19
	s_wait_alu 0xfffd
	v_xor_b32_e32 v18, vcc_lo, v18
	v_cmp_gt_i32_e32 vcc_lo, 0, v22
	v_and_b32_e32 v17, v17, v34
	v_not_b32_e32 v22, v23
	v_ashrrev_i32_e32 v20, 31, v20
	s_wait_alu 0xf1ff
	v_xor_b32_e32 v19, s8, v19
	v_cmp_gt_i32_e64 s8, 0, v23
	v_and_b32_e32 v17, v17, v18
	v_not_b32_e32 v18, v33
	v_ashrrev_i32_e32 v22, 31, v22
	s_wait_alu 0xfffd
	v_xor_b32_e32 v20, vcc_lo, v20
	v_cmp_gt_i32_e32 vcc_lo, 0, v33
	v_and_b32_e32 v17, v17, v19
	v_not_b32_e32 v19, v21
	v_ashrrev_i32_e32 v18, 31, v18
	s_wait_alu 0xf1ff
	v_xor_b32_e32 v22, s8, v22
	v_lshlrev_b32_e32 v16, 4, v16
	v_and_b32_e32 v17, v17, v20
	v_cmp_gt_i32_e64 s8, 0, v21
	v_ashrrev_i32_e32 v19, 31, v19
	s_wait_alu 0xfffd
	v_xor_b32_e32 v18, vcc_lo, v18
	v_add_nc_u32_e32 v78, v24, v16
	v_and_b32_e32 v17, v17, v22
	s_wait_alu 0xf1ff
	v_xor_b32_e32 v16, s8, v19
	ds_load_b32 v76, v78 offset:16
	v_and_b32_e32 v17, v17, v18
	; wave barrier
	s_delay_alu instid0(VALU_DEP_1) | instskip(NEXT) | instid1(VALU_DEP_1)
	v_and_b32_e32 v16, v17, v16
	v_mbcnt_lo_u32_b32 v77, v16, 0
	v_cmp_ne_u32_e64 s8, 0, v16
	s_delay_alu instid0(VALU_DEP_2)
	v_cmp_eq_u32_e32 vcc_lo, 0, v77
	s_and_b32 s10, s8, vcc_lo
	s_wait_alu 0xfffe
	s_and_saveexec_b32 s8, s10
	s_cbranch_execz .LBB162_93
; %bb.92:
	s_wait_dscnt 0x0
	v_bcnt_u32_b32 v16, v16, v76
	ds_store_b32 v78, v16 offset:16
.LBB162_93:
	s_wait_alu 0xfffe
	s_or_b32 exec_lo, exec_lo, s8
	v_and_b32_e32 v16, 0xffff, v30
	; wave barrier
	s_delay_alu instid0(VALU_DEP_1) | instskip(NEXT) | instid1(VALU_DEP_1)
	v_and_b32_e32 v16, s9, v16
	v_and_b32_e32 v17, 1, v16
	v_lshlrev_b32_e32 v18, 30, v16
	v_lshlrev_b32_e32 v19, 29, v16
	;; [unrolled: 1-line block ×4, first 2 shown]
	v_add_co_u32 v17, s8, v17, -1
	s_wait_alu 0xf1ff
	v_cndmask_b32_e64 v21, 0, 1, s8
	v_not_b32_e32 v34, v18
	v_cmp_gt_i32_e64 s8, 0, v18
	v_not_b32_e32 v18, v19
	v_lshlrev_b32_e32 v23, 26, v16
	v_cmp_ne_u32_e32 vcc_lo, 0, v21
	v_ashrrev_i32_e32 v34, 31, v34
	v_lshlrev_b32_e32 v33, 25, v16
	v_ashrrev_i32_e32 v18, 31, v18
	v_lshlrev_b32_e32 v21, 24, v16
	s_wait_alu 0xfffd
	v_xor_b32_e32 v17, vcc_lo, v17
	v_cmp_gt_i32_e32 vcc_lo, 0, v19
	v_not_b32_e32 v19, v20
	s_wait_alu 0xf1ff
	v_xor_b32_e32 v34, s8, v34
	v_cmp_gt_i32_e64 s8, 0, v20
	v_and_b32_e32 v17, exec_lo, v17
	v_not_b32_e32 v20, v22
	v_ashrrev_i32_e32 v19, 31, v19
	s_wait_alu 0xfffd
	v_xor_b32_e32 v18, vcc_lo, v18
	v_cmp_gt_i32_e32 vcc_lo, 0, v22
	v_and_b32_e32 v17, v17, v34
	v_not_b32_e32 v22, v23
	v_ashrrev_i32_e32 v20, 31, v20
	s_wait_alu 0xf1ff
	v_xor_b32_e32 v19, s8, v19
	v_cmp_gt_i32_e64 s8, 0, v23
	v_and_b32_e32 v17, v17, v18
	v_not_b32_e32 v18, v33
	v_ashrrev_i32_e32 v22, 31, v22
	s_wait_alu 0xfffd
	v_xor_b32_e32 v20, vcc_lo, v20
	v_cmp_gt_i32_e32 vcc_lo, 0, v33
	v_and_b32_e32 v17, v17, v19
	v_not_b32_e32 v19, v21
	v_ashrrev_i32_e32 v18, 31, v18
	s_wait_alu 0xf1ff
	v_xor_b32_e32 v22, s8, v22
	v_lshlrev_b32_e32 v16, 4, v16
	v_and_b32_e32 v17, v17, v20
	v_cmp_gt_i32_e64 s8, 0, v21
	v_ashrrev_i32_e32 v19, 31, v19
	s_wait_alu 0xfffd
	v_xor_b32_e32 v18, vcc_lo, v18
	v_add_nc_u32_e32 v81, v24, v16
	v_and_b32_e32 v17, v17, v22
	s_wait_alu 0xf1ff
	v_xor_b32_e32 v16, s8, v19
	ds_load_b32 v79, v81 offset:16
	v_and_b32_e32 v17, v17, v18
	; wave barrier
	s_delay_alu instid0(VALU_DEP_1) | instskip(NEXT) | instid1(VALU_DEP_1)
	v_and_b32_e32 v16, v17, v16
	v_mbcnt_lo_u32_b32 v80, v16, 0
	v_cmp_ne_u32_e64 s8, 0, v16
	s_delay_alu instid0(VALU_DEP_2)
	v_cmp_eq_u32_e32 vcc_lo, 0, v80
	s_and_b32 s10, s8, vcc_lo
	s_wait_alu 0xfffe
	s_and_saveexec_b32 s8, s10
	s_cbranch_execz .LBB162_95
; %bb.94:
	s_wait_dscnt 0x0
	v_bcnt_u32_b32 v16, v16, v79
	ds_store_b32 v81, v16 offset:16
.LBB162_95:
	s_wait_alu 0xfffe
	s_or_b32 exec_lo, exec_lo, s8
	v_and_b32_e32 v16, 0xffff, v31
	; wave barrier
	s_delay_alu instid0(VALU_DEP_1) | instskip(NEXT) | instid1(VALU_DEP_1)
	v_and_b32_e32 v16, s9, v16
	v_and_b32_e32 v17, 1, v16
	v_lshlrev_b32_e32 v18, 30, v16
	v_lshlrev_b32_e32 v19, 29, v16
	;; [unrolled: 1-line block ×4, first 2 shown]
	v_add_co_u32 v17, s8, v17, -1
	s_wait_alu 0xf1ff
	v_cndmask_b32_e64 v21, 0, 1, s8
	v_not_b32_e32 v34, v18
	v_cmp_gt_i32_e64 s8, 0, v18
	v_not_b32_e32 v18, v19
	v_lshlrev_b32_e32 v23, 26, v16
	v_cmp_ne_u32_e32 vcc_lo, 0, v21
	v_ashrrev_i32_e32 v34, 31, v34
	v_lshlrev_b32_e32 v33, 25, v16
	v_ashrrev_i32_e32 v18, 31, v18
	v_lshlrev_b32_e32 v21, 24, v16
	s_wait_alu 0xfffd
	v_xor_b32_e32 v17, vcc_lo, v17
	v_cmp_gt_i32_e32 vcc_lo, 0, v19
	v_not_b32_e32 v19, v20
	s_wait_alu 0xf1ff
	v_xor_b32_e32 v34, s8, v34
	v_cmp_gt_i32_e64 s8, 0, v20
	v_and_b32_e32 v17, exec_lo, v17
	v_not_b32_e32 v20, v22
	v_ashrrev_i32_e32 v19, 31, v19
	s_wait_alu 0xfffd
	v_xor_b32_e32 v18, vcc_lo, v18
	v_cmp_gt_i32_e32 vcc_lo, 0, v22
	v_and_b32_e32 v17, v17, v34
	v_not_b32_e32 v22, v23
	v_ashrrev_i32_e32 v20, 31, v20
	s_wait_alu 0xf1ff
	v_xor_b32_e32 v19, s8, v19
	v_cmp_gt_i32_e64 s8, 0, v23
	v_and_b32_e32 v17, v17, v18
	v_not_b32_e32 v18, v33
	v_ashrrev_i32_e32 v22, 31, v22
	s_wait_alu 0xfffd
	v_xor_b32_e32 v20, vcc_lo, v20
	v_cmp_gt_i32_e32 vcc_lo, 0, v33
	v_and_b32_e32 v17, v17, v19
	v_not_b32_e32 v19, v21
	v_ashrrev_i32_e32 v18, 31, v18
	s_wait_alu 0xf1ff
	v_xor_b32_e32 v22, s8, v22
	v_lshlrev_b32_e32 v16, 4, v16
	v_and_b32_e32 v17, v17, v20
	v_cmp_gt_i32_e64 s8, 0, v21
	v_ashrrev_i32_e32 v19, 31, v19
	s_wait_alu 0xfffd
	v_xor_b32_e32 v18, vcc_lo, v18
	v_add_nc_u32_e32 v84, v24, v16
	v_and_b32_e32 v17, v17, v22
	s_wait_alu 0xf1ff
	v_xor_b32_e32 v16, s8, v19
	ds_load_b32 v82, v84 offset:16
	v_and_b32_e32 v17, v17, v18
	; wave barrier
	s_delay_alu instid0(VALU_DEP_1) | instskip(NEXT) | instid1(VALU_DEP_1)
	v_and_b32_e32 v16, v17, v16
	v_mbcnt_lo_u32_b32 v83, v16, 0
	v_cmp_ne_u32_e64 s8, 0, v16
	s_delay_alu instid0(VALU_DEP_2)
	v_cmp_eq_u32_e32 vcc_lo, 0, v83
	s_and_b32 s10, s8, vcc_lo
	s_wait_alu 0xfffe
	s_and_saveexec_b32 s8, s10
	s_cbranch_execz .LBB162_97
; %bb.96:
	s_wait_dscnt 0x0
	v_bcnt_u32_b32 v16, v16, v82
	ds_store_b32 v84, v16 offset:16
.LBB162_97:
	s_wait_alu 0xfffe
	s_or_b32 exec_lo, exec_lo, s8
	v_and_b32_e32 v16, 0xffff, v32
	; wave barrier
	s_delay_alu instid0(VALU_DEP_1) | instskip(NEXT) | instid1(VALU_DEP_1)
	v_and_b32_e32 v16, s9, v16
	v_and_b32_e32 v17, 1, v16
	v_lshlrev_b32_e32 v18, 30, v16
	v_lshlrev_b32_e32 v19, 29, v16
	;; [unrolled: 1-line block ×4, first 2 shown]
	v_add_co_u32 v17, s8, v17, -1
	s_wait_alu 0xf1ff
	v_cndmask_b32_e64 v21, 0, 1, s8
	v_not_b32_e32 v34, v18
	v_cmp_gt_i32_e64 s8, 0, v18
	v_not_b32_e32 v18, v19
	v_lshlrev_b32_e32 v23, 26, v16
	v_cmp_ne_u32_e32 vcc_lo, 0, v21
	v_ashrrev_i32_e32 v34, 31, v34
	v_lshlrev_b32_e32 v33, 25, v16
	v_ashrrev_i32_e32 v18, 31, v18
	v_lshlrev_b32_e32 v21, 24, v16
	s_wait_alu 0xfffd
	v_xor_b32_e32 v17, vcc_lo, v17
	v_cmp_gt_i32_e32 vcc_lo, 0, v19
	v_not_b32_e32 v19, v20
	s_wait_alu 0xf1ff
	v_xor_b32_e32 v34, s8, v34
	v_cmp_gt_i32_e64 s8, 0, v20
	v_and_b32_e32 v17, exec_lo, v17
	v_not_b32_e32 v20, v22
	v_ashrrev_i32_e32 v19, 31, v19
	s_wait_alu 0xfffd
	v_xor_b32_e32 v18, vcc_lo, v18
	v_cmp_gt_i32_e32 vcc_lo, 0, v22
	v_and_b32_e32 v17, v17, v34
	v_not_b32_e32 v22, v23
	v_ashrrev_i32_e32 v20, 31, v20
	s_wait_alu 0xf1ff
	v_xor_b32_e32 v19, s8, v19
	v_cmp_gt_i32_e64 s8, 0, v23
	v_and_b32_e32 v17, v17, v18
	v_not_b32_e32 v18, v33
	v_ashrrev_i32_e32 v22, 31, v22
	s_wait_alu 0xfffd
	v_xor_b32_e32 v20, vcc_lo, v20
	v_cmp_gt_i32_e32 vcc_lo, 0, v33
	v_and_b32_e32 v17, v17, v19
	v_not_b32_e32 v19, v21
	v_ashrrev_i32_e32 v18, 31, v18
	s_wait_alu 0xf1ff
	v_xor_b32_e32 v22, s8, v22
	v_lshlrev_b32_e32 v16, 4, v16
	v_and_b32_e32 v17, v17, v20
	v_cmp_gt_i32_e64 s8, 0, v21
	v_ashrrev_i32_e32 v19, 31, v19
	s_wait_alu 0xfffd
	v_xor_b32_e32 v18, vcc_lo, v18
	v_add_nc_u32_e32 v87, v24, v16
	v_and_b32_e32 v17, v17, v22
	v_min_u32_e32 v33, 0x60, v72
	s_wait_alu 0xf1ff
	v_xor_b32_e32 v16, s8, v19
	ds_load_b32 v85, v87 offset:16
	v_and_b32_e32 v17, v17, v18
	; wave barrier
	s_delay_alu instid0(VALU_DEP_1) | instskip(NEXT) | instid1(VALU_DEP_1)
	v_and_b32_e32 v16, v17, v16
	v_mbcnt_lo_u32_b32 v86, v16, 0
	v_cmp_ne_u32_e64 s8, 0, v16
	s_delay_alu instid0(VALU_DEP_2)
	v_cmp_eq_u32_e32 vcc_lo, 0, v86
	s_and_b32 s9, s8, vcc_lo
	s_wait_alu 0xfffe
	s_and_saveexec_b32 s8, s9
	s_cbranch_execz .LBB162_99
; %bb.98:
	s_wait_dscnt 0x0
	v_bcnt_u32_b32 v16, v16, v85
	ds_store_b32 v87, v16 offset:16
.LBB162_99:
	s_wait_alu 0xfffe
	s_or_b32 exec_lo, exec_lo, s8
	; wave barrier
	s_wait_loadcnt_dscnt 0x0
	s_barrier_signal -1
	s_barrier_wait -1
	global_inv scope:SCOPE_SE
	ds_load_b128 v[20:23], v67 offset:16
	ds_load_b128 v[16:19], v67 offset:32
	v_and_b32_e32 v36, 16, v70
	v_or_b32_e32 v33, 31, v33
	s_delay_alu instid0(VALU_DEP_2) | instskip(NEXT) | instid1(VALU_DEP_2)
	v_cmp_eq_u32_e64 s16, 0, v36
	v_cmp_eq_u32_e64 s14, v46, v33
	v_lshlrev_b32_e32 v33, 2, v69
	s_wait_dscnt 0x1
	v_add_nc_u32_e32 v34, v21, v20
	s_delay_alu instid0(VALU_DEP_1) | instskip(SKIP_1) | instid1(VALU_DEP_1)
	v_add3_u32 v34, v34, v22, v23
	s_wait_dscnt 0x0
	v_add3_u32 v34, v34, v16, v17
	s_delay_alu instid0(VALU_DEP_1) | instskip(SKIP_1) | instid1(VALU_DEP_2)
	v_add3_u32 v19, v34, v18, v19
	v_and_b32_e32 v34, 15, v70
	v_mov_b32_dpp v35, v19 row_shr:1 row_mask:0xf bank_mask:0xf
	s_delay_alu instid0(VALU_DEP_2)
	v_cmp_eq_u32_e64 s8, 0, v34
	v_cmp_lt_u32_e64 s10, 1, v34
	v_cmp_lt_u32_e64 s11, 3, v34
	;; [unrolled: 1-line block ×3, first 2 shown]
	s_wait_alu 0xf1ff
	v_cndmask_b32_e64 v35, v35, 0, s8
	s_delay_alu instid0(VALU_DEP_1) | instskip(NEXT) | instid1(VALU_DEP_1)
	v_add_nc_u32_e32 v19, v35, v19
	v_mov_b32_dpp v35, v19 row_shr:2 row_mask:0xf bank_mask:0xf
	s_delay_alu instid0(VALU_DEP_1) | instskip(NEXT) | instid1(VALU_DEP_1)
	v_cndmask_b32_e64 v35, 0, v35, s10
	v_add_nc_u32_e32 v19, v19, v35
	s_delay_alu instid0(VALU_DEP_1) | instskip(NEXT) | instid1(VALU_DEP_1)
	v_mov_b32_dpp v35, v19 row_shr:4 row_mask:0xf bank_mask:0xf
	v_cndmask_b32_e64 v35, 0, v35, s11
	s_delay_alu instid0(VALU_DEP_1) | instskip(NEXT) | instid1(VALU_DEP_1)
	v_add_nc_u32_e32 v19, v19, v35
	v_mov_b32_dpp v35, v19 row_shr:8 row_mask:0xf bank_mask:0xf
	s_delay_alu instid0(VALU_DEP_1) | instskip(SKIP_1) | instid1(VALU_DEP_2)
	v_cndmask_b32_e64 v34, 0, v35, s13
	v_bfe_i32 v35, v70, 4, 1
	v_add_nc_u32_e32 v34, v19, v34
	ds_swizzle_b32 v19, v34 offset:swizzle(BROADCAST,32,15)
	s_wait_dscnt 0x0
	v_and_b32_e32 v35, v35, v19
	v_mul_i32_i24_e32 v19, 0xffffffe4, v46
	s_delay_alu instid0(VALU_DEP_2)
	v_add_nc_u32_e32 v36, v34, v35
	s_and_saveexec_b32 s9, s14
; %bb.100:
	ds_store_b32 v33, v36
; %bb.101:
	s_wait_alu 0xfffe
	s_or_b32 exec_lo, exec_lo, s9
	v_and_b32_e32 v34, 3, v70
	v_cmp_gt_u32_e64 s15, 4, v46
	s_wait_loadcnt_dscnt 0x0
	s_barrier_signal -1
	s_barrier_wait -1
	v_cmp_eq_u32_e64 s12, 0, v34
	v_cmp_lt_u32_e64 s9, 1, v34
	v_add_nc_u32_e32 v34, v67, v19
	global_inv scope:SCOPE_SE
	s_and_saveexec_b32 s17, s15
	s_cbranch_execz .LBB162_103
; %bb.102:
	ds_load_b32 v19, v34
	s_wait_dscnt 0x0
	v_mov_b32_dpp v35, v19 row_shr:1 row_mask:0xf bank_mask:0xf
	s_delay_alu instid0(VALU_DEP_1) | instskip(NEXT) | instid1(VALU_DEP_1)
	v_cndmask_b32_e64 v35, v35, 0, s12
	v_add_nc_u32_e32 v19, v35, v19
	s_delay_alu instid0(VALU_DEP_1) | instskip(NEXT) | instid1(VALU_DEP_1)
	v_mov_b32_dpp v35, v19 row_shr:2 row_mask:0xf bank_mask:0xf
	v_cndmask_b32_e64 v35, 0, v35, s9
	s_delay_alu instid0(VALU_DEP_1)
	v_add_nc_u32_e32 v19, v19, v35
	ds_store_b32 v34, v19
.LBB162_103:
	s_or_b32 exec_lo, exec_lo, s17
	v_sub_co_u32 v69, vcc_lo, v70, 1
	v_mul_u32_u24_e32 v19, 6, v71
	v_cmp_lt_u32_e64 s17, 31, v46
	v_add_nc_u32_e32 v35, -4, v33
	v_mov_b32_e32 v71, 0
	s_wait_loadcnt_dscnt 0x0
	s_barrier_signal -1
	s_barrier_wait -1
	global_inv scope:SCOPE_SE
	s_and_saveexec_b32 s18, s17
; %bb.104:
	ds_load_b32 v71, v35
; %bb.105:
	s_or_b32 exec_lo, exec_lo, s18
	v_cmp_gt_i32_e64 s18, 0, v69
	s_mov_b32 s24, 0
	s_min_u32 s19, s19, 8
	s_mov_b32 s25, s24
	s_mov_b32 s26, s24
	v_cndmask_b32_e64 v69, v69, v70, s18
	s_wait_dscnt 0x0
	v_add_nc_u32_e32 v70, v71, v36
	s_mov_b32 s27, s24
	v_cmp_eq_u32_e64 s18, 0, v46
	s_lshl_b32 s19, -1, s19
	v_lshlrev_b32_e32 v36, 2, v69
	s_wait_alu 0xfffe
	s_not_b32 s21, s19
	ds_bpermute_b32 v69, v36, v70
	s_wait_dscnt 0x0
	s_wait_alu 0xfffd
	v_cndmask_b32_e32 v69, v69, v71, vcc_lo
	s_delay_alu instid0(VALU_DEP_1) | instskip(NEXT) | instid1(VALU_DEP_1)
	v_cndmask_b32_e64 v69, v69, 0, s18
	v_add_nc_u32_e32 v70, v69, v20
	s_delay_alu instid0(VALU_DEP_1) | instskip(NEXT) | instid1(VALU_DEP_1)
	v_add_nc_u32_e32 v71, v70, v21
	v_add_nc_u32_e32 v72, v71, v22
	s_delay_alu instid0(VALU_DEP_1) | instskip(NEXT) | instid1(VALU_DEP_1)
	v_add_nc_u32_e32 v20, v72, v23
	;; [unrolled: 3-line block ×3, first 2 shown]
	v_add_nc_u32_e32 v23, v22, v18
	ds_store_b128 v67, v[69:72] offset:16
	ds_store_b128 v67, v[20:23] offset:32
	s_wait_loadcnt_dscnt 0x0
	s_barrier_signal -1
	s_barrier_wait -1
	global_inv scope:SCOPE_SE
	ds_load_b32 v16, v38 offset:16
	ds_load_b32 v17, v47 offset:16
	;; [unrolled: 1-line block ×8, first 2 shown]
	v_add_nc_u32_e32 v47, v68, v19
	s_wait_loadcnt_dscnt 0x0
	s_barrier_signal -1
	s_barrier_wait -1
	global_inv scope:SCOPE_SE
	v_add_nc_u32_e32 v37, v16, v37
	v_add3_u32 v39, v40, v39, v17
	v_add3_u32 v40, v49, v48, v18
	;; [unrolled: 1-line block ×7, first 2 shown]
	v_lshlrev_b32_e32 v16, 1, v37
	v_lshlrev_b32_e32 v17, 1, v39
	;; [unrolled: 1-line block ×8, first 2 shown]
	ds_store_b16 v16, v25
	ds_store_b16 v17, v26
	;; [unrolled: 1-line block ×8, first 2 shown]
	s_wait_loadcnt_dscnt 0x0
	s_barrier_signal -1
	s_barrier_wait -1
	global_inv scope:SCOPE_SE
	ds_load_u16 v25, v68
	ds_load_u16 v26, v68 offset:64
	ds_load_u16 v27, v68 offset:128
	;; [unrolled: 1-line block ×7, first 2 shown]
	v_mad_co_u64_u32 v[37:38], null, v37, 6, v[16:17]
	v_mad_co_u64_u32 v[16:17], null, v39, 6, v[17:18]
	;; [unrolled: 1-line block ×3, first 2 shown]
	s_wait_loadcnt_dscnt 0x0
	s_barrier_signal -1
	s_barrier_wait -1
	global_inv scope:SCOPE_SE
	v_mad_co_u64_u32 v[18:19], null, v48, 6, v[19:20]
	v_lshrrev_b16 v38, 8, v25
	ds_store_b64 v37, v[4:5]
	v_mad_co_u64_u32 v[19:20], null, v49, 6, v[20:21]
	v_mad_co_u64_u32 v[20:21], null, v50, 6, v[21:22]
	v_and_b32_e32 v4, 0xffff, v38
	v_mad_co_u64_u32 v[21:22], null, v69, 6, v[22:23]
	v_mad_co_u64_u32 v[22:23], null, v70, 6, v[23:24]
	s_wait_alu 0xfffe
	s_delay_alu instid0(VALU_DEP_3)
	v_and_b32_e32 v23, s21, v4
	ds_store_b64 v16, v[6:7]
	ds_store_b64 v17, v[0:1]
	;; [unrolled: 1-line block ×7, first 2 shown]
	v_and_b32_e32 v0, 1, v23
	v_lshlrev_b32_e32 v1, 30, v23
	v_lshlrev_b32_e32 v2, 29, v23
	;; [unrolled: 1-line block ×4, first 2 shown]
	v_add_co_u32 v0, s19, v0, -1
	s_wait_alu 0xf1ff
	v_cndmask_b32_e64 v4, 0, 1, s19
	v_not_b32_e32 v8, v1
	v_cmp_gt_i32_e64 s20, 0, v1
	v_not_b32_e32 v1, v2
	v_lshlrev_b32_e32 v6, 26, v23
	v_cmp_ne_u32_e64 s19, 0, v4
	v_ashrrev_i32_e32 v8, 31, v8
	v_lshlrev_b32_e32 v7, 25, v23
	v_ashrrev_i32_e32 v1, 31, v1
	v_lshlrev_b32_e32 v4, 24, v23
	s_wait_alu 0xf1ff
	v_xor_b32_e32 v0, s19, v0
	v_cmp_gt_i32_e64 s19, 0, v2
	v_not_b32_e32 v2, v3
	v_xor_b32_e32 v8, s20, v8
	v_cmp_gt_i32_e64 s20, 0, v3
	v_and_b32_e32 v0, exec_lo, v0
	v_not_b32_e32 v3, v5
	v_ashrrev_i32_e32 v2, 31, v2
	s_wait_alu 0xf1ff
	v_xor_b32_e32 v1, s19, v1
	v_cmp_gt_i32_e64 s19, 0, v5
	v_and_b32_e32 v0, v0, v8
	v_not_b32_e32 v5, v6
	v_ashrrev_i32_e32 v3, 31, v3
	v_xor_b32_e32 v2, s20, v2
	v_cmp_gt_i32_e64 s20, 0, v6
	v_and_b32_e32 v0, v0, v1
	v_not_b32_e32 v1, v7
	v_ashrrev_i32_e32 v5, 31, v5
	s_wait_alu 0xf1ff
	v_xor_b32_e32 v3, s19, v3
	v_cmp_gt_i32_e64 s19, 0, v7
	v_and_b32_e32 v0, v0, v2
	v_not_b32_e32 v2, v4
	v_ashrrev_i32_e32 v1, 31, v1
	v_xor_b32_e32 v5, s20, v5
	v_cmp_gt_i32_e64 s20, 0, v4
	v_and_b32_e32 v0, v0, v3
	v_ashrrev_i32_e32 v2, 31, v2
	s_wait_alu 0xf1ff
	v_xor_b32_e32 v1, s19, v1
	s_wait_loadcnt_dscnt 0x0
	s_barrier_signal -1
	v_and_b32_e32 v0, v0, v5
	v_xor_b32_e32 v16, s20, v2
	s_barrier_wait -1
	global_inv scope:SCOPE_SE
	ds_load_2addr_b64 v[4:7], v47 offset1:32
	v_and_b32_e32 v21, v0, v1
	ds_load_2addr_b64 v[12:15], v47 offset0:64 offset1:96
	ds_load_2addr_b64 v[8:11], v47 offset0:128 offset1:160
	ds_load_2addr_b64 v[0:3], v47 offset0:192 offset1:224
	v_dual_mov_b32 v17, s24 :: v_dual_mov_b32 v18, s25
	v_dual_mov_b32 v19, s26 :: v_dual_and_b32 v16, v21, v16
	v_mov_b32_e32 v20, s27
	v_lshl_add_u32 v38, v23, 4, v24
	s_wait_loadcnt_dscnt 0x0
	s_barrier_signal -1
	v_mbcnt_lo_u32_b32 v37, v16, 0
	v_cmp_ne_u32_e64 s20, 0, v16
	s_barrier_wait -1
	global_inv scope:SCOPE_SE
	ds_store_b128 v67, v[17:20] offset:16
	ds_store_b128 v67, v[17:20] offset:32
	v_cmp_eq_u32_e64 s19, 0, v37
	s_wait_loadcnt_dscnt 0x0
	s_barrier_signal -1
	s_barrier_wait -1
	global_inv scope:SCOPE_SE
	s_and_b32 s20, s20, s19
	; wave barrier
	s_wait_alu 0xfffe
	s_and_saveexec_b32 s19, s20
; %bb.106:
	v_bcnt_u32_b32 v16, v16, 0
	ds_store_b32 v38, v16 offset:16
; %bb.107:
	s_wait_alu 0xfffe
	s_or_b32 exec_lo, exec_lo, s19
	v_lshrrev_b16 v16, 8, v26
	; wave barrier
	s_delay_alu instid0(VALU_DEP_1) | instskip(NEXT) | instid1(VALU_DEP_1)
	v_and_b32_e32 v16, s21, v16
	v_and_b32_e32 v17, 1, v16
	v_lshlrev_b32_e32 v18, 30, v16
	v_lshlrev_b32_e32 v19, 29, v16
	;; [unrolled: 1-line block ×4, first 2 shown]
	v_add_co_u32 v17, s19, v17, -1
	s_wait_alu 0xf1ff
	v_cndmask_b32_e64 v21, 0, 1, s19
	v_not_b32_e32 v40, v18
	v_cmp_gt_i32_e64 s20, 0, v18
	v_not_b32_e32 v18, v19
	v_lshlrev_b32_e32 v23, 26, v16
	v_cmp_ne_u32_e64 s19, 0, v21
	v_ashrrev_i32_e32 v40, 31, v40
	v_lshlrev_b32_e32 v39, 25, v16
	v_ashrrev_i32_e32 v18, 31, v18
	v_lshlrev_b32_e32 v21, 24, v16
	s_wait_alu 0xf1ff
	v_xor_b32_e32 v17, s19, v17
	v_cmp_gt_i32_e64 s19, 0, v19
	v_not_b32_e32 v19, v20
	v_xor_b32_e32 v40, s20, v40
	v_cmp_gt_i32_e64 s20, 0, v20
	v_and_b32_e32 v17, exec_lo, v17
	v_not_b32_e32 v20, v22
	v_ashrrev_i32_e32 v19, 31, v19
	s_wait_alu 0xf1ff
	v_xor_b32_e32 v18, s19, v18
	v_cmp_gt_i32_e64 s19, 0, v22
	v_and_b32_e32 v17, v17, v40
	v_not_b32_e32 v22, v23
	v_ashrrev_i32_e32 v20, 31, v20
	v_xor_b32_e32 v19, s20, v19
	v_cmp_gt_i32_e64 s20, 0, v23
	v_and_b32_e32 v17, v17, v18
	v_not_b32_e32 v18, v39
	v_ashrrev_i32_e32 v22, 31, v22
	s_wait_alu 0xf1ff
	v_xor_b32_e32 v20, s19, v20
	v_cmp_gt_i32_e64 s19, 0, v39
	v_and_b32_e32 v17, v17, v19
	v_not_b32_e32 v19, v21
	v_ashrrev_i32_e32 v18, 31, v18
	v_xor_b32_e32 v22, s20, v22
	v_cmp_gt_i32_e64 s20, 0, v21
	v_and_b32_e32 v17, v17, v20
	v_ashrrev_i32_e32 v19, 31, v19
	s_wait_alu 0xf1ff
	v_xor_b32_e32 v18, s19, v18
	v_lshl_add_u32 v47, v16, 4, v24
	v_and_b32_e32 v17, v17, v22
	v_xor_b32_e32 v16, s20, v19
	ds_load_b32 v39, v47 offset:16
	v_and_b32_e32 v17, v17, v18
	; wave barrier
	s_delay_alu instid0(VALU_DEP_1) | instskip(NEXT) | instid1(VALU_DEP_1)
	v_and_b32_e32 v16, v17, v16
	v_mbcnt_lo_u32_b32 v40, v16, 0
	v_cmp_ne_u32_e64 s20, 0, v16
	s_delay_alu instid0(VALU_DEP_2)
	v_cmp_eq_u32_e64 s19, 0, v40
	s_and_b32 s20, s20, s19
	s_wait_alu 0xfffe
	s_and_saveexec_b32 s19, s20
	s_cbranch_execz .LBB162_109
; %bb.108:
	s_wait_dscnt 0x0
	v_bcnt_u32_b32 v16, v16, v39
	ds_store_b32 v47, v16 offset:16
.LBB162_109:
	s_wait_alu 0xfffe
	s_or_b32 exec_lo, exec_lo, s19
	v_lshrrev_b16 v16, 8, v27
	; wave barrier
	s_delay_alu instid0(VALU_DEP_1) | instskip(NEXT) | instid1(VALU_DEP_1)
	v_and_b32_e32 v16, s21, v16
	v_and_b32_e32 v17, 1, v16
	v_lshlrev_b32_e32 v18, 30, v16
	v_lshlrev_b32_e32 v19, 29, v16
	;; [unrolled: 1-line block ×4, first 2 shown]
	v_add_co_u32 v17, s19, v17, -1
	s_wait_alu 0xf1ff
	v_cndmask_b32_e64 v21, 0, 1, s19
	v_not_b32_e32 v49, v18
	v_cmp_gt_i32_e64 s20, 0, v18
	v_not_b32_e32 v18, v19
	v_lshlrev_b32_e32 v23, 26, v16
	v_cmp_ne_u32_e64 s19, 0, v21
	v_ashrrev_i32_e32 v49, 31, v49
	v_lshlrev_b32_e32 v48, 25, v16
	v_ashrrev_i32_e32 v18, 31, v18
	v_lshlrev_b32_e32 v21, 24, v16
	s_wait_alu 0xf1ff
	v_xor_b32_e32 v17, s19, v17
	v_cmp_gt_i32_e64 s19, 0, v19
	v_not_b32_e32 v19, v20
	v_xor_b32_e32 v49, s20, v49
	v_cmp_gt_i32_e64 s20, 0, v20
	v_and_b32_e32 v17, exec_lo, v17
	v_not_b32_e32 v20, v22
	v_ashrrev_i32_e32 v19, 31, v19
	s_wait_alu 0xf1ff
	v_xor_b32_e32 v18, s19, v18
	v_cmp_gt_i32_e64 s19, 0, v22
	v_and_b32_e32 v17, v17, v49
	v_not_b32_e32 v22, v23
	v_ashrrev_i32_e32 v20, 31, v20
	v_xor_b32_e32 v19, s20, v19
	v_cmp_gt_i32_e64 s20, 0, v23
	v_and_b32_e32 v17, v17, v18
	v_not_b32_e32 v18, v48
	v_ashrrev_i32_e32 v22, 31, v22
	s_wait_alu 0xf1ff
	v_xor_b32_e32 v20, s19, v20
	v_cmp_gt_i32_e64 s19, 0, v48
	v_and_b32_e32 v17, v17, v19
	v_not_b32_e32 v19, v21
	v_ashrrev_i32_e32 v18, 31, v18
	v_xor_b32_e32 v22, s20, v22
	v_cmp_gt_i32_e64 s20, 0, v21
	v_and_b32_e32 v17, v17, v20
	v_ashrrev_i32_e32 v19, 31, v19
	s_wait_alu 0xf1ff
	v_xor_b32_e32 v18, s19, v18
	v_lshl_add_u32 v50, v16, 4, v24
	v_and_b32_e32 v17, v17, v22
	v_xor_b32_e32 v16, s20, v19
	ds_load_b32 v48, v50 offset:16
	v_and_b32_e32 v17, v17, v18
	; wave barrier
	s_delay_alu instid0(VALU_DEP_1) | instskip(NEXT) | instid1(VALU_DEP_1)
	v_and_b32_e32 v16, v17, v16
	v_mbcnt_lo_u32_b32 v49, v16, 0
	v_cmp_ne_u32_e64 s20, 0, v16
	s_delay_alu instid0(VALU_DEP_2)
	v_cmp_eq_u32_e64 s19, 0, v49
	s_and_b32 s20, s20, s19
	s_wait_alu 0xfffe
	s_and_saveexec_b32 s19, s20
	s_cbranch_execz .LBB162_111
; %bb.110:
	s_wait_dscnt 0x0
	v_bcnt_u32_b32 v16, v16, v48
	ds_store_b32 v50, v16 offset:16
.LBB162_111:
	s_wait_alu 0xfffe
	s_or_b32 exec_lo, exec_lo, s19
	v_lshrrev_b16 v16, 8, v28
	; wave barrier
	s_delay_alu instid0(VALU_DEP_1) | instskip(NEXT) | instid1(VALU_DEP_1)
	v_and_b32_e32 v16, s21, v16
	v_and_b32_e32 v17, 1, v16
	v_lshlrev_b32_e32 v18, 30, v16
	v_lshlrev_b32_e32 v19, 29, v16
	;; [unrolled: 1-line block ×4, first 2 shown]
	v_add_co_u32 v17, s19, v17, -1
	s_wait_alu 0xf1ff
	v_cndmask_b32_e64 v21, 0, 1, s19
	v_not_b32_e32 v69, v18
	v_cmp_gt_i32_e64 s20, 0, v18
	v_not_b32_e32 v18, v19
	v_lshlrev_b32_e32 v23, 26, v16
	v_cmp_ne_u32_e64 s19, 0, v21
	v_ashrrev_i32_e32 v69, 31, v69
	v_lshlrev_b32_e32 v68, 25, v16
	v_ashrrev_i32_e32 v18, 31, v18
	v_lshlrev_b32_e32 v21, 24, v16
	s_wait_alu 0xf1ff
	v_xor_b32_e32 v17, s19, v17
	v_cmp_gt_i32_e64 s19, 0, v19
	v_not_b32_e32 v19, v20
	v_xor_b32_e32 v69, s20, v69
	v_cmp_gt_i32_e64 s20, 0, v20
	v_and_b32_e32 v17, exec_lo, v17
	v_not_b32_e32 v20, v22
	v_ashrrev_i32_e32 v19, 31, v19
	s_wait_alu 0xf1ff
	v_xor_b32_e32 v18, s19, v18
	v_cmp_gt_i32_e64 s19, 0, v22
	v_and_b32_e32 v17, v17, v69
	v_not_b32_e32 v22, v23
	v_ashrrev_i32_e32 v20, 31, v20
	v_xor_b32_e32 v19, s20, v19
	v_cmp_gt_i32_e64 s20, 0, v23
	v_and_b32_e32 v17, v17, v18
	v_not_b32_e32 v18, v68
	v_ashrrev_i32_e32 v22, 31, v22
	s_wait_alu 0xf1ff
	v_xor_b32_e32 v20, s19, v20
	v_cmp_gt_i32_e64 s19, 0, v68
	v_and_b32_e32 v17, v17, v19
	v_not_b32_e32 v19, v21
	v_ashrrev_i32_e32 v18, 31, v18
	v_xor_b32_e32 v22, s20, v22
	v_cmp_gt_i32_e64 s20, 0, v21
	v_and_b32_e32 v17, v17, v20
	v_ashrrev_i32_e32 v19, 31, v19
	s_wait_alu 0xf1ff
	v_xor_b32_e32 v18, s19, v18
	v_lshl_add_u32 v70, v16, 4, v24
	v_and_b32_e32 v17, v17, v22
	v_xor_b32_e32 v16, s20, v19
	ds_load_b32 v68, v70 offset:16
	v_and_b32_e32 v17, v17, v18
	; wave barrier
	s_delay_alu instid0(VALU_DEP_1) | instskip(NEXT) | instid1(VALU_DEP_1)
	v_and_b32_e32 v16, v17, v16
	v_mbcnt_lo_u32_b32 v69, v16, 0
	v_cmp_ne_u32_e64 s20, 0, v16
	s_delay_alu instid0(VALU_DEP_2)
	v_cmp_eq_u32_e64 s19, 0, v69
	s_and_b32 s20, s20, s19
	s_wait_alu 0xfffe
	s_and_saveexec_b32 s19, s20
	s_cbranch_execz .LBB162_113
; %bb.112:
	s_wait_dscnt 0x0
	v_bcnt_u32_b32 v16, v16, v68
	ds_store_b32 v70, v16 offset:16
.LBB162_113:
	s_wait_alu 0xfffe
	s_or_b32 exec_lo, exec_lo, s19
	v_lshrrev_b16 v16, 8, v29
	; wave barrier
	s_delay_alu instid0(VALU_DEP_1) | instskip(NEXT) | instid1(VALU_DEP_1)
	v_and_b32_e32 v16, s21, v16
	v_and_b32_e32 v17, 1, v16
	v_lshlrev_b32_e32 v18, 30, v16
	v_lshlrev_b32_e32 v19, 29, v16
	;; [unrolled: 1-line block ×4, first 2 shown]
	v_add_co_u32 v17, s19, v17, -1
	s_wait_alu 0xf1ff
	v_cndmask_b32_e64 v21, 0, 1, s19
	v_not_b32_e32 v72, v18
	v_cmp_gt_i32_e64 s20, 0, v18
	v_not_b32_e32 v18, v19
	v_lshlrev_b32_e32 v23, 26, v16
	v_cmp_ne_u32_e64 s19, 0, v21
	v_ashrrev_i32_e32 v72, 31, v72
	v_lshlrev_b32_e32 v71, 25, v16
	v_ashrrev_i32_e32 v18, 31, v18
	v_lshlrev_b32_e32 v21, 24, v16
	s_wait_alu 0xf1ff
	v_xor_b32_e32 v17, s19, v17
	v_cmp_gt_i32_e64 s19, 0, v19
	v_not_b32_e32 v19, v20
	v_xor_b32_e32 v72, s20, v72
	v_cmp_gt_i32_e64 s20, 0, v20
	v_and_b32_e32 v17, exec_lo, v17
	v_not_b32_e32 v20, v22
	v_ashrrev_i32_e32 v19, 31, v19
	s_wait_alu 0xf1ff
	v_xor_b32_e32 v18, s19, v18
	v_cmp_gt_i32_e64 s19, 0, v22
	v_and_b32_e32 v17, v17, v72
	v_not_b32_e32 v22, v23
	v_ashrrev_i32_e32 v20, 31, v20
	v_xor_b32_e32 v19, s20, v19
	v_cmp_gt_i32_e64 s20, 0, v23
	v_and_b32_e32 v17, v17, v18
	v_not_b32_e32 v18, v71
	v_ashrrev_i32_e32 v22, 31, v22
	s_wait_alu 0xf1ff
	v_xor_b32_e32 v20, s19, v20
	v_cmp_gt_i32_e64 s19, 0, v71
	v_and_b32_e32 v17, v17, v19
	v_not_b32_e32 v19, v21
	v_ashrrev_i32_e32 v18, 31, v18
	v_xor_b32_e32 v22, s20, v22
	v_cmp_gt_i32_e64 s20, 0, v21
	v_and_b32_e32 v17, v17, v20
	v_ashrrev_i32_e32 v19, 31, v19
	s_wait_alu 0xf1ff
	v_xor_b32_e32 v18, s19, v18
	v_lshl_add_u32 v73, v16, 4, v24
	v_and_b32_e32 v17, v17, v22
	v_xor_b32_e32 v16, s20, v19
	ds_load_b32 v71, v73 offset:16
	v_and_b32_e32 v17, v17, v18
	; wave barrier
	s_delay_alu instid0(VALU_DEP_1) | instskip(NEXT) | instid1(VALU_DEP_1)
	v_and_b32_e32 v16, v17, v16
	v_mbcnt_lo_u32_b32 v72, v16, 0
	v_cmp_ne_u32_e64 s20, 0, v16
	s_delay_alu instid0(VALU_DEP_2)
	v_cmp_eq_u32_e64 s19, 0, v72
	s_and_b32 s20, s20, s19
	s_wait_alu 0xfffe
	s_and_saveexec_b32 s19, s20
	s_cbranch_execz .LBB162_115
; %bb.114:
	s_wait_dscnt 0x0
	v_bcnt_u32_b32 v16, v16, v71
	ds_store_b32 v73, v16 offset:16
.LBB162_115:
	s_wait_alu 0xfffe
	s_or_b32 exec_lo, exec_lo, s19
	v_lshrrev_b16 v16, 8, v30
	; wave barrier
	s_delay_alu instid0(VALU_DEP_1) | instskip(NEXT) | instid1(VALU_DEP_1)
	v_and_b32_e32 v16, s21, v16
	v_and_b32_e32 v17, 1, v16
	v_lshlrev_b32_e32 v18, 30, v16
	v_lshlrev_b32_e32 v19, 29, v16
	;; [unrolled: 1-line block ×4, first 2 shown]
	v_add_co_u32 v17, s19, v17, -1
	s_wait_alu 0xf1ff
	v_cndmask_b32_e64 v21, 0, 1, s19
	v_not_b32_e32 v75, v18
	v_cmp_gt_i32_e64 s20, 0, v18
	v_not_b32_e32 v18, v19
	v_lshlrev_b32_e32 v23, 26, v16
	v_cmp_ne_u32_e64 s19, 0, v21
	v_ashrrev_i32_e32 v75, 31, v75
	v_lshlrev_b32_e32 v74, 25, v16
	v_ashrrev_i32_e32 v18, 31, v18
	v_lshlrev_b32_e32 v21, 24, v16
	s_wait_alu 0xf1ff
	v_xor_b32_e32 v17, s19, v17
	v_cmp_gt_i32_e64 s19, 0, v19
	v_not_b32_e32 v19, v20
	v_xor_b32_e32 v75, s20, v75
	v_cmp_gt_i32_e64 s20, 0, v20
	v_and_b32_e32 v17, exec_lo, v17
	v_not_b32_e32 v20, v22
	v_ashrrev_i32_e32 v19, 31, v19
	s_wait_alu 0xf1ff
	v_xor_b32_e32 v18, s19, v18
	v_cmp_gt_i32_e64 s19, 0, v22
	v_and_b32_e32 v17, v17, v75
	v_not_b32_e32 v22, v23
	v_ashrrev_i32_e32 v20, 31, v20
	v_xor_b32_e32 v19, s20, v19
	v_cmp_gt_i32_e64 s20, 0, v23
	v_and_b32_e32 v17, v17, v18
	v_not_b32_e32 v18, v74
	v_ashrrev_i32_e32 v22, 31, v22
	s_wait_alu 0xf1ff
	v_xor_b32_e32 v20, s19, v20
	v_cmp_gt_i32_e64 s19, 0, v74
	v_and_b32_e32 v17, v17, v19
	v_not_b32_e32 v19, v21
	v_ashrrev_i32_e32 v18, 31, v18
	v_xor_b32_e32 v22, s20, v22
	v_cmp_gt_i32_e64 s20, 0, v21
	v_and_b32_e32 v17, v17, v20
	v_ashrrev_i32_e32 v19, 31, v19
	s_wait_alu 0xf1ff
	v_xor_b32_e32 v18, s19, v18
	v_lshl_add_u32 v76, v16, 4, v24
	v_and_b32_e32 v17, v17, v22
	v_xor_b32_e32 v16, s20, v19
	ds_load_b32 v74, v76 offset:16
	v_and_b32_e32 v17, v17, v18
	; wave barrier
	s_delay_alu instid0(VALU_DEP_1) | instskip(NEXT) | instid1(VALU_DEP_1)
	v_and_b32_e32 v16, v17, v16
	v_mbcnt_lo_u32_b32 v75, v16, 0
	v_cmp_ne_u32_e64 s20, 0, v16
	s_delay_alu instid0(VALU_DEP_2)
	v_cmp_eq_u32_e64 s19, 0, v75
	s_and_b32 s20, s20, s19
	s_wait_alu 0xfffe
	s_and_saveexec_b32 s19, s20
	s_cbranch_execz .LBB162_117
; %bb.116:
	s_wait_dscnt 0x0
	v_bcnt_u32_b32 v16, v16, v74
	ds_store_b32 v76, v16 offset:16
.LBB162_117:
	s_wait_alu 0xfffe
	s_or_b32 exec_lo, exec_lo, s19
	v_lshrrev_b16 v16, 8, v31
	; wave barrier
	s_delay_alu instid0(VALU_DEP_1) | instskip(NEXT) | instid1(VALU_DEP_1)
	v_and_b32_e32 v16, s21, v16
	v_and_b32_e32 v17, 1, v16
	v_lshlrev_b32_e32 v18, 30, v16
	v_lshlrev_b32_e32 v19, 29, v16
	;; [unrolled: 1-line block ×4, first 2 shown]
	v_add_co_u32 v17, s19, v17, -1
	s_wait_alu 0xf1ff
	v_cndmask_b32_e64 v21, 0, 1, s19
	v_not_b32_e32 v78, v18
	v_cmp_gt_i32_e64 s20, 0, v18
	v_not_b32_e32 v18, v19
	v_lshlrev_b32_e32 v23, 26, v16
	v_cmp_ne_u32_e64 s19, 0, v21
	v_ashrrev_i32_e32 v78, 31, v78
	v_lshlrev_b32_e32 v77, 25, v16
	v_ashrrev_i32_e32 v18, 31, v18
	v_lshlrev_b32_e32 v21, 24, v16
	s_wait_alu 0xf1ff
	v_xor_b32_e32 v17, s19, v17
	v_cmp_gt_i32_e64 s19, 0, v19
	v_not_b32_e32 v19, v20
	v_xor_b32_e32 v78, s20, v78
	v_cmp_gt_i32_e64 s20, 0, v20
	v_and_b32_e32 v17, exec_lo, v17
	v_not_b32_e32 v20, v22
	v_ashrrev_i32_e32 v19, 31, v19
	s_wait_alu 0xf1ff
	v_xor_b32_e32 v18, s19, v18
	v_cmp_gt_i32_e64 s19, 0, v22
	v_and_b32_e32 v17, v17, v78
	v_not_b32_e32 v22, v23
	v_ashrrev_i32_e32 v20, 31, v20
	v_xor_b32_e32 v19, s20, v19
	v_cmp_gt_i32_e64 s20, 0, v23
	v_and_b32_e32 v17, v17, v18
	v_not_b32_e32 v18, v77
	v_ashrrev_i32_e32 v22, 31, v22
	s_wait_alu 0xf1ff
	v_xor_b32_e32 v20, s19, v20
	v_cmp_gt_i32_e64 s19, 0, v77
	v_and_b32_e32 v17, v17, v19
	v_not_b32_e32 v19, v21
	v_ashrrev_i32_e32 v18, 31, v18
	v_xor_b32_e32 v22, s20, v22
	v_cmp_gt_i32_e64 s20, 0, v21
	v_and_b32_e32 v17, v17, v20
	v_ashrrev_i32_e32 v19, 31, v19
	s_wait_alu 0xf1ff
	v_xor_b32_e32 v18, s19, v18
	v_lshl_add_u32 v79, v16, 4, v24
	v_and_b32_e32 v17, v17, v22
	v_xor_b32_e32 v16, s20, v19
	ds_load_b32 v77, v79 offset:16
	v_and_b32_e32 v17, v17, v18
	; wave barrier
	s_delay_alu instid0(VALU_DEP_1) | instskip(NEXT) | instid1(VALU_DEP_1)
	v_and_b32_e32 v16, v17, v16
	v_mbcnt_lo_u32_b32 v78, v16, 0
	v_cmp_ne_u32_e64 s20, 0, v16
	s_delay_alu instid0(VALU_DEP_2)
	v_cmp_eq_u32_e64 s19, 0, v78
	s_and_b32 s20, s20, s19
	s_wait_alu 0xfffe
	s_and_saveexec_b32 s19, s20
	s_cbranch_execz .LBB162_119
; %bb.118:
	s_wait_dscnt 0x0
	v_bcnt_u32_b32 v16, v16, v77
	ds_store_b32 v79, v16 offset:16
.LBB162_119:
	s_wait_alu 0xfffe
	s_or_b32 exec_lo, exec_lo, s19
	v_lshrrev_b16 v16, 8, v32
	; wave barrier
	s_delay_alu instid0(VALU_DEP_1) | instskip(NEXT) | instid1(VALU_DEP_1)
	v_and_b32_e32 v16, s21, v16
	v_and_b32_e32 v17, 1, v16
	v_lshlrev_b32_e32 v18, 30, v16
	v_lshlrev_b32_e32 v19, 29, v16
	;; [unrolled: 1-line block ×4, first 2 shown]
	v_add_co_u32 v17, s19, v17, -1
	s_wait_alu 0xf1ff
	v_cndmask_b32_e64 v21, 0, 1, s19
	v_not_b32_e32 v81, v18
	v_cmp_gt_i32_e64 s20, 0, v18
	v_not_b32_e32 v18, v19
	v_lshlrev_b32_e32 v23, 26, v16
	v_cmp_ne_u32_e64 s19, 0, v21
	v_ashrrev_i32_e32 v81, 31, v81
	v_lshlrev_b32_e32 v80, 25, v16
	v_ashrrev_i32_e32 v18, 31, v18
	v_lshlrev_b32_e32 v21, 24, v16
	s_wait_alu 0xf1ff
	v_xor_b32_e32 v17, s19, v17
	v_cmp_gt_i32_e64 s19, 0, v19
	v_not_b32_e32 v19, v20
	v_xor_b32_e32 v81, s20, v81
	v_cmp_gt_i32_e64 s20, 0, v20
	v_and_b32_e32 v17, exec_lo, v17
	v_not_b32_e32 v20, v22
	v_ashrrev_i32_e32 v19, 31, v19
	s_wait_alu 0xf1ff
	v_xor_b32_e32 v18, s19, v18
	v_cmp_gt_i32_e64 s19, 0, v22
	v_and_b32_e32 v17, v17, v81
	v_not_b32_e32 v22, v23
	v_ashrrev_i32_e32 v20, 31, v20
	v_xor_b32_e32 v19, s20, v19
	v_cmp_gt_i32_e64 s20, 0, v23
	v_and_b32_e32 v17, v17, v18
	v_not_b32_e32 v18, v80
	v_ashrrev_i32_e32 v22, 31, v22
	s_wait_alu 0xf1ff
	v_xor_b32_e32 v20, s19, v20
	v_cmp_gt_i32_e64 s19, 0, v80
	v_and_b32_e32 v17, v17, v19
	v_not_b32_e32 v19, v21
	v_ashrrev_i32_e32 v18, 31, v18
	v_xor_b32_e32 v22, s20, v22
	v_cmp_gt_i32_e64 s20, 0, v21
	v_and_b32_e32 v17, v17, v20
	v_ashrrev_i32_e32 v19, 31, v19
	s_wait_alu 0xf1ff
	v_xor_b32_e32 v18, s19, v18
	v_lshl_add_u32 v81, v16, 4, v24
	v_and_b32_e32 v17, v17, v22
	v_xor_b32_e32 v16, s20, v19
	ds_load_b32 v24, v81 offset:16
	v_and_b32_e32 v17, v17, v18
	; wave barrier
	s_delay_alu instid0(VALU_DEP_1) | instskip(NEXT) | instid1(VALU_DEP_1)
	v_and_b32_e32 v16, v17, v16
	v_mbcnt_lo_u32_b32 v80, v16, 0
	v_cmp_ne_u32_e64 s20, 0, v16
	s_delay_alu instid0(VALU_DEP_2)
	v_cmp_eq_u32_e64 s19, 0, v80
	s_and_b32 s20, s20, s19
	s_wait_alu 0xfffe
	s_and_saveexec_b32 s19, s20
	s_cbranch_execz .LBB162_121
; %bb.120:
	s_wait_dscnt 0x0
	v_bcnt_u32_b32 v16, v16, v24
	ds_store_b32 v81, v16 offset:16
.LBB162_121:
	s_wait_alu 0xfffe
	s_or_b32 exec_lo, exec_lo, s19
	; wave barrier
	s_wait_loadcnt_dscnt 0x0
	s_barrier_signal -1
	s_barrier_wait -1
	global_inv scope:SCOPE_SE
	ds_load_b128 v[20:23], v67 offset:16
	ds_load_b128 v[16:19], v67 offset:32
	s_wait_dscnt 0x1
	v_add_nc_u32_e32 v82, v21, v20
	s_delay_alu instid0(VALU_DEP_1) | instskip(SKIP_1) | instid1(VALU_DEP_1)
	v_add3_u32 v82, v82, v22, v23
	s_wait_dscnt 0x0
	v_add3_u32 v82, v82, v16, v17
	s_delay_alu instid0(VALU_DEP_1) | instskip(NEXT) | instid1(VALU_DEP_1)
	v_add3_u32 v19, v82, v18, v19
	v_mov_b32_dpp v82, v19 row_shr:1 row_mask:0xf bank_mask:0xf
	s_delay_alu instid0(VALU_DEP_1) | instskip(NEXT) | instid1(VALU_DEP_1)
	v_cndmask_b32_e64 v82, v82, 0, s8
	v_add_nc_u32_e32 v19, v82, v19
	s_delay_alu instid0(VALU_DEP_1) | instskip(NEXT) | instid1(VALU_DEP_1)
	v_mov_b32_dpp v82, v19 row_shr:2 row_mask:0xf bank_mask:0xf
	v_cndmask_b32_e64 v82, 0, v82, s10
	s_delay_alu instid0(VALU_DEP_1) | instskip(NEXT) | instid1(VALU_DEP_1)
	v_add_nc_u32_e32 v19, v19, v82
	v_mov_b32_dpp v82, v19 row_shr:4 row_mask:0xf bank_mask:0xf
	s_delay_alu instid0(VALU_DEP_1) | instskip(NEXT) | instid1(VALU_DEP_1)
	v_cndmask_b32_e64 v82, 0, v82, s11
	v_add_nc_u32_e32 v19, v19, v82
	s_delay_alu instid0(VALU_DEP_1) | instskip(NEXT) | instid1(VALU_DEP_1)
	v_mov_b32_dpp v82, v19 row_shr:8 row_mask:0xf bank_mask:0xf
	v_cndmask_b32_e64 v82, 0, v82, s13
	s_delay_alu instid0(VALU_DEP_1) | instskip(SKIP_3) | instid1(VALU_DEP_1)
	v_add_nc_u32_e32 v19, v19, v82
	ds_swizzle_b32 v82, v19 offset:swizzle(BROADCAST,32,15)
	s_wait_dscnt 0x0
	v_cndmask_b32_e64 v82, v82, 0, s16
	v_add_nc_u32_e32 v19, v19, v82
	s_and_saveexec_b32 s8, s14
; %bb.122:
	ds_store_b32 v33, v19
; %bb.123:
	s_wait_alu 0xfffe
	s_or_b32 exec_lo, exec_lo, s8
	s_wait_loadcnt_dscnt 0x0
	s_barrier_signal -1
	s_barrier_wait -1
	global_inv scope:SCOPE_SE
	s_and_saveexec_b32 s8, s15
	s_cbranch_execz .LBB162_125
; %bb.124:
	ds_load_b32 v33, v34
	s_wait_dscnt 0x0
	v_mov_b32_dpp v82, v33 row_shr:1 row_mask:0xf bank_mask:0xf
	s_delay_alu instid0(VALU_DEP_1) | instskip(NEXT) | instid1(VALU_DEP_1)
	v_cndmask_b32_e64 v82, v82, 0, s12
	v_add_nc_u32_e32 v33, v82, v33
	s_delay_alu instid0(VALU_DEP_1) | instskip(NEXT) | instid1(VALU_DEP_1)
	v_mov_b32_dpp v82, v33 row_shr:2 row_mask:0xf bank_mask:0xf
	v_cndmask_b32_e64 v82, 0, v82, s9
	s_delay_alu instid0(VALU_DEP_1)
	v_add_nc_u32_e32 v33, v33, v82
	ds_store_b32 v34, v33
.LBB162_125:
	s_wait_alu 0xfffe
	s_or_b32 exec_lo, exec_lo, s8
	v_mov_b32_e32 v33, 0
	s_wait_loadcnt_dscnt 0x0
	s_barrier_signal -1
	s_barrier_wait -1
	global_inv scope:SCOPE_SE
	s_and_saveexec_b32 s8, s17
; %bb.126:
	ds_load_b32 v33, v35
; %bb.127:
	s_wait_alu 0xfffe
	s_or_b32 exec_lo, exec_lo, s8
	s_wait_dscnt 0x0
	v_add_nc_u32_e32 v19, v33, v19
	ds_bpermute_b32 v19, v36, v19
	s_wait_dscnt 0x0
	v_cndmask_b32_e32 v19, v19, v33, vcc_lo
	s_delay_alu instid0(VALU_DEP_1) | instskip(NEXT) | instid1(VALU_DEP_1)
	v_cndmask_b32_e64 v19, v19, 0, s18
	v_add_nc_u32_e32 v20, v19, v20
	s_delay_alu instid0(VALU_DEP_1) | instskip(NEXT) | instid1(VALU_DEP_1)
	v_add_nc_u32_e32 v21, v20, v21
	v_add_nc_u32_e32 v22, v21, v22
	s_delay_alu instid0(VALU_DEP_1) | instskip(NEXT) | instid1(VALU_DEP_1)
	v_add_nc_u32_e32 v33, v22, v23
	;; [unrolled: 3-line block ×3, first 2 shown]
	v_add_nc_u32_e32 v36, v35, v18
	ds_store_b128 v67, v[19:22] offset:16
	ds_store_b128 v67, v[33:36] offset:32
	s_wait_loadcnt_dscnt 0x0
	s_barrier_signal -1
	s_barrier_wait -1
	global_inv scope:SCOPE_SE
	ds_load_b32 v16, v81 offset:16
	ds_load_b32 v17, v79 offset:16
	;; [unrolled: 1-line block ×8, first 2 shown]
	v_lshlrev_b32_e32 v33, 1, v66
	s_wait_loadcnt_dscnt 0x0
	s_barrier_signal -1
	s_barrier_wait -1
	global_inv scope:SCOPE_SE
	v_mad_u32_u24 v38, v46, 48, v33
	v_add3_u32 v34, v80, v24, v16
	v_add3_u32 v35, v78, v77, v17
	;; [unrolled: 1-line block ×3, first 2 shown]
	v_add_nc_u32_e32 v24, v19, v37
	v_add3_u32 v37, v40, v39, v20
	v_add3_u32 v39, v49, v48, v21
	;; [unrolled: 1-line block ×4, first 2 shown]
	v_lshlrev_b32_e32 v16, 1, v24
	v_lshlrev_b32_e32 v17, 1, v37
	;; [unrolled: 1-line block ×8, first 2 shown]
	ds_store_b16 v16, v25
	ds_store_b16 v17, v26
	;; [unrolled: 1-line block ×8, first 2 shown]
	v_mad_co_u64_u32 v[24:25], null, v24, 6, v[16:17]
	v_mad_co_u64_u32 v[16:17], null, v37, 6, v[17:18]
	;; [unrolled: 1-line block ×8, first 2 shown]
	s_wait_loadcnt_dscnt 0x0
	s_barrier_signal -1
	s_barrier_wait -1
	global_inv scope:SCOPE_SE
	ds_load_b128 v[33:36], v33
	s_wait_loadcnt_dscnt 0x0
	s_barrier_signal -1
	s_barrier_wait -1
	global_inv scope:SCOPE_SE
	ds_store_b64 v24, v[4:5]
	ds_store_b64 v16, v[6:7]
	ds_store_b64 v17, v[12:13]
	ds_store_b64 v18, v[14:15]
	ds_store_b64 v19, v[8:9]
	ds_store_b64 v20, v[10:11]
	ds_store_b64 v21, v[0:1]
	ds_store_b64 v22, v[2:3]
	s_wait_loadcnt_dscnt 0x0
	s_barrier_signal -1
	s_barrier_wait -1
	global_inv scope:SCOPE_SE
	ds_load_b128 v[29:32], v38
	ds_load_b128 v[25:28], v38 offset:16
	ds_load_b128 v[21:24], v38 offset:32
	;; [unrolled: 1-line block ×3, first 2 shown]
	v_xor_b32_e32 v0, 0x7fff7fff, v33
	v_xor_b32_e32 v34, 0x7fff7fff, v34
	v_xor_b32_e32 v33, 0x7fff7fff, v35
	v_xor_b32_e32 v35, 0x7fff7fff, v36
.LBB162_128:
	s_wait_loadcnt_dscnt 0x0
	s_barrier_signal -1
	s_barrier_wait -1
	global_inv scope:SCOPE_SE
	ds_store_2addr_b32 v58, v0, v34 offset1:1
	ds_store_2addr_b32 v58, v33, v35 offset0:2 offset1:3
	s_wait_loadcnt_dscnt 0x0
	s_barrier_signal -1
	s_barrier_wait -1
	global_inv scope:SCOPE_SE
	ds_load_u16 v8, v45 offset:256
	ds_load_u16 v7, v52 offset:512
	;; [unrolled: 1-line block ×7, first 2 shown]
	v_mov_b32_e32 v45, 0
	s_delay_alu instid0(VALU_DEP_1) | instskip(NEXT) | instid1(VALU_DEP_1)
	v_lshlrev_b64_e32 v[0:1], 1, v[44:45]
	v_add_co_u32 v0, vcc_lo, s30, v0
	s_wait_alu 0xfffd
	s_delay_alu instid0(VALU_DEP_2)
	v_add_co_ci_u32_e64 v1, null, s31, v1, vcc_lo
	s_and_saveexec_b32 s8, s0
	s_cbranch_execnz .LBB162_147
; %bb.129:
	s_wait_alu 0xfffe
	s_or_b32 exec_lo, exec_lo, s8
	s_and_saveexec_b32 s8, s1
	s_cbranch_execnz .LBB162_148
.LBB162_130:
	s_wait_alu 0xfffe
	s_or_b32 exec_lo, exec_lo, s8
	s_and_saveexec_b32 s8, s2
	s_cbranch_execnz .LBB162_149
.LBB162_131:
	s_wait_alu 0xfffe
	s_or_b32 exec_lo, exec_lo, s8
	s_and_saveexec_b32 s8, s3
	s_cbranch_execnz .LBB162_150
.LBB162_132:
	s_wait_alu 0xfffe
	s_or_b32 exec_lo, exec_lo, s8
	s_and_saveexec_b32 s8, s4
	s_cbranch_execnz .LBB162_151
.LBB162_133:
	s_wait_alu 0xfffe
	s_or_b32 exec_lo, exec_lo, s8
	s_and_saveexec_b32 s8, s5
	s_cbranch_execnz .LBB162_152
.LBB162_134:
	s_wait_alu 0xfffe
	s_or_b32 exec_lo, exec_lo, s8
	s_and_saveexec_b32 s8, s6
	s_cbranch_execnz .LBB162_153
.LBB162_135:
	s_wait_alu 0xfffe
	s_or_b32 exec_lo, exec_lo, s8
	s_and_saveexec_b32 s8, s7
	s_cbranch_execz .LBB162_137
.LBB162_136:
	s_mul_i32 s10, s22, 0x380
	s_mov_b32 s11, 0
	s_wait_alu 0xfffe
	s_lshl_b64 s[10:11], s[10:11], 1
	s_wait_alu 0xfffe
	v_add_co_u32 v0, vcc_lo, v0, s10
	s_wait_alu 0xfffd
	v_add_co_ci_u32_e64 v1, null, s11, v1, vcc_lo
	s_wait_dscnt 0x0
	global_store_b16 v[0:1], v2, off
.LBB162_137:
	s_wait_alu 0xfffe
	s_or_b32 exec_lo, exec_lo, s8
	s_wait_storecnt 0x0
	s_wait_loadcnt_dscnt 0x0
	s_barrier_signal -1
	s_barrier_wait -1
	global_inv scope:SCOPE_SE
	ds_store_2addr_b64 v65, v[29:30], v[31:32] offset1:1
	ds_store_2addr_b64 v65, v[25:26], v[27:28] offset0:2 offset1:3
	ds_store_2addr_b64 v65, v[21:22], v[23:24] offset0:4 offset1:5
	;; [unrolled: 1-line block ×3, first 2 shown]
	s_wait_loadcnt_dscnt 0x0
	s_barrier_signal -1
	s_barrier_wait -1
	global_inv scope:SCOPE_SE
	ds_load_b64 v[14:15], v60 offset:1024
	ds_load_b64 v[12:13], v61 offset:2048
	;; [unrolled: 1-line block ×7, first 2 shown]
	v_mov_b32_e32 v42, 0
	s_delay_alu instid0(VALU_DEP_1) | instskip(NEXT) | instid1(VALU_DEP_1)
	v_lshlrev_b64_e32 v[2:3], 3, v[41:42]
	v_add_co_u32 v2, vcc_lo, s34, v2
	s_wait_alu 0xfffd
	s_delay_alu instid0(VALU_DEP_2)
	v_add_co_ci_u32_e64 v3, null, s35, v3, vcc_lo
	s_and_saveexec_b32 s8, s0
	s_cbranch_execnz .LBB162_154
; %bb.138:
	s_wait_alu 0xfffe
	s_or_b32 exec_lo, exec_lo, s8
	s_and_saveexec_b32 s0, s1
	s_cbranch_execnz .LBB162_155
.LBB162_139:
	s_wait_alu 0xfffe
	s_or_b32 exec_lo, exec_lo, s0
	s_and_saveexec_b32 s0, s2
	s_cbranch_execnz .LBB162_156
.LBB162_140:
	s_wait_alu 0xfffe
	s_or_b32 exec_lo, exec_lo, s0
	s_and_saveexec_b32 s0, s3
	s_cbranch_execnz .LBB162_157
.LBB162_141:
	s_wait_alu 0xfffe
	s_or_b32 exec_lo, exec_lo, s0
	s_and_saveexec_b32 s0, s4
	s_cbranch_execnz .LBB162_158
.LBB162_142:
	s_wait_alu 0xfffe
	s_or_b32 exec_lo, exec_lo, s0
	s_and_saveexec_b32 s0, s5
	s_cbranch_execnz .LBB162_159
.LBB162_143:
	s_wait_alu 0xfffe
	s_or_b32 exec_lo, exec_lo, s0
	s_and_saveexec_b32 s0, s6
	s_cbranch_execnz .LBB162_160
.LBB162_144:
	s_wait_alu 0xfffe
	s_or_b32 exec_lo, exec_lo, s0
	s_and_saveexec_b32 s0, s7
	s_cbranch_execz .LBB162_146
.LBB162_145:
	s_mul_i32 s0, s28, 0x380
	s_mov_b32 s1, 0
	s_wait_alu 0xfffe
	s_lshl_b64 s[0:1], s[0:1], 3
	s_wait_alu 0xfffe
	v_add_co_u32 v2, vcc_lo, v2, s0
	s_wait_alu 0xfffd
	v_add_co_ci_u32_e64 v3, null, s1, v3, vcc_lo
	s_wait_dscnt 0x0
	global_store_b64 v[2:3], v[0:1], off
.LBB162_146:
	s_nop 0
	s_sendmsg sendmsg(MSG_DEALLOC_VGPRS)
	s_endpgm
.LBB162_147:
	ds_load_u16 v9, v51
	s_wait_dscnt 0x0
	global_store_b16 v[0:1], v9, off
	s_wait_alu 0xfffe
	s_or_b32 exec_lo, exec_lo, s8
	s_and_saveexec_b32 s8, s1
	s_cbranch_execz .LBB162_130
.LBB162_148:
	s_lshl_b32 s10, s22, 7
	s_mov_b32 s11, 0
	s_wait_alu 0xfffe
	s_lshl_b64 s[10:11], s[10:11], 1
	s_wait_alu 0xfffe
	v_add_co_u32 v9, vcc_lo, v0, s10
	s_wait_alu 0xfffd
	v_add_co_ci_u32_e64 v10, null, s11, v1, vcc_lo
	s_wait_dscnt 0x6
	global_store_b16 v[9:10], v8, off
	s_or_b32 exec_lo, exec_lo, s8
	s_and_saveexec_b32 s8, s2
	s_cbranch_execz .LBB162_131
.LBB162_149:
	s_lshl_b32 s10, s22, 8
	s_mov_b32 s11, 0
	s_wait_alu 0xfffe
	s_lshl_b64 s[10:11], s[10:11], 1
	s_wait_dscnt 0x6
	s_wait_alu 0xfffe
	v_add_co_u32 v8, vcc_lo, v0, s10
	s_wait_alu 0xfffd
	v_add_co_ci_u32_e64 v9, null, s11, v1, vcc_lo
	s_wait_dscnt 0x5
	global_store_b16 v[8:9], v7, off
	s_or_b32 exec_lo, exec_lo, s8
	s_and_saveexec_b32 s8, s3
	s_cbranch_execz .LBB162_132
.LBB162_150:
	s_mul_i32 s10, s22, 0x180
	s_mov_b32 s11, 0
	s_wait_alu 0xfffe
	s_lshl_b64 s[10:11], s[10:11], 1
	s_wait_dscnt 0x5
	s_wait_alu 0xfffe
	v_add_co_u32 v7, vcc_lo, v0, s10
	s_wait_alu 0xfffd
	v_add_co_ci_u32_e64 v8, null, s11, v1, vcc_lo
	s_wait_dscnt 0x4
	global_store_b16 v[7:8], v6, off
	s_or_b32 exec_lo, exec_lo, s8
	s_and_saveexec_b32 s8, s4
	s_cbranch_execz .LBB162_133
.LBB162_151:
	s_lshl_b32 s10, s22, 9
	s_mov_b32 s11, 0
	s_wait_alu 0xfffe
	s_lshl_b64 s[10:11], s[10:11], 1
	s_wait_dscnt 0x4
	s_wait_alu 0xfffe
	v_add_co_u32 v6, vcc_lo, v0, s10
	s_wait_alu 0xfffd
	v_add_co_ci_u32_e64 v7, null, s11, v1, vcc_lo
	s_wait_dscnt 0x3
	global_store_b16 v[6:7], v5, off
	s_or_b32 exec_lo, exec_lo, s8
	s_and_saveexec_b32 s8, s5
	s_cbranch_execz .LBB162_134
.LBB162_152:
	s_mul_i32 s10, s22, 0x280
	s_mov_b32 s11, 0
	s_wait_alu 0xfffe
	s_lshl_b64 s[10:11], s[10:11], 1
	s_wait_dscnt 0x3
	s_wait_alu 0xfffe
	v_add_co_u32 v5, vcc_lo, v0, s10
	s_wait_alu 0xfffd
	v_add_co_ci_u32_e64 v6, null, s11, v1, vcc_lo
	s_wait_dscnt 0x2
	global_store_b16 v[5:6], v4, off
	s_or_b32 exec_lo, exec_lo, s8
	s_and_saveexec_b32 s8, s6
	s_cbranch_execz .LBB162_135
.LBB162_153:
	s_mul_i32 s10, s22, 0x300
	s_mov_b32 s11, 0
	s_wait_alu 0xfffe
	s_lshl_b64 s[10:11], s[10:11], 1
	s_wait_dscnt 0x2
	s_wait_alu 0xfffe
	v_add_co_u32 v4, vcc_lo, v0, s10
	s_wait_alu 0xfffd
	v_add_co_ci_u32_e64 v5, null, s11, v1, vcc_lo
	s_wait_dscnt 0x1
	global_store_b16 v[4:5], v3, off
	s_or_b32 exec_lo, exec_lo, s8
	s_and_saveexec_b32 s8, s7
	s_cbranch_execnz .LBB162_136
	s_branch .LBB162_137
.LBB162_154:
	ds_load_b64 v[16:17], v59
	s_wait_dscnt 0x0
	global_store_b64 v[2:3], v[16:17], off
	s_wait_alu 0xfffe
	s_or_b32 exec_lo, exec_lo, s8
	s_and_saveexec_b32 s0, s1
	s_cbranch_execz .LBB162_139
.LBB162_155:
	s_lshl_b32 s8, s28, 7
	s_mov_b32 s9, 0
	s_wait_alu 0xfffe
	s_lshl_b64 s[8:9], s[8:9], 3
	s_wait_alu 0xfffe
	v_add_co_u32 v16, vcc_lo, v2, s8
	s_wait_alu 0xfffd
	v_add_co_ci_u32_e64 v17, null, s9, v3, vcc_lo
	s_wait_dscnt 0x6
	global_store_b64 v[16:17], v[14:15], off
	s_or_b32 exec_lo, exec_lo, s0
	s_and_saveexec_b32 s0, s2
	s_cbranch_execz .LBB162_140
.LBB162_156:
	s_lshl_b32 s8, s28, 8
	s_mov_b32 s9, 0
	s_wait_alu 0xfffe
	s_lshl_b64 s[8:9], s[8:9], 3
	s_wait_dscnt 0x6
	s_wait_alu 0xfffe
	v_add_co_u32 v14, vcc_lo, v2, s8
	s_wait_alu 0xfffd
	v_add_co_ci_u32_e64 v15, null, s9, v3, vcc_lo
	s_wait_dscnt 0x5
	global_store_b64 v[14:15], v[12:13], off
	s_or_b32 exec_lo, exec_lo, s0
	s_and_saveexec_b32 s0, s3
	s_cbranch_execz .LBB162_141
.LBB162_157:
	s_mul_i32 s2, s28, 0x180
	s_mov_b32 s3, 0
	s_delay_alu instid0(SALU_CYCLE_1)
	s_lshl_b64 s[2:3], s[2:3], 3
	s_wait_dscnt 0x5
	v_add_co_u32 v12, vcc_lo, v2, s2
	s_wait_alu 0xfffd
	v_add_co_ci_u32_e64 v13, null, s3, v3, vcc_lo
	s_wait_dscnt 0x4
	global_store_b64 v[12:13], v[10:11], off
	s_wait_alu 0xfffe
	s_or_b32 exec_lo, exec_lo, s0
	s_and_saveexec_b32 s0, s4
	s_cbranch_execz .LBB162_142
.LBB162_158:
	s_lshl_b32 s2, s28, 9
	s_mov_b32 s3, 0
	s_wait_alu 0xfffe
	s_lshl_b64 s[2:3], s[2:3], 3
	s_wait_dscnt 0x4
	s_wait_alu 0xfffe
	v_add_co_u32 v10, vcc_lo, v2, s2
	s_wait_alu 0xfffd
	v_add_co_ci_u32_e64 v11, null, s3, v3, vcc_lo
	s_wait_dscnt 0x3
	global_store_b64 v[10:11], v[8:9], off
	s_or_b32 exec_lo, exec_lo, s0
	s_and_saveexec_b32 s0, s5
	s_cbranch_execz .LBB162_143
.LBB162_159:
	s_mul_i32 s2, s28, 0x280
	s_mov_b32 s3, 0
	s_wait_alu 0xfffe
	s_lshl_b64 s[2:3], s[2:3], 3
	s_wait_dscnt 0x3
	s_wait_alu 0xfffe
	v_add_co_u32 v8, vcc_lo, v2, s2
	s_wait_alu 0xfffd
	v_add_co_ci_u32_e64 v9, null, s3, v3, vcc_lo
	s_wait_dscnt 0x2
	global_store_b64 v[8:9], v[6:7], off
	s_or_b32 exec_lo, exec_lo, s0
	s_and_saveexec_b32 s0, s6
	s_cbranch_execz .LBB162_144
.LBB162_160:
	s_mul_i32 s2, s28, 0x300
	s_mov_b32 s3, 0
	s_wait_alu 0xfffe
	s_lshl_b64 s[2:3], s[2:3], 3
	s_wait_dscnt 0x2
	s_wait_alu 0xfffe
	v_add_co_u32 v6, vcc_lo, v2, s2
	s_wait_alu 0xfffd
	v_add_co_ci_u32_e64 v7, null, s3, v3, vcc_lo
	s_wait_dscnt 0x1
	global_store_b64 v[6:7], v[4:5], off
	s_or_b32 exec_lo, exec_lo, s0
	s_and_saveexec_b32 s0, s7
	s_cbranch_execnz .LBB162_145
	s_branch .LBB162_146
	.section	.rodata,"a",@progbits
	.p2align	6, 0x0
	.amdhsa_kernel _ZN2at6native18radixSortKVInPlaceILin2ELin1ELi128ELi8EsljEEvNS_4cuda6detail10TensorInfoIT3_T5_EES6_S6_S6_NS4_IT4_S6_EES6_b
		.amdhsa_group_segment_fixed_size 8448
		.amdhsa_private_segment_fixed_size 0
		.amdhsa_kernarg_size 712
		.amdhsa_user_sgpr_count 2
		.amdhsa_user_sgpr_dispatch_ptr 0
		.amdhsa_user_sgpr_queue_ptr 0
		.amdhsa_user_sgpr_kernarg_segment_ptr 1
		.amdhsa_user_sgpr_dispatch_id 0
		.amdhsa_user_sgpr_private_segment_size 0
		.amdhsa_wavefront_size32 1
		.amdhsa_uses_dynamic_stack 0
		.amdhsa_enable_private_segment 0
		.amdhsa_system_sgpr_workgroup_id_x 1
		.amdhsa_system_sgpr_workgroup_id_y 1
		.amdhsa_system_sgpr_workgroup_id_z 1
		.amdhsa_system_sgpr_workgroup_info 0
		.amdhsa_system_vgpr_workitem_id 2
		.amdhsa_next_free_vgpr 117
		.amdhsa_next_free_sgpr 38
		.amdhsa_reserve_vcc 1
		.amdhsa_float_round_mode_32 0
		.amdhsa_float_round_mode_16_64 0
		.amdhsa_float_denorm_mode_32 3
		.amdhsa_float_denorm_mode_16_64 3
		.amdhsa_fp16_overflow 0
		.amdhsa_workgroup_processor_mode 1
		.amdhsa_memory_ordered 1
		.amdhsa_forward_progress 1
		.amdhsa_inst_pref_size 168
		.amdhsa_round_robin_scheduling 0
		.amdhsa_exception_fp_ieee_invalid_op 0
		.amdhsa_exception_fp_denorm_src 0
		.amdhsa_exception_fp_ieee_div_zero 0
		.amdhsa_exception_fp_ieee_overflow 0
		.amdhsa_exception_fp_ieee_underflow 0
		.amdhsa_exception_fp_ieee_inexact 0
		.amdhsa_exception_int_div_zero 0
	.end_amdhsa_kernel
	.section	.text._ZN2at6native18radixSortKVInPlaceILin2ELin1ELi128ELi8EsljEEvNS_4cuda6detail10TensorInfoIT3_T5_EES6_S6_S6_NS4_IT4_S6_EES6_b,"axG",@progbits,_ZN2at6native18radixSortKVInPlaceILin2ELin1ELi128ELi8EsljEEvNS_4cuda6detail10TensorInfoIT3_T5_EES6_S6_S6_NS4_IT4_S6_EES6_b,comdat
.Lfunc_end162:
	.size	_ZN2at6native18radixSortKVInPlaceILin2ELin1ELi128ELi8EsljEEvNS_4cuda6detail10TensorInfoIT3_T5_EES6_S6_S6_NS4_IT4_S6_EES6_b, .Lfunc_end162-_ZN2at6native18radixSortKVInPlaceILin2ELin1ELi128ELi8EsljEEvNS_4cuda6detail10TensorInfoIT3_T5_EES6_S6_S6_NS4_IT4_S6_EES6_b
                                        ; -- End function
	.set _ZN2at6native18radixSortKVInPlaceILin2ELin1ELi128ELi8EsljEEvNS_4cuda6detail10TensorInfoIT3_T5_EES6_S6_S6_NS4_IT4_S6_EES6_b.num_vgpr, 117
	.set _ZN2at6native18radixSortKVInPlaceILin2ELin1ELi128ELi8EsljEEvNS_4cuda6detail10TensorInfoIT3_T5_EES6_S6_S6_NS4_IT4_S6_EES6_b.num_agpr, 0
	.set _ZN2at6native18radixSortKVInPlaceILin2ELin1ELi128ELi8EsljEEvNS_4cuda6detail10TensorInfoIT3_T5_EES6_S6_S6_NS4_IT4_S6_EES6_b.numbered_sgpr, 38
	.set _ZN2at6native18radixSortKVInPlaceILin2ELin1ELi128ELi8EsljEEvNS_4cuda6detail10TensorInfoIT3_T5_EES6_S6_S6_NS4_IT4_S6_EES6_b.num_named_barrier, 0
	.set _ZN2at6native18radixSortKVInPlaceILin2ELin1ELi128ELi8EsljEEvNS_4cuda6detail10TensorInfoIT3_T5_EES6_S6_S6_NS4_IT4_S6_EES6_b.private_seg_size, 0
	.set _ZN2at6native18radixSortKVInPlaceILin2ELin1ELi128ELi8EsljEEvNS_4cuda6detail10TensorInfoIT3_T5_EES6_S6_S6_NS4_IT4_S6_EES6_b.uses_vcc, 1
	.set _ZN2at6native18radixSortKVInPlaceILin2ELin1ELi128ELi8EsljEEvNS_4cuda6detail10TensorInfoIT3_T5_EES6_S6_S6_NS4_IT4_S6_EES6_b.uses_flat_scratch, 0
	.set _ZN2at6native18radixSortKVInPlaceILin2ELin1ELi128ELi8EsljEEvNS_4cuda6detail10TensorInfoIT3_T5_EES6_S6_S6_NS4_IT4_S6_EES6_b.has_dyn_sized_stack, 0
	.set _ZN2at6native18radixSortKVInPlaceILin2ELin1ELi128ELi8EsljEEvNS_4cuda6detail10TensorInfoIT3_T5_EES6_S6_S6_NS4_IT4_S6_EES6_b.has_recursion, 0
	.set _ZN2at6native18radixSortKVInPlaceILin2ELin1ELi128ELi8EsljEEvNS_4cuda6detail10TensorInfoIT3_T5_EES6_S6_S6_NS4_IT4_S6_EES6_b.has_indirect_call, 0
	.section	.AMDGPU.csdata,"",@progbits
; Kernel info:
; codeLenInByte = 21380
; TotalNumSgprs: 40
; NumVgprs: 117
; ScratchSize: 0
; MemoryBound: 0
; FloatMode: 240
; IeeeMode: 1
; LDSByteSize: 8448 bytes/workgroup (compile time only)
; SGPRBlocks: 0
; VGPRBlocks: 14
; NumSGPRsForWavesPerEU: 40
; NumVGPRsForWavesPerEU: 117
; Occupancy: 12
; WaveLimiterHint : 1
; COMPUTE_PGM_RSRC2:SCRATCH_EN: 0
; COMPUTE_PGM_RSRC2:USER_SGPR: 2
; COMPUTE_PGM_RSRC2:TRAP_HANDLER: 0
; COMPUTE_PGM_RSRC2:TGID_X_EN: 1
; COMPUTE_PGM_RSRC2:TGID_Y_EN: 1
; COMPUTE_PGM_RSRC2:TGID_Z_EN: 1
; COMPUTE_PGM_RSRC2:TIDIG_COMP_CNT: 2
	.section	.text._ZN2at6native18radixSortKVInPlaceILin2ELin1ELi32ELi4EsljEEvNS_4cuda6detail10TensorInfoIT3_T5_EES6_S6_S6_NS4_IT4_S6_EES6_b,"axG",@progbits,_ZN2at6native18radixSortKVInPlaceILin2ELin1ELi32ELi4EsljEEvNS_4cuda6detail10TensorInfoIT3_T5_EES6_S6_S6_NS4_IT4_S6_EES6_b,comdat
	.protected	_ZN2at6native18radixSortKVInPlaceILin2ELin1ELi32ELi4EsljEEvNS_4cuda6detail10TensorInfoIT3_T5_EES6_S6_S6_NS4_IT4_S6_EES6_b ; -- Begin function _ZN2at6native18radixSortKVInPlaceILin2ELin1ELi32ELi4EsljEEvNS_4cuda6detail10TensorInfoIT3_T5_EES6_S6_S6_NS4_IT4_S6_EES6_b
	.globl	_ZN2at6native18radixSortKVInPlaceILin2ELin1ELi32ELi4EsljEEvNS_4cuda6detail10TensorInfoIT3_T5_EES6_S6_S6_NS4_IT4_S6_EES6_b
	.p2align	8
	.type	_ZN2at6native18radixSortKVInPlaceILin2ELin1ELi32ELi4EsljEEvNS_4cuda6detail10TensorInfoIT3_T5_EES6_S6_S6_NS4_IT4_S6_EES6_b,@function
_ZN2at6native18radixSortKVInPlaceILin2ELin1ELi32ELi4EsljEEvNS_4cuda6detail10TensorInfoIT3_T5_EES6_S6_S6_NS4_IT4_S6_EES6_b: ; @_ZN2at6native18radixSortKVInPlaceILin2ELin1ELi32ELi4EsljEEvNS_4cuda6detail10TensorInfoIT3_T5_EES6_S6_S6_NS4_IT4_S6_EES6_b
; %bb.0:
	s_clause 0x1
	s_load_b64 s[2:3], s[0:1], 0x1c8
	s_load_b96 s[12:14], s[0:1], 0xd8
	s_lshr_b32 s4, ttmp7, 16
	s_wait_kmcnt 0x0
	s_mul_i32 s3, s3, s4
	s_and_b32 s4, ttmp7, 0xffff
	s_delay_alu instid0(SALU_CYCLE_1) | instskip(NEXT) | instid1(SALU_CYCLE_1)
	s_add_co_i32 s3, s3, s4
	s_mul_i32 s8, s3, s2
	s_delay_alu instid0(SALU_CYCLE_1) | instskip(NEXT) | instid1(SALU_CYCLE_1)
	s_add_co_i32 s8, s8, ttmp9
	s_cmp_ge_u32 s8, s12
	s_cbranch_scc1 .LBB163_74
; %bb.1:
	s_load_b32 s2, s[0:1], 0x1b8
	s_add_nc_u64 s[6:7], s[0:1], 0xe8
	s_mov_b32 s5, 0
	s_mov_b32 s10, s8
	s_wait_kmcnt 0x0
	s_cmp_lt_i32 s2, 2
	s_cbranch_scc1 .LBB163_4
; %bb.2:
	s_add_co_i32 s4, s2, -1
	s_delay_alu instid0(SALU_CYCLE_1) | instskip(SKIP_2) | instid1(SALU_CYCLE_1)
	s_lshl_b64 s[10:11], s[4:5], 2
	s_add_co_i32 s4, s2, 1
	s_add_nc_u64 s[10:11], s[6:7], s[10:11]
	s_add_nc_u64 s[2:3], s[10:11], 8
	s_mov_b32 s10, s8
.LBB163_3:                              ; =>This Inner Loop Header: Depth=1
	s_clause 0x1
	s_load_b32 s9, s[2:3], 0x0
	s_load_b32 s11, s[2:3], 0x64
	s_mov_b32 s16, s10
	s_add_nc_u64 s[2:3], s[2:3], -4
	s_wait_kmcnt 0x0
	s_cvt_f32_u32 s12, s9
	s_sub_co_i32 s15, 0, s9
	s_wait_alu 0xfffe
	s_delay_alu instid0(SALU_CYCLE_1) | instskip(NEXT) | instid1(TRANS32_DEP_1)
	v_rcp_iflag_f32_e32 v1, s12
	v_readfirstlane_b32 s12, v1
	s_mul_f32 s12, s12, 0x4f7ffffe
	s_wait_alu 0xfffe
	s_delay_alu instid0(SALU_CYCLE_2) | instskip(SKIP_1) | instid1(SALU_CYCLE_2)
	s_cvt_u32_f32 s12, s12
	s_wait_alu 0xfffe
	s_mul_i32 s15, s15, s12
	s_delay_alu instid0(SALU_CYCLE_1) | instskip(NEXT) | instid1(SALU_CYCLE_1)
	s_mul_hi_u32 s15, s12, s15
	s_add_co_i32 s12, s12, s15
	s_wait_alu 0xfffe
	s_mul_hi_u32 s10, s10, s12
	s_delay_alu instid0(SALU_CYCLE_1)
	s_mul_i32 s12, s10, s9
	s_add_co_i32 s15, s10, 1
	s_wait_alu 0xfffe
	s_sub_co_i32 s12, s16, s12
	s_wait_alu 0xfffe
	s_sub_co_i32 s17, s12, s9
	s_cmp_ge_u32 s12, s9
	s_cselect_b32 s10, s15, s10
	s_cselect_b32 s12, s17, s12
	s_add_co_i32 s15, s10, 1
	s_wait_alu 0xfffe
	s_cmp_ge_u32 s12, s9
	s_cselect_b32 s10, s15, s10
	s_add_co_i32 s4, s4, -1
	s_mul_i32 s9, s10, s9
	s_delay_alu instid0(SALU_CYCLE_1) | instskip(NEXT) | instid1(SALU_CYCLE_1)
	s_sub_co_i32 s9, s16, s9
	s_mul_i32 s9, s11, s9
	s_delay_alu instid0(SALU_CYCLE_1)
	s_add_co_i32 s5, s9, s5
	s_cmp_gt_u32 s4, 2
	s_cbranch_scc1 .LBB163_3
.LBB163_4:
	s_clause 0x2
	s_load_b64 s[16:17], s[0:1], 0x1c0
	s_load_b64 s[2:3], s[0:1], 0x0
	s_load_b32 s4, s[0:1], 0x6c
	s_add_nc_u64 s[22:23], s[0:1], 0x1c8
	s_mov_b32 s0, 0x8000
	s_mov_b32 s19, 0
	s_wait_kmcnt 0x0
	s_bitcmp1_b32 s17, 0
	s_mul_i32 s18, s4, s8
	s_cselect_b32 s4, -1, 0
	s_delay_alu instid0(SALU_CYCLE_1)
	s_and_b32 s1, s4, exec_lo
	s_cselect_b32 s1, s0, 0x7fff
	s_lshl_b64 s[18:19], s[18:19], 1
	s_pack_ll_b32_b16 s8, s1, s1
	v_mov_b32_e32 v3, s1
	s_mov_b32 s9, s8
	v_and_b32_e32 v21, 0x3ff, v0
	v_dual_mov_b32 v1, s8 :: v_dual_mov_b32 v2, s9
	s_add_nc_u64 s[18:19], s[2:3], s[18:19]
	s_delay_alu instid0(VALU_DEP_2)
	v_mul_lo_u32 v17, s14, v21
	v_cmp_gt_u32_e64 s0, s13, v21
	s_and_saveexec_b32 s1, s0
	s_cbranch_execz .LBB163_6
; %bb.5:
	v_mov_b32_e32 v18, 0
	s_delay_alu instid0(VALU_DEP_1) | instskip(NEXT) | instid1(VALU_DEP_1)
	v_lshlrev_b64_e32 v[1:2], 1, v[17:18]
	v_add_co_u32 v1, vcc_lo, s18, v1
	s_delay_alu instid0(VALU_DEP_1)
	v_add_co_ci_u32_e64 v2, null, s19, v2, vcc_lo
	global_load_u16 v3, v[1:2], off
	v_mov_b32_e32 v2, s8
	s_wait_loadcnt 0x0
	v_bfi_b32 v1, 0xffff, v3, s8
.LBB163_6:
	s_wait_alu 0xfffe
	s_or_b32 exec_lo, exec_lo, s1
	v_add_nc_u32_e32 v9, 32, v21
	s_delay_alu instid0(VALU_DEP_1)
	v_cmp_gt_u32_e64 s1, s13, v9
	s_and_saveexec_b32 s2, s1
	s_cbranch_execz .LBB163_8
; %bb.7:
	v_mul_lo_u32 v4, s14, v9
	v_mov_b32_e32 v5, 0
	s_delay_alu instid0(VALU_DEP_1) | instskip(NEXT) | instid1(VALU_DEP_1)
	v_lshlrev_b64_e32 v[4:5], 1, v[4:5]
	v_add_co_u32 v4, vcc_lo, s18, v4
	s_wait_alu 0xfffd
	s_delay_alu instid0(VALU_DEP_2)
	v_add_co_ci_u32_e64 v5, null, s19, v5, vcc_lo
	global_load_d16_hi_b16 v1, v[4:5], off
.LBB163_8:
	s_or_b32 exec_lo, exec_lo, s2
	v_add_nc_u32_e32 v10, 64, v21
	s_delay_alu instid0(VALU_DEP_1)
	v_cmp_gt_u32_e64 s2, s13, v10
	s_and_saveexec_b32 s3, s2
	s_cbranch_execz .LBB163_10
; %bb.9:
	v_mul_lo_u32 v4, s14, v10
	v_mov_b32_e32 v5, 0
	s_delay_alu instid0(VALU_DEP_1) | instskip(NEXT) | instid1(VALU_DEP_1)
	v_lshlrev_b64_e32 v[4:5], 1, v[4:5]
	v_add_co_u32 v4, vcc_lo, s18, v4
	s_wait_alu 0xfffd
	s_delay_alu instid0(VALU_DEP_2)
	v_add_co_ci_u32_e64 v5, null, s19, v5, vcc_lo
	global_load_d16_b16 v2, v[4:5], off
.LBB163_10:
	s_or_b32 exec_lo, exec_lo, s3
	s_clause 0x1
	s_load_b32 s8, s[6:7], 0x6c
	s_load_b64 s[6:7], s[6:7], 0x0
	v_add_nc_u32_e32 v11, 0x60, v21
	s_delay_alu instid0(VALU_DEP_1)
	v_cmp_gt_u32_e64 s3, s13, v11
	s_and_saveexec_b32 s9, s3
	s_cbranch_execz .LBB163_12
; %bb.11:
	v_mul_lo_u32 v4, s14, v11
	v_mov_b32_e32 v5, 0
	s_delay_alu instid0(VALU_DEP_1) | instskip(NEXT) | instid1(VALU_DEP_1)
	v_lshlrev_b64_e32 v[4:5], 1, v[4:5]
	v_add_co_u32 v4, vcc_lo, s18, v4
	s_wait_alu 0xfffd
	s_delay_alu instid0(VALU_DEP_2)
	v_add_co_ci_u32_e64 v5, null, s19, v5, vcc_lo
	s_wait_loadcnt 0x0
	global_load_d16_hi_b16 v2, v[4:5], off
.LBB163_12:
	s_wait_alu 0xfffe
	s_or_b32 exec_lo, exec_lo, s9
	v_lshrrev_b32_e32 v4, 4, v21
	v_lshrrev_b32_e32 v5, 4, v9
	v_lshlrev_b32_e32 v6, 1, v21
	v_lshrrev_b32_e32 v12, 2, v21
	v_lshrrev_b32_e32 v7, 4, v10
	v_and_b32_e32 v4, 60, v4
	v_and_b32_e32 v5, 0x7c, v5
	v_lshrrev_b32_e32 v8, 4, v11
	s_wait_kmcnt 0x0
	s_mul_i32 s8, s8, s10
	v_and_b32_e32 v7, 0x7c, v7
	v_add_nc_u32_e32 v32, v4, v6
	v_and_b32_e32 v4, 0xfc, v12
	v_add_nc_u32_e32 v18, v5, v6
	v_and_b32_e32 v8, 0x7c, v8
	v_mul_lo_u32 v19, s16, v21
	ds_store_b16 v32, v3
	s_wait_loadcnt 0x0
	ds_store_b16_d16_hi v18, v1 offset:64
	v_lshl_add_u32 v35, v21, 3, v4
	v_mov_b32_e32 v3, 0
	v_dual_mov_b32 v4, 0 :: v_dual_add_nc_u32 v33, v7, v6
	v_add_nc_u32_e32 v34, v8, v6
	ds_store_b16 v33, v2 offset:128
	ds_store_b16_d16_hi v34, v2 offset:192
	s_wait_dscnt 0x0
	; wave barrier
	global_inv scope:SCOPE_SE
	ds_load_2addr_b32 v[22:23], v35 offset1:1
	s_wait_alu 0xfffe
	s_add_co_i32 s8, s8, s5
	s_mov_b32 s9, 0
	v_mov_b32_e32 v1, 0
	v_mov_b32_e32 v2, 0
	s_wait_alu 0xfffe
	s_lshl_b64 s[8:9], s[8:9], 3
	s_wait_loadcnt_dscnt 0x0
	s_wait_alu 0xfffe
	s_add_nc_u64 s[20:21], s[6:7], s[8:9]
	; wave barrier
	global_inv scope:SCOPE_SE
	s_and_saveexec_b32 s5, s0
	s_cbranch_execz .LBB163_14
; %bb.13:
	v_mov_b32_e32 v20, 0
	s_delay_alu instid0(VALU_DEP_1) | instskip(NEXT) | instid1(VALU_DEP_1)
	v_lshlrev_b64_e32 v[3:4], 3, v[19:20]
	v_add_co_u32 v3, vcc_lo, s20, v3
	s_wait_alu 0xfffd
	s_delay_alu instid0(VALU_DEP_2)
	v_add_co_ci_u32_e64 v4, null, s21, v4, vcc_lo
	global_load_b64 v[3:4], v[3:4], off
.LBB163_14:
	s_or_b32 exec_lo, exec_lo, s5
	s_and_saveexec_b32 s5, s1
	s_cbranch_execz .LBB163_16
; %bb.15:
	v_mul_lo_u32 v1, s16, v9
	v_mov_b32_e32 v2, 0
	s_delay_alu instid0(VALU_DEP_1) | instskip(NEXT) | instid1(VALU_DEP_1)
	v_lshlrev_b64_e32 v[1:2], 3, v[1:2]
	v_add_co_u32 v1, vcc_lo, s20, v1
	s_wait_alu 0xfffd
	s_delay_alu instid0(VALU_DEP_2)
	v_add_co_ci_u32_e64 v2, null, s21, v2, vcc_lo
	global_load_b64 v[1:2], v[1:2], off
.LBB163_16:
	s_or_b32 exec_lo, exec_lo, s5
	v_mov_b32_e32 v5, 0
	v_dual_mov_b32 v6, 0 :: v_dual_mov_b32 v7, 0
	v_mov_b32_e32 v8, 0
	s_and_saveexec_b32 s5, s2
	s_cbranch_execz .LBB163_18
; %bb.17:
	v_mul_lo_u32 v7, s16, v10
	v_mov_b32_e32 v8, 0
	s_delay_alu instid0(VALU_DEP_1) | instskip(NEXT) | instid1(VALU_DEP_1)
	v_lshlrev_b64_e32 v[7:8], 3, v[7:8]
	v_add_co_u32 v7, vcc_lo, s20, v7
	s_wait_alu 0xfffd
	s_delay_alu instid0(VALU_DEP_2)
	v_add_co_ci_u32_e64 v8, null, s21, v8, vcc_lo
	global_load_b64 v[7:8], v[7:8], off
.LBB163_18:
	s_or_b32 exec_lo, exec_lo, s5
	v_lshrrev_b32_e32 v12, 5, v21
	v_lshrrev_b32_e32 v9, 5, v9
	;; [unrolled: 1-line block ×4, first 2 shown]
	v_lshlrev_b32_e32 v41, 2, v21
	v_lshrrev_b32_e32 v14, 3, v21
	s_xor_b32 s7, s4, -1
	s_and_saveexec_b32 s4, s3
	s_cbranch_execz .LBB163_20
; %bb.19:
	v_mul_lo_u32 v5, s16, v11
	v_mov_b32_e32 v6, 0
	s_delay_alu instid0(VALU_DEP_1) | instskip(NEXT) | instid1(VALU_DEP_1)
	v_lshlrev_b64_e32 v[5:6], 3, v[5:6]
	v_add_co_u32 v5, vcc_lo, s20, v5
	s_wait_alu 0xfffd
	s_delay_alu instid0(VALU_DEP_2)
	v_add_co_ci_u32_e64 v6, null, s21, v6, vcc_lo
	global_load_b64 v[5:6], v[5:6], off
.LBB163_20:
	s_or_b32 exec_lo, exec_lo, s4
	v_lshlrev_b32_e32 v11, 3, v21
	v_lshlrev_b32_e32 v40, 3, v41
	v_mbcnt_lo_u32_b32 v43, -1, 0
	v_lshrrev_b32_e32 v48, 16, v22
	v_lshrrev_b32_e32 v47, 16, v23
	v_lshl_add_u32 v36, v12, 3, v11
	v_lshl_add_u32 v39, v14, 3, v40
	v_lshl_add_u32 v20, v9, 3, v11
	v_lshl_add_u32 v37, v10, 3, v11
	v_lshl_add_u32 v38, v13, 3, v11
	s_wait_loadcnt 0x0
	ds_store_b64 v36, v[3:4]
	ds_store_b64 v20, v[1:2] offset:256
	ds_store_b64 v37, v[7:8] offset:512
	ds_store_b64 v38, v[5:6] offset:768
	s_wait_dscnt 0x0
	; wave barrier
	global_inv scope:SCOPE_SE
	ds_load_2addr_b64 v[5:8], v39 offset1:1
	ds_load_2addr_b64 v[1:4], v39 offset0:2 offset1:3
	v_and_b32_e32 v46, 3, v43
	v_and_b32_e32 v44, 28, v43
	s_and_b32 vcc_lo, exec_lo, s7
	v_bfe_u32 v45, v0, 10, 10
	v_bfe_u32 v0, v0, 20, 10
	v_cmp_eq_u32_e64 s6, 0, v46
	v_cmp_eq_u32_e64 s5, 1, v46
	v_cmp_eq_u32_e64 s4, 2, v46
	v_cmp_eq_u32_e64 s7, 3, v46
	v_lshlrev_b32_e32 v42, 5, v21
	s_mov_b32 s8, -1
	; wave barrier
	s_wait_loadcnt_dscnt 0x0
	global_inv scope:SCOPE_SE
                                        ; implicit-def: $vgpr14
                                        ; implicit-def: $vgpr13
	s_wait_alu 0xfffe
	s_cbranch_vccz .LBB163_42
; %bb.21:
	v_xor_b32_e32 v9, 0xffff8000, v22
	v_xor_b32_e32 v10, 0xffff8000, v48
	;; [unrolled: 1-line block ×4, first 2 shown]
	s_getpc_b64 s[8:9]
	s_wait_alu 0xfffe
	s_sext_i32_i16 s9, s9
	s_add_co_u32 s8, s8, _ZN7rocprim17ROCPRIM_400000_NS16block_radix_sortIsLj32ELj4ElLj1ELj1ELj0ELNS0_26block_radix_rank_algorithmE1ELNS0_18block_padding_hintE2ELNS0_4arch9wavefront6targetE0EE19radix_bits_per_passE@rel32@lo+12
	s_wait_alu 0xfffe
	s_add_co_ci_u32 s9, s9, _ZN7rocprim17ROCPRIM_400000_NS16block_radix_sortIsLj32ELj4ElLj1ELj1ELj0ELNS0_26block_radix_rank_algorithmE1ELNS0_18block_padding_hintE2ELNS0_4arch9wavefront6targetE0EE19radix_bits_per_passE@rel32@hi+24
	v_and_b32_e32 v9, 0xffff, v9
	v_and_b32_e32 v10, 0xffff, v10
	;; [unrolled: 1-line block ×4, first 2 shown]
	s_load_b32 s15, s[8:9], 0x0
	ds_bpermute_b32 v12, v44, v9
	ds_bpermute_b32 v14, v44, v10
	ds_bpermute_b32 v15, v44, v11
	ds_bpermute_b32 v16, v44, v13
	ds_bpermute_b32 v24, v44, v9 offset:64
	ds_bpermute_b32 v52, v44, v9 offset:32
	;; [unrolled: 1-line block ×6, first 2 shown]
	; wave barrier
	s_wait_loadcnt_dscnt 0x0
	global_inv scope:SCOPE_SE
	s_load_b32 s8, s[22:23], 0xc
	ds_bpermute_b32 v65, v44, v5
	ds_bpermute_b32 v66, v44, v6
	;; [unrolled: 1-line block ×6, first 2 shown]
	s_wait_kmcnt 0x0
	s_min_u32 s9, s15, 16
	v_and_b32_e32 v12, 0xffff, v12
	v_and_b32_e32 v14, 0xffff, v14
	;; [unrolled: 1-line block ×5, first 2 shown]
	v_cndmask_b32_e64 v12, 0, v12, s6
	s_wait_alu 0xfffe
	s_lshl_b32 s9, -1, s9
	ds_bpermute_b32 v25, v44, v3
	s_wait_alu 0xfffe
	s_not_b32 s9, s9
	v_cndmask_b32_e64 v24, 0, v24, s6
	v_cndmask_b32_e64 v12, v12, v14, s5
	ds_bpermute_b32 v14, v44, v10 offset:32
	s_lshr_b32 s10, s8, 16
	s_and_b32 s11, s8, 0xffff
	v_bfi_b32 v57, 0xffff, v53, v24
	v_cndmask_b32_e64 v12, v12, v15, s4
	ds_bpermute_b32 v15, v44, v11 offset:64
	ds_bpermute_b32 v10, v44, v10 offset:96
	ds_bpermute_b32 v26, v44, v4
	v_cndmask_b32_e64 v24, v24, v57, s5
	v_cndmask_b32_e64 v12, v12, v16, s7
	ds_bpermute_b32 v16, v44, v11 offset:32
	ds_bpermute_b32 v68, v44, v5 offset:32
	;; [unrolled: 1-line block ×4, first 2 shown]
	v_perm_b32 v56, v52, v12, 0x5040100
	ds_bpermute_b32 v55, v44, v8 offset:32
	ds_bpermute_b32 v30, v44, v1 offset:32
	;; [unrolled: 1-line block ×4, first 2 shown]
	v_cndmask_b32_e64 v12, v12, v56, s6
	ds_bpermute_b32 v31, v44, v4 offset:32
	ds_bpermute_b32 v67, v44, v5 offset:64
	;; [unrolled: 1-line block ×4, first 2 shown]
	s_wait_dscnt 0xf
	v_perm_b32 v14, v14, v12, 0x5040100
	s_wait_dscnt 0xe
	v_bfi_b32 v15, 0xffff, v15, v24
	ds_bpermute_b32 v59, v44, v8 offset:64
	ds_bpermute_b32 v52, v44, v1 offset:64
	ds_bpermute_b32 v53, v44, v2 offset:64
	v_cndmask_b32_e64 v12, v12, v14, s5
	v_cndmask_b32_e64 v14, v24, v15, s4
	ds_bpermute_b32 v56, v44, v3 offset:64
	ds_bpermute_b32 v57, v44, v4 offset:64
	;; [unrolled: 1-line block ×3, first 2 shown]
	s_wait_dscnt 0x11
	v_perm_b32 v15, v16, v12, 0x5040100
	v_bfi_b32 v16, 0xffff, v60, v14
	ds_bpermute_b32 v69, v44, v6 offset:96
	ds_bpermute_b32 v61, v44, v7 offset:96
	;; [unrolled: 1-line block ×3, first 2 shown]
	v_cndmask_b32_e64 v12, v12, v15, s4
	v_cndmask_b32_e64 v14, v14, v16, s7
	ds_bpermute_b32 v16, v44, v11 offset:96
	v_mad_u32_u24 v11, v0, s10, v45
	ds_bpermute_b32 v60, v44, v1 offset:96
	v_perm_b32 v15, v64, v12, 0x5040100
	v_perm_b32 v9, v9, v14, 0x5040100
	s_delay_alu instid0(VALU_DEP_2) | instskip(SKIP_4) | instid1(VALU_DEP_2)
	v_cndmask_b32_e64 v64, v12, v15, s7
	ds_bpermute_b32 v12, v44, v13 offset:96
	v_cndmask_b32_e64 v9, v14, v9, s6
	s_wait_alu 0xfffe
	v_and_b32_e32 v13, s9, v64
	v_perm_b32 v10, v10, v9, 0x5040100
	s_delay_alu instid0(VALU_DEP_2)
	v_and_b32_e32 v14, 1, v13
	v_lshlrev_b32_e32 v15, 30, v13
	v_lshlrev_b32_e32 v24, 29, v13
	;; [unrolled: 1-line block ×4, first 2 shown]
	v_add_co_u32 v14, s8, v14, -1
	s_wait_alu 0xf1ff
	v_cndmask_b32_e64 v73, 0, 1, s8
	v_not_b32_e32 v77, v15
	v_cmp_gt_i32_e64 s8, 0, v15
	v_not_b32_e32 v15, v24
	v_lshlrev_b32_e32 v75, 26, v13
	v_cmp_ne_u32_e32 vcc_lo, 0, v73
	v_ashrrev_i32_e32 v77, 31, v77
	v_lshlrev_b32_e32 v76, 25, v13
	v_ashrrev_i32_e32 v15, 31, v15
	v_lshlrev_b32_e32 v73, 24, v13
	s_wait_alu 0xfffd
	v_xor_b32_e32 v14, vcc_lo, v14
	v_cmp_gt_i32_e32 vcc_lo, 0, v24
	v_not_b32_e32 v24, v71
	s_wait_alu 0xf1ff
	v_xor_b32_e32 v77, s8, v77
	v_cmp_gt_i32_e64 s8, 0, v71
	v_and_b32_e32 v14, exec_lo, v14
	v_not_b32_e32 v71, v74
	v_ashrrev_i32_e32 v24, 31, v24
	s_wait_alu 0xfffd
	v_xor_b32_e32 v15, vcc_lo, v15
	v_cmp_gt_i32_e32 vcc_lo, 0, v74
	v_and_b32_e32 v14, v14, v77
	v_not_b32_e32 v74, v75
	v_ashrrev_i32_e32 v71, 31, v71
	s_wait_alu 0xf1ff
	v_xor_b32_e32 v24, s8, v24
	v_cmp_gt_i32_e64 s8, 0, v75
	v_and_b32_e32 v14, v14, v15
	v_not_b32_e32 v15, v76
	v_ashrrev_i32_e32 v74, 31, v74
	s_wait_alu 0xfffd
	v_xor_b32_e32 v71, vcc_lo, v71
	v_cmp_gt_i32_e32 vcc_lo, 0, v76
	v_and_b32_e32 v14, v14, v24
	v_not_b32_e32 v24, v73
	v_ashrrev_i32_e32 v15, 31, v15
	s_wait_alu 0xf1ff
	v_xor_b32_e32 v74, s8, v74
	v_cndmask_b32_e64 v9, v9, v10, s5
	v_and_b32_e32 v14, v14, v71
	v_cmp_gt_i32_e64 s8, 0, v73
	v_ashrrev_i32_e32 v24, 31, v24
	s_wait_alu 0xfffd
	v_xor_b32_e32 v15, vcc_lo, v15
	v_mad_co_u64_u32 v[10:11], null, v11, s11, v[21:22]
	v_and_b32_e32 v14, v14, v74
	s_wait_dscnt 0x2
	v_perm_b32 v11, v16, v9, 0x5040100
	s_wait_alu 0xf1ff
	v_xor_b32_e32 v16, s8, v24
	ds_bpermute_b32 v75, v44, v2 offset:96
	ds_bpermute_b32 v73, v44, v3 offset:96
	v_and_b32_e32 v14, v14, v15
	ds_bpermute_b32 v74, v44, v4 offset:96
	v_cndmask_b32_e64 v11, v9, v11, s4
	v_lshrrev_b32_e32 v10, 5, v10
	v_dual_mov_b32 v14, 0 :: v_dual_and_b32 v9, v14, v16
	s_wait_dscnt 0x3
	s_delay_alu instid0(VALU_DEP_3) | instskip(NEXT) | instid1(VALU_DEP_3)
	v_perm_b32 v12, v12, v11, 0x5040100
	v_lshlrev_b32_e32 v24, 2, v10
	v_and_b32_e32 v10, 0xffff, v13
	v_mbcnt_lo_u32_b32 v77, v9, 0
	v_cmp_ne_u32_e64 s8, 0, v9
	v_cndmask_b32_e64 v76, v11, v12, s7
	ds_store_2addr_b32 v42, v14, v14 offset0:1 offset1:2
	ds_store_2addr_b32 v42, v14, v14 offset0:3 offset1:4
	;; [unrolled: 1-line block ×4, first 2 shown]
	v_lshl_add_u32 v79, v10, 2, v24
	v_cmp_eq_u32_e32 vcc_lo, 0, v77
	; wave barrier
	s_wait_loadcnt_dscnt 0x0
	global_inv scope:SCOPE_SE
	; wave barrier
	s_and_b32 s10, s8, vcc_lo
	s_wait_alu 0xfffe
	s_and_saveexec_b32 s8, s10
; %bb.22:
	v_bcnt_u32_b32 v9, v9, 0
	ds_store_b32 v79, v9 offset:4
; %bb.23:
	s_wait_alu 0xfffe
	s_or_b32 exec_lo, exec_lo, s8
	v_lshrrev_b32_e32 v78, 16, v64
	; wave barrier
	s_delay_alu instid0(VALU_DEP_1) | instskip(NEXT) | instid1(VALU_DEP_1)
	v_and_b32_e32 v9, s9, v78
	v_and_b32_e32 v10, 1, v9
	v_lshlrev_b32_e32 v11, 30, v9
	v_lshlrev_b32_e32 v12, 29, v9
	;; [unrolled: 1-line block ×4, first 2 shown]
	v_add_co_u32 v10, s8, v10, -1
	s_wait_alu 0xf1ff
	v_cndmask_b32_e64 v14, 0, 1, s8
	v_not_b32_e32 v80, v11
	v_cmp_gt_i32_e64 s8, 0, v11
	v_not_b32_e32 v11, v12
	v_lshlrev_b32_e32 v16, 26, v9
	v_cmp_ne_u32_e32 vcc_lo, 0, v14
	v_ashrrev_i32_e32 v80, 31, v80
	v_lshlrev_b32_e32 v71, 25, v9
	v_ashrrev_i32_e32 v11, 31, v11
	v_lshlrev_b32_e32 v14, 24, v9
	s_wait_alu 0xfffd
	v_xor_b32_e32 v10, vcc_lo, v10
	v_cmp_gt_i32_e32 vcc_lo, 0, v12
	v_not_b32_e32 v12, v13
	s_wait_alu 0xf1ff
	v_xor_b32_e32 v80, s8, v80
	v_cmp_gt_i32_e64 s8, 0, v13
	v_and_b32_e32 v10, exec_lo, v10
	v_not_b32_e32 v13, v15
	v_ashrrev_i32_e32 v12, 31, v12
	s_wait_alu 0xfffd
	v_xor_b32_e32 v11, vcc_lo, v11
	v_cmp_gt_i32_e32 vcc_lo, 0, v15
	v_and_b32_e32 v10, v10, v80
	v_not_b32_e32 v15, v16
	v_ashrrev_i32_e32 v13, 31, v13
	s_wait_alu 0xf1ff
	v_xor_b32_e32 v12, s8, v12
	v_cmp_gt_i32_e64 s8, 0, v16
	v_and_b32_e32 v10, v10, v11
	v_not_b32_e32 v11, v71
	v_ashrrev_i32_e32 v15, 31, v15
	s_wait_alu 0xfffd
	v_xor_b32_e32 v13, vcc_lo, v13
	v_cmp_gt_i32_e32 vcc_lo, 0, v71
	v_and_b32_e32 v10, v10, v12
	v_not_b32_e32 v12, v14
	v_ashrrev_i32_e32 v11, 31, v11
	s_wait_alu 0xf1ff
	v_xor_b32_e32 v15, s8, v15
	v_cmp_gt_i32_e64 s8, 0, v14
	v_and_b32_e32 v10, v10, v13
	v_ashrrev_i32_e32 v12, 31, v12
	s_wait_alu 0xfffd
	v_xor_b32_e32 v11, vcc_lo, v11
	v_lshl_add_u32 v82, v9, 2, v24
	v_and_b32_e32 v10, v10, v15
	s_wait_alu 0xf1ff
	v_xor_b32_e32 v9, s8, v12
	ds_load_b32 v80, v82 offset:4
	v_and_b32_e32 v10, v10, v11
	; wave barrier
	s_delay_alu instid0(VALU_DEP_1) | instskip(NEXT) | instid1(VALU_DEP_1)
	v_and_b32_e32 v9, v10, v9
	v_mbcnt_lo_u32_b32 v81, v9, 0
	v_cmp_ne_u32_e64 s8, 0, v9
	s_delay_alu instid0(VALU_DEP_2)
	v_cmp_eq_u32_e32 vcc_lo, 0, v81
	s_and_b32 s10, s8, vcc_lo
	s_wait_alu 0xfffe
	s_and_saveexec_b32 s8, s10
	s_cbranch_execz .LBB163_25
; %bb.24:
	s_wait_dscnt 0x0
	v_bcnt_u32_b32 v9, v9, v80
	ds_store_b32 v82, v9 offset:4
.LBB163_25:
	s_wait_alu 0xfffe
	s_or_b32 exec_lo, exec_lo, s8
	v_and_b32_e32 v9, s9, v76
	; wave barrier
	s_delay_alu instid0(VALU_DEP_1)
	v_and_b32_e32 v10, 1, v9
	v_lshlrev_b32_e32 v11, 30, v9
	v_lshlrev_b32_e32 v12, 29, v9
	;; [unrolled: 1-line block ×4, first 2 shown]
	v_add_co_u32 v10, s8, v10, -1
	s_wait_alu 0xf1ff
	v_cndmask_b32_e64 v14, 0, 1, s8
	v_not_b32_e32 v83, v11
	v_cmp_gt_i32_e64 s8, 0, v11
	v_not_b32_e32 v11, v12
	v_lshlrev_b32_e32 v16, 26, v9
	v_cmp_ne_u32_e32 vcc_lo, 0, v14
	v_ashrrev_i32_e32 v83, 31, v83
	v_lshlrev_b32_e32 v71, 25, v9
	v_ashrrev_i32_e32 v11, 31, v11
	v_lshlrev_b32_e32 v14, 24, v9
	s_wait_alu 0xfffd
	v_xor_b32_e32 v10, vcc_lo, v10
	v_cmp_gt_i32_e32 vcc_lo, 0, v12
	v_not_b32_e32 v12, v13
	s_wait_alu 0xf1ff
	v_xor_b32_e32 v83, s8, v83
	v_cmp_gt_i32_e64 s8, 0, v13
	v_and_b32_e32 v10, exec_lo, v10
	v_not_b32_e32 v13, v15
	v_ashrrev_i32_e32 v12, 31, v12
	s_wait_alu 0xfffd
	v_xor_b32_e32 v11, vcc_lo, v11
	v_cmp_gt_i32_e32 vcc_lo, 0, v15
	v_and_b32_e32 v10, v10, v83
	v_not_b32_e32 v15, v16
	v_ashrrev_i32_e32 v13, 31, v13
	s_wait_alu 0xf1ff
	v_xor_b32_e32 v12, s8, v12
	v_cmp_gt_i32_e64 s8, 0, v16
	v_and_b32_e32 v10, v10, v11
	v_not_b32_e32 v11, v71
	v_ashrrev_i32_e32 v15, 31, v15
	s_wait_alu 0xfffd
	v_xor_b32_e32 v13, vcc_lo, v13
	v_cmp_gt_i32_e32 vcc_lo, 0, v71
	v_and_b32_e32 v10, v10, v12
	v_not_b32_e32 v12, v14
	v_ashrrev_i32_e32 v11, 31, v11
	s_wait_alu 0xf1ff
	v_xor_b32_e32 v15, s8, v15
	v_and_b32_e32 v9, 0xffff, v9
	v_and_b32_e32 v10, v10, v13
	v_cmp_gt_i32_e64 s8, 0, v14
	v_ashrrev_i32_e32 v12, 31, v12
	s_wait_alu 0xfffd
	v_xor_b32_e32 v11, vcc_lo, v11
	v_lshl_add_u32 v86, v9, 2, v24
	v_and_b32_e32 v10, v10, v15
	s_wait_alu 0xf1ff
	v_xor_b32_e32 v9, s8, v12
	ds_load_b32 v83, v86 offset:4
	v_and_b32_e32 v10, v10, v11
	; wave barrier
	s_delay_alu instid0(VALU_DEP_1) | instskip(NEXT) | instid1(VALU_DEP_1)
	v_and_b32_e32 v9, v10, v9
	v_mbcnt_lo_u32_b32 v84, v9, 0
	v_cmp_ne_u32_e64 s8, 0, v9
	s_delay_alu instid0(VALU_DEP_2)
	v_cmp_eq_u32_e32 vcc_lo, 0, v84
	s_and_b32 s10, s8, vcc_lo
	s_wait_alu 0xfffe
	s_and_saveexec_b32 s8, s10
	s_cbranch_execz .LBB163_27
; %bb.26:
	s_wait_dscnt 0x0
	v_bcnt_u32_b32 v9, v9, v83
	ds_store_b32 v86, v9 offset:4
.LBB163_27:
	s_wait_alu 0xfffe
	s_or_b32 exec_lo, exec_lo, s8
	v_lshrrev_b32_e32 v85, 16, v76
	; wave barrier
	v_and_or_b32 v89, 0xf80, v41, v43
	s_delay_alu instid0(VALU_DEP_2) | instskip(NEXT) | instid1(VALU_DEP_1)
	v_and_b32_e32 v9, s9, v85
	v_and_b32_e32 v10, 1, v9
	v_lshlrev_b32_e32 v11, 30, v9
	v_lshlrev_b32_e32 v12, 29, v9
	;; [unrolled: 1-line block ×4, first 2 shown]
	v_add_co_u32 v10, s8, v10, -1
	s_wait_alu 0xf1ff
	v_cndmask_b32_e64 v14, 0, 1, s8
	v_not_b32_e32 v87, v11
	v_cmp_gt_i32_e64 s8, 0, v11
	v_not_b32_e32 v11, v12
	v_lshlrev_b32_e32 v16, 26, v9
	v_cmp_ne_u32_e32 vcc_lo, 0, v14
	v_ashrrev_i32_e32 v87, 31, v87
	v_lshlrev_b32_e32 v71, 25, v9
	v_ashrrev_i32_e32 v11, 31, v11
	v_lshlrev_b32_e32 v14, 24, v9
	s_wait_alu 0xfffd
	v_xor_b32_e32 v10, vcc_lo, v10
	v_cmp_gt_i32_e32 vcc_lo, 0, v12
	v_not_b32_e32 v12, v13
	s_wait_alu 0xf1ff
	v_xor_b32_e32 v87, s8, v87
	v_cmp_gt_i32_e64 s8, 0, v13
	v_and_b32_e32 v10, exec_lo, v10
	v_not_b32_e32 v13, v15
	v_ashrrev_i32_e32 v12, 31, v12
	s_wait_alu 0xfffd
	v_xor_b32_e32 v11, vcc_lo, v11
	v_cmp_gt_i32_e32 vcc_lo, 0, v15
	v_and_b32_e32 v10, v10, v87
	v_not_b32_e32 v15, v16
	v_ashrrev_i32_e32 v13, 31, v13
	s_wait_alu 0xf1ff
	v_xor_b32_e32 v12, s8, v12
	v_cmp_gt_i32_e64 s8, 0, v16
	v_and_b32_e32 v10, v10, v11
	v_not_b32_e32 v11, v71
	v_ashrrev_i32_e32 v15, 31, v15
	s_wait_alu 0xfffd
	v_xor_b32_e32 v13, vcc_lo, v13
	v_cmp_gt_i32_e32 vcc_lo, 0, v71
	v_and_b32_e32 v10, v10, v12
	v_not_b32_e32 v12, v14
	v_ashrrev_i32_e32 v11, 31, v11
	s_wait_alu 0xf1ff
	v_xor_b32_e32 v15, s8, v15
	v_cmp_gt_i32_e64 s8, 0, v14
	v_and_b32_e32 v10, v10, v13
	v_ashrrev_i32_e32 v12, 31, v12
	s_wait_alu 0xfffd
	v_xor_b32_e32 v11, vcc_lo, v11
	v_lshl_add_u32 v90, v9, 2, v24
	v_and_b32_e32 v10, v10, v15
	s_wait_alu 0xf1ff
	v_xor_b32_e32 v9, s8, v12
	ds_load_b32 v87, v90 offset:4
	v_and_b32_e32 v10, v10, v11
	; wave barrier
	s_delay_alu instid0(VALU_DEP_1) | instskip(NEXT) | instid1(VALU_DEP_1)
	v_and_b32_e32 v9, v10, v9
	v_mbcnt_lo_u32_b32 v88, v9, 0
	v_cmp_ne_u32_e64 s8, 0, v9
	s_delay_alu instid0(VALU_DEP_2)
	v_cmp_eq_u32_e32 vcc_lo, 0, v88
	s_and_b32 s9, s8, vcc_lo
	s_wait_alu 0xfffe
	s_and_saveexec_b32 s8, s9
	s_cbranch_execz .LBB163_29
; %bb.28:
	s_wait_dscnt 0x0
	v_bcnt_u32_b32 v9, v9, v87
	ds_store_b32 v90, v9 offset:4
.LBB163_29:
	s_wait_alu 0xfffe
	s_or_b32 exec_lo, exec_lo, s8
	; wave barrier
	; wave barrier
	s_wait_loadcnt_dscnt 0x0
	global_inv scope:SCOPE_SE
	ds_load_2addr_b32 v[15:16], v42 offset0:1 offset1:2
	ds_load_2addr_b32 v[13:14], v42 offset0:3 offset1:4
	ds_load_2addr_b32 v[11:12], v42 offset0:5 offset1:6
	ds_load_2addr_b32 v[9:10], v42 offset0:7 offset1:8
	v_and_b32_e32 v92, 16, v43
	v_cmp_eq_u32_e64 s11, 31, v21
	s_delay_alu instid0(VALU_DEP_2) | instskip(SKIP_3) | instid1(VALU_DEP_1)
	v_cmp_eq_u32_e64 s12, 0, v92
	s_wait_dscnt 0x3
	v_add_nc_u32_e32 v71, v16, v15
	s_wait_dscnt 0x2
	v_add3_u32 v71, v71, v13, v14
	s_wait_dscnt 0x1
	s_delay_alu instid0(VALU_DEP_1) | instskip(SKIP_1) | instid1(VALU_DEP_1)
	v_add3_u32 v71, v71, v11, v12
	s_wait_dscnt 0x0
	v_add3_u32 v10, v71, v9, v10
	v_and_b32_e32 v71, 15, v43
	s_delay_alu instid0(VALU_DEP_2) | instskip(NEXT) | instid1(VALU_DEP_2)
	v_mov_b32_dpp v91, v10 row_shr:1 row_mask:0xf bank_mask:0xf
	v_cmp_eq_u32_e32 vcc_lo, 0, v71
	v_cmp_lt_u32_e64 s8, 1, v71
	v_cmp_lt_u32_e64 s9, 3, v71
	;; [unrolled: 1-line block ×3, first 2 shown]
	s_wait_alu 0xfffd
	v_cndmask_b32_e64 v91, v91, 0, vcc_lo
	s_delay_alu instid0(VALU_DEP_1) | instskip(NEXT) | instid1(VALU_DEP_1)
	v_add_nc_u32_e32 v10, v91, v10
	v_mov_b32_dpp v91, v10 row_shr:2 row_mask:0xf bank_mask:0xf
	s_wait_alu 0xf1ff
	s_delay_alu instid0(VALU_DEP_1) | instskip(NEXT) | instid1(VALU_DEP_1)
	v_cndmask_b32_e64 v91, 0, v91, s8
	v_add_nc_u32_e32 v10, v10, v91
	s_delay_alu instid0(VALU_DEP_1) | instskip(NEXT) | instid1(VALU_DEP_1)
	v_mov_b32_dpp v91, v10 row_shr:4 row_mask:0xf bank_mask:0xf
	v_cndmask_b32_e64 v91, 0, v91, s9
	s_delay_alu instid0(VALU_DEP_1) | instskip(NEXT) | instid1(VALU_DEP_1)
	v_add_nc_u32_e32 v10, v10, v91
	v_mov_b32_dpp v91, v10 row_shr:8 row_mask:0xf bank_mask:0xf
	s_delay_alu instid0(VALU_DEP_1) | instskip(NEXT) | instid1(VALU_DEP_1)
	v_cndmask_b32_e64 v71, 0, v91, s10
	v_add_nc_u32_e32 v91, v10, v71
	v_bfe_i32 v71, v43, 4, 1
	ds_swizzle_b32 v10, v91 offset:swizzle(BROADCAST,32,15)
	s_wait_dscnt 0x0
	v_and_b32_e32 v93, v71, v10
	v_sub_co_u32 v71, s17, v43, 1
	v_mul_u32_u24_e32 v10, 6, v89
	s_delay_alu instid0(VALU_DEP_3)
	v_add_nc_u32_e32 v91, v91, v93
	s_and_saveexec_b32 s13, s11
; %bb.30:
	v_mov_b32_e32 v92, 0
	ds_store_b32 v92, v91
; %bb.31:
	s_wait_alu 0xfffe
	s_or_b32 exec_lo, exec_lo, s13
	v_cmp_gt_i32_e64 s13, 0, v71
	; wave barrier
	s_wait_loadcnt_dscnt 0x0
	global_inv scope:SCOPE_SE
	v_cndmask_b32_e64 v66, 0, v66, s6
	v_cndmask_b32_e64 v65, 0, v65, s6
	s_wait_alu 0xf1ff
	v_cndmask_b32_e64 v71, v71, v43, s13
	v_cmp_eq_u32_e64 s13, 0, v21
	v_cndmask_b32_e64 v68, 0, v68, s6
	v_cndmask_b32_e64 v51, v66, v51, s5
	v_cndmask_b32_e64 v65, v65, v50, s5
	v_lshlrev_b32_e32 v71, 2, v71
	s_or_b32 s17, s13, s17
	v_cndmask_b32_e64 v54, v68, v54, s5
	s_min_u32 s13, s15, 8
	s_wait_alu 0xfffe
	s_lshl_b32 s13, -1, s13
	ds_bpermute_b32 v91, v71, v91
	s_wait_alu 0xfffe
	s_not_b32 s15, s13
	s_wait_dscnt 0x0
	v_cndmask_b32_e64 v91, v91, 0, s17
	s_delay_alu instid0(VALU_DEP_1) | instskip(NEXT) | instid1(VALU_DEP_1)
	v_add_nc_u32_e32 v15, v91, v15
	v_add_nc_u32_e32 v16, v15, v16
	s_delay_alu instid0(VALU_DEP_1) | instskip(NEXT) | instid1(VALU_DEP_1)
	v_add_nc_u32_e32 v13, v16, v13
	v_add_nc_u32_e32 v14, v13, v14
	;; [unrolled: 3-line block ×3, first 2 shown]
	s_delay_alu instid0(VALU_DEP_1)
	v_add_nc_u32_e32 v9, v12, v9
	ds_store_2addr_b32 v42, v91, v15 offset0:1 offset1:2
	ds_store_2addr_b32 v42, v16, v13 offset0:3 offset1:4
	;; [unrolled: 1-line block ×4, first 2 shown]
	; wave barrier
	s_wait_loadcnt_dscnt 0x0
	global_inv scope:SCOPE_SE
	ds_load_b32 v9, v79 offset:4
	ds_load_b32 v11, v82 offset:4
	;; [unrolled: 1-line block ×4, first 2 shown]
	v_cndmask_b32_e64 v15, 0, v67, s6
	v_cndmask_b32_e64 v16, 0, v70, s6
	;; [unrolled: 1-line block ×4, first 2 shown]
	v_lshlrev_b32_e32 v69, 1, v89
	v_cndmask_b32_e64 v15, v15, v58, s5
	v_cndmask_b32_e64 v16, v16, v59, s5
	;; [unrolled: 1-line block ×4, first 2 shown]
	; wave barrier
	s_wait_loadcnt_dscnt 0x0
	global_inv scope:SCOPE_SE
	v_cndmask_b32_e64 v62, 0, v72, s6
	v_cndmask_b32_e64 v16, v16, v53, s4
	v_add_nc_u32_e32 v58, v9, v77
	v_add3_u32 v59, v81, v80, v11
	v_add3_u32 v63, v84, v83, v12
	;; [unrolled: 1-line block ×3, first 2 shown]
	v_cndmask_b32_e64 v61, v62, v61, s5
	v_lshlrev_b32_e32 v9, 1, v58
	v_lshlrev_b32_e32 v11, 1, v59
	;; [unrolled: 1-line block ×4, first 2 shown]
	ds_store_b16 v9, v64
	ds_store_b16 v11, v78
	;; [unrolled: 1-line block ×4, first 2 shown]
	; wave barrier
	s_wait_loadcnt_dscnt 0x0
	global_inv scope:SCOPE_SE
	ds_load_u16 v50, v69
	v_add_nc_u32_e32 v62, v69, v10
	v_cndmask_b32_e64 v10, v65, v27, s4
	v_cndmask_b32_e64 v27, v51, v28, s4
	;; [unrolled: 1-line block ×13, first 2 shown]
	ds_load_u16 v49, v69 offset:64
	ds_load_u16 v51, v69 offset:128
	;; [unrolled: 1-line block ×3, first 2 shown]
	; wave barrier
	s_wait_loadcnt_dscnt 0x0
	global_inv scope:SCOPE_SE
	v_cndmask_b32_e64 v30, v54, v74, s7
	v_cndmask_b32_e64 v29, v53, v73, s7
	v_lshrrev_b16 v10, 8, v50
	s_delay_alu instid0(VALU_DEP_1) | instskip(SKIP_3) | instid1(VALU_DEP_3)
	v_and_b32_e32 v16, 0xffff, v10
	v_mad_co_u64_u32 v[9:10], null, v58, 6, v[9:10]
	v_mad_co_u64_u32 v[10:11], null, v59, 6, v[11:12]
	s_wait_alu 0xfffe
	v_and_b32_e32 v31, s15, v16
	v_mad_co_u64_u32 v[11:12], null, v63, 6, v[12:13]
	v_mad_co_u64_u32 v[12:13], null, v66, 6, v[13:14]
	ds_store_b64 v9, v[14:15]
	v_and_b32_e32 v9, 1, v31
	v_lshlrev_b32_e32 v13, 30, v31
	v_lshlrev_b32_e32 v14, 29, v31
	;; [unrolled: 1-line block ×4, first 2 shown]
	v_add_co_u32 v9, s7, v9, -1
	s_wait_alu 0xf1ff
	v_cndmask_b32_e64 v16, 0, 1, s7
	v_not_b32_e32 v56, v13
	v_cmp_gt_i32_e64 s13, 0, v13
	v_not_b32_e32 v13, v14
	v_lshlrev_b32_e32 v54, 26, v31
	v_cmp_ne_u32_e64 s7, 0, v16
	v_ashrrev_i32_e32 v56, 31, v56
	v_lshlrev_b32_e32 v55, 25, v31
	v_ashrrev_i32_e32 v13, 31, v13
	v_lshlrev_b32_e32 v16, 24, v31
	s_wait_alu 0xf1ff
	v_xor_b32_e32 v9, s7, v9
	v_cmp_gt_i32_e64 s7, 0, v14
	v_not_b32_e32 v14, v15
	v_xor_b32_e32 v56, s13, v56
	v_cmp_gt_i32_e64 s13, 0, v15
	v_and_b32_e32 v9, exec_lo, v9
	v_not_b32_e32 v15, v53
	v_ashrrev_i32_e32 v14, 31, v14
	s_wait_alu 0xf1ff
	v_xor_b32_e32 v13, s7, v13
	v_cmp_gt_i32_e64 s7, 0, v53
	v_and_b32_e32 v9, v9, v56
	v_not_b32_e32 v53, v54
	v_ashrrev_i32_e32 v15, 31, v15
	v_xor_b32_e32 v14, s13, v14
	v_cmp_gt_i32_e64 s13, 0, v54
	v_and_b32_e32 v9, v9, v13
	v_not_b32_e32 v13, v55
	v_ashrrev_i32_e32 v53, 31, v53
	s_wait_alu 0xf1ff
	v_xor_b32_e32 v15, s7, v15
	v_cmp_gt_i32_e64 s7, 0, v55
	v_and_b32_e32 v9, v9, v14
	v_not_b32_e32 v14, v16
	v_ashrrev_i32_e32 v13, 31, v13
	v_xor_b32_e32 v53, s13, v53
	ds_store_b64 v10, v[25:26]
	v_and_b32_e32 v9, v9, v15
	v_cmp_gt_i32_e64 s13, 0, v16
	v_ashrrev_i32_e32 v10, 31, v14
	s_wait_alu 0xf1ff
	v_xor_b32_e32 v13, s7, v13
	ds_store_b64 v11, v[27:28]
	ds_store_b64 v12, v[29:30]
	v_and_b32_e32 v9, v9, v53
	s_wait_loadcnt_dscnt 0x0
	v_xor_b32_e32 v25, s13, v10
	; wave barrier
	global_inv scope:SCOPE_SE
	v_lshl_add_u32 v54, v31, 2, v24
	v_and_b32_e32 v26, v9, v13
	ds_load_2addr_b64 v[13:16], v62 offset1:32
	ds_load_2addr_b64 v[9:12], v62 offset0:64 offset1:96
	; wave barrier
	s_wait_loadcnt_dscnt 0x0
	global_inv scope:SCOPE_SE
	v_dual_mov_b32 v26, 0 :: v_dual_and_b32 v25, v26, v25
	ds_store_2addr_b32 v42, v26, v26 offset0:1 offset1:2
	ds_store_2addr_b32 v42, v26, v26 offset0:3 offset1:4
	;; [unrolled: 1-line block ×4, first 2 shown]
	v_mbcnt_lo_u32_b32 v53, v25, 0
	v_cmp_ne_u32_e64 s13, 0, v25
	; wave barrier
	s_wait_loadcnt_dscnt 0x0
	global_inv scope:SCOPE_SE
	v_cmp_eq_u32_e64 s7, 0, v53
	; wave barrier
	s_and_b32 s13, s13, s7
	s_wait_alu 0xfffe
	s_and_saveexec_b32 s7, s13
; %bb.32:
	v_bcnt_u32_b32 v25, v25, 0
	ds_store_b32 v54, v25 offset:4
; %bb.33:
	s_wait_alu 0xfffe
	s_or_b32 exec_lo, exec_lo, s7
	v_lshrrev_b16 v25, 8, v49
	; wave barrier
	s_delay_alu instid0(VALU_DEP_1) | instskip(NEXT) | instid1(VALU_DEP_1)
	v_and_b32_e32 v25, s15, v25
	v_and_b32_e32 v26, 1, v25
	v_lshlrev_b32_e32 v27, 30, v25
	v_lshlrev_b32_e32 v28, 29, v25
	;; [unrolled: 1-line block ×4, first 2 shown]
	v_add_co_u32 v26, s7, v26, -1
	s_wait_alu 0xf1ff
	v_cndmask_b32_e64 v30, 0, 1, s7
	v_not_b32_e32 v57, v27
	v_cmp_gt_i32_e64 s13, 0, v27
	v_not_b32_e32 v27, v28
	v_lshlrev_b32_e32 v55, 26, v25
	v_cmp_ne_u32_e64 s7, 0, v30
	v_ashrrev_i32_e32 v57, 31, v57
	v_lshlrev_b32_e32 v56, 25, v25
	v_ashrrev_i32_e32 v27, 31, v27
	v_lshlrev_b32_e32 v30, 24, v25
	s_wait_alu 0xf1ff
	v_xor_b32_e32 v26, s7, v26
	v_cmp_gt_i32_e64 s7, 0, v28
	v_not_b32_e32 v28, v29
	v_xor_b32_e32 v57, s13, v57
	v_cmp_gt_i32_e64 s13, 0, v29
	v_and_b32_e32 v26, exec_lo, v26
	v_not_b32_e32 v29, v31
	v_ashrrev_i32_e32 v28, 31, v28
	s_wait_alu 0xf1ff
	v_xor_b32_e32 v27, s7, v27
	v_cmp_gt_i32_e64 s7, 0, v31
	v_and_b32_e32 v26, v26, v57
	v_not_b32_e32 v31, v55
	v_ashrrev_i32_e32 v29, 31, v29
	v_xor_b32_e32 v28, s13, v28
	v_cmp_gt_i32_e64 s13, 0, v55
	v_and_b32_e32 v26, v26, v27
	v_not_b32_e32 v27, v56
	v_ashrrev_i32_e32 v31, 31, v31
	s_wait_alu 0xf1ff
	v_xor_b32_e32 v29, s7, v29
	v_cmp_gt_i32_e64 s7, 0, v56
	v_and_b32_e32 v26, v26, v28
	v_not_b32_e32 v28, v30
	v_ashrrev_i32_e32 v27, 31, v27
	v_xor_b32_e32 v31, s13, v31
	v_cmp_gt_i32_e64 s13, 0, v30
	v_and_b32_e32 v26, v26, v29
	v_ashrrev_i32_e32 v28, 31, v28
	s_wait_alu 0xf1ff
	v_xor_b32_e32 v27, s7, v27
	v_lshl_add_u32 v57, v25, 2, v24
	v_and_b32_e32 v26, v26, v31
	v_xor_b32_e32 v25, s13, v28
	ds_load_b32 v55, v57 offset:4
	v_and_b32_e32 v26, v26, v27
	; wave barrier
	s_delay_alu instid0(VALU_DEP_1) | instskip(NEXT) | instid1(VALU_DEP_1)
	v_and_b32_e32 v25, v26, v25
	v_mbcnt_lo_u32_b32 v56, v25, 0
	v_cmp_ne_u32_e64 s13, 0, v25
	s_delay_alu instid0(VALU_DEP_2)
	v_cmp_eq_u32_e64 s7, 0, v56
	s_and_b32 s13, s13, s7
	s_wait_alu 0xfffe
	s_and_saveexec_b32 s7, s13
	s_cbranch_execz .LBB163_35
; %bb.34:
	s_wait_dscnt 0x0
	v_bcnt_u32_b32 v25, v25, v55
	ds_store_b32 v57, v25 offset:4
.LBB163_35:
	s_wait_alu 0xfffe
	s_or_b32 exec_lo, exec_lo, s7
	v_lshrrev_b16 v25, 8, v51
	; wave barrier
	s_delay_alu instid0(VALU_DEP_1) | instskip(NEXT) | instid1(VALU_DEP_1)
	v_and_b32_e32 v25, s15, v25
	v_and_b32_e32 v26, 1, v25
	v_lshlrev_b32_e32 v27, 30, v25
	v_lshlrev_b32_e32 v28, 29, v25
	v_lshlrev_b32_e32 v29, 28, v25
	v_lshlrev_b32_e32 v31, 27, v25
	v_add_co_u32 v26, s7, v26, -1
	s_wait_alu 0xf1ff
	v_cndmask_b32_e64 v30, 0, 1, s7
	v_not_b32_e32 v60, v27
	v_cmp_gt_i32_e64 s13, 0, v27
	v_not_b32_e32 v27, v28
	v_lshlrev_b32_e32 v58, 26, v25
	v_cmp_ne_u32_e64 s7, 0, v30
	v_ashrrev_i32_e32 v60, 31, v60
	v_lshlrev_b32_e32 v59, 25, v25
	v_ashrrev_i32_e32 v27, 31, v27
	v_lshlrev_b32_e32 v30, 24, v25
	s_wait_alu 0xf1ff
	v_xor_b32_e32 v26, s7, v26
	v_cmp_gt_i32_e64 s7, 0, v28
	v_not_b32_e32 v28, v29
	v_xor_b32_e32 v60, s13, v60
	v_cmp_gt_i32_e64 s13, 0, v29
	v_and_b32_e32 v26, exec_lo, v26
	v_not_b32_e32 v29, v31
	v_ashrrev_i32_e32 v28, 31, v28
	s_wait_alu 0xf1ff
	v_xor_b32_e32 v27, s7, v27
	v_cmp_gt_i32_e64 s7, 0, v31
	v_and_b32_e32 v26, v26, v60
	v_not_b32_e32 v31, v58
	v_ashrrev_i32_e32 v29, 31, v29
	v_xor_b32_e32 v28, s13, v28
	v_cmp_gt_i32_e64 s13, 0, v58
	v_and_b32_e32 v26, v26, v27
	v_not_b32_e32 v27, v59
	v_ashrrev_i32_e32 v31, 31, v31
	s_wait_alu 0xf1ff
	v_xor_b32_e32 v29, s7, v29
	v_cmp_gt_i32_e64 s7, 0, v59
	v_and_b32_e32 v26, v26, v28
	v_not_b32_e32 v28, v30
	v_ashrrev_i32_e32 v27, 31, v27
	v_xor_b32_e32 v31, s13, v31
	v_cmp_gt_i32_e64 s13, 0, v30
	v_and_b32_e32 v26, v26, v29
	v_ashrrev_i32_e32 v28, 31, v28
	s_wait_alu 0xf1ff
	v_xor_b32_e32 v27, s7, v27
	v_lshl_add_u32 v60, v25, 2, v24
	v_and_b32_e32 v26, v26, v31
	v_xor_b32_e32 v25, s13, v28
	ds_load_b32 v58, v60 offset:4
	v_and_b32_e32 v26, v26, v27
	; wave barrier
	s_delay_alu instid0(VALU_DEP_1) | instskip(NEXT) | instid1(VALU_DEP_1)
	v_and_b32_e32 v25, v26, v25
	v_mbcnt_lo_u32_b32 v59, v25, 0
	v_cmp_ne_u32_e64 s13, 0, v25
	s_delay_alu instid0(VALU_DEP_2)
	v_cmp_eq_u32_e64 s7, 0, v59
	s_and_b32 s13, s13, s7
	s_wait_alu 0xfffe
	s_and_saveexec_b32 s7, s13
	s_cbranch_execz .LBB163_37
; %bb.36:
	s_wait_dscnt 0x0
	v_bcnt_u32_b32 v25, v25, v58
	ds_store_b32 v60, v25 offset:4
.LBB163_37:
	s_wait_alu 0xfffe
	s_or_b32 exec_lo, exec_lo, s7
	v_lshrrev_b16 v25, 8, v52
	; wave barrier
	s_delay_alu instid0(VALU_DEP_1) | instskip(NEXT) | instid1(VALU_DEP_1)
	v_and_b32_e32 v25, s15, v25
	v_and_b32_e32 v26, 1, v25
	v_lshlrev_b32_e32 v27, 30, v25
	v_lshlrev_b32_e32 v28, 29, v25
	;; [unrolled: 1-line block ×4, first 2 shown]
	v_add_co_u32 v26, s7, v26, -1
	s_wait_alu 0xf1ff
	v_cndmask_b32_e64 v30, 0, 1, s7
	v_not_b32_e32 v63, v27
	v_cmp_gt_i32_e64 s13, 0, v27
	v_not_b32_e32 v27, v28
	v_lshlrev_b32_e32 v61, 26, v25
	v_cmp_ne_u32_e64 s7, 0, v30
	v_ashrrev_i32_e32 v63, 31, v63
	v_lshlrev_b32_e32 v62, 25, v25
	v_ashrrev_i32_e32 v27, 31, v27
	v_lshlrev_b32_e32 v30, 24, v25
	s_wait_alu 0xf1ff
	v_xor_b32_e32 v26, s7, v26
	v_cmp_gt_i32_e64 s7, 0, v28
	v_not_b32_e32 v28, v29
	v_xor_b32_e32 v63, s13, v63
	v_cmp_gt_i32_e64 s13, 0, v29
	v_and_b32_e32 v26, exec_lo, v26
	v_not_b32_e32 v29, v31
	v_ashrrev_i32_e32 v28, 31, v28
	s_wait_alu 0xf1ff
	v_xor_b32_e32 v27, s7, v27
	v_cmp_gt_i32_e64 s7, 0, v31
	v_and_b32_e32 v26, v26, v63
	v_not_b32_e32 v31, v61
	v_ashrrev_i32_e32 v29, 31, v29
	v_xor_b32_e32 v28, s13, v28
	v_cmp_gt_i32_e64 s13, 0, v61
	v_and_b32_e32 v26, v26, v27
	v_not_b32_e32 v27, v62
	v_ashrrev_i32_e32 v31, 31, v31
	s_wait_alu 0xf1ff
	v_xor_b32_e32 v29, s7, v29
	v_cmp_gt_i32_e64 s7, 0, v62
	v_and_b32_e32 v26, v26, v28
	v_not_b32_e32 v28, v30
	v_ashrrev_i32_e32 v27, 31, v27
	v_xor_b32_e32 v31, s13, v31
	v_cmp_gt_i32_e64 s13, 0, v30
	v_and_b32_e32 v26, v26, v29
	v_ashrrev_i32_e32 v28, 31, v28
	s_wait_alu 0xf1ff
	v_xor_b32_e32 v27, s7, v27
	v_lshl_add_u32 v63, v25, 2, v24
	v_and_b32_e32 v26, v26, v31
	v_xor_b32_e32 v24, s13, v28
	ds_load_b32 v61, v63 offset:4
	v_and_b32_e32 v25, v26, v27
	; wave barrier
	s_delay_alu instid0(VALU_DEP_1) | instskip(NEXT) | instid1(VALU_DEP_1)
	v_and_b32_e32 v24, v25, v24
	v_mbcnt_lo_u32_b32 v62, v24, 0
	v_cmp_ne_u32_e64 s13, 0, v24
	s_delay_alu instid0(VALU_DEP_2)
	v_cmp_eq_u32_e64 s7, 0, v62
	s_and_b32 s13, s13, s7
	s_wait_alu 0xfffe
	s_and_saveexec_b32 s7, s13
	s_cbranch_execz .LBB163_39
; %bb.38:
	s_wait_dscnt 0x0
	v_bcnt_u32_b32 v24, v24, v61
	ds_store_b32 v63, v24 offset:4
.LBB163_39:
	s_wait_alu 0xfffe
	s_or_b32 exec_lo, exec_lo, s7
	; wave barrier
	; wave barrier
	s_wait_loadcnt_dscnt 0x0
	global_inv scope:SCOPE_SE
	ds_load_2addr_b32 v[30:31], v42 offset0:1 offset1:2
	ds_load_2addr_b32 v[28:29], v42 offset0:3 offset1:4
	;; [unrolled: 1-line block ×4, first 2 shown]
	s_wait_dscnt 0x3
	v_add_nc_u32_e32 v64, v31, v30
	s_wait_dscnt 0x2
	s_delay_alu instid0(VALU_DEP_1) | instskip(SKIP_1) | instid1(VALU_DEP_1)
	v_add3_u32 v64, v64, v28, v29
	s_wait_dscnt 0x1
	v_add3_u32 v64, v64, v26, v27
	s_wait_dscnt 0x0
	s_delay_alu instid0(VALU_DEP_1) | instskip(NEXT) | instid1(VALU_DEP_1)
	v_add3_u32 v25, v64, v24, v25
	v_mov_b32_dpp v64, v25 row_shr:1 row_mask:0xf bank_mask:0xf
	s_delay_alu instid0(VALU_DEP_1) | instskip(NEXT) | instid1(VALU_DEP_1)
	v_cndmask_b32_e64 v64, v64, 0, vcc_lo
	v_add_nc_u32_e32 v25, v64, v25
	s_delay_alu instid0(VALU_DEP_1) | instskip(NEXT) | instid1(VALU_DEP_1)
	v_mov_b32_dpp v64, v25 row_shr:2 row_mask:0xf bank_mask:0xf
	v_cndmask_b32_e64 v64, 0, v64, s8
	s_mov_b32 s8, 0
	s_delay_alu instid0(VALU_DEP_1) | instskip(NEXT) | instid1(VALU_DEP_1)
	v_add_nc_u32_e32 v25, v25, v64
	v_mov_b32_dpp v64, v25 row_shr:4 row_mask:0xf bank_mask:0xf
	s_delay_alu instid0(VALU_DEP_1) | instskip(NEXT) | instid1(VALU_DEP_1)
	v_cndmask_b32_e64 v64, 0, v64, s9
	v_add_nc_u32_e32 v25, v25, v64
	s_delay_alu instid0(VALU_DEP_1) | instskip(NEXT) | instid1(VALU_DEP_1)
	v_mov_b32_dpp v64, v25 row_shr:8 row_mask:0xf bank_mask:0xf
	v_cndmask_b32_e64 v64, 0, v64, s10
	s_delay_alu instid0(VALU_DEP_1) | instskip(SKIP_3) | instid1(VALU_DEP_1)
	v_add_nc_u32_e32 v25, v25, v64
	ds_swizzle_b32 v64, v25 offset:swizzle(BROADCAST,32,15)
	s_wait_dscnt 0x0
	v_cndmask_b32_e64 v64, v64, 0, s12
	v_add_nc_u32_e32 v25, v25, v64
	s_and_saveexec_b32 s7, s11
; %bb.40:
	v_mov_b32_e32 v64, 0
	ds_store_b32 v64, v25
; %bb.41:
	s_wait_alu 0xfffe
	s_or_b32 exec_lo, exec_lo, s7
	ds_bpermute_b32 v25, v71, v25
	; wave barrier
	s_wait_loadcnt_dscnt 0x0
	global_inv scope:SCOPE_SE
	v_cndmask_b32_e64 v25, v25, 0, s17
	s_delay_alu instid0(VALU_DEP_1) | instskip(NEXT) | instid1(VALU_DEP_1)
	v_add_nc_u32_e32 v30, v25, v30
	v_add_nc_u32_e32 v31, v30, v31
	s_delay_alu instid0(VALU_DEP_1) | instskip(NEXT) | instid1(VALU_DEP_1)
	v_add_nc_u32_e32 v28, v31, v28
	v_add_nc_u32_e32 v29, v28, v29
	;; [unrolled: 3-line block ×3, first 2 shown]
	s_delay_alu instid0(VALU_DEP_1)
	v_add_nc_u32_e32 v24, v27, v24
	ds_store_2addr_b32 v42, v25, v30 offset0:1 offset1:2
	ds_store_2addr_b32 v42, v31, v28 offset0:3 offset1:4
	ds_store_2addr_b32 v42, v29, v26 offset0:5 offset1:6
	ds_store_2addr_b32 v42, v27, v24 offset0:7 offset1:8
	; wave barrier
	s_wait_loadcnt_dscnt 0x0
	global_inv scope:SCOPE_SE
	ds_load_b32 v24, v54 offset:4
	ds_load_b32 v25, v57 offset:4
	;; [unrolled: 1-line block ×4, first 2 shown]
	v_lshlrev_b32_e32 v28, 1, v41
	; wave barrier
	s_wait_loadcnt_dscnt 0x0
	global_inv scope:SCOPE_SE
	v_add_nc_u32_e32 v30, v24, v53
	v_add3_u32 v53, v56, v55, v25
	v_add3_u32 v54, v59, v58, v26
	v_add3_u32 v55, v62, v61, v27
	s_delay_alu instid0(VALU_DEP_4) | instskip(NEXT) | instid1(VALU_DEP_4)
	v_lshlrev_b32_e32 v24, 1, v30
	v_lshlrev_b32_e32 v25, 1, v53
	s_delay_alu instid0(VALU_DEP_4) | instskip(NEXT) | instid1(VALU_DEP_4)
	v_lshlrev_b32_e32 v26, 1, v54
	v_lshlrev_b32_e32 v27, 1, v55
	ds_store_b16 v24, v50
	ds_store_b16 v25, v49
	;; [unrolled: 1-line block ×4, first 2 shown]
	; wave barrier
	s_wait_loadcnt_dscnt 0x0
	global_inv scope:SCOPE_SE
	ds_load_b64 v[28:29], v28
	v_mad_co_u64_u32 v[30:31], null, v30, 6, v[24:25]
	v_mad_co_u64_u32 v[24:25], null, v53, 6, v[25:26]
	;; [unrolled: 1-line block ×3, first 2 shown]
	; wave barrier
	s_wait_loadcnt_dscnt 0x0
	global_inv scope:SCOPE_SE
	ds_store_b64 v30, v[13:14]
	ds_store_b64 v24, v[15:16]
	v_mad_co_u64_u32 v[26:27], null, v55, 6, v[27:28]
	v_xor_b32_e32 v13, 0x80008000, v28
	v_xor_b32_e32 v14, 0x80008000, v29
	ds_store_b64 v25, v[9:10]
	ds_store_b64 v26, v[11:12]
	; wave barrier
	s_wait_loadcnt_dscnt 0x0
	global_inv scope:SCOPE_SE
.LBB163_42:
	s_and_b32 vcc_lo, exec_lo, s8
	s_wait_alu 0xfffe
	s_cbranch_vccz .LBB163_64
; %bb.43:
	v_xor_b32_e32 v10, 0x7fff, v48
	v_cmp_eq_u32_e32 vcc_lo, 3, v46
	v_xor_b32_e32 v9, 0x7fff, v22
	s_getpc_b64 s[8:9]
	s_wait_alu 0xfffe
	s_sext_i32_i16 s9, s9
	s_add_co_u32 s8, s8, _ZN7rocprim17ROCPRIM_400000_NS16block_radix_sortIsLj32ELj4ElLj1ELj1ELj0ELNS0_26block_radix_rank_algorithmE1ELNS0_18block_padding_hintE2ELNS0_4arch9wavefront6targetE0EE19radix_bits_per_passE@rel32@lo+12
	s_wait_alu 0xfffe
	s_add_co_ci_u32 s9, s9, _ZN7rocprim17ROCPRIM_400000_NS16block_radix_sortIsLj32ELj4ElLj1ELj1ELj0ELNS0_26block_radix_rank_algorithmE1ELNS0_18block_padding_hintE2ELNS0_4arch9wavefront6targetE0EE19radix_bits_per_passE@rel32@hi+24
	ds_bpermute_b32 v22, v44, v7
	v_and_b32_e32 v49, 0xffff, v10
	v_xor_b32_e32 v10, 0x7fff, v47
	s_load_b32 s15, s[8:9], 0x0
	ds_bpermute_b32 v25, v44, v7 offset:32
	s_wait_loadcnt_dscnt 0x0
	ds_bpermute_b32 v14, v44, v49
	v_and_b32_e32 v58, 0xffff, v10
	ds_bpermute_b32 v47, v44, v49 offset:64
	ds_bpermute_b32 v55, v44, v49 offset:32
	; wave barrier
	s_wait_dscnt 0x0
	global_inv scope:SCOPE_SE
	s_load_b32 s7, s[22:23], 0xc
	ds_bpermute_b32 v26, v44, v58
	ds_bpermute_b32 v60, v44, v58 offset:64
	ds_bpermute_b32 v61, v44, v58 offset:32
	ds_bpermute_b32 v52, v44, v6
	ds_bpermute_b32 v11, v44, v1
	ds_bpermute_b32 v48, v44, v6 offset:32
	ds_bpermute_b32 v15, v44, v1 offset:32
	;; [unrolled: 1-line block ×3, first 2 shown]
	ds_bpermute_b32 v51, v44, v5
	ds_bpermute_b32 v54, v44, v5 offset:32
	ds_bpermute_b32 v27, v44, v8 offset:32
	s_wait_kmcnt 0x0
	s_min_u32 s8, s15, 16
	ds_bpermute_b32 v53, v44, v5 offset:64
	s_wait_alu 0xfffe
	s_lshl_b32 s8, -1, s8
	v_and_b32_e32 v14, 0xffff, v14
	s_wait_alu 0xfffe
	s_not_b32 s9, s8
	ds_bpermute_b32 v12, v44, v2
	ds_bpermute_b32 v10, v44, v4
	ds_bpermute_b32 v16, v44, v2 offset:32
	s_lshr_b32 s8, s7, 16
	s_wait_dscnt 0xe
	v_and_b32_e32 v26, 0xffff, v26
	v_and_b32_e32 v29, 0xffff, v9
	v_xor_b32_e32 v9, 0x7fff, v23
	ds_bpermute_b32 v23, v44, v8
	s_and_b32 s10, s7, 0xffff
	s_wait_alu 0xfffe
	v_mad_u32_u24 v0, v0, s8, v45
	ds_bpermute_b32 v13, v44, v29
	v_and_b32_e32 v50, 0xffff, v9
	ds_bpermute_b32 v9, v44, v3
	ds_bpermute_b32 v24, v44, v50
	ds_bpermute_b32 v57, v44, v50 offset:64
	ds_bpermute_b32 v46, v44, v50 offset:32
	s_wait_dscnt 0x4
	v_and_b32_e32 v13, 0xffff, v13
	s_delay_alu instid0(VALU_DEP_1) | instskip(SKIP_2) | instid1(VALU_DEP_2)
	v_cndmask_b32_e64 v13, 0, v13, s6
	s_wait_dscnt 0x2
	v_and_b32_e32 v24, 0xffff, v24
	v_cndmask_b32_e64 v30, v13, v14, s5
	ds_bpermute_b32 v13, v44, v3 offset:32
	ds_bpermute_b32 v14, v44, v4 offset:32
	v_cndmask_b32_e64 v24, v30, v24, s4
	ds_bpermute_b32 v30, v44, v7 offset:64
	v_cndmask_b32_e32 v26, v24, v26, vcc_lo
	ds_bpermute_b32 v28, v44, v29 offset:64
	ds_bpermute_b32 v31, v44, v29 offset:32
	;; [unrolled: 1-line block ×5, first 2 shown]
	s_wait_dscnt 0x4
	v_and_b32_e32 v28, 0xffff, v28
	s_wait_dscnt 0x3
	v_perm_b32 v59, v31, v26, 0x5040100
	ds_bpermute_b32 v31, v44, v8 offset:64
	v_cndmask_b32_e64 v28, 0, v28, s6
	v_cndmask_b32_e64 v59, v26, v59, s6
	ds_bpermute_b32 v26, v44, v2 offset:64
	v_bfi_b32 v47, 0xffff, v47, v28
	v_perm_b32 v55, v55, v59, 0x5040100
	s_delay_alu instid0(VALU_DEP_2) | instskip(NEXT) | instid1(VALU_DEP_2)
	v_cndmask_b32_e64 v47, v28, v47, s5
	v_cndmask_b32_e64 v55, v59, v55, s5
	ds_bpermute_b32 v28, v44, v3 offset:64
	v_bfi_b32 v57, 0xffff, v57, v47
	v_perm_b32 v46, v46, v55, 0x5040100
	s_delay_alu instid0(VALU_DEP_2) | instskip(NEXT) | instid1(VALU_DEP_2)
	v_cndmask_b32_e64 v59, v47, v57, s4
	v_cndmask_b32_e64 v63, v55, v46, s4
	ds_bpermute_b32 v47, v44, v7 offset:96
	ds_bpermute_b32 v55, v44, v6 offset:96
	;; [unrolled: 1-line block ×3, first 2 shown]
	v_bfi_b32 v60, 0xffff, v60, v59
	v_perm_b32 v7, v61, v63, 0x5040100
	ds_bpermute_b32 v1, v44, v50 offset:96
	ds_bpermute_b32 v57, v44, v5 offset:96
	v_cndmask_b32_e32 v6, v59, v60, vcc_lo
	v_cndmask_b32_e32 v50, v63, v7, vcc_lo
	ds_bpermute_b32 v5, v44, v49 offset:96
	ds_bpermute_b32 v49, v44, v8 offset:96
	;; [unrolled: 1-line block ×3, first 2 shown]
	s_wait_dscnt 0xd
	v_perm_b32 v8, v62, v6, 0x5040100
	v_and_b32_e32 v59, s9, v50
	s_delay_alu instid0(VALU_DEP_2) | instskip(NEXT) | instid1(VALU_DEP_2)
	v_cndmask_b32_e64 v6, v6, v8, s6
	v_and_b32_e32 v8, 1, v59
	v_lshlrev_b32_e32 v45, 30, v59
	v_lshlrev_b32_e32 v58, 29, v59
	;; [unrolled: 1-line block ×4, first 2 shown]
	v_add_co_u32 v8, s7, v8, -1
	s_wait_alu 0xf1ff
	v_cndmask_b32_e64 v61, 0, 1, s7
	v_not_b32_e32 v65, v45
	v_cmp_gt_i32_e64 s8, 0, v45
	v_not_b32_e32 v45, v58
	v_lshlrev_b32_e32 v63, 26, v59
	v_cmp_ne_u32_e64 s7, 0, v61
	v_ashrrev_i32_e32 v65, 31, v65
	v_lshlrev_b32_e32 v64, 25, v59
	v_ashrrev_i32_e32 v45, 31, v45
	v_lshlrev_b32_e32 v61, 24, v59
	s_wait_alu 0xf1ff
	v_xor_b32_e32 v8, s7, v8
	v_cmp_gt_i32_e64 s7, 0, v58
	v_not_b32_e32 v58, v60
	v_xor_b32_e32 v65, s8, v65
	v_cmp_gt_i32_e64 s8, 0, v60
	v_and_b32_e32 v8, exec_lo, v8
	v_not_b32_e32 v60, v62
	v_ashrrev_i32_e32 v58, 31, v58
	s_wait_alu 0xf1ff
	v_xor_b32_e32 v45, s7, v45
	v_cmp_gt_i32_e64 s7, 0, v62
	v_and_b32_e32 v8, v8, v65
	v_not_b32_e32 v62, v63
	v_ashrrev_i32_e32 v60, 31, v60
	v_xor_b32_e32 v58, s8, v58
	v_cmp_gt_i32_e64 s8, 0, v63
	v_and_b32_e32 v8, v8, v45
	v_not_b32_e32 v45, v64
	v_ashrrev_i32_e32 v62, 31, v62
	s_wait_alu 0xf1ff
	v_xor_b32_e32 v60, s7, v60
	s_wait_dscnt 0x2
	v_perm_b32 v5, v5, v6, 0x5040100
	v_and_b32_e32 v8, v8, v58
	v_cmp_gt_i32_e64 s7, 0, v64
	v_not_b32_e32 v58, v61
	v_ashrrev_i32_e32 v45, 31, v45
	v_xor_b32_e32 v62, s8, v62
	v_and_b32_e32 v8, v8, v60
	v_cndmask_b32_e64 v60, v6, v5, s5
	v_cmp_gt_i32_e64 s8, 0, v61
	v_ashrrev_i32_e32 v58, 31, v58
	s_wait_alu 0xf1ff
	v_xor_b32_e32 v45, s7, v45
	v_and_b32_e32 v8, v8, v62
	v_mad_co_u64_u32 v[5:6], null, v0, s10, v[21:22]
	v_perm_b32 v0, v1, v60, 0x5040100
	v_xor_b32_e32 v1, s8, v58
	s_delay_alu instid0(VALU_DEP_4)
	v_and_b32_e32 v6, v8, v45
	ds_bpermute_b32 v58, v44, v2 offset:96
	ds_bpermute_b32 v45, v44, v3 offset:96
	;; [unrolled: 1-line block ×3, first 2 shown]
	v_cndmask_b32_e64 v2, v60, v0, s4
	v_dual_mov_b32 v1, 0 :: v_dual_and_b32 v0, v6, v1
	v_lshrrev_b32_e32 v3, 5, v5
	ds_store_2addr_b32 v42, v1, v1 offset0:1 offset1:2
	ds_store_2addr_b32 v42, v1, v1 offset0:3 offset1:4
	;; [unrolled: 1-line block ×4, first 2 shown]
	v_mbcnt_lo_u32_b32 v60, v0, 0
	s_wait_dscnt 0x7
	v_perm_b32 v4, v7, v2, 0x5040100
	v_lshlrev_b32_e32 v8, 2, v3
	v_and_b32_e32 v1, 0xffff, v59
	v_cmp_ne_u32_e64 s8, 0, v0
	v_cmp_eq_u32_e64 s7, 0, v60
	v_cndmask_b32_e32 v59, v2, v4, vcc_lo
	s_wait_loadcnt_dscnt 0x0
	v_lshl_add_u32 v62, v1, 2, v8
	; wave barrier
	global_inv scope:SCOPE_SE
	s_and_b32 s8, s8, s7
	; wave barrier
	s_wait_alu 0xfffe
	s_and_saveexec_b32 s7, s8
; %bb.44:
	v_bcnt_u32_b32 v0, v0, 0
	ds_store_b32 v62, v0 offset:4
; %bb.45:
	s_wait_alu 0xfffe
	s_or_b32 exec_lo, exec_lo, s7
	v_lshrrev_b32_e32 v61, 16, v50
	; wave barrier
	s_delay_alu instid0(VALU_DEP_1) | instskip(NEXT) | instid1(VALU_DEP_1)
	v_and_b32_e32 v0, s9, v61
	v_and_b32_e32 v1, 1, v0
	v_lshlrev_b32_e32 v2, 30, v0
	v_lshlrev_b32_e32 v3, 29, v0
	;; [unrolled: 1-line block ×4, first 2 shown]
	v_add_co_u32 v1, s7, v1, -1
	s_wait_alu 0xf1ff
	v_cndmask_b32_e64 v5, 0, 1, s7
	v_not_b32_e32 v64, v2
	v_cmp_gt_i32_e64 s8, 0, v2
	v_not_b32_e32 v2, v3
	v_lshlrev_b32_e32 v7, 26, v0
	v_cmp_ne_u32_e64 s7, 0, v5
	v_ashrrev_i32_e32 v64, 31, v64
	v_lshlrev_b32_e32 v63, 25, v0
	v_ashrrev_i32_e32 v2, 31, v2
	v_lshlrev_b32_e32 v5, 24, v0
	s_wait_alu 0xf1ff
	v_xor_b32_e32 v1, s7, v1
	v_cmp_gt_i32_e64 s7, 0, v3
	v_not_b32_e32 v3, v4
	v_xor_b32_e32 v64, s8, v64
	v_cmp_gt_i32_e64 s8, 0, v4
	v_and_b32_e32 v1, exec_lo, v1
	v_not_b32_e32 v4, v6
	v_ashrrev_i32_e32 v3, 31, v3
	s_wait_alu 0xf1ff
	v_xor_b32_e32 v2, s7, v2
	v_cmp_gt_i32_e64 s7, 0, v6
	v_and_b32_e32 v1, v1, v64
	v_not_b32_e32 v6, v7
	v_ashrrev_i32_e32 v4, 31, v4
	v_xor_b32_e32 v3, s8, v3
	v_cmp_gt_i32_e64 s8, 0, v7
	v_and_b32_e32 v1, v1, v2
	v_not_b32_e32 v2, v63
	v_ashrrev_i32_e32 v6, 31, v6
	s_wait_alu 0xf1ff
	v_xor_b32_e32 v4, s7, v4
	v_cmp_gt_i32_e64 s7, 0, v63
	v_and_b32_e32 v1, v1, v3
	v_not_b32_e32 v3, v5
	v_ashrrev_i32_e32 v2, 31, v2
	v_xor_b32_e32 v6, s8, v6
	v_cmp_gt_i32_e64 s8, 0, v5
	v_and_b32_e32 v1, v1, v4
	v_ashrrev_i32_e32 v3, 31, v3
	s_wait_alu 0xf1ff
	v_xor_b32_e32 v2, s7, v2
	v_lshl_add_u32 v65, v0, 2, v8
	v_and_b32_e32 v1, v1, v6
	v_xor_b32_e32 v0, s8, v3
	ds_load_b32 v63, v65 offset:4
	v_and_b32_e32 v1, v1, v2
	; wave barrier
	s_delay_alu instid0(VALU_DEP_1) | instskip(NEXT) | instid1(VALU_DEP_1)
	v_and_b32_e32 v0, v1, v0
	v_mbcnt_lo_u32_b32 v64, v0, 0
	v_cmp_ne_u32_e64 s8, 0, v0
	s_delay_alu instid0(VALU_DEP_2)
	v_cmp_eq_u32_e64 s7, 0, v64
	s_and_b32 s8, s8, s7
	s_wait_alu 0xfffe
	s_and_saveexec_b32 s7, s8
	s_cbranch_execz .LBB163_47
; %bb.46:
	s_wait_dscnt 0x0
	v_bcnt_u32_b32 v0, v0, v63
	ds_store_b32 v65, v0 offset:4
.LBB163_47:
	s_wait_alu 0xfffe
	s_or_b32 exec_lo, exec_lo, s7
	v_and_b32_e32 v0, s9, v59
	; wave barrier
	s_delay_alu instid0(VALU_DEP_1)
	v_and_b32_e32 v1, 1, v0
	v_lshlrev_b32_e32 v2, 30, v0
	v_lshlrev_b32_e32 v3, 29, v0
	;; [unrolled: 1-line block ×4, first 2 shown]
	v_add_co_u32 v1, s7, v1, -1
	s_wait_alu 0xf1ff
	v_cndmask_b32_e64 v5, 0, 1, s7
	v_not_b32_e32 v67, v2
	v_cmp_gt_i32_e64 s8, 0, v2
	v_not_b32_e32 v2, v3
	v_lshlrev_b32_e32 v7, 26, v0
	v_cmp_ne_u32_e64 s7, 0, v5
	v_ashrrev_i32_e32 v67, 31, v67
	v_lshlrev_b32_e32 v66, 25, v0
	v_ashrrev_i32_e32 v2, 31, v2
	v_lshlrev_b32_e32 v5, 24, v0
	s_wait_alu 0xf1ff
	v_xor_b32_e32 v1, s7, v1
	v_cmp_gt_i32_e64 s7, 0, v3
	v_not_b32_e32 v3, v4
	v_xor_b32_e32 v67, s8, v67
	v_cmp_gt_i32_e64 s8, 0, v4
	v_and_b32_e32 v1, exec_lo, v1
	v_not_b32_e32 v4, v6
	v_ashrrev_i32_e32 v3, 31, v3
	s_wait_alu 0xf1ff
	v_xor_b32_e32 v2, s7, v2
	v_cmp_gt_i32_e64 s7, 0, v6
	v_and_b32_e32 v1, v1, v67
	v_not_b32_e32 v6, v7
	v_ashrrev_i32_e32 v4, 31, v4
	v_xor_b32_e32 v3, s8, v3
	v_cmp_gt_i32_e64 s8, 0, v7
	v_and_b32_e32 v1, v1, v2
	v_not_b32_e32 v2, v66
	v_ashrrev_i32_e32 v6, 31, v6
	s_wait_alu 0xf1ff
	v_xor_b32_e32 v4, s7, v4
	v_cmp_gt_i32_e64 s7, 0, v66
	v_and_b32_e32 v1, v1, v3
	v_not_b32_e32 v3, v5
	v_ashrrev_i32_e32 v2, 31, v2
	v_xor_b32_e32 v6, s8, v6
	v_and_b32_e32 v0, 0xffff, v0
	v_and_b32_e32 v1, v1, v4
	v_cmp_gt_i32_e64 s8, 0, v5
	v_ashrrev_i32_e32 v3, 31, v3
	s_wait_alu 0xf1ff
	v_xor_b32_e32 v2, s7, v2
	v_lshl_add_u32 v69, v0, 2, v8
	v_and_b32_e32 v1, v1, v6
	v_xor_b32_e32 v0, s8, v3
	ds_load_b32 v66, v69 offset:4
	v_and_b32_e32 v1, v1, v2
	; wave barrier
	s_delay_alu instid0(VALU_DEP_1) | instskip(NEXT) | instid1(VALU_DEP_1)
	v_and_b32_e32 v0, v1, v0
	v_mbcnt_lo_u32_b32 v67, v0, 0
	v_cmp_ne_u32_e64 s8, 0, v0
	s_delay_alu instid0(VALU_DEP_2)
	v_cmp_eq_u32_e64 s7, 0, v67
	s_and_b32 s8, s8, s7
	s_wait_alu 0xfffe
	s_and_saveexec_b32 s7, s8
	s_cbranch_execz .LBB163_49
; %bb.48:
	s_wait_dscnt 0x0
	v_bcnt_u32_b32 v0, v0, v66
	ds_store_b32 v69, v0 offset:4
.LBB163_49:
	s_wait_alu 0xfffe
	s_or_b32 exec_lo, exec_lo, s7
	v_lshrrev_b32_e32 v68, 16, v59
	; wave barrier
	v_and_or_b32 v72, 0xf80, v41, v43
	s_delay_alu instid0(VALU_DEP_2) | instskip(NEXT) | instid1(VALU_DEP_1)
	v_and_b32_e32 v0, s9, v68
	v_and_b32_e32 v1, 1, v0
	v_lshlrev_b32_e32 v2, 30, v0
	v_lshlrev_b32_e32 v3, 29, v0
	;; [unrolled: 1-line block ×4, first 2 shown]
	v_add_co_u32 v1, s7, v1, -1
	s_wait_alu 0xf1ff
	v_cndmask_b32_e64 v5, 0, 1, s7
	v_not_b32_e32 v71, v2
	v_cmp_gt_i32_e64 s8, 0, v2
	v_not_b32_e32 v2, v3
	v_lshlrev_b32_e32 v7, 26, v0
	v_cmp_ne_u32_e64 s7, 0, v5
	v_ashrrev_i32_e32 v71, 31, v71
	v_lshlrev_b32_e32 v70, 25, v0
	v_ashrrev_i32_e32 v2, 31, v2
	v_lshlrev_b32_e32 v5, 24, v0
	s_wait_alu 0xf1ff
	v_xor_b32_e32 v1, s7, v1
	v_cmp_gt_i32_e64 s7, 0, v3
	v_not_b32_e32 v3, v4
	v_xor_b32_e32 v71, s8, v71
	v_cmp_gt_i32_e64 s8, 0, v4
	v_and_b32_e32 v1, exec_lo, v1
	v_not_b32_e32 v4, v6
	v_ashrrev_i32_e32 v3, 31, v3
	s_wait_alu 0xf1ff
	v_xor_b32_e32 v2, s7, v2
	v_cmp_gt_i32_e64 s7, 0, v6
	v_and_b32_e32 v1, v1, v71
	v_not_b32_e32 v6, v7
	v_ashrrev_i32_e32 v4, 31, v4
	v_xor_b32_e32 v3, s8, v3
	v_cmp_gt_i32_e64 s8, 0, v7
	v_and_b32_e32 v1, v1, v2
	v_not_b32_e32 v2, v70
	v_ashrrev_i32_e32 v6, 31, v6
	s_wait_alu 0xf1ff
	v_xor_b32_e32 v4, s7, v4
	v_cmp_gt_i32_e64 s7, 0, v70
	v_and_b32_e32 v1, v1, v3
	v_not_b32_e32 v3, v5
	v_ashrrev_i32_e32 v2, 31, v2
	v_xor_b32_e32 v6, s8, v6
	v_cmp_gt_i32_e64 s8, 0, v5
	v_and_b32_e32 v1, v1, v4
	v_ashrrev_i32_e32 v3, 31, v3
	s_wait_alu 0xf1ff
	v_xor_b32_e32 v2, s7, v2
	v_lshl_add_u32 v73, v0, 2, v8
	v_and_b32_e32 v1, v1, v6
	v_xor_b32_e32 v0, s8, v3
	ds_load_b32 v70, v73 offset:4
	v_and_b32_e32 v1, v1, v2
	; wave barrier
	s_delay_alu instid0(VALU_DEP_1) | instskip(NEXT) | instid1(VALU_DEP_1)
	v_and_b32_e32 v0, v1, v0
	v_mbcnt_lo_u32_b32 v71, v0, 0
	v_cmp_ne_u32_e64 s8, 0, v0
	s_delay_alu instid0(VALU_DEP_2)
	v_cmp_eq_u32_e64 s7, 0, v71
	s_and_b32 s8, s8, s7
	s_wait_alu 0xfffe
	s_and_saveexec_b32 s7, s8
	s_cbranch_execz .LBB163_51
; %bb.50:
	s_wait_dscnt 0x0
	v_bcnt_u32_b32 v0, v0, v70
	ds_store_b32 v73, v0 offset:4
.LBB163_51:
	s_wait_alu 0xfffe
	s_or_b32 exec_lo, exec_lo, s7
	; wave barrier
	; wave barrier
	s_wait_loadcnt_dscnt 0x0
	global_inv scope:SCOPE_SE
	ds_load_2addr_b32 v[6:7], v42 offset0:1 offset1:2
	ds_load_2addr_b32 v[4:5], v42 offset0:3 offset1:4
	;; [unrolled: 1-line block ×4, first 2 shown]
	v_and_b32_e32 v76, 16, v43
	v_cmp_eq_u32_e64 s11, 31, v21
	s_delay_alu instid0(VALU_DEP_2) | instskip(SKIP_3) | instid1(VALU_DEP_1)
	v_cmp_eq_u32_e64 s12, 0, v76
	s_wait_dscnt 0x3
	v_add_nc_u32_e32 v74, v7, v6
	s_wait_dscnt 0x2
	v_add3_u32 v74, v74, v4, v5
	s_wait_dscnt 0x1
	s_delay_alu instid0(VALU_DEP_1) | instskip(SKIP_1) | instid1(VALU_DEP_1)
	v_add3_u32 v74, v74, v2, v3
	s_wait_dscnt 0x0
	v_add3_u32 v1, v74, v0, v1
	v_and_b32_e32 v74, 15, v43
	s_delay_alu instid0(VALU_DEP_2) | instskip(NEXT) | instid1(VALU_DEP_2)
	v_mov_b32_dpp v75, v1 row_shr:1 row_mask:0xf bank_mask:0xf
	v_cmp_eq_u32_e64 s7, 0, v74
	v_cmp_lt_u32_e64 s8, 1, v74
	v_cmp_lt_u32_e64 s9, 3, v74
	;; [unrolled: 1-line block ×3, first 2 shown]
	s_wait_alu 0xf1ff
	v_cndmask_b32_e64 v75, v75, 0, s7
	s_delay_alu instid0(VALU_DEP_1) | instskip(NEXT) | instid1(VALU_DEP_1)
	v_add_nc_u32_e32 v1, v75, v1
	v_mov_b32_dpp v75, v1 row_shr:2 row_mask:0xf bank_mask:0xf
	s_delay_alu instid0(VALU_DEP_1) | instskip(NEXT) | instid1(VALU_DEP_1)
	v_cndmask_b32_e64 v75, 0, v75, s8
	v_add_nc_u32_e32 v1, v1, v75
	s_delay_alu instid0(VALU_DEP_1) | instskip(NEXT) | instid1(VALU_DEP_1)
	v_mov_b32_dpp v75, v1 row_shr:4 row_mask:0xf bank_mask:0xf
	v_cndmask_b32_e64 v75, 0, v75, s9
	s_delay_alu instid0(VALU_DEP_1) | instskip(NEXT) | instid1(VALU_DEP_1)
	v_add_nc_u32_e32 v1, v1, v75
	v_mov_b32_dpp v75, v1 row_shr:8 row_mask:0xf bank_mask:0xf
	s_delay_alu instid0(VALU_DEP_1) | instskip(SKIP_1) | instid1(VALU_DEP_2)
	v_cndmask_b32_e64 v74, 0, v75, s10
	v_bfe_i32 v75, v43, 4, 1
	v_add_nc_u32_e32 v74, v1, v74
	ds_swizzle_b32 v1, v74 offset:swizzle(BROADCAST,32,15)
	s_wait_dscnt 0x0
	v_and_b32_e32 v77, v75, v1
	v_sub_co_u32 v75, s17, v43, 1
	v_mul_u32_u24_e32 v1, 6, v72
	s_delay_alu instid0(VALU_DEP_3)
	v_add_nc_u32_e32 v74, v74, v77
	s_and_saveexec_b32 s13, s11
; %bb.52:
	v_mov_b32_e32 v76, 0
	ds_store_b32 v76, v74
; %bb.53:
	s_wait_alu 0xfffe
	s_or_b32 exec_lo, exec_lo, s13
	v_cmp_gt_i32_e64 s13, 0, v75
	; wave barrier
	s_wait_loadcnt_dscnt 0x0
	global_inv scope:SCOPE_SE
	v_cndmask_b32_e64 v51, 0, v51, s6
	v_cndmask_b32_e64 v52, 0, v52, s6
	s_wait_alu 0xf1ff
	v_cndmask_b32_e64 v43, v75, v43, s13
	v_cmp_eq_u32_e64 s13, 0, v21
	v_cndmask_b32_e64 v54, 0, v54, s6
	v_cndmask_b32_e64 v22, v51, v22, s5
	v_cndmask_b32_e64 v23, v52, v23, s5
	v_lshlrev_b32_e32 v43, 2, v43
	s_or_b32 s13, s13, s17
	v_cndmask_b32_e64 v25, v54, v25, s5
	s_min_u32 s15, s15, 8
	ds_bpermute_b32 v74, v43, v74
	s_wait_dscnt 0x0
	s_wait_alu 0xfffe
	v_cndmask_b32_e64 v21, v74, 0, s13
	s_delay_alu instid0(VALU_DEP_1) | instskip(NEXT) | instid1(VALU_DEP_1)
	v_add_nc_u32_e32 v6, v21, v6
	v_add_nc_u32_e32 v7, v6, v7
	s_delay_alu instid0(VALU_DEP_1) | instskip(NEXT) | instid1(VALU_DEP_1)
	v_add_nc_u32_e32 v4, v7, v4
	v_add_nc_u32_e32 v5, v4, v5
	s_delay_alu instid0(VALU_DEP_1) | instskip(NEXT) | instid1(VALU_DEP_1)
	v_add_nc_u32_e32 v2, v5, v2
	v_add_nc_u32_e32 v3, v2, v3
	s_delay_alu instid0(VALU_DEP_1)
	v_add_nc_u32_e32 v0, v3, v0
	ds_store_2addr_b32 v42, v21, v6 offset0:1 offset1:2
	ds_store_2addr_b32 v42, v7, v4 offset0:3 offset1:4
	;; [unrolled: 1-line block ×4, first 2 shown]
	; wave barrier
	s_wait_loadcnt_dscnt 0x0
	global_inv scope:SCOPE_SE
	ds_load_b32 v0, v62 offset:4
	ds_load_b32 v2, v65 offset:4
	;; [unrolled: 1-line block ×4, first 2 shown]
	v_cndmask_b32_e64 v6, 0, v53, s6
	v_cndmask_b32_e64 v7, 0, v56, s6
	;; [unrolled: 1-line block ×4, first 2 shown]
	v_lshlrev_b32_e32 v53, 1, v72
	v_cndmask_b32_e64 v6, v6, v30, s5
	v_cndmask_b32_e64 v7, v7, v31, s5
	;; [unrolled: 1-line block ×4, first 2 shown]
	; wave barrier
	s_wait_loadcnt_dscnt 0x0
	global_inv scope:SCOPE_SE
	v_cndmask_b32_e64 v48, 0, v57, s6
	v_cndmask_b32_e64 v7, v7, v26, s4
	s_lshl_b32 s6, -1, s15
	s_wait_alu 0xfffe
	s_not_b32 s6, s6
	v_add_nc_u32_e32 v30, v0, v60
	v_add3_u32 v31, v64, v63, v2
	v_add3_u32 v49, v67, v66, v3
	;; [unrolled: 1-line block ×3, first 2 shown]
	v_cndmask_b32_e64 v47, v48, v47, s5
	v_lshlrev_b32_e32 v0, 1, v30
	v_lshlrev_b32_e32 v2, 1, v31
	;; [unrolled: 1-line block ×4, first 2 shown]
	ds_store_b16 v0, v50
	ds_store_b16 v2, v61
	;; [unrolled: 1-line block ×4, first 2 shown]
	; wave barrier
	s_wait_loadcnt_dscnt 0x0
	global_inv scope:SCOPE_SE
	ds_load_u16 v21, v53
	v_add_nc_u32_e32 v48, v53, v1
	v_cndmask_b32_e64 v1, v22, v11, s4
	v_cndmask_b32_e64 v11, v23, v12, s4
	;; [unrolled: 1-line block ×5, first 2 shown]
	s_delay_alu instid0(VALU_DEP_4) | instskip(NEXT) | instid1(VALU_DEP_4)
	v_dual_cndmask_b32 v5, v1, v9 :: v_dual_cndmask_b32 v6, v11, v10
	v_cndmask_b32_e32 v9, v12, v13, vcc_lo
	v_cndmask_b32_e32 v12, v7, v29, vcc_lo
	s_delay_alu instid0(VALU_DEP_4)
	v_dual_cndmask_b32 v10, v15, v14 :: v_dual_cndmask_b32 v11, v16, v28
	ds_load_u16 v16, v53 offset:64
	ds_load_u16 v22, v53 offset:128
	;; [unrolled: 1-line block ×3, first 2 shown]
	; wave barrier
	s_wait_loadcnt_dscnt 0x0
	global_inv scope:SCOPE_SE
	v_cndmask_b32_e64 v24, v47, v46, s4
	v_cndmask_b32_e64 v25, v27, v58, s4
	v_lshrrev_b16 v1, 8, v21
	s_delay_alu instid0(VALU_DEP_2) | instskip(NEXT) | instid1(VALU_DEP_2)
	v_dual_cndmask_b32 v13, v24, v45 :: v_dual_cndmask_b32 v14, v25, v44
	v_and_b32_e32 v7, 0xffff, v1
	v_mad_co_u64_u32 v[0:1], null, v30, 6, v[0:1]
	v_mad_co_u64_u32 v[1:2], null, v31, 6, v[2:3]
	s_wait_alu 0xfffe
	s_delay_alu instid0(VALU_DEP_3)
	v_and_b32_e32 v15, s6, v7
	v_mad_co_u64_u32 v[2:3], null, v49, 6, v[3:4]
	v_mad_co_u64_u32 v[3:4], null, v51, 6, v[4:5]
	ds_store_b64 v0, v[5:6]
	v_and_b32_e32 v0, 1, v15
	v_lshlrev_b32_e32 v4, 30, v15
	v_lshlrev_b32_e32 v5, 29, v15
	;; [unrolled: 1-line block ×4, first 2 shown]
	v_add_co_u32 v0, s4, v0, -1
	s_wait_alu 0xf1ff
	v_cndmask_b32_e64 v7, 0, 1, s4
	v_not_b32_e32 v27, v4
	v_cmp_gt_i32_e64 s4, 0, v4
	v_not_b32_e32 v4, v5
	v_lshlrev_b32_e32 v25, 26, v15
	v_cmp_ne_u32_e32 vcc_lo, 0, v7
	v_ashrrev_i32_e32 v27, 31, v27
	v_lshlrev_b32_e32 v26, 25, v15
	v_ashrrev_i32_e32 v4, 31, v4
	v_lshlrev_b32_e32 v7, 24, v15
	s_wait_alu 0xfffd
	v_xor_b32_e32 v0, vcc_lo, v0
	v_cmp_gt_i32_e32 vcc_lo, 0, v5
	v_not_b32_e32 v5, v6
	s_wait_alu 0xf1ff
	v_xor_b32_e32 v27, s4, v27
	v_cmp_gt_i32_e64 s4, 0, v6
	v_and_b32_e32 v0, exec_lo, v0
	v_not_b32_e32 v6, v24
	v_ashrrev_i32_e32 v5, 31, v5
	s_wait_alu 0xfffd
	v_xor_b32_e32 v4, vcc_lo, v4
	v_cmp_gt_i32_e32 vcc_lo, 0, v24
	v_and_b32_e32 v0, v0, v27
	v_not_b32_e32 v24, v25
	v_ashrrev_i32_e32 v6, 31, v6
	s_wait_alu 0xf1ff
	v_xor_b32_e32 v5, s4, v5
	v_cmp_gt_i32_e64 s4, 0, v25
	v_and_b32_e32 v0, v0, v4
	v_not_b32_e32 v4, v26
	v_ashrrev_i32_e32 v24, 31, v24
	s_wait_alu 0xfffd
	v_xor_b32_e32 v6, vcc_lo, v6
	v_cmp_gt_i32_e32 vcc_lo, 0, v26
	v_and_b32_e32 v0, v0, v5
	v_not_b32_e32 v5, v7
	v_ashrrev_i32_e32 v4, 31, v4
	s_wait_alu 0xf1ff
	v_xor_b32_e32 v24, s4, v24
	ds_store_b64 v1, v[9:10]
	v_and_b32_e32 v0, v0, v6
	v_cmp_gt_i32_e64 s4, 0, v7
	v_ashrrev_i32_e32 v1, 31, v5
	s_wait_alu 0xfffd
	v_xor_b32_e32 v4, vcc_lo, v4
	ds_store_b64 v2, v[11:12]
	ds_store_b64 v3, v[13:14]
	v_and_b32_e32 v0, v0, v24
	s_wait_loadcnt_dscnt 0x0
	s_wait_alu 0xf1ff
	v_xor_b32_e32 v9, s4, v1
	; wave barrier
	global_inv scope:SCOPE_SE
	v_lshl_add_u32 v25, v15, 2, v8
	v_and_b32_e32 v10, v0, v4
	ds_load_2addr_b64 v[4:7], v48 offset1:32
	ds_load_2addr_b64 v[0:3], v48 offset0:64 offset1:96
	; wave barrier
	s_wait_loadcnt_dscnt 0x0
	global_inv scope:SCOPE_SE
	v_dual_mov_b32 v10, 0 :: v_dual_and_b32 v9, v10, v9
	ds_store_2addr_b32 v42, v10, v10 offset0:1 offset1:2
	ds_store_2addr_b32 v42, v10, v10 offset0:3 offset1:4
	;; [unrolled: 1-line block ×4, first 2 shown]
	v_mbcnt_lo_u32_b32 v24, v9, 0
	v_cmp_ne_u32_e64 s4, 0, v9
	; wave barrier
	s_wait_loadcnt_dscnt 0x0
	global_inv scope:SCOPE_SE
	v_cmp_eq_u32_e32 vcc_lo, 0, v24
	; wave barrier
	s_and_b32 s5, s4, vcc_lo
	s_wait_alu 0xfffe
	s_and_saveexec_b32 s4, s5
; %bb.54:
	v_bcnt_u32_b32 v9, v9, 0
	ds_store_b32 v25, v9 offset:4
; %bb.55:
	s_wait_alu 0xfffe
	s_or_b32 exec_lo, exec_lo, s4
	v_lshrrev_b16 v9, 8, v16
	; wave barrier
	s_delay_alu instid0(VALU_DEP_1) | instskip(NEXT) | instid1(VALU_DEP_1)
	v_and_b32_e32 v9, s6, v9
	v_and_b32_e32 v10, 1, v9
	v_lshlrev_b32_e32 v11, 30, v9
	v_lshlrev_b32_e32 v12, 29, v9
	;; [unrolled: 1-line block ×4, first 2 shown]
	v_add_co_u32 v10, s4, v10, -1
	s_wait_alu 0xf1ff
	v_cndmask_b32_e64 v14, 0, 1, s4
	v_not_b32_e32 v28, v11
	v_cmp_gt_i32_e64 s4, 0, v11
	v_not_b32_e32 v11, v12
	v_lshlrev_b32_e32 v26, 26, v9
	v_cmp_ne_u32_e32 vcc_lo, 0, v14
	v_ashrrev_i32_e32 v28, 31, v28
	v_lshlrev_b32_e32 v27, 25, v9
	v_ashrrev_i32_e32 v11, 31, v11
	v_lshlrev_b32_e32 v14, 24, v9
	s_wait_alu 0xfffd
	v_xor_b32_e32 v10, vcc_lo, v10
	v_cmp_gt_i32_e32 vcc_lo, 0, v12
	v_not_b32_e32 v12, v13
	s_wait_alu 0xf1ff
	v_xor_b32_e32 v28, s4, v28
	v_cmp_gt_i32_e64 s4, 0, v13
	v_and_b32_e32 v10, exec_lo, v10
	v_not_b32_e32 v13, v15
	v_ashrrev_i32_e32 v12, 31, v12
	s_wait_alu 0xfffd
	v_xor_b32_e32 v11, vcc_lo, v11
	v_cmp_gt_i32_e32 vcc_lo, 0, v15
	v_and_b32_e32 v10, v10, v28
	v_not_b32_e32 v15, v26
	v_ashrrev_i32_e32 v13, 31, v13
	s_wait_alu 0xf1ff
	v_xor_b32_e32 v12, s4, v12
	v_cmp_gt_i32_e64 s4, 0, v26
	v_and_b32_e32 v10, v10, v11
	v_not_b32_e32 v11, v27
	v_ashrrev_i32_e32 v15, 31, v15
	s_wait_alu 0xfffd
	v_xor_b32_e32 v13, vcc_lo, v13
	v_cmp_gt_i32_e32 vcc_lo, 0, v27
	v_and_b32_e32 v10, v10, v12
	v_not_b32_e32 v12, v14
	v_ashrrev_i32_e32 v11, 31, v11
	s_wait_alu 0xf1ff
	v_xor_b32_e32 v15, s4, v15
	v_cmp_gt_i32_e64 s4, 0, v14
	v_and_b32_e32 v10, v10, v13
	v_ashrrev_i32_e32 v12, 31, v12
	s_wait_alu 0xfffd
	v_xor_b32_e32 v11, vcc_lo, v11
	v_lshl_add_u32 v28, v9, 2, v8
	v_and_b32_e32 v10, v10, v15
	s_wait_alu 0xf1ff
	v_xor_b32_e32 v9, s4, v12
	ds_load_b32 v26, v28 offset:4
	v_and_b32_e32 v10, v10, v11
	; wave barrier
	s_delay_alu instid0(VALU_DEP_1) | instskip(NEXT) | instid1(VALU_DEP_1)
	v_and_b32_e32 v9, v10, v9
	v_mbcnt_lo_u32_b32 v27, v9, 0
	v_cmp_ne_u32_e64 s4, 0, v9
	s_delay_alu instid0(VALU_DEP_2)
	v_cmp_eq_u32_e32 vcc_lo, 0, v27
	s_and_b32 s5, s4, vcc_lo
	s_wait_alu 0xfffe
	s_and_saveexec_b32 s4, s5
	s_cbranch_execz .LBB163_57
; %bb.56:
	s_wait_dscnt 0x0
	v_bcnt_u32_b32 v9, v9, v26
	ds_store_b32 v28, v9 offset:4
.LBB163_57:
	s_wait_alu 0xfffe
	s_or_b32 exec_lo, exec_lo, s4
	v_lshrrev_b16 v9, 8, v22
	; wave barrier
	s_delay_alu instid0(VALU_DEP_1) | instskip(NEXT) | instid1(VALU_DEP_1)
	v_and_b32_e32 v9, s6, v9
	v_and_b32_e32 v10, 1, v9
	v_lshlrev_b32_e32 v11, 30, v9
	v_lshlrev_b32_e32 v12, 29, v9
	;; [unrolled: 1-line block ×4, first 2 shown]
	v_add_co_u32 v10, s4, v10, -1
	s_wait_alu 0xf1ff
	v_cndmask_b32_e64 v14, 0, 1, s4
	v_not_b32_e32 v31, v11
	v_cmp_gt_i32_e64 s4, 0, v11
	v_not_b32_e32 v11, v12
	v_lshlrev_b32_e32 v29, 26, v9
	v_cmp_ne_u32_e32 vcc_lo, 0, v14
	v_ashrrev_i32_e32 v31, 31, v31
	v_lshlrev_b32_e32 v30, 25, v9
	v_ashrrev_i32_e32 v11, 31, v11
	v_lshlrev_b32_e32 v14, 24, v9
	s_wait_alu 0xfffd
	v_xor_b32_e32 v10, vcc_lo, v10
	v_cmp_gt_i32_e32 vcc_lo, 0, v12
	v_not_b32_e32 v12, v13
	s_wait_alu 0xf1ff
	v_xor_b32_e32 v31, s4, v31
	v_cmp_gt_i32_e64 s4, 0, v13
	v_and_b32_e32 v10, exec_lo, v10
	v_not_b32_e32 v13, v15
	v_ashrrev_i32_e32 v12, 31, v12
	s_wait_alu 0xfffd
	v_xor_b32_e32 v11, vcc_lo, v11
	v_cmp_gt_i32_e32 vcc_lo, 0, v15
	v_and_b32_e32 v10, v10, v31
	v_not_b32_e32 v15, v29
	v_ashrrev_i32_e32 v13, 31, v13
	s_wait_alu 0xf1ff
	v_xor_b32_e32 v12, s4, v12
	v_cmp_gt_i32_e64 s4, 0, v29
	v_and_b32_e32 v10, v10, v11
	v_not_b32_e32 v11, v30
	v_ashrrev_i32_e32 v15, 31, v15
	s_wait_alu 0xfffd
	v_xor_b32_e32 v13, vcc_lo, v13
	v_cmp_gt_i32_e32 vcc_lo, 0, v30
	v_and_b32_e32 v10, v10, v12
	v_not_b32_e32 v12, v14
	v_ashrrev_i32_e32 v11, 31, v11
	s_wait_alu 0xf1ff
	v_xor_b32_e32 v15, s4, v15
	v_cmp_gt_i32_e64 s4, 0, v14
	v_and_b32_e32 v10, v10, v13
	v_ashrrev_i32_e32 v12, 31, v12
	s_wait_alu 0xfffd
	v_xor_b32_e32 v11, vcc_lo, v11
	v_lshl_add_u32 v31, v9, 2, v8
	v_and_b32_e32 v10, v10, v15
	s_wait_alu 0xf1ff
	v_xor_b32_e32 v9, s4, v12
	ds_load_b32 v29, v31 offset:4
	v_and_b32_e32 v10, v10, v11
	; wave barrier
	s_delay_alu instid0(VALU_DEP_1) | instskip(NEXT) | instid1(VALU_DEP_1)
	v_and_b32_e32 v9, v10, v9
	v_mbcnt_lo_u32_b32 v30, v9, 0
	v_cmp_ne_u32_e64 s4, 0, v9
	s_delay_alu instid0(VALU_DEP_2)
	v_cmp_eq_u32_e32 vcc_lo, 0, v30
	s_and_b32 s5, s4, vcc_lo
	s_wait_alu 0xfffe
	s_and_saveexec_b32 s4, s5
	s_cbranch_execz .LBB163_59
; %bb.58:
	s_wait_dscnt 0x0
	v_bcnt_u32_b32 v9, v9, v29
	ds_store_b32 v31, v9 offset:4
.LBB163_59:
	s_wait_alu 0xfffe
	s_or_b32 exec_lo, exec_lo, s4
	v_lshrrev_b16 v9, 8, v23
	; wave barrier
	s_delay_alu instid0(VALU_DEP_1) | instskip(NEXT) | instid1(VALU_DEP_1)
	v_and_b32_e32 v9, s6, v9
	v_and_b32_e32 v10, 1, v9
	v_lshlrev_b32_e32 v11, 30, v9
	v_lshlrev_b32_e32 v12, 29, v9
	;; [unrolled: 1-line block ×4, first 2 shown]
	v_add_co_u32 v10, s4, v10, -1
	s_wait_alu 0xf1ff
	v_cndmask_b32_e64 v14, 0, 1, s4
	v_not_b32_e32 v46, v11
	v_cmp_gt_i32_e64 s4, 0, v11
	v_not_b32_e32 v11, v12
	v_lshlrev_b32_e32 v44, 26, v9
	v_cmp_ne_u32_e32 vcc_lo, 0, v14
	v_ashrrev_i32_e32 v46, 31, v46
	v_lshlrev_b32_e32 v45, 25, v9
	v_ashrrev_i32_e32 v11, 31, v11
	v_lshlrev_b32_e32 v14, 24, v9
	s_wait_alu 0xfffd
	v_xor_b32_e32 v10, vcc_lo, v10
	v_cmp_gt_i32_e32 vcc_lo, 0, v12
	v_not_b32_e32 v12, v13
	s_wait_alu 0xf1ff
	v_xor_b32_e32 v46, s4, v46
	v_cmp_gt_i32_e64 s4, 0, v13
	v_and_b32_e32 v10, exec_lo, v10
	v_not_b32_e32 v13, v15
	v_ashrrev_i32_e32 v12, 31, v12
	s_wait_alu 0xfffd
	v_xor_b32_e32 v11, vcc_lo, v11
	v_cmp_gt_i32_e32 vcc_lo, 0, v15
	v_and_b32_e32 v10, v10, v46
	v_not_b32_e32 v15, v44
	v_ashrrev_i32_e32 v13, 31, v13
	s_wait_alu 0xf1ff
	v_xor_b32_e32 v12, s4, v12
	v_cmp_gt_i32_e64 s4, 0, v44
	v_and_b32_e32 v10, v10, v11
	v_not_b32_e32 v11, v45
	v_ashrrev_i32_e32 v15, 31, v15
	s_wait_alu 0xfffd
	v_xor_b32_e32 v13, vcc_lo, v13
	v_cmp_gt_i32_e32 vcc_lo, 0, v45
	v_and_b32_e32 v10, v10, v12
	v_not_b32_e32 v12, v14
	v_ashrrev_i32_e32 v11, 31, v11
	s_wait_alu 0xf1ff
	v_xor_b32_e32 v15, s4, v15
	v_cmp_gt_i32_e64 s4, 0, v14
	v_and_b32_e32 v10, v10, v13
	v_ashrrev_i32_e32 v12, 31, v12
	s_wait_alu 0xfffd
	v_xor_b32_e32 v11, vcc_lo, v11
	v_lshl_add_u32 v46, v9, 2, v8
	v_and_b32_e32 v10, v10, v15
	s_wait_alu 0xf1ff
	v_xor_b32_e32 v8, s4, v12
	ds_load_b32 v44, v46 offset:4
	v_and_b32_e32 v9, v10, v11
	; wave barrier
	s_delay_alu instid0(VALU_DEP_1) | instskip(NEXT) | instid1(VALU_DEP_1)
	v_and_b32_e32 v8, v9, v8
	v_mbcnt_lo_u32_b32 v45, v8, 0
	v_cmp_ne_u32_e64 s4, 0, v8
	s_delay_alu instid0(VALU_DEP_2)
	v_cmp_eq_u32_e32 vcc_lo, 0, v45
	s_and_b32 s5, s4, vcc_lo
	s_wait_alu 0xfffe
	s_and_saveexec_b32 s4, s5
	s_cbranch_execz .LBB163_61
; %bb.60:
	s_wait_dscnt 0x0
	v_bcnt_u32_b32 v8, v8, v44
	ds_store_b32 v46, v8 offset:4
.LBB163_61:
	s_wait_alu 0xfffe
	s_or_b32 exec_lo, exec_lo, s4
	; wave barrier
	; wave barrier
	s_wait_loadcnt_dscnt 0x0
	global_inv scope:SCOPE_SE
	ds_load_2addr_b32 v[14:15], v42 offset0:1 offset1:2
	ds_load_2addr_b32 v[12:13], v42 offset0:3 offset1:4
	;; [unrolled: 1-line block ×4, first 2 shown]
	s_wait_dscnt 0x3
	v_add_nc_u32_e32 v47, v15, v14
	s_wait_dscnt 0x2
	s_delay_alu instid0(VALU_DEP_1) | instskip(SKIP_1) | instid1(VALU_DEP_1)
	v_add3_u32 v47, v47, v12, v13
	s_wait_dscnt 0x1
	v_add3_u32 v47, v47, v10, v11
	s_wait_dscnt 0x0
	s_delay_alu instid0(VALU_DEP_1) | instskip(NEXT) | instid1(VALU_DEP_1)
	v_add3_u32 v9, v47, v8, v9
	v_mov_b32_dpp v47, v9 row_shr:1 row_mask:0xf bank_mask:0xf
	s_delay_alu instid0(VALU_DEP_1) | instskip(NEXT) | instid1(VALU_DEP_1)
	v_cndmask_b32_e64 v47, v47, 0, s7
	v_add_nc_u32_e32 v9, v47, v9
	s_delay_alu instid0(VALU_DEP_1) | instskip(NEXT) | instid1(VALU_DEP_1)
	v_mov_b32_dpp v47, v9 row_shr:2 row_mask:0xf bank_mask:0xf
	v_cndmask_b32_e64 v47, 0, v47, s8
	s_delay_alu instid0(VALU_DEP_1) | instskip(NEXT) | instid1(VALU_DEP_1)
	v_add_nc_u32_e32 v9, v9, v47
	v_mov_b32_dpp v47, v9 row_shr:4 row_mask:0xf bank_mask:0xf
	s_delay_alu instid0(VALU_DEP_1) | instskip(NEXT) | instid1(VALU_DEP_1)
	v_cndmask_b32_e64 v47, 0, v47, s9
	v_add_nc_u32_e32 v9, v9, v47
	s_delay_alu instid0(VALU_DEP_1) | instskip(NEXT) | instid1(VALU_DEP_1)
	v_mov_b32_dpp v47, v9 row_shr:8 row_mask:0xf bank_mask:0xf
	v_cndmask_b32_e64 v47, 0, v47, s10
	s_delay_alu instid0(VALU_DEP_1) | instskip(SKIP_3) | instid1(VALU_DEP_1)
	v_add_nc_u32_e32 v9, v9, v47
	ds_swizzle_b32 v47, v9 offset:swizzle(BROADCAST,32,15)
	s_wait_dscnt 0x0
	v_cndmask_b32_e64 v47, v47, 0, s12
	v_add_nc_u32_e32 v9, v9, v47
	s_and_saveexec_b32 s4, s11
; %bb.62:
	v_mov_b32_e32 v47, 0
	ds_store_b32 v47, v9
; %bb.63:
	s_wait_alu 0xfffe
	s_or_b32 exec_lo, exec_lo, s4
	ds_bpermute_b32 v9, v43, v9
	; wave barrier
	s_wait_loadcnt_dscnt 0x0
	global_inv scope:SCOPE_SE
	v_cndmask_b32_e64 v9, v9, 0, s13
	s_delay_alu instid0(VALU_DEP_1) | instskip(NEXT) | instid1(VALU_DEP_1)
	v_add_nc_u32_e32 v14, v9, v14
	v_add_nc_u32_e32 v15, v14, v15
	s_delay_alu instid0(VALU_DEP_1) | instskip(NEXT) | instid1(VALU_DEP_1)
	v_add_nc_u32_e32 v12, v15, v12
	v_add_nc_u32_e32 v13, v12, v13
	;; [unrolled: 3-line block ×3, first 2 shown]
	s_delay_alu instid0(VALU_DEP_1)
	v_add_nc_u32_e32 v8, v11, v8
	ds_store_2addr_b32 v42, v9, v14 offset0:1 offset1:2
	ds_store_2addr_b32 v42, v15, v12 offset0:3 offset1:4
	;; [unrolled: 1-line block ×4, first 2 shown]
	; wave barrier
	s_wait_loadcnt_dscnt 0x0
	global_inv scope:SCOPE_SE
	ds_load_b32 v8, v25 offset:4
	ds_load_b32 v9, v28 offset:4
	;; [unrolled: 1-line block ×4, first 2 shown]
	v_lshlrev_b32_e32 v12, 1, v41
	; wave barrier
	s_wait_loadcnt_dscnt 0x0
	global_inv scope:SCOPE_SE
	v_add_nc_u32_e32 v15, v8, v24
	v_add3_u32 v24, v27, v26, v9
	v_add3_u32 v25, v30, v29, v10
	;; [unrolled: 1-line block ×3, first 2 shown]
	s_delay_alu instid0(VALU_DEP_4) | instskip(NEXT) | instid1(VALU_DEP_4)
	v_lshlrev_b32_e32 v8, 1, v15
	v_lshlrev_b32_e32 v9, 1, v24
	s_delay_alu instid0(VALU_DEP_4) | instskip(NEXT) | instid1(VALU_DEP_4)
	v_lshlrev_b32_e32 v10, 1, v25
	v_lshlrev_b32_e32 v11, 1, v26
	ds_store_b16 v8, v21
	ds_store_b16 v9, v16
	;; [unrolled: 1-line block ×4, first 2 shown]
	; wave barrier
	s_wait_loadcnt_dscnt 0x0
	global_inv scope:SCOPE_SE
	ds_load_b64 v[13:14], v12
	v_mad_co_u64_u32 v[15:16], null, v15, 6, v[8:9]
	v_mad_co_u64_u32 v[8:9], null, v24, 6, v[9:10]
	;; [unrolled: 1-line block ×4, first 2 shown]
	; wave barrier
	s_wait_loadcnt_dscnt 0x0
	global_inv scope:SCOPE_SE
	ds_store_b64 v15, v[4:5]
	ds_store_b64 v8, v[6:7]
	;; [unrolled: 1-line block ×4, first 2 shown]
	; wave barrier
	s_wait_loadcnt_dscnt 0x0
	global_inv scope:SCOPE_SE
	v_xor_b32_e32 v13, 0x7fff7fff, v13
	v_xor_b32_e32 v14, 0x7fff7fff, v14
.LBB163_64:
	ds_load_b128 v[0:3], v40
	ds_load_b128 v[4:7], v40 offset:16
	; wave barrier
	s_wait_loadcnt_dscnt 0x0
	global_inv scope:SCOPE_SE
	ds_store_2addr_b32 v35, v13, v14 offset1:1
	; wave barrier
	s_wait_loadcnt_dscnt 0x0
	global_inv scope:SCOPE_SE
	ds_load_u16 v12, v18 offset:64
	ds_load_u16 v11, v33 offset:128
	;; [unrolled: 1-line block ×3, first 2 shown]
	v_mov_b32_e32 v18, 0
	s_delay_alu instid0(VALU_DEP_1) | instskip(NEXT) | instid1(VALU_DEP_1)
	v_lshlrev_b64_e32 v[8:9], 1, v[17:18]
	v_add_co_u32 v8, vcc_lo, s18, v8
	s_wait_alu 0xfffd
	s_delay_alu instid0(VALU_DEP_2)
	v_add_co_ci_u32_e64 v9, null, s19, v9, vcc_lo
	s_and_saveexec_b32 s4, s0
	s_cbranch_execnz .LBB163_75
; %bb.65:
	s_wait_alu 0xfffe
	s_or_b32 exec_lo, exec_lo, s4
	s_and_saveexec_b32 s4, s1
	s_cbranch_execnz .LBB163_76
.LBB163_66:
	s_wait_alu 0xfffe
	s_or_b32 exec_lo, exec_lo, s4
	s_and_saveexec_b32 s4, s2
	s_cbranch_execnz .LBB163_77
.LBB163_67:
	s_wait_alu 0xfffe
	s_or_b32 exec_lo, exec_lo, s4
	s_and_saveexec_b32 s4, s3
	s_cbranch_execz .LBB163_69
.LBB163_68:
	s_mul_i32 s6, s14, 0x60
	s_mov_b32 s7, 0
	s_wait_alu 0xfffe
	s_lshl_b64 s[6:7], s[6:7], 1
	s_wait_alu 0xfffe
	v_add_co_u32 v8, vcc_lo, v8, s6
	s_wait_alu 0xfffd
	v_add_co_ci_u32_e64 v9, null, s7, v9, vcc_lo
	s_wait_dscnt 0x0
	global_store_b16 v[8:9], v10, off
.LBB163_69:
	s_wait_alu 0xfffe
	s_or_b32 exec_lo, exec_lo, s4
	s_wait_storecnt 0x0
	; wave barrier
	s_wait_loadcnt_dscnt 0x0
	global_inv scope:SCOPE_SE
	ds_store_2addr_b64 v39, v[0:1], v[2:3] offset1:1
	ds_store_2addr_b64 v39, v[4:5], v[6:7] offset0:2 offset1:3
	; wave barrier
	s_wait_loadcnt_dscnt 0x0
	global_inv scope:SCOPE_SE
	ds_load_b64 v[6:7], v20 offset:256
	ds_load_b64 v[4:5], v37 offset:512
	;; [unrolled: 1-line block ×3, first 2 shown]
	v_mov_b32_e32 v20, 0
	s_delay_alu instid0(VALU_DEP_1) | instskip(NEXT) | instid1(VALU_DEP_1)
	v_lshlrev_b64_e32 v[2:3], 3, v[19:20]
	v_add_co_u32 v2, vcc_lo, s20, v2
	s_wait_alu 0xfffd
	s_delay_alu instid0(VALU_DEP_2)
	v_add_co_ci_u32_e64 v3, null, s21, v3, vcc_lo
	s_and_saveexec_b32 s4, s0
	s_cbranch_execnz .LBB163_78
; %bb.70:
	s_wait_alu 0xfffe
	s_or_b32 exec_lo, exec_lo, s4
	s_and_saveexec_b32 s0, s1
	s_cbranch_execnz .LBB163_79
.LBB163_71:
	s_wait_alu 0xfffe
	s_or_b32 exec_lo, exec_lo, s0
	s_and_saveexec_b32 s0, s2
	s_cbranch_execnz .LBB163_80
.LBB163_72:
	s_wait_alu 0xfffe
	s_or_b32 exec_lo, exec_lo, s0
	s_and_saveexec_b32 s0, s3
	s_cbranch_execz .LBB163_74
.LBB163_73:
	s_mul_i32 s0, s16, 0x60
	s_mov_b32 s1, 0
	s_wait_alu 0xfffe
	s_lshl_b64 s[0:1], s[0:1], 3
	s_wait_alu 0xfffe
	v_add_co_u32 v2, vcc_lo, v2, s0
	s_wait_alu 0xfffd
	v_add_co_ci_u32_e64 v3, null, s1, v3, vcc_lo
	s_wait_dscnt 0x0
	global_store_b64 v[2:3], v[0:1], off
.LBB163_74:
	s_endpgm
.LBB163_75:
	ds_load_u16 v13, v32
	s_wait_dscnt 0x0
	global_store_b16 v[8:9], v13, off
	s_wait_alu 0xfffe
	s_or_b32 exec_lo, exec_lo, s4
	s_and_saveexec_b32 s4, s1
	s_cbranch_execz .LBB163_66
.LBB163_76:
	s_lshl_b32 s6, s14, 5
	s_mov_b32 s7, 0
	s_wait_alu 0xfffe
	s_lshl_b64 s[6:7], s[6:7], 1
	s_wait_alu 0xfffe
	v_add_co_u32 v13, vcc_lo, v8, s6
	s_wait_alu 0xfffd
	v_add_co_ci_u32_e64 v14, null, s7, v9, vcc_lo
	s_wait_dscnt 0x2
	global_store_b16 v[13:14], v12, off
	s_or_b32 exec_lo, exec_lo, s4
	s_and_saveexec_b32 s4, s2
	s_cbranch_execz .LBB163_67
.LBB163_77:
	s_lshl_b32 s6, s14, 6
	s_mov_b32 s7, 0
	s_wait_alu 0xfffe
	s_lshl_b64 s[6:7], s[6:7], 1
	s_wait_dscnt 0x2
	s_wait_alu 0xfffe
	v_add_co_u32 v12, vcc_lo, v8, s6
	s_wait_alu 0xfffd
	v_add_co_ci_u32_e64 v13, null, s7, v9, vcc_lo
	s_wait_dscnt 0x1
	global_store_b16 v[12:13], v11, off
	s_or_b32 exec_lo, exec_lo, s4
	s_and_saveexec_b32 s4, s3
	s_cbranch_execnz .LBB163_68
	s_branch .LBB163_69
.LBB163_78:
	ds_load_b64 v[8:9], v36
	s_wait_dscnt 0x0
	global_store_b64 v[2:3], v[8:9], off
	s_wait_alu 0xfffe
	s_or_b32 exec_lo, exec_lo, s4
	s_and_saveexec_b32 s0, s1
	s_cbranch_execz .LBB163_71
.LBB163_79:
	s_lshl_b32 s4, s16, 5
	s_mov_b32 s5, 0
	s_wait_alu 0xfffe
	s_lshl_b64 s[4:5], s[4:5], 3
	s_wait_alu 0xfffe
	v_add_co_u32 v8, vcc_lo, v2, s4
	s_wait_alu 0xfffd
	v_add_co_ci_u32_e64 v9, null, s5, v3, vcc_lo
	s_wait_dscnt 0x2
	global_store_b64 v[8:9], v[6:7], off
	s_or_b32 exec_lo, exec_lo, s0
	s_and_saveexec_b32 s0, s2
	s_cbranch_execz .LBB163_72
.LBB163_80:
	s_lshl_b32 s4, s16, 6
	s_mov_b32 s5, 0
	s_wait_alu 0xfffe
	s_lshl_b64 s[4:5], s[4:5], 3
	s_wait_dscnt 0x2
	s_wait_alu 0xfffe
	v_add_co_u32 v6, vcc_lo, v2, s4
	s_wait_alu 0xfffd
	v_add_co_ci_u32_e64 v7, null, s5, v3, vcc_lo
	s_wait_dscnt 0x1
	global_store_b64 v[6:7], v[4:5], off
	s_or_b32 exec_lo, exec_lo, s0
	s_and_saveexec_b32 s0, s3
	s_cbranch_execnz .LBB163_73
	s_branch .LBB163_74
	.section	.rodata,"a",@progbits
	.p2align	6, 0x0
	.amdhsa_kernel _ZN2at6native18radixSortKVInPlaceILin2ELin1ELi32ELi4EsljEEvNS_4cuda6detail10TensorInfoIT3_T5_EES6_S6_S6_NS4_IT4_S6_EES6_b
		.amdhsa_group_segment_fixed_size 1056
		.amdhsa_private_segment_fixed_size 0
		.amdhsa_kernarg_size 712
		.amdhsa_user_sgpr_count 2
		.amdhsa_user_sgpr_dispatch_ptr 0
		.amdhsa_user_sgpr_queue_ptr 0
		.amdhsa_user_sgpr_kernarg_segment_ptr 1
		.amdhsa_user_sgpr_dispatch_id 0
		.amdhsa_user_sgpr_private_segment_size 0
		.amdhsa_wavefront_size32 1
		.amdhsa_uses_dynamic_stack 0
		.amdhsa_enable_private_segment 0
		.amdhsa_system_sgpr_workgroup_id_x 1
		.amdhsa_system_sgpr_workgroup_id_y 1
		.amdhsa_system_sgpr_workgroup_id_z 1
		.amdhsa_system_sgpr_workgroup_info 0
		.amdhsa_system_vgpr_workitem_id 2
		.amdhsa_next_free_vgpr 94
		.amdhsa_next_free_sgpr 24
		.amdhsa_reserve_vcc 1
		.amdhsa_float_round_mode_32 0
		.amdhsa_float_round_mode_16_64 0
		.amdhsa_float_denorm_mode_32 3
		.amdhsa_float_denorm_mode_16_64 3
		.amdhsa_fp16_overflow 0
		.amdhsa_workgroup_processor_mode 1
		.amdhsa_memory_ordered 1
		.amdhsa_forward_progress 1
		.amdhsa_inst_pref_size 106
		.amdhsa_round_robin_scheduling 0
		.amdhsa_exception_fp_ieee_invalid_op 0
		.amdhsa_exception_fp_denorm_src 0
		.amdhsa_exception_fp_ieee_div_zero 0
		.amdhsa_exception_fp_ieee_overflow 0
		.amdhsa_exception_fp_ieee_underflow 0
		.amdhsa_exception_fp_ieee_inexact 0
		.amdhsa_exception_int_div_zero 0
	.end_amdhsa_kernel
	.section	.text._ZN2at6native18radixSortKVInPlaceILin2ELin1ELi32ELi4EsljEEvNS_4cuda6detail10TensorInfoIT3_T5_EES6_S6_S6_NS4_IT4_S6_EES6_b,"axG",@progbits,_ZN2at6native18radixSortKVInPlaceILin2ELin1ELi32ELi4EsljEEvNS_4cuda6detail10TensorInfoIT3_T5_EES6_S6_S6_NS4_IT4_S6_EES6_b,comdat
.Lfunc_end163:
	.size	_ZN2at6native18radixSortKVInPlaceILin2ELin1ELi32ELi4EsljEEvNS_4cuda6detail10TensorInfoIT3_T5_EES6_S6_S6_NS4_IT4_S6_EES6_b, .Lfunc_end163-_ZN2at6native18radixSortKVInPlaceILin2ELin1ELi32ELi4EsljEEvNS_4cuda6detail10TensorInfoIT3_T5_EES6_S6_S6_NS4_IT4_S6_EES6_b
                                        ; -- End function
	.set _ZN2at6native18radixSortKVInPlaceILin2ELin1ELi32ELi4EsljEEvNS_4cuda6detail10TensorInfoIT3_T5_EES6_S6_S6_NS4_IT4_S6_EES6_b.num_vgpr, 94
	.set _ZN2at6native18radixSortKVInPlaceILin2ELin1ELi32ELi4EsljEEvNS_4cuda6detail10TensorInfoIT3_T5_EES6_S6_S6_NS4_IT4_S6_EES6_b.num_agpr, 0
	.set _ZN2at6native18radixSortKVInPlaceILin2ELin1ELi32ELi4EsljEEvNS_4cuda6detail10TensorInfoIT3_T5_EES6_S6_S6_NS4_IT4_S6_EES6_b.numbered_sgpr, 24
	.set _ZN2at6native18radixSortKVInPlaceILin2ELin1ELi32ELi4EsljEEvNS_4cuda6detail10TensorInfoIT3_T5_EES6_S6_S6_NS4_IT4_S6_EES6_b.num_named_barrier, 0
	.set _ZN2at6native18radixSortKVInPlaceILin2ELin1ELi32ELi4EsljEEvNS_4cuda6detail10TensorInfoIT3_T5_EES6_S6_S6_NS4_IT4_S6_EES6_b.private_seg_size, 0
	.set _ZN2at6native18radixSortKVInPlaceILin2ELin1ELi32ELi4EsljEEvNS_4cuda6detail10TensorInfoIT3_T5_EES6_S6_S6_NS4_IT4_S6_EES6_b.uses_vcc, 1
	.set _ZN2at6native18radixSortKVInPlaceILin2ELin1ELi32ELi4EsljEEvNS_4cuda6detail10TensorInfoIT3_T5_EES6_S6_S6_NS4_IT4_S6_EES6_b.uses_flat_scratch, 0
	.set _ZN2at6native18radixSortKVInPlaceILin2ELin1ELi32ELi4EsljEEvNS_4cuda6detail10TensorInfoIT3_T5_EES6_S6_S6_NS4_IT4_S6_EES6_b.has_dyn_sized_stack, 0
	.set _ZN2at6native18radixSortKVInPlaceILin2ELin1ELi32ELi4EsljEEvNS_4cuda6detail10TensorInfoIT3_T5_EES6_S6_S6_NS4_IT4_S6_EES6_b.has_recursion, 0
	.set _ZN2at6native18radixSortKVInPlaceILin2ELin1ELi32ELi4EsljEEvNS_4cuda6detail10TensorInfoIT3_T5_EES6_S6_S6_NS4_IT4_S6_EES6_b.has_indirect_call, 0
	.section	.AMDGPU.csdata,"",@progbits
; Kernel info:
; codeLenInByte = 13564
; TotalNumSgprs: 26
; NumVgprs: 94
; ScratchSize: 0
; MemoryBound: 0
; FloatMode: 240
; IeeeMode: 1
; LDSByteSize: 1056 bytes/workgroup (compile time only)
; SGPRBlocks: 0
; VGPRBlocks: 11
; NumSGPRsForWavesPerEU: 26
; NumVGPRsForWavesPerEU: 94
; Occupancy: 16
; WaveLimiterHint : 1
; COMPUTE_PGM_RSRC2:SCRATCH_EN: 0
; COMPUTE_PGM_RSRC2:USER_SGPR: 2
; COMPUTE_PGM_RSRC2:TRAP_HANDLER: 0
; COMPUTE_PGM_RSRC2:TGID_X_EN: 1
; COMPUTE_PGM_RSRC2:TGID_Y_EN: 1
; COMPUTE_PGM_RSRC2:TGID_Z_EN: 1
; COMPUTE_PGM_RSRC2:TIDIG_COMP_CNT: 2
	.section	.text._ZN2at6native18radixSortKVInPlaceILin2ELin1ELi16ELi2EsljEEvNS_4cuda6detail10TensorInfoIT3_T5_EES6_S6_S6_NS4_IT4_S6_EES6_b,"axG",@progbits,_ZN2at6native18radixSortKVInPlaceILin2ELin1ELi16ELi2EsljEEvNS_4cuda6detail10TensorInfoIT3_T5_EES6_S6_S6_NS4_IT4_S6_EES6_b,comdat
	.protected	_ZN2at6native18radixSortKVInPlaceILin2ELin1ELi16ELi2EsljEEvNS_4cuda6detail10TensorInfoIT3_T5_EES6_S6_S6_NS4_IT4_S6_EES6_b ; -- Begin function _ZN2at6native18radixSortKVInPlaceILin2ELin1ELi16ELi2EsljEEvNS_4cuda6detail10TensorInfoIT3_T5_EES6_S6_S6_NS4_IT4_S6_EES6_b
	.globl	_ZN2at6native18radixSortKVInPlaceILin2ELin1ELi16ELi2EsljEEvNS_4cuda6detail10TensorInfoIT3_T5_EES6_S6_S6_NS4_IT4_S6_EES6_b
	.p2align	8
	.type	_ZN2at6native18radixSortKVInPlaceILin2ELin1ELi16ELi2EsljEEvNS_4cuda6detail10TensorInfoIT3_T5_EES6_S6_S6_NS4_IT4_S6_EES6_b,@function
_ZN2at6native18radixSortKVInPlaceILin2ELin1ELi16ELi2EsljEEvNS_4cuda6detail10TensorInfoIT3_T5_EES6_S6_S6_NS4_IT4_S6_EES6_b: ; @_ZN2at6native18radixSortKVInPlaceILin2ELin1ELi16ELi2EsljEEvNS_4cuda6detail10TensorInfoIT3_T5_EES6_S6_S6_NS4_IT4_S6_EES6_b
; %bb.0:
	s_clause 0x1
	s_load_b64 s[2:3], s[0:1], 0x1c8
	s_load_b96 s[8:10], s[0:1], 0xd8
	s_lshr_b32 s4, ttmp7, 16
	s_wait_kmcnt 0x0
	s_mul_i32 s3, s3, s4
	s_and_b32 s4, ttmp7, 0xffff
	s_delay_alu instid0(SALU_CYCLE_1) | instskip(NEXT) | instid1(SALU_CYCLE_1)
	s_add_co_i32 s3, s3, s4
	s_mul_i32 s11, s3, s2
	s_delay_alu instid0(SALU_CYCLE_1) | instskip(NEXT) | instid1(SALU_CYCLE_1)
	s_add_co_i32 s11, s11, ttmp9
	s_cmp_ge_u32 s11, s8
	s_cbranch_scc1 .LBB164_112
; %bb.1:
	s_load_b32 s6, s[0:1], 0x1b8
	s_add_nc_u64 s[4:5], s[0:1], 0xe8
	s_mov_b32 s3, 0
	s_mov_b32 s2, s11
	s_wait_kmcnt 0x0
	s_cmp_lt_i32 s6, 2
	s_cbranch_scc1 .LBB164_4
; %bb.2:
	s_add_co_i32 s2, s6, -1
	s_add_co_i32 s8, s6, 1
	s_lshl_b64 s[12:13], s[2:3], 2
	s_mov_b32 s2, s11
	s_add_nc_u64 s[12:13], s[4:5], s[12:13]
	s_delay_alu instid0(SALU_CYCLE_1)
	s_add_nc_u64 s[6:7], s[12:13], 8
.LBB164_3:                              ; =>This Inner Loop Header: Depth=1
	s_clause 0x1
	s_load_b32 s12, s[6:7], 0x0
	s_load_b32 s13, s[6:7], 0x64
	s_mov_b32 s16, s2
	s_add_nc_u64 s[6:7], s[6:7], -4
	s_wait_kmcnt 0x0
	s_cvt_f32_u32 s14, s12
	s_sub_co_i32 s15, 0, s12
	s_wait_alu 0xfffe
	s_delay_alu instid0(SALU_CYCLE_1) | instskip(NEXT) | instid1(TRANS32_DEP_1)
	v_rcp_iflag_f32_e32 v1, s14
	v_readfirstlane_b32 s14, v1
	s_mul_f32 s14, s14, 0x4f7ffffe
	s_wait_alu 0xfffe
	s_delay_alu instid0(SALU_CYCLE_2) | instskip(SKIP_1) | instid1(SALU_CYCLE_2)
	s_cvt_u32_f32 s14, s14
	s_wait_alu 0xfffe
	s_mul_i32 s15, s15, s14
	s_wait_alu 0xfffe
	s_mul_hi_u32 s15, s14, s15
	s_wait_alu 0xfffe
	s_add_co_i32 s14, s14, s15
	s_wait_alu 0xfffe
	s_mul_hi_u32 s2, s2, s14
	s_delay_alu instid0(SALU_CYCLE_1)
	s_mul_i32 s14, s2, s12
	s_add_co_i32 s15, s2, 1
	s_wait_alu 0xfffe
	s_sub_co_i32 s14, s16, s14
	s_wait_alu 0xfffe
	s_sub_co_i32 s17, s14, s12
	s_cmp_ge_u32 s14, s12
	s_cselect_b32 s2, s15, s2
	s_cselect_b32 s14, s17, s14
	s_add_co_i32 s15, s2, 1
	s_wait_alu 0xfffe
	s_cmp_ge_u32 s14, s12
	s_cselect_b32 s2, s15, s2
	s_add_co_i32 s8, s8, -1
	s_mul_i32 s12, s2, s12
	s_delay_alu instid0(SALU_CYCLE_1) | instskip(NEXT) | instid1(SALU_CYCLE_1)
	s_sub_co_i32 s12, s16, s12
	s_mul_i32 s12, s13, s12
	s_delay_alu instid0(SALU_CYCLE_1)
	s_add_co_i32 s3, s12, s3
	s_cmp_gt_u32 s8, 2
	s_cbranch_scc1 .LBB164_3
.LBB164_4:
	s_clause 0x2
	s_load_b64 s[6:7], s[0:1], 0x0
	s_load_b32 s8, s[0:1], 0x6c
	s_load_b64 s[12:13], s[0:1], 0x1c0
	s_mov_b32 s0, 0x8000
	v_mul_lo_u32 v20, s10, v0
	s_mov_b32 s15, 0
	s_wait_kmcnt 0x0
	s_mul_i32 s14, s8, s11
	s_bitcmp1_b32 s13, 0
	s_cselect_b32 s11, -1, 0
	s_wait_alu 0xfffe
	s_and_b32 s1, s11, exec_lo
	s_cselect_b32 s8, s0, 0x7fff
	v_cmp_gt_u32_e64 s0, s9, v0
	s_pack_ll_b32_b16 s1, s8, s8
	s_lshl_b64 s[14:15], s[14:15], 1
	v_dual_mov_b32 v1, s1 :: v_dual_mov_b32 v2, s8
	s_wait_alu 0xfffe
	s_add_nc_u64 s[14:15], s[6:7], s[14:15]
	s_and_saveexec_b32 s6, s0
	s_cbranch_execz .LBB164_6
; %bb.5:
	v_mov_b32_e32 v21, 0
	s_delay_alu instid0(VALU_DEP_1) | instskip(SKIP_1) | instid1(VALU_DEP_1)
	v_lshlrev_b64_e32 v[1:2], 1, v[20:21]
	s_wait_alu 0xfffe
	v_add_co_u32 v1, vcc_lo, s14, v1
	s_delay_alu instid0(VALU_DEP_1)
	v_add_co_ci_u32_e64 v2, null, s15, v2, vcc_lo
	global_load_u16 v2, v[1:2], off
	s_wait_loadcnt 0x0
	v_bfi_b32 v1, 0xffff, v2, s1
.LBB164_6:
	s_or_b32 exec_lo, exec_lo, s6
	s_clause 0x1
	s_load_b32 s6, s[4:5], 0x6c
	s_load_b64 s[4:5], s[4:5], 0x0
	v_or_b32_e32 v3, 16, v0
	s_delay_alu instid0(VALU_DEP_1)
	v_cmp_gt_u32_e64 s1, s9, v3
	s_and_saveexec_b32 s7, s1
	s_cbranch_execz .LBB164_8
; %bb.7:
	v_mul_lo_u32 v4, s10, v3
	v_mov_b32_e32 v5, 0
	s_delay_alu instid0(VALU_DEP_1) | instskip(NEXT) | instid1(VALU_DEP_1)
	v_lshlrev_b64_e32 v[4:5], 1, v[4:5]
	v_add_co_u32 v4, vcc_lo, s14, v4
	s_wait_alu 0xfffd
	s_delay_alu instid0(VALU_DEP_2)
	v_add_co_ci_u32_e64 v5, null, s15, v5, vcc_lo
	global_load_d16_hi_b16 v1, v[4:5], off
.LBB164_8:
	s_or_b32 exec_lo, exec_lo, s7
	v_lshlrev_b32_e32 v22, 1, v0
	v_dual_mov_b32 v18, 0 :: v_dual_lshlrev_b32 v21, 2, v0
	s_wait_kmcnt 0x0
	s_mul_i32 s2, s6, s2
	v_mul_lo_u32 v17, s12, v0
	ds_store_b16 v22, v2
	s_wait_loadcnt 0x0
	ds_store_b16_d16_hi v22, v1 offset:32
	s_wait_dscnt 0x0
	; wave barrier
	global_inv scope:SCOPE_SE
	ds_load_b32 v27, v21
	s_add_co_i32 s2, s2, s3
	s_mov_b32 s3, 0
	v_mov_b32_e32 v1, 0
	v_dual_mov_b32 v2, 0 :: v_dual_mov_b32 v19, v18
	s_lshl_b64 s[2:3], s[2:3], 3
	s_wait_loadcnt_dscnt 0x0
	s_add_nc_u64 s[8:9], s[4:5], s[2:3]
	; wave barrier
	global_inv scope:SCOPE_SE
	s_and_saveexec_b32 s2, s0
	s_cbranch_execz .LBB164_10
; %bb.9:
	v_lshlrev_b64_e32 v[1:2], 3, v[17:18]
	v_mov_b32_e32 v19, v18
	s_wait_alu 0xfffe
	s_delay_alu instid0(VALU_DEP_2) | instskip(SKIP_1) | instid1(VALU_DEP_3)
	v_add_co_u32 v1, vcc_lo, s8, v1
	s_wait_alu 0xfffd
	v_add_co_ci_u32_e64 v2, null, s9, v2, vcc_lo
	global_load_b64 v[1:2], v[1:2], off
.LBB164_10:
	s_or_b32 exec_lo, exec_lo, s2
	s_xor_b32 s16, s11, -1
	s_and_saveexec_b32 s2, s1
	s_cbranch_execz .LBB164_12
; %bb.11:
	v_mul_lo_u32 v3, s12, v3
	v_mov_b32_e32 v4, 0
	s_delay_alu instid0(VALU_DEP_1) | instskip(SKIP_1) | instid1(VALU_DEP_1)
	v_lshlrev_b64_e32 v[3:4], 3, v[3:4]
	s_wait_alu 0xfffe
	v_add_co_u32 v3, vcc_lo, s8, v3
	s_wait_alu 0xfffd
	s_delay_alu instid0(VALU_DEP_2)
	v_add_co_ci_u32_e64 v4, null, s9, v4, vcc_lo
	global_load_b64 v[18:19], v[3:4], off
.LBB164_12:
	s_or_b32 exec_lo, exec_lo, s2
	v_mbcnt_lo_u32_b32 v5, -1, 0
	v_lshlrev_b32_e32 v23, 3, v0
	s_getpc_b64 s[2:3]
	s_sext_i32_i16 s3, s3
	s_add_co_u32 s2, s2, _ZN7rocprim17ROCPRIM_400000_NS16block_radix_sortIsLj16ELj2ElLj1ELj1ELj0ELNS0_26block_radix_rank_algorithmE1ELNS0_18block_padding_hintE2ELNS0_4arch9wavefront6targetE0EE19radix_bits_per_passE@rel32@lo+8
	s_add_co_ci_u32 s3, s3, _ZN7rocprim17ROCPRIM_400000_NS16block_radix_sortIsLj16ELj2ElLj1ELj1ELj0ELNS0_26block_radix_rank_algorithmE1ELNS0_18block_padding_hintE2ELNS0_4arch9wavefront6targetE0EE19radix_bits_per_passE@rel32@hi+16
	v_lshlrev_b32_e32 v25, 5, v0
	s_load_b32 s13, s[2:3], 0x0
	v_sub_co_u32 v7, s11, v5, 1
	v_and_b32_e32 v8, 16, v5
	s_wait_loadcnt 0x0
	ds_store_2addr_b64 v23, v[1:2], v[18:19] offset1:16
	s_wait_dscnt 0x0
	; wave barrier
	global_inv scope:SCOPE_SE
	v_and_b32_e32 v6, 15, v5
	v_cmp_lt_i32_e32 vcc_lo, v7, v8
	v_lshlrev_b32_e32 v24, 3, v22
	v_mad_i32_i24 v19, 0xffffffe4, v0, v25
	v_cmp_gt_u32_e64 s7, 0x80, v0
	v_cmp_eq_u32_e64 s5, 0, v6
	s_wait_alu 0xfffd
	v_cndmask_b32_e32 v5, v7, v5, vcc_lo
	ds_load_2addr_b64 v[1:4], v24 offset1:1
	v_cmp_lt_u32_e64 s3, 1, v6
	v_cmp_lt_u32_e64 s6, 3, v6
	v_cmp_lt_u32_e64 s4, 7, v6
	v_cmp_eq_u32_e64 s2, 15, v0
	v_lshlrev_b32_e32 v26, 2, v5
	v_mad_u32_u24 v18, v0, 12, v19
	s_and_b32 vcc_lo, exec_lo, s16
	s_mov_b32 s16, -1
	; wave barrier
	s_wait_loadcnt_dscnt 0x0
	global_inv scope:SCOPE_SE
	s_wait_alu 0xfffe
	s_cbranch_vccz .LBB164_58
; %bb.13:
	s_and_saveexec_b32 s16, s7
	s_cbranch_execz .LBB164_22
; %bb.14:
	v_mov_b32_e32 v5, 0
	v_cmp_gt_u32_e32 vcc_lo, 0x70, v0
	ds_store_b32 v21, v5
	s_and_b32 exec_lo, exec_lo, vcc_lo
	s_cbranch_execz .LBB164_22
; %bb.15:
	v_cmp_gt_u32_e32 vcc_lo, 0x60, v0
	ds_store_b32 v21, v5 offset:64
	s_and_b32 exec_lo, exec_lo, vcc_lo
	s_cbranch_execz .LBB164_22
; %bb.16:
	v_mov_b32_e32 v5, 0
	v_cmp_gt_u32_e32 vcc_lo, 0x50, v0
	ds_store_b32 v21, v5 offset:128
	s_and_b32 exec_lo, exec_lo, vcc_lo
	s_cbranch_execz .LBB164_22
; %bb.17:
	v_cmp_gt_u32_e32 vcc_lo, 64, v0
	ds_store_b32 v21, v5 offset:192
	s_and_b32 exec_lo, exec_lo, vcc_lo
	s_cbranch_execz .LBB164_22
; %bb.18:
	v_mov_b32_e32 v5, 0
	v_cmp_gt_u32_e32 vcc_lo, 48, v0
	ds_store_b32 v21, v5 offset:256
	;; [unrolled: 11-line block ×3, first 2 shown]
	s_and_b32 exec_lo, exec_lo, vcc_lo
; %bb.21:
	ds_store_b32 v21, v5 offset:448
.LBB164_22:
	s_or_b32 exec_lo, exec_lo, s16
	s_wait_kmcnt 0x0
	s_min_u32 s16, s13, 16
	v_xor_b32_e32 v13, 0x80008000, v27
	s_lshl_b32 s16, -1, s16
	s_delay_alu instid0(SALU_CYCLE_1) | instskip(NEXT) | instid1(VALU_DEP_1)
	s_not_b32 s16, s16
	v_lshrrev_b32_e32 v14, 16, v13
	v_and_b32_e32 v5, s16, v13
	s_delay_alu instid0(VALU_DEP_1) | instskip(SKIP_1) | instid1(VALU_DEP_2)
	v_and_b32_e32 v6, 0xffff, v5
	v_lshrrev_b32_e32 v5, 2, v5
	v_lshlrev_b32_e32 v6, 4, v6
	s_delay_alu instid0(VALU_DEP_2) | instskip(NEXT) | instid1(VALU_DEP_2)
	v_and_b32_e32 v5, 0x3ffe, v5
	v_and_or_b32 v6, 0x70, v6, v0
	s_delay_alu instid0(VALU_DEP_1) | instskip(SKIP_4) | instid1(VALU_DEP_2)
	v_lshl_add_u32 v16, v6, 2, v5
	v_and_b32_e32 v5, s16, v14
	ds_load_u16 v15, v16
	v_lshlrev_b32_e32 v6, 4, v5
	v_lshrrev_b32_e32 v5, 2, v5
	v_and_or_b32 v6, 0x70, v6, v0
	s_delay_alu instid0(VALU_DEP_2) | instskip(NEXT) | instid1(VALU_DEP_1)
	v_and_b32_e32 v5, 0x3ffe, v5
	v_lshl_add_u32 v28, v6, 2, v5
	s_wait_dscnt 0x0
	v_add_nc_u16 v7, v15, 1
	ds_store_b16 v16, v7
	ds_load_u16 v30, v28
	s_wait_dscnt 0x0
	v_add_nc_u16 v5, v30, 1
	ds_store_b16 v28, v5
	; wave barrier
	s_wait_loadcnt_dscnt 0x0
	global_inv scope:SCOPE_SE
	ds_load_b128 v[9:12], v25
	ds_load_b128 v[5:8], v25 offset:16
	s_wait_dscnt 0x1
	v_add_nc_u32_e32 v29, v10, v9
	s_delay_alu instid0(VALU_DEP_1) | instskip(SKIP_1) | instid1(VALU_DEP_1)
	v_add3_u32 v29, v29, v11, v12
	s_wait_dscnt 0x0
	v_add3_u32 v29, v29, v5, v6
	s_delay_alu instid0(VALU_DEP_1) | instskip(NEXT) | instid1(VALU_DEP_1)
	v_add3_u32 v8, v29, v7, v8
	v_mov_b32_dpp v29, v8 row_shr:1 row_mask:0xf bank_mask:0xf
	s_delay_alu instid0(VALU_DEP_1) | instskip(NEXT) | instid1(VALU_DEP_1)
	v_cndmask_b32_e64 v29, v29, 0, s5
	v_add_nc_u32_e32 v8, v29, v8
	s_delay_alu instid0(VALU_DEP_1) | instskip(NEXT) | instid1(VALU_DEP_1)
	v_mov_b32_dpp v29, v8 row_shr:2 row_mask:0xf bank_mask:0xf
	v_cndmask_b32_e64 v29, 0, v29, s3
	s_delay_alu instid0(VALU_DEP_1) | instskip(NEXT) | instid1(VALU_DEP_1)
	v_add_nc_u32_e32 v8, v8, v29
	v_mov_b32_dpp v29, v8 row_shr:4 row_mask:0xf bank_mask:0xf
	s_delay_alu instid0(VALU_DEP_1) | instskip(NEXT) | instid1(VALU_DEP_1)
	v_cndmask_b32_e64 v29, 0, v29, s6
	v_add_nc_u32_e32 v8, v8, v29
	s_delay_alu instid0(VALU_DEP_1) | instskip(NEXT) | instid1(VALU_DEP_1)
	v_mov_b32_dpp v29, v8 row_shr:8 row_mask:0xf bank_mask:0xf
	v_cndmask_b32_e64 v29, 0, v29, s4
	s_delay_alu instid0(VALU_DEP_1)
	v_add_nc_u32_e32 v8, v8, v29
	s_and_saveexec_b32 s16, s2
; %bb.23:
	v_mov_b32_e32 v29, 0
	ds_store_b32 v29, v8 offset:512
; %bb.24:
	s_wait_alu 0xfffe
	s_or_b32 exec_lo, exec_lo, s16
	ds_bpermute_b32 v8, v26, v8
	v_mov_b32_e32 v29, 0
	; wave barrier
	s_wait_loadcnt_dscnt 0x0
	global_inv scope:SCOPE_SE
	ds_load_b32 v31, v29 offset:512
	v_cndmask_b32_e64 v8, v8, 0, s11
	s_wait_dscnt 0x0
	s_delay_alu instid0(VALU_DEP_1) | instskip(NEXT) | instid1(VALU_DEP_1)
	v_lshl_add_u32 v8, v31, 16, v8
	v_add_nc_u32_e32 v9, v8, v9
	s_delay_alu instid0(VALU_DEP_1) | instskip(NEXT) | instid1(VALU_DEP_1)
	v_add_nc_u32_e32 v10, v9, v10
	v_add_nc_u32_e32 v11, v10, v11
	s_delay_alu instid0(VALU_DEP_1) | instskip(NEXT) | instid1(VALU_DEP_1)
	v_add_nc_u32_e32 v31, v11, v12
	;; [unrolled: 3-line block ×3, first 2 shown]
	v_add_nc_u32_e32 v34, v33, v7
	v_and_b32_e32 v7, 0xffff, v15
	ds_store_b128 v25, v[8:11]
	ds_store_b128 v25, v[31:34] offset:16
	; wave barrier
	s_wait_loadcnt_dscnt 0x0
	global_inv scope:SCOPE_SE
	ds_load_u16 v5, v16
	ds_load_u16 v6, v28
	v_and_b32_e32 v8, 0xffff, v30
	; wave barrier
	s_wait_loadcnt_dscnt 0x0
	global_inv scope:SCOPE_SE
	v_add_nc_u32_e32 v5, v5, v7
	v_add_nc_u32_e32 v6, v6, v8
	s_delay_alu instid0(VALU_DEP_2) | instskip(NEXT) | instid1(VALU_DEP_2)
	v_lshlrev_b32_e32 v7, 1, v5
	v_lshlrev_b32_e32 v8, 1, v6
	ds_store_b16 v7, v13
	ds_store_b16 v8, v14
	v_mad_u32_u24 v5, v5, 6, v7
	v_mad_u32_u24 v6, v6, 6, v8
	; wave barrier
	s_wait_loadcnt_dscnt 0x0
	global_inv scope:SCOPE_SE
	ds_load_b32 v28, v19
	; wave barrier
	s_wait_loadcnt_dscnt 0x0
	global_inv scope:SCOPE_SE
	ds_store_b64 v5, v[1:2]
	ds_store_b64 v6, v[3:4]
	; wave barrier
	s_wait_loadcnt_dscnt 0x0
	global_inv scope:SCOPE_SE
	ds_load_b128 v[5:8], v18
	; wave barrier
	s_wait_loadcnt_dscnt 0x0
	global_inv scope:SCOPE_SE
	s_and_saveexec_b32 s16, s7
	s_cbranch_execz .LBB164_33
; %bb.25:
	v_cmp_gt_u32_e32 vcc_lo, 0x70, v0
	ds_store_b32 v21, v29
	s_and_b32 exec_lo, exec_lo, vcc_lo
	s_cbranch_execz .LBB164_33
; %bb.26:
	v_mov_b32_e32 v9, 0
	v_cmp_gt_u32_e32 vcc_lo, 0x60, v0
	ds_store_b32 v21, v9 offset:64
	s_and_b32 exec_lo, exec_lo, vcc_lo
	s_cbranch_execz .LBB164_33
; %bb.27:
	v_cmp_gt_u32_e32 vcc_lo, 0x50, v0
	ds_store_b32 v21, v9 offset:128
	s_and_b32 exec_lo, exec_lo, vcc_lo
	s_cbranch_execz .LBB164_33
; %bb.28:
	v_mov_b32_e32 v9, 0
	v_cmp_gt_u32_e32 vcc_lo, 64, v0
	ds_store_b32 v21, v9 offset:192
	s_and_b32 exec_lo, exec_lo, vcc_lo
	s_cbranch_execz .LBB164_33
; %bb.29:
	v_cmp_gt_u32_e32 vcc_lo, 48, v0
	ds_store_b32 v21, v9 offset:256
	;; [unrolled: 11-line block ×3, first 2 shown]
	s_and_b32 exec_lo, exec_lo, vcc_lo
; %bb.32:
	v_mov_b32_e32 v9, 0
	ds_store_b32 v21, v9 offset:448
.LBB164_33:
	s_wait_alu 0xfffe
	s_or_b32 exec_lo, exec_lo, s16
	v_lshrrev_b16 v9, 4, v28
	s_min_u32 s16, s13, 12
	s_wait_alu 0xfffe
	s_lshl_b32 s16, -1, s16
	s_wait_alu 0xfffe
	s_not_b32 s16, s16
	v_and_b32_e32 v9, 0xffff, v9
	s_wait_alu 0xfffe
	s_delay_alu instid0(VALU_DEP_1) | instskip(NEXT) | instid1(VALU_DEP_1)
	v_and_b32_e32 v9, s16, v9
	v_lshlrev_b32_e32 v10, 4, v9
	v_lshrrev_b32_e32 v9, 2, v9
	s_delay_alu instid0(VALU_DEP_2) | instskip(NEXT) | instid1(VALU_DEP_2)
	v_and_or_b32 v10, 0x70, v10, v0
	v_and_b32_e32 v9, 0x3fe, v9
	s_delay_alu instid0(VALU_DEP_1) | instskip(SKIP_3) | instid1(VALU_DEP_1)
	v_lshl_add_u32 v30, v10, 2, v9
	v_lshrrev_b32_e32 v9, 20, v28
	ds_load_u16 v29, v30
	v_and_b32_e32 v9, s16, v9
	v_lshlrev_b32_e32 v10, 4, v9
	v_lshrrev_b32_e32 v9, 2, v9
	s_delay_alu instid0(VALU_DEP_2) | instskip(NEXT) | instid1(VALU_DEP_2)
	v_and_or_b32 v10, 0x70, v10, v0
	v_and_b32_e32 v9, 0x3fe, v9
	s_delay_alu instid0(VALU_DEP_1)
	v_lshl_add_u32 v31, v10, 2, v9
	s_wait_dscnt 0x0
	v_add_nc_u16 v11, v29, 1
	ds_store_b16 v30, v11
	ds_load_u16 v32, v31
	s_wait_dscnt 0x0
	v_add_nc_u16 v9, v32, 1
	ds_store_b16 v31, v9
	; wave barrier
	s_wait_loadcnt_dscnt 0x0
	global_inv scope:SCOPE_SE
	ds_load_b128 v[13:16], v25
	ds_load_b128 v[9:12], v25 offset:16
	s_wait_dscnt 0x1
	v_add_nc_u32_e32 v33, v14, v13
	s_delay_alu instid0(VALU_DEP_1) | instskip(SKIP_1) | instid1(VALU_DEP_1)
	v_add3_u32 v33, v33, v15, v16
	s_wait_dscnt 0x0
	v_add3_u32 v33, v33, v9, v10
	s_delay_alu instid0(VALU_DEP_1) | instskip(NEXT) | instid1(VALU_DEP_1)
	v_add3_u32 v12, v33, v11, v12
	v_mov_b32_dpp v33, v12 row_shr:1 row_mask:0xf bank_mask:0xf
	s_delay_alu instid0(VALU_DEP_1) | instskip(NEXT) | instid1(VALU_DEP_1)
	v_cndmask_b32_e64 v33, v33, 0, s5
	v_add_nc_u32_e32 v12, v33, v12
	s_delay_alu instid0(VALU_DEP_1) | instskip(NEXT) | instid1(VALU_DEP_1)
	v_mov_b32_dpp v33, v12 row_shr:2 row_mask:0xf bank_mask:0xf
	v_cndmask_b32_e64 v33, 0, v33, s3
	s_delay_alu instid0(VALU_DEP_1) | instskip(NEXT) | instid1(VALU_DEP_1)
	v_add_nc_u32_e32 v12, v12, v33
	v_mov_b32_dpp v33, v12 row_shr:4 row_mask:0xf bank_mask:0xf
	s_delay_alu instid0(VALU_DEP_1) | instskip(NEXT) | instid1(VALU_DEP_1)
	v_cndmask_b32_e64 v33, 0, v33, s6
	v_add_nc_u32_e32 v12, v12, v33
	s_delay_alu instid0(VALU_DEP_1) | instskip(NEXT) | instid1(VALU_DEP_1)
	v_mov_b32_dpp v33, v12 row_shr:8 row_mask:0xf bank_mask:0xf
	v_cndmask_b32_e64 v34, 0, v33, s4
	v_lshrrev_b32_e32 v33, 16, v28
	s_delay_alu instid0(VALU_DEP_2)
	v_add_nc_u32_e32 v12, v12, v34
	s_and_saveexec_b32 s16, s2
; %bb.34:
	v_mov_b32_e32 v34, 0
	ds_store_b32 v34, v12 offset:512
; %bb.35:
	s_wait_alu 0xfffe
	s_or_b32 exec_lo, exec_lo, s16
	ds_bpermute_b32 v34, v26, v12
	v_mov_b32_e32 v12, 0
	; wave barrier
	s_wait_loadcnt_dscnt 0x0
	global_inv scope:SCOPE_SE
	ds_load_b32 v35, v12 offset:512
	v_cndmask_b32_e64 v34, v34, 0, s11
	s_wait_dscnt 0x0
	s_delay_alu instid0(VALU_DEP_1) | instskip(NEXT) | instid1(VALU_DEP_1)
	v_lshl_add_u32 v34, v35, 16, v34
	v_add_nc_u32_e32 v35, v34, v13
	s_delay_alu instid0(VALU_DEP_1) | instskip(NEXT) | instid1(VALU_DEP_1)
	v_add_nc_u32_e32 v36, v35, v14
	v_add_nc_u32_e32 v37, v36, v15
	s_delay_alu instid0(VALU_DEP_1) | instskip(NEXT) | instid1(VALU_DEP_1)
	v_add_nc_u32_e32 v13, v37, v16
	;; [unrolled: 3-line block ×3, first 2 shown]
	v_add_nc_u32_e32 v16, v15, v11
	v_and_b32_e32 v11, 0xffff, v29
	ds_store_b128 v25, v[34:37]
	ds_store_b128 v25, v[13:16] offset:16
	; wave barrier
	s_wait_loadcnt_dscnt 0x0
	global_inv scope:SCOPE_SE
	ds_load_u16 v9, v30
	ds_load_u16 v10, v31
	v_and_b32_e32 v13, 0xffff, v32
	; wave barrier
	s_wait_loadcnt_dscnt 0x0
	global_inv scope:SCOPE_SE
	v_add_nc_u32_e32 v9, v9, v11
	v_add_nc_u32_e32 v10, v10, v13
	s_delay_alu instid0(VALU_DEP_2) | instskip(NEXT) | instid1(VALU_DEP_2)
	v_lshlrev_b32_e32 v11, 1, v9
	v_lshlrev_b32_e32 v13, 1, v10
	ds_store_b16 v11, v28
	ds_store_b16 v13, v33
	v_mad_u32_u24 v9, v9, 6, v11
	v_mad_u32_u24 v10, v10, 6, v13
	; wave barrier
	s_wait_loadcnt_dscnt 0x0
	global_inv scope:SCOPE_SE
	ds_load_b32 v28, v19
	; wave barrier
	s_wait_loadcnt_dscnt 0x0
	global_inv scope:SCOPE_SE
	ds_store_b64 v9, v[5:6]
	ds_store_b64 v10, v[7:8]
	; wave barrier
	s_wait_loadcnt_dscnt 0x0
	global_inv scope:SCOPE_SE
	ds_load_b128 v[5:8], v18
	; wave barrier
	s_wait_loadcnt_dscnt 0x0
	global_inv scope:SCOPE_SE
	s_and_saveexec_b32 s16, s7
	s_cbranch_execz .LBB164_44
; %bb.36:
	v_cmp_gt_u32_e32 vcc_lo, 0x70, v0
	ds_store_b32 v21, v12
	s_and_b32 exec_lo, exec_lo, vcc_lo
	s_cbranch_execz .LBB164_44
; %bb.37:
	v_mov_b32_e32 v9, 0
	v_cmp_gt_u32_e32 vcc_lo, 0x60, v0
	ds_store_b32 v21, v9 offset:64
	s_and_b32 exec_lo, exec_lo, vcc_lo
	s_cbranch_execz .LBB164_44
; %bb.38:
	v_cmp_gt_u32_e32 vcc_lo, 0x50, v0
	ds_store_b32 v21, v9 offset:128
	s_and_b32 exec_lo, exec_lo, vcc_lo
	s_cbranch_execz .LBB164_44
; %bb.39:
	v_mov_b32_e32 v9, 0
	v_cmp_gt_u32_e32 vcc_lo, 64, v0
	ds_store_b32 v21, v9 offset:192
	s_and_b32 exec_lo, exec_lo, vcc_lo
	s_cbranch_execz .LBB164_44
; %bb.40:
	v_cmp_gt_u32_e32 vcc_lo, 48, v0
	ds_store_b32 v21, v9 offset:256
	;; [unrolled: 11-line block ×3, first 2 shown]
	s_and_b32 exec_lo, exec_lo, vcc_lo
; %bb.43:
	v_mov_b32_e32 v9, 0
	ds_store_b32 v21, v9 offset:448
.LBB164_44:
	s_wait_alu 0xfffe
	s_or_b32 exec_lo, exec_lo, s16
	v_lshrrev_b16 v9, 8, v28
	s_min_u32 s16, s13, 8
	s_wait_alu 0xfffe
	s_lshl_b32 s16, -1, s16
	s_wait_alu 0xfffe
	s_not_b32 s16, s16
	v_and_b32_e32 v9, 0xffff, v9
	s_wait_alu 0xfffe
	s_delay_alu instid0(VALU_DEP_1) | instskip(NEXT) | instid1(VALU_DEP_1)
	v_and_b32_e32 v9, s16, v9
	v_lshlrev_b32_e32 v10, 4, v9
	v_lshrrev_b32_e32 v9, 2, v9
	s_delay_alu instid0(VALU_DEP_2) | instskip(NEXT) | instid1(VALU_DEP_2)
	v_and_or_b32 v10, 0x70, v10, v0
	v_and_b32_e32 v9, 62, v9
	s_delay_alu instid0(VALU_DEP_1) | instskip(SKIP_3) | instid1(VALU_DEP_1)
	v_lshl_add_u32 v30, v10, 2, v9
	v_lshrrev_b32_e32 v9, 24, v28
	ds_load_u16 v29, v30
	v_and_b32_e32 v9, s16, v9
	v_lshlrev_b32_e32 v10, 4, v9
	v_lshrrev_b32_e32 v9, 2, v9
	s_delay_alu instid0(VALU_DEP_2) | instskip(NEXT) | instid1(VALU_DEP_2)
	v_and_or_b32 v10, 0x70, v10, v0
	v_and_b32_e32 v9, 62, v9
	s_delay_alu instid0(VALU_DEP_1)
	v_lshl_add_u32 v31, v10, 2, v9
	s_wait_dscnt 0x0
	v_add_nc_u16 v11, v29, 1
	ds_store_b16 v30, v11
	ds_load_u16 v32, v31
	s_wait_dscnt 0x0
	v_add_nc_u16 v9, v32, 1
	ds_store_b16 v31, v9
	; wave barrier
	s_wait_loadcnt_dscnt 0x0
	global_inv scope:SCOPE_SE
	ds_load_b128 v[13:16], v25
	ds_load_b128 v[9:12], v25 offset:16
	s_wait_dscnt 0x1
	v_add_nc_u32_e32 v33, v14, v13
	s_delay_alu instid0(VALU_DEP_1) | instskip(SKIP_1) | instid1(VALU_DEP_1)
	v_add3_u32 v33, v33, v15, v16
	s_wait_dscnt 0x0
	v_add3_u32 v33, v33, v9, v10
	s_delay_alu instid0(VALU_DEP_1) | instskip(NEXT) | instid1(VALU_DEP_1)
	v_add3_u32 v12, v33, v11, v12
	v_mov_b32_dpp v33, v12 row_shr:1 row_mask:0xf bank_mask:0xf
	s_delay_alu instid0(VALU_DEP_1) | instskip(NEXT) | instid1(VALU_DEP_1)
	v_cndmask_b32_e64 v33, v33, 0, s5
	v_add_nc_u32_e32 v12, v33, v12
	s_delay_alu instid0(VALU_DEP_1) | instskip(NEXT) | instid1(VALU_DEP_1)
	v_mov_b32_dpp v33, v12 row_shr:2 row_mask:0xf bank_mask:0xf
	v_cndmask_b32_e64 v33, 0, v33, s3
	s_delay_alu instid0(VALU_DEP_1) | instskip(NEXT) | instid1(VALU_DEP_1)
	v_add_nc_u32_e32 v12, v12, v33
	v_mov_b32_dpp v33, v12 row_shr:4 row_mask:0xf bank_mask:0xf
	s_delay_alu instid0(VALU_DEP_1) | instskip(NEXT) | instid1(VALU_DEP_1)
	v_cndmask_b32_e64 v33, 0, v33, s6
	v_add_nc_u32_e32 v12, v12, v33
	s_delay_alu instid0(VALU_DEP_1) | instskip(NEXT) | instid1(VALU_DEP_1)
	v_mov_b32_dpp v33, v12 row_shr:8 row_mask:0xf bank_mask:0xf
	v_cndmask_b32_e64 v34, 0, v33, s4
	v_lshrrev_b32_e32 v33, 16, v28
	s_delay_alu instid0(VALU_DEP_2)
	v_add_nc_u32_e32 v12, v12, v34
	s_and_saveexec_b32 s16, s2
; %bb.45:
	v_mov_b32_e32 v34, 0
	ds_store_b32 v34, v12 offset:512
; %bb.46:
	s_wait_alu 0xfffe
	s_or_b32 exec_lo, exec_lo, s16
	ds_bpermute_b32 v34, v26, v12
	v_mov_b32_e32 v12, 0
	; wave barrier
	s_wait_loadcnt_dscnt 0x0
	global_inv scope:SCOPE_SE
	ds_load_b32 v35, v12 offset:512
	v_cndmask_b32_e64 v34, v34, 0, s11
	s_wait_dscnt 0x0
	s_delay_alu instid0(VALU_DEP_1) | instskip(NEXT) | instid1(VALU_DEP_1)
	v_lshl_add_u32 v34, v35, 16, v34
	v_add_nc_u32_e32 v35, v34, v13
	s_delay_alu instid0(VALU_DEP_1) | instskip(NEXT) | instid1(VALU_DEP_1)
	v_add_nc_u32_e32 v36, v35, v14
	v_add_nc_u32_e32 v37, v36, v15
	s_delay_alu instid0(VALU_DEP_1) | instskip(NEXT) | instid1(VALU_DEP_1)
	v_add_nc_u32_e32 v13, v37, v16
	;; [unrolled: 3-line block ×3, first 2 shown]
	v_add_nc_u32_e32 v16, v15, v11
	v_and_b32_e32 v11, 0xffff, v29
	ds_store_b128 v25, v[34:37]
	ds_store_b128 v25, v[13:16] offset:16
	; wave barrier
	s_wait_loadcnt_dscnt 0x0
	global_inv scope:SCOPE_SE
	ds_load_u16 v9, v30
	ds_load_u16 v10, v31
	v_and_b32_e32 v13, 0xffff, v32
	; wave barrier
	s_wait_loadcnt_dscnt 0x0
	global_inv scope:SCOPE_SE
	v_add_nc_u32_e32 v9, v9, v11
	v_add_nc_u32_e32 v10, v10, v13
	s_delay_alu instid0(VALU_DEP_2) | instskip(NEXT) | instid1(VALU_DEP_2)
	v_lshlrev_b32_e32 v11, 1, v9
	v_lshlrev_b32_e32 v13, 1, v10
	ds_store_b16 v11, v28
	ds_store_b16 v13, v33
	v_mad_u32_u24 v9, v9, 6, v11
	v_mad_u32_u24 v10, v10, 6, v13
	; wave barrier
	s_wait_loadcnt_dscnt 0x0
	global_inv scope:SCOPE_SE
	ds_load_b32 v28, v19
	; wave barrier
	s_wait_loadcnt_dscnt 0x0
	global_inv scope:SCOPE_SE
	ds_store_b64 v9, v[5:6]
	ds_store_b64 v10, v[7:8]
	; wave barrier
	s_wait_loadcnt_dscnt 0x0
	global_inv scope:SCOPE_SE
	ds_load_b128 v[5:8], v18
	; wave barrier
	s_wait_loadcnt_dscnt 0x0
	global_inv scope:SCOPE_SE
	s_and_saveexec_b32 s16, s7
	s_cbranch_execz .LBB164_55
; %bb.47:
	v_cmp_gt_u32_e32 vcc_lo, 0x70, v0
	ds_store_b32 v21, v12
	s_and_b32 exec_lo, exec_lo, vcc_lo
	s_cbranch_execz .LBB164_55
; %bb.48:
	v_mov_b32_e32 v9, 0
	v_cmp_gt_u32_e32 vcc_lo, 0x60, v0
	ds_store_b32 v21, v9 offset:64
	s_and_b32 exec_lo, exec_lo, vcc_lo
	s_cbranch_execz .LBB164_55
; %bb.49:
	v_cmp_gt_u32_e32 vcc_lo, 0x50, v0
	ds_store_b32 v21, v9 offset:128
	s_and_b32 exec_lo, exec_lo, vcc_lo
	s_cbranch_execz .LBB164_55
; %bb.50:
	v_mov_b32_e32 v9, 0
	v_cmp_gt_u32_e32 vcc_lo, 64, v0
	ds_store_b32 v21, v9 offset:192
	s_and_b32 exec_lo, exec_lo, vcc_lo
	s_cbranch_execz .LBB164_55
; %bb.51:
	v_cmp_gt_u32_e32 vcc_lo, 48, v0
	ds_store_b32 v21, v9 offset:256
	;; [unrolled: 11-line block ×3, first 2 shown]
	s_and_b32 exec_lo, exec_lo, vcc_lo
; %bb.54:
	v_mov_b32_e32 v9, 0
	ds_store_b32 v21, v9 offset:448
.LBB164_55:
	s_wait_alu 0xfffe
	s_or_b32 exec_lo, exec_lo, s16
	v_lshrrev_b16 v9, 12, v28
	s_min_u32 s16, s13, 4
	s_wait_alu 0xfffe
	s_lshl_b32 s16, -1, s16
	s_wait_alu 0xfffe
	s_not_b32 s16, s16
	v_and_b32_e32 v9, 0xffff, v9
	s_wait_alu 0xfffe
	s_delay_alu instid0(VALU_DEP_1) | instskip(NEXT) | instid1(VALU_DEP_1)
	v_and_b32_e32 v9, s16, v9
	v_lshlrev_b32_e32 v10, 4, v9
	v_lshrrev_b32_e32 v9, 2, v9
	s_delay_alu instid0(VALU_DEP_2) | instskip(NEXT) | instid1(VALU_DEP_2)
	v_and_or_b32 v10, 0x70, v10, v0
	v_and_b32_e32 v9, 2, v9
	s_delay_alu instid0(VALU_DEP_1) | instskip(SKIP_4) | instid1(VALU_DEP_1)
	v_lshl_or_b32 v30, v10, 2, v9
	v_lshrrev_b32_e32 v9, 28, v28
	ds_load_u16 v29, v30
	v_and_b32_e32 v9, s16, v9
	s_mov_b32 s16, 0
	v_lshlrev_b32_e32 v10, 4, v9
	v_lshrrev_b32_e32 v9, 2, v9
	s_delay_alu instid0(VALU_DEP_2) | instskip(NEXT) | instid1(VALU_DEP_2)
	v_and_or_b32 v10, 0x70, v10, v0
	v_and_b32_e32 v9, 2, v9
	s_delay_alu instid0(VALU_DEP_1)
	v_lshl_or_b32 v31, v10, 2, v9
	s_wait_dscnt 0x0
	v_add_nc_u16 v11, v29, 1
	ds_store_b16 v30, v11
	ds_load_u16 v32, v31
	s_wait_dscnt 0x0
	v_add_nc_u16 v9, v32, 1
	ds_store_b16 v31, v9
	; wave barrier
	s_wait_loadcnt_dscnt 0x0
	global_inv scope:SCOPE_SE
	ds_load_b128 v[13:16], v25
	ds_load_b128 v[9:12], v25 offset:16
	s_wait_dscnt 0x1
	v_add_nc_u32_e32 v33, v14, v13
	s_delay_alu instid0(VALU_DEP_1) | instskip(SKIP_1) | instid1(VALU_DEP_1)
	v_add3_u32 v33, v33, v15, v16
	s_wait_dscnt 0x0
	v_add3_u32 v33, v33, v9, v10
	s_delay_alu instid0(VALU_DEP_1) | instskip(NEXT) | instid1(VALU_DEP_1)
	v_add3_u32 v12, v33, v11, v12
	v_mov_b32_dpp v33, v12 row_shr:1 row_mask:0xf bank_mask:0xf
	s_delay_alu instid0(VALU_DEP_1) | instskip(NEXT) | instid1(VALU_DEP_1)
	v_cndmask_b32_e64 v33, v33, 0, s5
	v_add_nc_u32_e32 v12, v33, v12
	s_delay_alu instid0(VALU_DEP_1) | instskip(NEXT) | instid1(VALU_DEP_1)
	v_mov_b32_dpp v33, v12 row_shr:2 row_mask:0xf bank_mask:0xf
	v_cndmask_b32_e64 v33, 0, v33, s3
	s_delay_alu instid0(VALU_DEP_1) | instskip(NEXT) | instid1(VALU_DEP_1)
	v_add_nc_u32_e32 v12, v12, v33
	v_mov_b32_dpp v33, v12 row_shr:4 row_mask:0xf bank_mask:0xf
	s_delay_alu instid0(VALU_DEP_1) | instskip(NEXT) | instid1(VALU_DEP_1)
	v_cndmask_b32_e64 v33, 0, v33, s6
	v_add_nc_u32_e32 v33, v12, v33
	s_delay_alu instid0(VALU_DEP_1) | instskip(NEXT) | instid1(VALU_DEP_1)
	v_mov_b32_dpp v12, v33 row_shr:8 row_mask:0xf bank_mask:0xf
	v_cndmask_b32_e64 v34, 0, v12, s4
	v_lshrrev_b32_e32 v12, 16, v28
	s_delay_alu instid0(VALU_DEP_2)
	v_add_nc_u32_e32 v33, v33, v34
	s_and_saveexec_b32 s17, s2
; %bb.56:
	v_mov_b32_e32 v34, 0
	ds_store_b32 v34, v33 offset:512
; %bb.57:
	s_wait_alu 0xfffe
	s_or_b32 exec_lo, exec_lo, s17
	ds_bpermute_b32 v33, v26, v33
	v_mov_b32_e32 v34, 0
	; wave barrier
	s_wait_loadcnt_dscnt 0x0
	global_inv scope:SCOPE_SE
	ds_load_b32 v34, v34 offset:512
	v_cndmask_b32_e64 v33, v33, 0, s11
	s_wait_dscnt 0x0
	s_delay_alu instid0(VALU_DEP_1) | instskip(NEXT) | instid1(VALU_DEP_1)
	v_lshl_add_u32 v33, v34, 16, v33
	v_add_nc_u32_e32 v34, v33, v13
	s_delay_alu instid0(VALU_DEP_1) | instskip(NEXT) | instid1(VALU_DEP_1)
	v_add_nc_u32_e32 v35, v34, v14
	v_add_nc_u32_e32 v36, v35, v15
	s_delay_alu instid0(VALU_DEP_1) | instskip(NEXT) | instid1(VALU_DEP_1)
	v_add_nc_u32_e32 v13, v36, v16
	;; [unrolled: 3-line block ×3, first 2 shown]
	v_add_nc_u32_e32 v16, v15, v11
	v_and_b32_e32 v11, 0xffff, v29
	ds_store_b128 v25, v[33:36]
	ds_store_b128 v25, v[13:16] offset:16
	; wave barrier
	s_wait_loadcnt_dscnt 0x0
	global_inv scope:SCOPE_SE
	ds_load_u16 v9, v30
	ds_load_u16 v10, v31
	v_and_b32_e32 v13, 0xffff, v32
	; wave barrier
	s_wait_loadcnt_dscnt 0x0
	global_inv scope:SCOPE_SE
	v_add_nc_u32_e32 v9, v9, v11
	v_add_nc_u32_e32 v10, v10, v13
	s_delay_alu instid0(VALU_DEP_2) | instskip(NEXT) | instid1(VALU_DEP_2)
	v_lshlrev_b32_e32 v11, 1, v9
	v_lshlrev_b32_e32 v13, 1, v10
	ds_store_b16 v11, v28
	ds_store_b16 v13, v12
	; wave barrier
	s_wait_loadcnt_dscnt 0x0
	global_inv scope:SCOPE_SE
	v_mad_u32_u24 v9, v9, 6, v11
	ds_load_b32 v11, v19
	v_mad_u32_u24 v10, v10, 6, v13
	; wave barrier
	s_wait_loadcnt_dscnt 0x0
	global_inv scope:SCOPE_SE
	ds_store_b64 v9, v[5:6]
	ds_store_b64 v10, v[7:8]
	; wave barrier
	s_wait_loadcnt_dscnt 0x0
	global_inv scope:SCOPE_SE
	ds_load_b128 v[5:8], v18
	v_xor_b32_e32 v9, 0x80008000, v11
	s_and_b32 vcc_lo, exec_lo, s16
	s_wait_alu 0xfffe
	s_cbranch_vccnz .LBB164_59
	s_branch .LBB164_104
.LBB164_58:
                                        ; implicit-def: $vgpr7_vgpr8
                                        ; implicit-def: $vgpr9
	s_and_b32 vcc_lo, exec_lo, s16
	s_wait_alu 0xfffe
	s_cbranch_vccz .LBB164_104
.LBB164_59:
	s_and_saveexec_b32 s16, s7
	s_cbranch_execz .LBB164_68
; %bb.60:
	s_wait_dscnt 0x0
	v_mad_i32_i24 v5, v0, -12, v18
	v_mov_b32_e32 v6, 0
	v_cmp_gt_u32_e32 vcc_lo, 0x70, v0
	ds_store_b32 v5, v6
	s_and_b32 exec_lo, exec_lo, vcc_lo
	s_cbranch_execz .LBB164_68
; %bb.61:
	v_mul_i32_i24_e32 v5, -12, v0
	v_cmp_gt_u32_e32 vcc_lo, 0x60, v0
	s_delay_alu instid0(VALU_DEP_2)
	v_add_nc_u32_e32 v5, v18, v5
	ds_store_b32 v5, v6 offset:64
	s_and_b32 exec_lo, exec_lo, vcc_lo
	s_cbranch_execz .LBB164_68
; %bb.62:
	v_mov_b32_e32 v6, 0
	v_cmp_gt_u32_e32 vcc_lo, 0x50, v0
	ds_store_b32 v5, v6 offset:128
	s_and_b32 exec_lo, exec_lo, vcc_lo
	s_cbranch_execz .LBB164_68
; %bb.63:
	v_cmp_gt_u32_e32 vcc_lo, 64, v0
	ds_store_b32 v5, v6 offset:192
	s_and_b32 exec_lo, exec_lo, vcc_lo
	s_cbranch_execz .LBB164_68
; %bb.64:
	v_mov_b32_e32 v6, 0
	v_cmp_gt_u32_e32 vcc_lo, 48, v0
	ds_store_b32 v5, v6 offset:256
	s_and_b32 exec_lo, exec_lo, vcc_lo
	s_cbranch_execz .LBB164_68
; %bb.65:
	v_cmp_gt_u32_e32 vcc_lo, 32, v0
	ds_store_b32 v5, v6 offset:320
	s_and_b32 exec_lo, exec_lo, vcc_lo
	s_cbranch_execz .LBB164_68
; %bb.66:
	v_mov_b32_e32 v6, 0
	v_cmp_gt_u32_e32 vcc_lo, 16, v0
	ds_store_b32 v5, v6 offset:384
	s_and_b32 exec_lo, exec_lo, vcc_lo
; %bb.67:
	ds_store_b32 v5, v6 offset:448
.LBB164_68:
	s_wait_alu 0xfffe
	s_or_b32 exec_lo, exec_lo, s16
	s_wait_kmcnt 0x0
	s_min_u32 s16, s13, 16
	v_xor_b32_e32 v13, 0x7fff7fff, v27
	s_wait_alu 0xfffe
	s_lshl_b32 s16, -1, s16
	s_wait_alu 0xfffe
	s_not_b32 s16, s16
	v_lshrrev_b32_e32 v14, 16, v13
	s_wait_dscnt 0x0
	s_wait_alu 0xfffe
	v_and_b32_e32 v5, s16, v13
	s_delay_alu instid0(VALU_DEP_1) | instskip(SKIP_1) | instid1(VALU_DEP_2)
	v_and_b32_e32 v6, 0xffff, v5
	v_lshrrev_b32_e32 v5, 2, v5
	v_lshlrev_b32_e32 v6, 4, v6
	s_delay_alu instid0(VALU_DEP_2) | instskip(NEXT) | instid1(VALU_DEP_2)
	v_and_b32_e32 v5, 0x3ffe, v5
	v_and_or_b32 v6, 0x70, v6, v0
	s_delay_alu instid0(VALU_DEP_1) | instskip(SKIP_4) | instid1(VALU_DEP_2)
	v_lshl_add_u32 v16, v6, 2, v5
	v_and_b32_e32 v5, s16, v14
	ds_load_u16 v15, v16
	v_lshlrev_b32_e32 v6, 4, v5
	v_lshrrev_b32_e32 v5, 2, v5
	v_and_or_b32 v6, 0x70, v6, v0
	s_delay_alu instid0(VALU_DEP_2) | instskip(NEXT) | instid1(VALU_DEP_1)
	v_and_b32_e32 v5, 0x3ffe, v5
	v_lshl_add_u32 v27, v6, 2, v5
	s_wait_dscnt 0x0
	v_add_nc_u16 v7, v15, 1
	ds_store_b16 v16, v7
	ds_load_u16 v28, v27
	s_wait_dscnt 0x0
	v_add_nc_u16 v5, v28, 1
	ds_store_b16 v27, v5
	; wave barrier
	s_wait_loadcnt_dscnt 0x0
	global_inv scope:SCOPE_SE
	ds_load_b128 v[9:12], v25
	ds_load_b128 v[5:8], v25 offset:16
	s_wait_dscnt 0x1
	v_add_nc_u32_e32 v29, v10, v9
	s_delay_alu instid0(VALU_DEP_1) | instskip(SKIP_1) | instid1(VALU_DEP_1)
	v_add3_u32 v29, v29, v11, v12
	s_wait_dscnt 0x0
	v_add3_u32 v29, v29, v5, v6
	s_delay_alu instid0(VALU_DEP_1) | instskip(NEXT) | instid1(VALU_DEP_1)
	v_add3_u32 v8, v29, v7, v8
	v_mov_b32_dpp v29, v8 row_shr:1 row_mask:0xf bank_mask:0xf
	s_delay_alu instid0(VALU_DEP_1) | instskip(NEXT) | instid1(VALU_DEP_1)
	v_cndmask_b32_e64 v29, v29, 0, s5
	v_add_nc_u32_e32 v8, v29, v8
	s_delay_alu instid0(VALU_DEP_1) | instskip(NEXT) | instid1(VALU_DEP_1)
	v_mov_b32_dpp v29, v8 row_shr:2 row_mask:0xf bank_mask:0xf
	v_cndmask_b32_e64 v29, 0, v29, s3
	s_delay_alu instid0(VALU_DEP_1) | instskip(NEXT) | instid1(VALU_DEP_1)
	v_add_nc_u32_e32 v8, v8, v29
	v_mov_b32_dpp v29, v8 row_shr:4 row_mask:0xf bank_mask:0xf
	s_delay_alu instid0(VALU_DEP_1) | instskip(NEXT) | instid1(VALU_DEP_1)
	v_cndmask_b32_e64 v29, 0, v29, s6
	v_add_nc_u32_e32 v8, v8, v29
	s_delay_alu instid0(VALU_DEP_1) | instskip(NEXT) | instid1(VALU_DEP_1)
	v_mov_b32_dpp v29, v8 row_shr:8 row_mask:0xf bank_mask:0xf
	v_cndmask_b32_e64 v29, 0, v29, s4
	s_delay_alu instid0(VALU_DEP_1)
	v_add_nc_u32_e32 v8, v8, v29
	s_and_saveexec_b32 s16, s2
; %bb.69:
	v_mov_b32_e32 v29, 0
	ds_store_b32 v29, v8 offset:512
; %bb.70:
	s_wait_alu 0xfffe
	s_or_b32 exec_lo, exec_lo, s16
	ds_bpermute_b32 v29, v26, v8
	v_mov_b32_e32 v8, 0
	; wave barrier
	s_wait_loadcnt_dscnt 0x0
	global_inv scope:SCOPE_SE
	ds_load_b32 v30, v8 offset:512
	v_cndmask_b32_e64 v29, v29, 0, s11
	s_wait_dscnt 0x0
	s_delay_alu instid0(VALU_DEP_1) | instskip(NEXT) | instid1(VALU_DEP_1)
	v_lshl_add_u32 v29, v30, 16, v29
	v_add_nc_u32_e32 v30, v29, v9
	s_delay_alu instid0(VALU_DEP_1) | instskip(NEXT) | instid1(VALU_DEP_1)
	v_add_nc_u32_e32 v31, v30, v10
	v_add_nc_u32_e32 v32, v31, v11
	s_delay_alu instid0(VALU_DEP_1) | instskip(NEXT) | instid1(VALU_DEP_1)
	v_add_nc_u32_e32 v9, v32, v12
	;; [unrolled: 3-line block ×3, first 2 shown]
	v_add_nc_u32_e32 v12, v11, v7
	v_and_b32_e32 v7, 0xffff, v15
	ds_store_b128 v25, v[29:32]
	ds_store_b128 v25, v[9:12] offset:16
	; wave barrier
	s_wait_loadcnt_dscnt 0x0
	global_inv scope:SCOPE_SE
	ds_load_u16 v5, v16
	ds_load_u16 v6, v27
	v_and_b32_e32 v9, 0xffff, v28
	; wave barrier
	s_wait_loadcnt_dscnt 0x0
	global_inv scope:SCOPE_SE
	v_add_nc_u32_e32 v5, v5, v7
	v_add_nc_u32_e32 v6, v6, v9
	s_delay_alu instid0(VALU_DEP_2) | instskip(NEXT) | instid1(VALU_DEP_2)
	v_lshlrev_b32_e32 v7, 1, v5
	v_lshlrev_b32_e32 v9, 1, v6
	ds_store_b16 v7, v13
	ds_store_b16 v9, v14
	v_mad_u32_u24 v5, v5, 6, v7
	v_mad_u32_u24 v6, v6, 6, v9
	; wave barrier
	s_wait_loadcnt_dscnt 0x0
	global_inv scope:SCOPE_SE
	ds_load_b32 v13, v19
	; wave barrier
	s_wait_loadcnt_dscnt 0x0
	global_inv scope:SCOPE_SE
	ds_store_b64 v5, v[1:2]
	ds_store_b64 v6, v[3:4]
	; wave barrier
	s_wait_loadcnt_dscnt 0x0
	global_inv scope:SCOPE_SE
	ds_load_b128 v[1:4], v18
	; wave barrier
	s_wait_loadcnt_dscnt 0x0
	global_inv scope:SCOPE_SE
	s_and_saveexec_b32 s16, s7
	s_cbranch_execz .LBB164_79
; %bb.71:
	v_cmp_gt_u32_e32 vcc_lo, 0x70, v0
	ds_store_b32 v21, v8
	s_and_b32 exec_lo, exec_lo, vcc_lo
	s_cbranch_execz .LBB164_79
; %bb.72:
	v_mov_b32_e32 v5, 0
	v_cmp_gt_u32_e32 vcc_lo, 0x60, v0
	ds_store_b32 v21, v5 offset:64
	s_and_b32 exec_lo, exec_lo, vcc_lo
	s_cbranch_execz .LBB164_79
; %bb.73:
	v_cmp_gt_u32_e32 vcc_lo, 0x50, v0
	ds_store_b32 v21, v5 offset:128
	s_and_b32 exec_lo, exec_lo, vcc_lo
	s_cbranch_execz .LBB164_79
; %bb.74:
	v_mov_b32_e32 v5, 0
	v_cmp_gt_u32_e32 vcc_lo, 64, v0
	ds_store_b32 v21, v5 offset:192
	s_and_b32 exec_lo, exec_lo, vcc_lo
	s_cbranch_execz .LBB164_79
; %bb.75:
	v_cmp_gt_u32_e32 vcc_lo, 48, v0
	ds_store_b32 v21, v5 offset:256
	;; [unrolled: 11-line block ×3, first 2 shown]
	s_and_b32 exec_lo, exec_lo, vcc_lo
; %bb.78:
	v_mov_b32_e32 v5, 0
	ds_store_b32 v21, v5 offset:448
.LBB164_79:
	s_wait_alu 0xfffe
	s_or_b32 exec_lo, exec_lo, s16
	v_lshrrev_b16 v5, 4, v13
	s_min_u32 s16, s13, 12
	s_wait_alu 0xfffe
	s_lshl_b32 s16, -1, s16
	s_wait_alu 0xfffe
	s_not_b32 s16, s16
	v_and_b32_e32 v5, 0xffff, v5
	s_wait_alu 0xfffe
	s_delay_alu instid0(VALU_DEP_1) | instskip(NEXT) | instid1(VALU_DEP_1)
	v_and_b32_e32 v5, s16, v5
	v_lshlrev_b32_e32 v6, 4, v5
	v_lshrrev_b32_e32 v5, 2, v5
	s_delay_alu instid0(VALU_DEP_2) | instskip(NEXT) | instid1(VALU_DEP_2)
	v_and_or_b32 v6, 0x70, v6, v0
	v_and_b32_e32 v5, 0x3fe, v5
	s_delay_alu instid0(VALU_DEP_1) | instskip(SKIP_3) | instid1(VALU_DEP_1)
	v_lshl_add_u32 v15, v6, 2, v5
	v_lshrrev_b32_e32 v5, 20, v13
	ds_load_u16 v14, v15
	v_and_b32_e32 v5, s16, v5
	v_lshlrev_b32_e32 v6, 4, v5
	v_lshrrev_b32_e32 v5, 2, v5
	s_delay_alu instid0(VALU_DEP_2) | instskip(NEXT) | instid1(VALU_DEP_2)
	v_and_or_b32 v6, 0x70, v6, v0
	v_and_b32_e32 v5, 0x3fe, v5
	s_delay_alu instid0(VALU_DEP_1)
	v_lshl_add_u32 v16, v6, 2, v5
	s_wait_dscnt 0x0
	v_add_nc_u16 v7, v14, 1
	ds_store_b16 v15, v7
	ds_load_u16 v27, v16
	s_wait_dscnt 0x0
	v_add_nc_u16 v5, v27, 1
	ds_store_b16 v16, v5
	; wave barrier
	s_wait_loadcnt_dscnt 0x0
	global_inv scope:SCOPE_SE
	ds_load_b128 v[9:12], v25
	ds_load_b128 v[5:8], v25 offset:16
	s_wait_dscnt 0x1
	v_add_nc_u32_e32 v28, v10, v9
	s_delay_alu instid0(VALU_DEP_1) | instskip(SKIP_1) | instid1(VALU_DEP_1)
	v_add3_u32 v28, v28, v11, v12
	s_wait_dscnt 0x0
	v_add3_u32 v28, v28, v5, v6
	s_delay_alu instid0(VALU_DEP_1) | instskip(NEXT) | instid1(VALU_DEP_1)
	v_add3_u32 v8, v28, v7, v8
	v_mov_b32_dpp v28, v8 row_shr:1 row_mask:0xf bank_mask:0xf
	s_delay_alu instid0(VALU_DEP_1) | instskip(NEXT) | instid1(VALU_DEP_1)
	v_cndmask_b32_e64 v28, v28, 0, s5
	v_add_nc_u32_e32 v8, v28, v8
	s_delay_alu instid0(VALU_DEP_1) | instskip(NEXT) | instid1(VALU_DEP_1)
	v_mov_b32_dpp v28, v8 row_shr:2 row_mask:0xf bank_mask:0xf
	v_cndmask_b32_e64 v28, 0, v28, s3
	s_delay_alu instid0(VALU_DEP_1) | instskip(NEXT) | instid1(VALU_DEP_1)
	v_add_nc_u32_e32 v8, v8, v28
	v_mov_b32_dpp v28, v8 row_shr:4 row_mask:0xf bank_mask:0xf
	s_delay_alu instid0(VALU_DEP_1) | instskip(NEXT) | instid1(VALU_DEP_1)
	v_cndmask_b32_e64 v28, 0, v28, s6
	v_add_nc_u32_e32 v8, v8, v28
	s_delay_alu instid0(VALU_DEP_1) | instskip(NEXT) | instid1(VALU_DEP_1)
	v_mov_b32_dpp v28, v8 row_shr:8 row_mask:0xf bank_mask:0xf
	v_cndmask_b32_e64 v29, 0, v28, s4
	v_lshrrev_b32_e32 v28, 16, v13
	s_delay_alu instid0(VALU_DEP_2)
	v_add_nc_u32_e32 v8, v8, v29
	s_and_saveexec_b32 s16, s2
; %bb.80:
	v_mov_b32_e32 v29, 0
	ds_store_b32 v29, v8 offset:512
; %bb.81:
	s_wait_alu 0xfffe
	s_or_b32 exec_lo, exec_lo, s16
	ds_bpermute_b32 v29, v26, v8
	v_mov_b32_e32 v8, 0
	; wave barrier
	s_wait_loadcnt_dscnt 0x0
	global_inv scope:SCOPE_SE
	ds_load_b32 v30, v8 offset:512
	v_cndmask_b32_e64 v29, v29, 0, s11
	s_wait_dscnt 0x0
	s_delay_alu instid0(VALU_DEP_1) | instskip(NEXT) | instid1(VALU_DEP_1)
	v_lshl_add_u32 v29, v30, 16, v29
	v_add_nc_u32_e32 v30, v29, v9
	s_delay_alu instid0(VALU_DEP_1) | instskip(NEXT) | instid1(VALU_DEP_1)
	v_add_nc_u32_e32 v31, v30, v10
	v_add_nc_u32_e32 v32, v31, v11
	s_delay_alu instid0(VALU_DEP_1) | instskip(NEXT) | instid1(VALU_DEP_1)
	v_add_nc_u32_e32 v9, v32, v12
	;; [unrolled: 3-line block ×3, first 2 shown]
	v_add_nc_u32_e32 v12, v11, v7
	v_and_b32_e32 v7, 0xffff, v14
	ds_store_b128 v25, v[29:32]
	ds_store_b128 v25, v[9:12] offset:16
	; wave barrier
	s_wait_loadcnt_dscnt 0x0
	global_inv scope:SCOPE_SE
	ds_load_u16 v5, v15
	ds_load_u16 v6, v16
	v_and_b32_e32 v9, 0xffff, v27
	; wave barrier
	s_wait_loadcnt_dscnt 0x0
	global_inv scope:SCOPE_SE
	v_add_nc_u32_e32 v5, v5, v7
	v_add_nc_u32_e32 v6, v6, v9
	s_delay_alu instid0(VALU_DEP_2) | instskip(NEXT) | instid1(VALU_DEP_2)
	v_lshlrev_b32_e32 v7, 1, v5
	v_lshlrev_b32_e32 v9, 1, v6
	ds_store_b16 v7, v13
	ds_store_b16 v9, v28
	v_mad_u32_u24 v5, v5, 6, v7
	v_mad_u32_u24 v6, v6, 6, v9
	; wave barrier
	s_wait_loadcnt_dscnt 0x0
	global_inv scope:SCOPE_SE
	ds_load_b32 v13, v19
	; wave barrier
	s_wait_loadcnt_dscnt 0x0
	global_inv scope:SCOPE_SE
	ds_store_b64 v5, v[1:2]
	ds_store_b64 v6, v[3:4]
	; wave barrier
	s_wait_loadcnt_dscnt 0x0
	global_inv scope:SCOPE_SE
	ds_load_b128 v[1:4], v18
	; wave barrier
	s_wait_loadcnt_dscnt 0x0
	global_inv scope:SCOPE_SE
	s_and_saveexec_b32 s16, s7
	s_cbranch_execz .LBB164_90
; %bb.82:
	v_cmp_gt_u32_e32 vcc_lo, 0x70, v0
	ds_store_b32 v21, v8
	s_and_b32 exec_lo, exec_lo, vcc_lo
	s_cbranch_execz .LBB164_90
; %bb.83:
	v_mov_b32_e32 v5, 0
	v_cmp_gt_u32_e32 vcc_lo, 0x60, v0
	ds_store_b32 v21, v5 offset:64
	s_and_b32 exec_lo, exec_lo, vcc_lo
	s_cbranch_execz .LBB164_90
; %bb.84:
	v_cmp_gt_u32_e32 vcc_lo, 0x50, v0
	ds_store_b32 v21, v5 offset:128
	s_and_b32 exec_lo, exec_lo, vcc_lo
	s_cbranch_execz .LBB164_90
; %bb.85:
	v_mov_b32_e32 v5, 0
	v_cmp_gt_u32_e32 vcc_lo, 64, v0
	ds_store_b32 v21, v5 offset:192
	s_and_b32 exec_lo, exec_lo, vcc_lo
	s_cbranch_execz .LBB164_90
; %bb.86:
	v_cmp_gt_u32_e32 vcc_lo, 48, v0
	ds_store_b32 v21, v5 offset:256
	;; [unrolled: 11-line block ×3, first 2 shown]
	s_and_b32 exec_lo, exec_lo, vcc_lo
; %bb.89:
	v_mov_b32_e32 v5, 0
	ds_store_b32 v21, v5 offset:448
.LBB164_90:
	s_wait_alu 0xfffe
	s_or_b32 exec_lo, exec_lo, s16
	v_lshrrev_b16 v5, 8, v13
	s_min_u32 s16, s13, 8
	s_wait_alu 0xfffe
	s_lshl_b32 s16, -1, s16
	s_wait_alu 0xfffe
	s_not_b32 s16, s16
	v_and_b32_e32 v5, 0xffff, v5
	s_wait_alu 0xfffe
	s_delay_alu instid0(VALU_DEP_1) | instskip(NEXT) | instid1(VALU_DEP_1)
	v_and_b32_e32 v5, s16, v5
	v_lshlrev_b32_e32 v6, 4, v5
	v_lshrrev_b32_e32 v5, 2, v5
	s_delay_alu instid0(VALU_DEP_2) | instskip(NEXT) | instid1(VALU_DEP_2)
	v_and_or_b32 v6, 0x70, v6, v0
	v_and_b32_e32 v5, 62, v5
	s_delay_alu instid0(VALU_DEP_1) | instskip(SKIP_3) | instid1(VALU_DEP_1)
	v_lshl_add_u32 v15, v6, 2, v5
	v_lshrrev_b32_e32 v5, 24, v13
	ds_load_u16 v14, v15
	v_and_b32_e32 v5, s16, v5
	v_lshlrev_b32_e32 v6, 4, v5
	v_lshrrev_b32_e32 v5, 2, v5
	s_delay_alu instid0(VALU_DEP_2) | instskip(NEXT) | instid1(VALU_DEP_2)
	v_and_or_b32 v6, 0x70, v6, v0
	v_and_b32_e32 v5, 62, v5
	s_delay_alu instid0(VALU_DEP_1)
	v_lshl_add_u32 v16, v6, 2, v5
	s_wait_dscnt 0x0
	v_add_nc_u16 v7, v14, 1
	ds_store_b16 v15, v7
	ds_load_u16 v27, v16
	s_wait_dscnt 0x0
	v_add_nc_u16 v5, v27, 1
	ds_store_b16 v16, v5
	; wave barrier
	s_wait_loadcnt_dscnt 0x0
	global_inv scope:SCOPE_SE
	ds_load_b128 v[9:12], v25
	ds_load_b128 v[5:8], v25 offset:16
	s_wait_dscnt 0x1
	v_add_nc_u32_e32 v28, v10, v9
	s_delay_alu instid0(VALU_DEP_1) | instskip(SKIP_1) | instid1(VALU_DEP_1)
	v_add3_u32 v28, v28, v11, v12
	s_wait_dscnt 0x0
	v_add3_u32 v28, v28, v5, v6
	s_delay_alu instid0(VALU_DEP_1) | instskip(NEXT) | instid1(VALU_DEP_1)
	v_add3_u32 v8, v28, v7, v8
	v_mov_b32_dpp v28, v8 row_shr:1 row_mask:0xf bank_mask:0xf
	s_delay_alu instid0(VALU_DEP_1) | instskip(NEXT) | instid1(VALU_DEP_1)
	v_cndmask_b32_e64 v28, v28, 0, s5
	v_add_nc_u32_e32 v8, v28, v8
	s_delay_alu instid0(VALU_DEP_1) | instskip(NEXT) | instid1(VALU_DEP_1)
	v_mov_b32_dpp v28, v8 row_shr:2 row_mask:0xf bank_mask:0xf
	v_cndmask_b32_e64 v28, 0, v28, s3
	s_delay_alu instid0(VALU_DEP_1) | instskip(NEXT) | instid1(VALU_DEP_1)
	v_add_nc_u32_e32 v8, v8, v28
	v_mov_b32_dpp v28, v8 row_shr:4 row_mask:0xf bank_mask:0xf
	s_delay_alu instid0(VALU_DEP_1) | instskip(NEXT) | instid1(VALU_DEP_1)
	v_cndmask_b32_e64 v28, 0, v28, s6
	v_add_nc_u32_e32 v8, v8, v28
	s_delay_alu instid0(VALU_DEP_1) | instskip(NEXT) | instid1(VALU_DEP_1)
	v_mov_b32_dpp v28, v8 row_shr:8 row_mask:0xf bank_mask:0xf
	v_cndmask_b32_e64 v29, 0, v28, s4
	v_lshrrev_b32_e32 v28, 16, v13
	s_delay_alu instid0(VALU_DEP_2)
	v_add_nc_u32_e32 v8, v8, v29
	s_and_saveexec_b32 s16, s2
; %bb.91:
	v_mov_b32_e32 v29, 0
	ds_store_b32 v29, v8 offset:512
; %bb.92:
	s_wait_alu 0xfffe
	s_or_b32 exec_lo, exec_lo, s16
	ds_bpermute_b32 v29, v26, v8
	v_mov_b32_e32 v8, 0
	; wave barrier
	s_wait_loadcnt_dscnt 0x0
	global_inv scope:SCOPE_SE
	ds_load_b32 v30, v8 offset:512
	v_cndmask_b32_e64 v29, v29, 0, s11
	s_wait_dscnt 0x0
	s_delay_alu instid0(VALU_DEP_1) | instskip(NEXT) | instid1(VALU_DEP_1)
	v_lshl_add_u32 v29, v30, 16, v29
	v_add_nc_u32_e32 v30, v29, v9
	s_delay_alu instid0(VALU_DEP_1) | instskip(NEXT) | instid1(VALU_DEP_1)
	v_add_nc_u32_e32 v31, v30, v10
	v_add_nc_u32_e32 v32, v31, v11
	s_delay_alu instid0(VALU_DEP_1) | instskip(NEXT) | instid1(VALU_DEP_1)
	v_add_nc_u32_e32 v9, v32, v12
	;; [unrolled: 3-line block ×3, first 2 shown]
	v_add_nc_u32_e32 v12, v11, v7
	v_and_b32_e32 v7, 0xffff, v14
	ds_store_b128 v25, v[29:32]
	ds_store_b128 v25, v[9:12] offset:16
	; wave barrier
	s_wait_loadcnt_dscnt 0x0
	global_inv scope:SCOPE_SE
	ds_load_u16 v5, v15
	ds_load_u16 v6, v16
	v_and_b32_e32 v9, 0xffff, v27
	; wave barrier
	s_wait_loadcnt_dscnt 0x0
	global_inv scope:SCOPE_SE
	v_add_nc_u32_e32 v5, v5, v7
	v_add_nc_u32_e32 v6, v6, v9
	s_delay_alu instid0(VALU_DEP_2) | instskip(NEXT) | instid1(VALU_DEP_2)
	v_lshlrev_b32_e32 v7, 1, v5
	v_lshlrev_b32_e32 v9, 1, v6
	ds_store_b16 v7, v13
	ds_store_b16 v9, v28
	v_mad_u32_u24 v5, v5, 6, v7
	v_mad_u32_u24 v6, v6, 6, v9
	; wave barrier
	s_wait_loadcnt_dscnt 0x0
	global_inv scope:SCOPE_SE
	ds_load_b32 v13, v19
	; wave barrier
	s_wait_loadcnt_dscnt 0x0
	global_inv scope:SCOPE_SE
	ds_store_b64 v5, v[1:2]
	ds_store_b64 v6, v[3:4]
	; wave barrier
	s_wait_loadcnt_dscnt 0x0
	global_inv scope:SCOPE_SE
	ds_load_b128 v[1:4], v18
	; wave barrier
	s_wait_loadcnt_dscnt 0x0
	global_inv scope:SCOPE_SE
	s_and_saveexec_b32 s16, s7
	s_cbranch_execz .LBB164_101
; %bb.93:
	v_cmp_gt_u32_e32 vcc_lo, 0x70, v0
	ds_store_b32 v21, v8
	s_and_b32 exec_lo, exec_lo, vcc_lo
	s_cbranch_execz .LBB164_101
; %bb.94:
	v_mov_b32_e32 v5, 0
	v_cmp_gt_u32_e32 vcc_lo, 0x60, v0
	ds_store_b32 v21, v5 offset:64
	s_and_b32 exec_lo, exec_lo, vcc_lo
	s_cbranch_execz .LBB164_101
; %bb.95:
	v_cmp_gt_u32_e32 vcc_lo, 0x50, v0
	ds_store_b32 v21, v5 offset:128
	s_and_b32 exec_lo, exec_lo, vcc_lo
	s_cbranch_execz .LBB164_101
; %bb.96:
	v_mov_b32_e32 v5, 0
	v_cmp_gt_u32_e32 vcc_lo, 64, v0
	ds_store_b32 v21, v5 offset:192
	s_and_b32 exec_lo, exec_lo, vcc_lo
	s_cbranch_execz .LBB164_101
; %bb.97:
	v_cmp_gt_u32_e32 vcc_lo, 48, v0
	ds_store_b32 v21, v5 offset:256
	;; [unrolled: 11-line block ×3, first 2 shown]
	s_and_b32 exec_lo, exec_lo, vcc_lo
; %bb.100:
	v_mov_b32_e32 v5, 0
	ds_store_b32 v21, v5 offset:448
.LBB164_101:
	s_wait_alu 0xfffe
	s_or_b32 exec_lo, exec_lo, s16
	v_lshrrev_b16 v5, 12, v13
	s_min_u32 s7, s13, 4
	s_wait_alu 0xfffe
	s_lshl_b32 s7, -1, s7
	s_wait_alu 0xfffe
	s_not_b32 s7, s7
	v_and_b32_e32 v5, 0xffff, v5
	s_wait_alu 0xfffe
	s_delay_alu instid0(VALU_DEP_1) | instskip(NEXT) | instid1(VALU_DEP_1)
	v_and_b32_e32 v5, s7, v5
	v_lshlrev_b32_e32 v6, 4, v5
	v_lshrrev_b32_e32 v5, 2, v5
	s_delay_alu instid0(VALU_DEP_2) | instskip(NEXT) | instid1(VALU_DEP_2)
	v_and_or_b32 v6, 0x70, v6, v0
	v_and_b32_e32 v5, 2, v5
	s_delay_alu instid0(VALU_DEP_1) | instskip(SKIP_3) | instid1(VALU_DEP_1)
	v_lshl_or_b32 v15, v6, 2, v5
	v_lshrrev_b32_e32 v5, 28, v13
	ds_load_u16 v14, v15
	v_and_b32_e32 v5, s7, v5
	v_lshlrev_b32_e32 v6, 4, v5
	v_lshrrev_b32_e32 v5, 2, v5
	s_delay_alu instid0(VALU_DEP_2) | instskip(NEXT) | instid1(VALU_DEP_2)
	v_and_or_b32 v0, 0x70, v6, v0
	v_and_b32_e32 v5, 2, v5
	s_delay_alu instid0(VALU_DEP_1)
	v_lshl_or_b32 v0, v0, 2, v5
	s_wait_dscnt 0x0
	v_add_nc_u16 v6, v14, 1
	ds_store_b16 v15, v6
	ds_load_u16 v16, v0
	s_wait_dscnt 0x0
	v_add_nc_u16 v5, v16, 1
	ds_store_b16 v0, v5
	; wave barrier
	s_wait_loadcnt_dscnt 0x0
	global_inv scope:SCOPE_SE
	ds_load_b128 v[9:12], v25
	ds_load_b128 v[5:8], v25 offset:16
	s_wait_dscnt 0x1
	v_add_nc_u32_e32 v27, v10, v9
	s_delay_alu instid0(VALU_DEP_1) | instskip(SKIP_1) | instid1(VALU_DEP_1)
	v_add3_u32 v27, v27, v11, v12
	s_wait_dscnt 0x0
	v_add3_u32 v27, v27, v5, v6
	s_delay_alu instid0(VALU_DEP_1) | instskip(NEXT) | instid1(VALU_DEP_1)
	v_add3_u32 v8, v27, v7, v8
	v_mov_b32_dpp v27, v8 row_shr:1 row_mask:0xf bank_mask:0xf
	s_delay_alu instid0(VALU_DEP_1) | instskip(NEXT) | instid1(VALU_DEP_1)
	v_cndmask_b32_e64 v27, v27, 0, s5
	v_add_nc_u32_e32 v8, v27, v8
	s_delay_alu instid0(VALU_DEP_1) | instskip(NEXT) | instid1(VALU_DEP_1)
	v_mov_b32_dpp v27, v8 row_shr:2 row_mask:0xf bank_mask:0xf
	v_cndmask_b32_e64 v27, 0, v27, s3
	s_delay_alu instid0(VALU_DEP_1) | instskip(NEXT) | instid1(VALU_DEP_1)
	v_add_nc_u32_e32 v8, v8, v27
	v_mov_b32_dpp v27, v8 row_shr:4 row_mask:0xf bank_mask:0xf
	s_delay_alu instid0(VALU_DEP_1) | instskip(NEXT) | instid1(VALU_DEP_1)
	v_cndmask_b32_e64 v27, 0, v27, s6
	v_add_nc_u32_e32 v27, v8, v27
	s_delay_alu instid0(VALU_DEP_1) | instskip(NEXT) | instid1(VALU_DEP_1)
	v_mov_b32_dpp v8, v27 row_shr:8 row_mask:0xf bank_mask:0xf
	v_cndmask_b32_e64 v28, 0, v8, s4
	v_lshrrev_b32_e32 v8, 16, v13
	s_delay_alu instid0(VALU_DEP_2)
	v_add_nc_u32_e32 v27, v27, v28
	s_and_saveexec_b32 s3, s2
; %bb.102:
	v_mov_b32_e32 v28, 0
	ds_store_b32 v28, v27 offset:512
; %bb.103:
	s_wait_alu 0xfffe
	s_or_b32 exec_lo, exec_lo, s3
	ds_bpermute_b32 v26, v26, v27
	v_mov_b32_e32 v27, 0
	; wave barrier
	s_wait_loadcnt_dscnt 0x0
	global_inv scope:SCOPE_SE
	ds_load_b32 v27, v27 offset:512
	v_cndmask_b32_e64 v26, v26, 0, s11
	s_wait_dscnt 0x0
	s_delay_alu instid0(VALU_DEP_1) | instskip(NEXT) | instid1(VALU_DEP_1)
	v_lshl_add_u32 v26, v27, 16, v26
	v_add_nc_u32_e32 v27, v26, v9
	s_delay_alu instid0(VALU_DEP_1) | instskip(NEXT) | instid1(VALU_DEP_1)
	v_add_nc_u32_e32 v28, v27, v10
	v_add_nc_u32_e32 v29, v28, v11
	s_delay_alu instid0(VALU_DEP_1) | instskip(NEXT) | instid1(VALU_DEP_1)
	v_add_nc_u32_e32 v9, v29, v12
	v_add_nc_u32_e32 v10, v9, v5
	s_delay_alu instid0(VALU_DEP_1) | instskip(SKIP_1) | instid1(VALU_DEP_2)
	v_add_nc_u32_e32 v11, v10, v6
	v_and_b32_e32 v6, 0xffff, v14
	v_add_nc_u32_e32 v12, v11, v7
	v_and_b32_e32 v7, 0xffff, v16
	ds_store_b128 v25, v[26:29]
	ds_store_b128 v25, v[9:12] offset:16
	; wave barrier
	s_wait_loadcnt_dscnt 0x0
	global_inv scope:SCOPE_SE
	ds_load_u16 v5, v15
	ds_load_u16 v0, v0
	; wave barrier
	s_wait_loadcnt_dscnt 0x0
	global_inv scope:SCOPE_SE
	v_add_nc_u32_e32 v5, v5, v6
	v_add_nc_u32_e32 v0, v0, v7
	s_delay_alu instid0(VALU_DEP_2) | instskip(NEXT) | instid1(VALU_DEP_2)
	v_lshlrev_b32_e32 v6, 1, v5
	v_lshlrev_b32_e32 v7, 1, v0
	ds_store_b16 v6, v13
	ds_store_b16 v7, v8
	v_mad_u32_u24 v5, v5, 6, v6
	v_mad_u32_u24 v0, v0, 6, v7
	; wave barrier
	s_wait_loadcnt_dscnt 0x0
	global_inv scope:SCOPE_SE
	ds_load_b32 v9, v19
	; wave barrier
	s_wait_loadcnt_dscnt 0x0
	global_inv scope:SCOPE_SE
	ds_store_b64 v5, v[1:2]
	ds_store_b64 v0, v[3:4]
	; wave barrier
	s_wait_loadcnt_dscnt 0x0
	global_inv scope:SCOPE_SE
	ds_load_b128 v[5:8], v18
	v_xor_b32_e32 v9, 0x7fff7fff, v9
.LBB164_104:
	; wave barrier
	s_wait_loadcnt_dscnt 0x0
	global_inv scope:SCOPE_SE
	ds_store_b32 v21, v9
	; wave barrier
	s_wait_loadcnt_dscnt 0x0
	global_inv scope:SCOPE_SE
	ds_load_u16 v2, v22 offset:32
	v_mov_b32_e32 v21, 0
	s_delay_alu instid0(VALU_DEP_1) | instskip(NEXT) | instid1(VALU_DEP_1)
	v_lshlrev_b64_e32 v[0:1], 1, v[20:21]
	v_add_co_u32 v0, vcc_lo, s14, v0
	s_wait_alu 0xfffd
	s_delay_alu instid0(VALU_DEP_2)
	v_add_co_ci_u32_e64 v1, null, s15, v1, vcc_lo
	s_and_saveexec_b32 s2, s0
	s_cbranch_execz .LBB164_106
; %bb.105:
	ds_load_u16 v3, v22
	s_wait_dscnt 0x0
	global_store_b16 v[0:1], v3, off
.LBB164_106:
	s_wait_alu 0xfffe
	s_or_b32 exec_lo, exec_lo, s2
	s_and_saveexec_b32 s2, s1
	s_cbranch_execz .LBB164_108
; %bb.107:
	s_lshl_b32 s4, s10, 4
	s_mov_b32 s5, 0
	s_wait_alu 0xfffe
	s_lshl_b64 s[4:5], s[4:5], 1
	s_wait_alu 0xfffe
	v_add_co_u32 v0, vcc_lo, v0, s4
	s_wait_alu 0xfffd
	v_add_co_ci_u32_e64 v1, null, s5, v1, vcc_lo
	s_wait_dscnt 0x0
	global_store_b16 v[0:1], v2, off
.LBB164_108:
	s_wait_alu 0xfffe
	s_or_b32 exec_lo, exec_lo, s2
	s_wait_storecnt 0x0
	; wave barrier
	s_wait_loadcnt_dscnt 0x0
	global_inv scope:SCOPE_SE
	ds_store_2addr_b64 v24, v[5:6], v[7:8] offset1:1
	; wave barrier
	s_wait_loadcnt_dscnt 0x0
	global_inv scope:SCOPE_SE
	ds_load_b64 v[0:1], v23 offset:128
	v_mov_b32_e32 v18, 0
	s_delay_alu instid0(VALU_DEP_1) | instskip(NEXT) | instid1(VALU_DEP_1)
	v_lshlrev_b64_e32 v[2:3], 3, v[17:18]
	v_add_co_u32 v2, vcc_lo, s8, v2
	s_wait_alu 0xfffd
	s_delay_alu instid0(VALU_DEP_2)
	v_add_co_ci_u32_e64 v3, null, s9, v3, vcc_lo
	s_and_saveexec_b32 s2, s0
	s_cbranch_execz .LBB164_110
; %bb.109:
	ds_load_b64 v[4:5], v23
	s_wait_dscnt 0x0
	global_store_b64 v[2:3], v[4:5], off
.LBB164_110:
	s_wait_alu 0xfffe
	s_or_b32 exec_lo, exec_lo, s2
	s_and_saveexec_b32 s0, s1
	s_cbranch_execz .LBB164_112
; %bb.111:
	s_lshl_b32 s0, s12, 4
	s_mov_b32 s1, 0
	s_wait_alu 0xfffe
	s_lshl_b64 s[0:1], s[0:1], 3
	s_wait_alu 0xfffe
	v_add_co_u32 v2, vcc_lo, v2, s0
	s_wait_alu 0xfffd
	v_add_co_ci_u32_e64 v3, null, s1, v3, vcc_lo
	s_wait_dscnt 0x0
	global_store_b64 v[2:3], v[0:1], off
.LBB164_112:
	s_endpgm
	.section	.rodata,"a",@progbits
	.p2align	6, 0x0
	.amdhsa_kernel _ZN2at6native18radixSortKVInPlaceILin2ELin1ELi16ELi2EsljEEvNS_4cuda6detail10TensorInfoIT3_T5_EES6_S6_S6_NS4_IT4_S6_EES6_b
		.amdhsa_group_segment_fixed_size 528
		.amdhsa_private_segment_fixed_size 0
		.amdhsa_kernarg_size 712
		.amdhsa_user_sgpr_count 2
		.amdhsa_user_sgpr_dispatch_ptr 0
		.amdhsa_user_sgpr_queue_ptr 0
		.amdhsa_user_sgpr_kernarg_segment_ptr 1
		.amdhsa_user_sgpr_dispatch_id 0
		.amdhsa_user_sgpr_private_segment_size 0
		.amdhsa_wavefront_size32 1
		.amdhsa_uses_dynamic_stack 0
		.amdhsa_enable_private_segment 0
		.amdhsa_system_sgpr_workgroup_id_x 1
		.amdhsa_system_sgpr_workgroup_id_y 1
		.amdhsa_system_sgpr_workgroup_id_z 1
		.amdhsa_system_sgpr_workgroup_info 0
		.amdhsa_system_vgpr_workitem_id 0
		.amdhsa_next_free_vgpr 38
		.amdhsa_next_free_sgpr 18
		.amdhsa_reserve_vcc 1
		.amdhsa_float_round_mode_32 0
		.amdhsa_float_round_mode_16_64 0
		.amdhsa_float_denorm_mode_32 3
		.amdhsa_float_denorm_mode_16_64 3
		.amdhsa_fp16_overflow 0
		.amdhsa_workgroup_processor_mode 1
		.amdhsa_memory_ordered 1
		.amdhsa_forward_progress 1
		.amdhsa_inst_pref_size 70
		.amdhsa_round_robin_scheduling 0
		.amdhsa_exception_fp_ieee_invalid_op 0
		.amdhsa_exception_fp_denorm_src 0
		.amdhsa_exception_fp_ieee_div_zero 0
		.amdhsa_exception_fp_ieee_overflow 0
		.amdhsa_exception_fp_ieee_underflow 0
		.amdhsa_exception_fp_ieee_inexact 0
		.amdhsa_exception_int_div_zero 0
	.end_amdhsa_kernel
	.section	.text._ZN2at6native18radixSortKVInPlaceILin2ELin1ELi16ELi2EsljEEvNS_4cuda6detail10TensorInfoIT3_T5_EES6_S6_S6_NS4_IT4_S6_EES6_b,"axG",@progbits,_ZN2at6native18radixSortKVInPlaceILin2ELin1ELi16ELi2EsljEEvNS_4cuda6detail10TensorInfoIT3_T5_EES6_S6_S6_NS4_IT4_S6_EES6_b,comdat
.Lfunc_end164:
	.size	_ZN2at6native18radixSortKVInPlaceILin2ELin1ELi16ELi2EsljEEvNS_4cuda6detail10TensorInfoIT3_T5_EES6_S6_S6_NS4_IT4_S6_EES6_b, .Lfunc_end164-_ZN2at6native18radixSortKVInPlaceILin2ELin1ELi16ELi2EsljEEvNS_4cuda6detail10TensorInfoIT3_T5_EES6_S6_S6_NS4_IT4_S6_EES6_b
                                        ; -- End function
	.set _ZN2at6native18radixSortKVInPlaceILin2ELin1ELi16ELi2EsljEEvNS_4cuda6detail10TensorInfoIT3_T5_EES6_S6_S6_NS4_IT4_S6_EES6_b.num_vgpr, 38
	.set _ZN2at6native18radixSortKVInPlaceILin2ELin1ELi16ELi2EsljEEvNS_4cuda6detail10TensorInfoIT3_T5_EES6_S6_S6_NS4_IT4_S6_EES6_b.num_agpr, 0
	.set _ZN2at6native18radixSortKVInPlaceILin2ELin1ELi16ELi2EsljEEvNS_4cuda6detail10TensorInfoIT3_T5_EES6_S6_S6_NS4_IT4_S6_EES6_b.numbered_sgpr, 18
	.set _ZN2at6native18radixSortKVInPlaceILin2ELin1ELi16ELi2EsljEEvNS_4cuda6detail10TensorInfoIT3_T5_EES6_S6_S6_NS4_IT4_S6_EES6_b.num_named_barrier, 0
	.set _ZN2at6native18radixSortKVInPlaceILin2ELin1ELi16ELi2EsljEEvNS_4cuda6detail10TensorInfoIT3_T5_EES6_S6_S6_NS4_IT4_S6_EES6_b.private_seg_size, 0
	.set _ZN2at6native18radixSortKVInPlaceILin2ELin1ELi16ELi2EsljEEvNS_4cuda6detail10TensorInfoIT3_T5_EES6_S6_S6_NS4_IT4_S6_EES6_b.uses_vcc, 1
	.set _ZN2at6native18radixSortKVInPlaceILin2ELin1ELi16ELi2EsljEEvNS_4cuda6detail10TensorInfoIT3_T5_EES6_S6_S6_NS4_IT4_S6_EES6_b.uses_flat_scratch, 0
	.set _ZN2at6native18radixSortKVInPlaceILin2ELin1ELi16ELi2EsljEEvNS_4cuda6detail10TensorInfoIT3_T5_EES6_S6_S6_NS4_IT4_S6_EES6_b.has_dyn_sized_stack, 0
	.set _ZN2at6native18radixSortKVInPlaceILin2ELin1ELi16ELi2EsljEEvNS_4cuda6detail10TensorInfoIT3_T5_EES6_S6_S6_NS4_IT4_S6_EES6_b.has_recursion, 0
	.set _ZN2at6native18radixSortKVInPlaceILin2ELin1ELi16ELi2EsljEEvNS_4cuda6detail10TensorInfoIT3_T5_EES6_S6_S6_NS4_IT4_S6_EES6_b.has_indirect_call, 0
	.section	.AMDGPU.csdata,"",@progbits
; Kernel info:
; codeLenInByte = 8876
; TotalNumSgprs: 20
; NumVgprs: 38
; ScratchSize: 0
; MemoryBound: 0
; FloatMode: 240
; IeeeMode: 1
; LDSByteSize: 528 bytes/workgroup (compile time only)
; SGPRBlocks: 0
; VGPRBlocks: 4
; NumSGPRsForWavesPerEU: 20
; NumVGPRsForWavesPerEU: 38
; Occupancy: 16
; WaveLimiterHint : 1
; COMPUTE_PGM_RSRC2:SCRATCH_EN: 0
; COMPUTE_PGM_RSRC2:USER_SGPR: 2
; COMPUTE_PGM_RSRC2:TRAP_HANDLER: 0
; COMPUTE_PGM_RSRC2:TGID_X_EN: 1
; COMPUTE_PGM_RSRC2:TGID_Y_EN: 1
; COMPUTE_PGM_RSRC2:TGID_Z_EN: 1
; COMPUTE_PGM_RSRC2:TIDIG_COMP_CNT: 0
	.section	.text._ZN2at6native18radixSortKVInPlaceILi2ELin1ELi512ELi8EsljEEvNS_4cuda6detail10TensorInfoIT3_T5_EES6_S6_S6_NS4_IT4_S6_EES6_b,"axG",@progbits,_ZN2at6native18radixSortKVInPlaceILi2ELin1ELi512ELi8EsljEEvNS_4cuda6detail10TensorInfoIT3_T5_EES6_S6_S6_NS4_IT4_S6_EES6_b,comdat
	.protected	_ZN2at6native18radixSortKVInPlaceILi2ELin1ELi512ELi8EsljEEvNS_4cuda6detail10TensorInfoIT3_T5_EES6_S6_S6_NS4_IT4_S6_EES6_b ; -- Begin function _ZN2at6native18radixSortKVInPlaceILi2ELin1ELi512ELi8EsljEEvNS_4cuda6detail10TensorInfoIT3_T5_EES6_S6_S6_NS4_IT4_S6_EES6_b
	.globl	_ZN2at6native18radixSortKVInPlaceILi2ELin1ELi512ELi8EsljEEvNS_4cuda6detail10TensorInfoIT3_T5_EES6_S6_S6_NS4_IT4_S6_EES6_b
	.p2align	8
	.type	_ZN2at6native18radixSortKVInPlaceILi2ELin1ELi512ELi8EsljEEvNS_4cuda6detail10TensorInfoIT3_T5_EES6_S6_S6_NS4_IT4_S6_EES6_b,@function
_ZN2at6native18radixSortKVInPlaceILi2ELin1ELi512ELi8EsljEEvNS_4cuda6detail10TensorInfoIT3_T5_EES6_S6_S6_NS4_IT4_S6_EES6_b: ; @_ZN2at6native18radixSortKVInPlaceILi2ELin1ELi512ELi8EsljEEvNS_4cuda6detail10TensorInfoIT3_T5_EES6_S6_S6_NS4_IT4_S6_EES6_b
; %bb.0:
	s_clause 0x1
	s_load_b64 s[2:3], s[0:1], 0x1c8
	s_load_b96 s[24:26], s[0:1], 0xd8
	s_lshr_b32 s4, ttmp7, 16
	s_wait_kmcnt 0x0
	s_mul_i32 s3, s3, s4
	s_and_b32 s4, ttmp7, 0xffff
	s_delay_alu instid0(SALU_CYCLE_1) | instskip(NEXT) | instid1(SALU_CYCLE_1)
	s_add_co_i32 s3, s3, s4
	s_mul_i32 s2, s3, s2
	s_delay_alu instid0(SALU_CYCLE_1) | instskip(NEXT) | instid1(SALU_CYCLE_1)
	s_add_co_i32 s2, s2, ttmp9
	s_cmp_ge_u32 s2, s24
	s_cbranch_scc1 .LBB165_146
; %bb.1:
	s_clause 0x2
	s_load_b32 s15, s[0:1], 0xc
	s_load_b64 s[4:5], s[0:1], 0x6c
	s_load_b32 s12, s[0:1], 0x1b8
	s_add_nc_u64 s[10:11], s[0:1], 0xe8
	s_mov_b32 s14, s2
	s_wait_kmcnt 0x0
	s_cvt_f32_u32 s3, s15
	s_delay_alu instid0(SALU_CYCLE_3) | instskip(NEXT) | instid1(TRANS32_DEP_1)
	v_rcp_iflag_f32_e32 v1, s3
	v_readfirstlane_b32 s3, v1
	s_mul_f32 s3, s3, 0x4f7ffffe
	s_wait_alu 0xfffe
	s_delay_alu instid0(SALU_CYCLE_2) | instskip(SKIP_2) | instid1(SALU_CYCLE_1)
	s_cvt_u32_f32 s6, s3
	s_sub_co_i32 s3, 0, s15
	s_wait_alu 0xfffe
	s_mul_i32 s7, s3, s6
	s_mov_b32 s3, 0
	s_mul_hi_u32 s8, s6, s7
	s_wait_alu 0xfffe
	s_mov_b32 s7, s3
	s_add_co_i32 s6, s6, s8
	s_cmp_lt_i32 s12, 2
	s_mov_b32 s9, s3
	s_cbranch_scc1 .LBB165_4
; %bb.2:
	s_add_co_i32 s8, s12, -1
	s_mov_b32 s9, 0
	s_mov_b32 s14, s2
	s_lshl_b64 s[16:17], s[8:9], 2
	s_add_co_i32 s8, s12, 1
	s_add_nc_u64 s[16:17], s[10:11], s[16:17]
	s_delay_alu instid0(SALU_CYCLE_1)
	s_add_nc_u64 s[12:13], s[16:17], 8
.LBB165_3:                              ; =>This Inner Loop Header: Depth=1
	s_clause 0x1
	s_load_b32 s16, s[12:13], 0x0
	s_load_b32 s17, s[12:13], 0x64
	s_mov_b32 s20, s14
	s_add_nc_u64 s[12:13], s[12:13], -4
	s_wait_kmcnt 0x0
	s_cvt_f32_u32 s18, s16
	s_sub_co_i32 s19, 0, s16
	s_wait_alu 0xfffe
	s_delay_alu instid0(SALU_CYCLE_1) | instskip(NEXT) | instid1(TRANS32_DEP_1)
	v_rcp_iflag_f32_e32 v1, s18
	v_readfirstlane_b32 s18, v1
	s_mul_f32 s18, s18, 0x4f7ffffe
	s_wait_alu 0xfffe
	s_delay_alu instid0(SALU_CYCLE_2) | instskip(SKIP_1) | instid1(SALU_CYCLE_2)
	s_cvt_u32_f32 s18, s18
	s_wait_alu 0xfffe
	s_mul_i32 s19, s19, s18
	s_wait_alu 0xfffe
	s_mul_hi_u32 s19, s18, s19
	s_wait_alu 0xfffe
	s_add_co_i32 s18, s18, s19
	s_wait_alu 0xfffe
	s_mul_hi_u32 s14, s14, s18
	s_delay_alu instid0(SALU_CYCLE_1)
	s_mul_i32 s18, s14, s16
	s_add_co_i32 s19, s14, 1
	s_wait_alu 0xfffe
	s_sub_co_i32 s18, s20, s18
	s_wait_alu 0xfffe
	s_sub_co_i32 s21, s18, s16
	s_cmp_ge_u32 s18, s16
	s_cselect_b32 s14, s19, s14
	s_cselect_b32 s18, s21, s18
	s_add_co_i32 s19, s14, 1
	s_wait_alu 0xfffe
	s_cmp_ge_u32 s18, s16
	s_cselect_b32 s14, s19, s14
	s_add_co_i32 s8, s8, -1
	s_mul_i32 s16, s14, s16
	s_delay_alu instid0(SALU_CYCLE_1) | instskip(NEXT) | instid1(SALU_CYCLE_1)
	s_sub_co_i32 s16, s20, s16
	s_mul_i32 s16, s17, s16
	s_delay_alu instid0(SALU_CYCLE_1)
	s_add_co_i32 s9, s16, s9
	s_cmp_gt_u32 s8, 2
	s_cbranch_scc1 .LBB165_3
.LBB165_4:
	s_mul_u64 s[6:7], s[2:3], s[6:7]
	s_clause 0x1
	s_load_b64 s[12:13], s[0:1], 0x0
	s_load_b64 s[28:29], s[0:1], 0x1c0
	s_mul_i32 s3, s7, s15
	s_add_nc_u64 s[34:35], s[0:1], 0x1c8
	s_wait_alu 0xfffe
	s_sub_co_i32 s0, s2, s3
	s_add_co_i32 s1, s7, 1
	s_sub_co_i32 s3, s0, s15
	s_cmp_ge_u32 s0, s15
	s_cselect_b32 s1, s1, s7
	s_wait_alu 0xfffe
	s_cselect_b32 s0, s3, s0
	s_add_co_i32 s3, s1, 1
	s_cmp_ge_u32 s0, s15
	s_wait_alu 0xfffe
	s_cselect_b32 s0, s3, s1
	s_mov_b32 s3, 0
	s_mul_i32 s1, s0, s15
	s_mul_i32 s0, s0, s4
	s_sub_co_i32 s1, s2, s1
	s_delay_alu instid0(SALU_CYCLE_1) | instskip(NEXT) | instid1(SALU_CYCLE_1)
	s_mul_i32 s1, s1, s5
	s_add_co_i32 s2, s0, s1
	s_wait_kmcnt 0x0
	s_bitcmp1_b32 s29, 0
	s_mov_b32 s0, 0x8000
	s_cselect_b32 s8, -1, 0
	s_delay_alu instid0(SALU_CYCLE_1)
	s_and_b32 s1, s8, exec_lo
	s_cselect_b32 s1, s0, 0x7fff
	s_wait_alu 0xfffe
	s_lshl_b64 s[2:3], s[2:3], 1
	s_pack_ll_b32_b16 s4, s1, s1
	s_wait_alu 0xfffe
	s_add_nc_u64 s[30:31], s[12:13], s[2:3]
	s_mov_b32 s5, s4
	s_mov_b32 s6, s4
	;; [unrolled: 1-line block ×3, first 2 shown]
	v_dual_mov_b32 v1, s4 :: v_dual_and_b32 v46, 0x3ff, v0
	v_dual_mov_b32 v2, s5 :: v_dual_mov_b32 v3, s6
	v_dual_mov_b32 v4, s7 :: v_dual_mov_b32 v5, s1
	s_delay_alu instid0(VALU_DEP_3)
	v_mul_lo_u32 v44, s26, v46
	v_cmp_gt_u32_e64 s0, s25, v46
	s_and_saveexec_b32 s1, s0
	s_cbranch_execz .LBB165_6
; %bb.5:
	v_mov_b32_e32 v45, 0
	v_dual_mov_b32 v3, s4 :: v_dual_mov_b32 v4, s4
	s_delay_alu instid0(VALU_DEP_2) | instskip(NEXT) | instid1(VALU_DEP_1)
	v_lshlrev_b64_e32 v[1:2], 1, v[44:45]
	v_add_co_u32 v1, vcc_lo, s30, v1
	s_delay_alu instid0(VALU_DEP_1)
	v_add_co_ci_u32_e64 v2, null, s31, v2, vcc_lo
	global_load_u16 v5, v[1:2], off
	v_mov_b32_e32 v2, s4
	s_wait_loadcnt 0x0
	v_bfi_b32 v1, 0xffff, v5, s4
.LBB165_6:
	s_wait_alu 0xfffe
	s_or_b32 exec_lo, exec_lo, s1
	v_add_nc_u32_e32 v15, 0x200, v46
	s_delay_alu instid0(VALU_DEP_1)
	v_cmp_gt_u32_e64 s1, s25, v15
	s_and_saveexec_b32 s2, s1
	s_cbranch_execz .LBB165_8
; %bb.7:
	v_mul_lo_u32 v6, s26, v15
	v_mov_b32_e32 v7, 0
	s_delay_alu instid0(VALU_DEP_1) | instskip(NEXT) | instid1(VALU_DEP_1)
	v_lshlrev_b64_e32 v[6:7], 1, v[6:7]
	v_add_co_u32 v6, vcc_lo, s30, v6
	s_wait_alu 0xfffd
	s_delay_alu instid0(VALU_DEP_2)
	v_add_co_ci_u32_e64 v7, null, s31, v7, vcc_lo
	global_load_d16_hi_b16 v1, v[6:7], off
.LBB165_8:
	s_wait_alu 0xfffe
	s_or_b32 exec_lo, exec_lo, s2
	v_or_b32_e32 v16, 0x400, v46
	s_delay_alu instid0(VALU_DEP_1)
	v_cmp_gt_u32_e64 s2, s25, v16
	s_and_saveexec_b32 s3, s2
	s_cbranch_execz .LBB165_10
; %bb.9:
	v_mul_lo_u32 v6, s26, v16
	v_mov_b32_e32 v7, 0
	s_delay_alu instid0(VALU_DEP_1) | instskip(NEXT) | instid1(VALU_DEP_1)
	v_lshlrev_b64_e32 v[6:7], 1, v[6:7]
	v_add_co_u32 v6, vcc_lo, s30, v6
	s_wait_alu 0xfffd
	s_delay_alu instid0(VALU_DEP_2)
	v_add_co_ci_u32_e64 v7, null, s31, v7, vcc_lo
	global_load_d16_b16 v2, v[6:7], off
.LBB165_10:
	s_wait_alu 0xfffe
	s_or_b32 exec_lo, exec_lo, s3
	v_add_nc_u32_e32 v17, 0x600, v46
	s_delay_alu instid0(VALU_DEP_1)
	v_cmp_gt_u32_e64 s3, s25, v17
	s_and_saveexec_b32 s4, s3
	s_cbranch_execz .LBB165_12
; %bb.11:
	v_mul_lo_u32 v6, s26, v17
	v_mov_b32_e32 v7, 0
	s_delay_alu instid0(VALU_DEP_1) | instskip(NEXT) | instid1(VALU_DEP_1)
	v_lshlrev_b64_e32 v[6:7], 1, v[6:7]
	v_add_co_u32 v6, vcc_lo, s30, v6
	s_wait_alu 0xfffd
	s_delay_alu instid0(VALU_DEP_2)
	v_add_co_ci_u32_e64 v7, null, s31, v7, vcc_lo
	s_wait_loadcnt 0x0
	global_load_d16_hi_b16 v2, v[6:7], off
.LBB165_12:
	s_wait_alu 0xfffe
	s_or_b32 exec_lo, exec_lo, s4
	v_or_b32_e32 v18, 0x800, v46
	s_delay_alu instid0(VALU_DEP_1)
	v_cmp_gt_u32_e64 s4, s25, v18
	s_and_saveexec_b32 s5, s4
	s_cbranch_execz .LBB165_14
; %bb.13:
	v_mul_lo_u32 v6, s26, v18
	v_mov_b32_e32 v7, 0
	s_delay_alu instid0(VALU_DEP_1) | instskip(NEXT) | instid1(VALU_DEP_1)
	v_lshlrev_b64_e32 v[6:7], 1, v[6:7]
	v_add_co_u32 v6, vcc_lo, s30, v6
	s_wait_alu 0xfffd
	s_delay_alu instid0(VALU_DEP_2)
	v_add_co_ci_u32_e64 v7, null, s31, v7, vcc_lo
	global_load_d16_b16 v3, v[6:7], off
.LBB165_14:
	s_wait_alu 0xfffe
	s_or_b32 exec_lo, exec_lo, s5
	v_add_nc_u32_e32 v19, 0xa00, v46
	s_delay_alu instid0(VALU_DEP_1)
	v_cmp_gt_u32_e64 s5, s25, v19
	s_and_saveexec_b32 s6, s5
	s_cbranch_execz .LBB165_16
; %bb.15:
	v_mul_lo_u32 v6, s26, v19
	v_mov_b32_e32 v7, 0
	s_delay_alu instid0(VALU_DEP_1) | instskip(NEXT) | instid1(VALU_DEP_1)
	v_lshlrev_b64_e32 v[6:7], 1, v[6:7]
	v_add_co_u32 v6, vcc_lo, s30, v6
	s_wait_alu 0xfffd
	s_delay_alu instid0(VALU_DEP_2)
	v_add_co_ci_u32_e64 v7, null, s31, v7, vcc_lo
	s_wait_loadcnt 0x0
	global_load_d16_hi_b16 v3, v[6:7], off
.LBB165_16:
	s_wait_alu 0xfffe
	s_or_b32 exec_lo, exec_lo, s6
	v_or_b32_e32 v20, 0xc00, v46
	s_delay_alu instid0(VALU_DEP_1)
	v_cmp_gt_u32_e64 s6, s25, v20
	s_and_saveexec_b32 s7, s6
	s_cbranch_execz .LBB165_18
; %bb.17:
	v_mul_lo_u32 v6, s26, v20
	v_mov_b32_e32 v7, 0
	s_delay_alu instid0(VALU_DEP_1) | instskip(NEXT) | instid1(VALU_DEP_1)
	v_lshlrev_b64_e32 v[6:7], 1, v[6:7]
	v_add_co_u32 v6, vcc_lo, s30, v6
	s_wait_alu 0xfffd
	s_delay_alu instid0(VALU_DEP_2)
	v_add_co_ci_u32_e64 v7, null, s31, v7, vcc_lo
	global_load_d16_b16 v4, v[6:7], off
.LBB165_18:
	s_wait_alu 0xfffe
	s_or_b32 exec_lo, exec_lo, s7
	s_clause 0x1
	s_load_b32 s12, s[10:11], 0x6c
	s_load_b64 s[10:11], s[10:11], 0x0
	v_add_nc_u32_e32 v21, 0xe00, v46
	s_delay_alu instid0(VALU_DEP_1)
	v_cmp_gt_u32_e64 s7, s25, v21
	s_and_saveexec_b32 s13, s7
	s_cbranch_execz .LBB165_20
; %bb.19:
	v_mul_lo_u32 v6, s26, v21
	v_mov_b32_e32 v7, 0
	s_delay_alu instid0(VALU_DEP_1) | instskip(NEXT) | instid1(VALU_DEP_1)
	v_lshlrev_b64_e32 v[6:7], 1, v[6:7]
	v_add_co_u32 v6, vcc_lo, s30, v6
	s_wait_alu 0xfffd
	s_delay_alu instid0(VALU_DEP_2)
	v_add_co_ci_u32_e64 v7, null, s31, v7, vcc_lo
	s_wait_loadcnt 0x0
	global_load_d16_hi_b16 v4, v[6:7], off
.LBB165_20:
	s_or_b32 exec_lo, exec_lo, s13
	v_lshrrev_b32_e32 v6, 4, v46
	v_lshrrev_b32_e32 v7, 4, v15
	;; [unrolled: 1-line block ×3, first 2 shown]
	v_dual_mov_b32 v42, 0 :: v_dual_lshlrev_b32 v9, 1, v46
	s_delay_alu instid0(VALU_DEP_4) | instskip(NEXT) | instid1(VALU_DEP_4)
	v_and_b32_e32 v6, 60, v6
	v_and_b32_e32 v7, 0x7c, v7
	s_delay_alu instid0(VALU_DEP_4)
	v_and_b32_e32 v8, 0x7c, v8
	v_lshrrev_b32_e32 v10, 4, v17
	v_lshrrev_b32_e32 v11, 4, v21
	v_mov_b32_e32 v43, v42
	v_add_nc_u32_e32 v51, v6, v9
	v_dual_mov_b32 v12, v42 :: v_dual_add_nc_u32 v45, v7, v9
	v_add_nc_u32_e32 v52, v8, v9
	v_and_b32_e32 v6, 0xfc, v10
	v_lshrrev_b32_e32 v7, 4, v18
	v_lshrrev_b32_e32 v8, 4, v19
	;; [unrolled: 1-line block ×3, first 2 shown]
	s_wait_kmcnt 0x0
	s_mul_i32 s12, s12, s14
	v_add_nc_u32_e32 v53, v6, v9
	v_and_b32_e32 v6, 0xbc, v7
	v_and_b32_e32 v7, 0xfc, v8
	;; [unrolled: 1-line block ×4, first 2 shown]
	v_lshrrev_b32_e32 v11, 1, v46
	v_dual_mov_b32 v13, 0 :: v_dual_add_nc_u32 v54, v6, v9
	v_add_nc_u32_e32 v55, v7, v9
	v_add_nc_u32_e32 v56, v8, v9
	s_delay_alu instid0(VALU_DEP_4) | instskip(SKIP_2) | instid1(VALU_DEP_3)
	v_dual_mov_b32 v11, v42 :: v_dual_and_b32 v6, 0x1fc, v11
	v_mov_b32_e32 v7, v42
	v_dual_mov_b32 v14, 0 :: v_dual_add_nc_u32 v57, v10, v9
	v_lshl_add_u32 v58, v46, 4, v6
	ds_store_b16 v51, v5
	s_wait_loadcnt 0x0
	ds_store_b16_d16_hi v45, v1 offset:1024
	ds_store_b16 v52, v2 offset:2048
	ds_store_b16_d16_hi v53, v2 offset:3072
	ds_store_b16 v54, v3 offset:4096
	;; [unrolled: 2-line block ×3, first 2 shown]
	ds_store_b16_d16_hi v57, v4 offset:7168
	s_wait_dscnt 0x0
	s_barrier_signal -1
	s_barrier_wait -1
	global_inv scope:SCOPE_SE
	ds_load_2addr_b32 v[49:50], v58 offset1:1
	ds_load_2addr_b32 v[47:48], v58 offset0:2 offset1:3
	v_mul_lo_u32 v41, s28, v46
	s_add_co_i32 s12, s12, s9
	s_mov_b32 s13, 0
	v_dual_mov_b32 v9, v42 :: v_dual_mov_b32 v10, v42
	v_dual_mov_b32 v1, v42 :: v_dual_mov_b32 v2, v42
	;; [unrolled: 1-line block ×4, first 2 shown]
	v_mov_b32_e32 v8, v42
	s_lshl_b64 s[12:13], s[12:13], 3
	s_wait_loadcnt_dscnt 0x0
	s_add_nc_u64 s[24:25], s[10:11], s[12:13]
	s_barrier_signal -1
	s_barrier_wait -1
	global_inv scope:SCOPE_SE
	s_and_saveexec_b32 s9, s0
	s_cbranch_execnz .LBB165_76
; %bb.21:
	s_or_b32 exec_lo, exec_lo, s9
	s_and_saveexec_b32 s9, s1
	s_cbranch_execnz .LBB165_77
.LBB165_22:
	s_or_b32 exec_lo, exec_lo, s9
	s_and_saveexec_b32 s9, s2
	s_cbranch_execnz .LBB165_78
.LBB165_23:
	s_or_b32 exec_lo, exec_lo, s9
	s_and_saveexec_b32 s9, s3
	s_cbranch_execnz .LBB165_79
.LBB165_24:
	s_or_b32 exec_lo, exec_lo, s9
	s_and_saveexec_b32 s9, s4
	s_cbranch_execnz .LBB165_80
.LBB165_25:
	s_or_b32 exec_lo, exec_lo, s9
	s_and_saveexec_b32 s9, s5
	s_cbranch_execnz .LBB165_81
.LBB165_26:
	s_or_b32 exec_lo, exec_lo, s9
	s_and_saveexec_b32 s9, s6
	s_cbranch_execz .LBB165_28
.LBB165_27:
	v_mul_lo_u32 v5, s28, v20
	v_mov_b32_e32 v6, 0
	s_delay_alu instid0(VALU_DEP_1) | instskip(SKIP_1) | instid1(VALU_DEP_1)
	v_lshlrev_b64_e32 v[5:6], 3, v[5:6]
	s_wait_alu 0xfffe
	v_add_co_u32 v5, vcc_lo, s24, v5
	s_wait_alu 0xfffd
	s_delay_alu instid0(VALU_DEP_2)
	v_add_co_ci_u32_e64 v6, null, s25, v6, vcc_lo
	global_load_b64 v[5:6], v[5:6], off
.LBB165_28:
	s_or_b32 exec_lo, exec_lo, s9
	v_lshrrev_b32_e32 v69, 5, v46
	v_lshrrev_b32_e32 v25, 5, v15
	;; [unrolled: 1-line block ×8, first 2 shown]
	v_lshlrev_b32_e32 v66, 3, v46
	v_lshrrev_b32_e32 v15, 2, v46
	s_xor_b32 s8, s8, -1
	s_and_saveexec_b32 s9, s7
	s_cbranch_execz .LBB165_30
; %bb.29:
	v_mul_lo_u32 v7, s28, v21
	v_mov_b32_e32 v8, 0
	s_delay_alu instid0(VALU_DEP_1) | instskip(SKIP_1) | instid1(VALU_DEP_1)
	v_lshlrev_b64_e32 v[7:8], 3, v[7:8]
	s_wait_alu 0xfffe
	v_add_co_u32 v7, vcc_lo, s24, v7
	s_wait_alu 0xfffd
	s_delay_alu instid0(VALU_DEP_2)
	v_add_co_ci_u32_e64 v8, null, s25, v8, vcc_lo
	global_load_b64 v[7:8], v[7:8], off
.LBB165_30:
	s_or_b32 exec_lo, exec_lo, s9
	v_lshl_add_u32 v59, v69, 3, v66
	v_lshl_add_u32 v60, v25, 3, v66
	;; [unrolled: 1-line block ×5, first 2 shown]
	s_wait_loadcnt 0x0
	ds_store_b64 v59, v[13:14]
	ds_store_b64 v60, v[42:43] offset:4096
	ds_store_b64 v61, v[9:10] offset:8192
	;; [unrolled: 1-line block ×3, first 2 shown]
	v_lshlrev_b32_e32 v9, 3, v66
	v_lshl_add_u32 v42, v22, 3, v66
	v_lshl_add_u32 v43, v18, 3, v66
	;; [unrolled: 1-line block ×3, first 2 shown]
	ds_store_b64 v42, v[1:2] offset:16384
	ds_store_b64 v43, v[3:4] offset:20480
	;; [unrolled: 1-line block ×4, first 2 shown]
	v_lshl_add_u32 v65, v15, 3, v9
	s_wait_dscnt 0x0
	s_barrier_signal -1
	s_barrier_wait -1
	global_inv scope:SCOPE_SE
	ds_load_2addr_b64 v[5:8], v65 offset1:1
	ds_load_2addr_b64 v[1:4], v65 offset0:2 offset1:3
	v_mbcnt_lo_u32_b32 v70, -1, 0
	v_and_b32_e32 v17, 0x1f00, v66
	ds_load_2addr_b64 v[13:16], v65 offset0:4 offset1:5
	ds_load_2addr_b64 v[9:12], v65 offset0:6 offset1:7
	v_and_b32_e32 v72, 0x3e0, v46
	v_bfe_u32 v73, v0, 10, 10
	v_bfe_u32 v74, v0, 20, 10
	v_or_b32_e32 v71, v70, v17
	v_lshlrev_b32_e32 v67, 2, v66
	v_or_b32_e32 v18, v70, v72
	s_mov_b32 s12, 0
	s_and_b32 vcc_lo, exec_lo, s8
	v_lshlrev_b32_e32 v68, 1, v71
	s_mov_b32 s8, -1
	v_lshlrev_b32_e32 v76, 3, v18
	v_lshlrev_b32_e32 v77, 4, v18
	s_wait_loadcnt_dscnt 0x0
	v_mad_u32_u24 v75, v71, 6, v68
	s_barrier_signal -1
	s_barrier_wait -1
	global_inv scope:SCOPE_SE
	s_wait_alu 0xfffe
	s_cbranch_vccz .LBB165_82
; %bb.31:
	v_xor_b32_e32 v17, 0x80008000, v49
	v_xor_b32_e32 v18, 0x80008000, v50
	;; [unrolled: 1-line block ×4, first 2 shown]
	s_getpc_b64 s[8:9]
	s_sext_i32_i16 s9, s9
	s_add_co_u32 s8, s8, _ZN7rocprim17ROCPRIM_400000_NS16block_radix_sortIsLj512ELj8ElLj1ELj1ELj0ELNS0_26block_radix_rank_algorithmE1ELNS0_18block_padding_hintE2ELNS0_4arch9wavefront6targetE0EE19radix_bits_per_passE@rel32@lo+8
	s_add_co_ci_u32 s9, s9, _ZN7rocprim17ROCPRIM_400000_NS16block_radix_sortIsLj512ELj8ElLj1ELj1ELj0ELNS0_26block_radix_rank_algorithmE1ELNS0_18block_padding_hintE2ELNS0_4arch9wavefront6targetE0EE19radix_bits_per_passE@rel32@hi+16
	s_mov_b32 s13, s12
	s_load_b32 s17, s[8:9], 0x0
	s_mov_b32 s14, s12
	ds_store_b128 v77, v[17:20]
	; wave barrier
	ds_load_u16 v78, v68
	s_mov_b32 s15, s12
	v_lshlrev_b32_e32 v0, 3, v76
	ds_load_u16 v79, v68 offset:64
	ds_load_u16 v80, v68 offset:128
	;; [unrolled: 1-line block ×7, first 2 shown]
	s_wait_loadcnt_dscnt 0x0
	s_barrier_signal -1
	s_barrier_wait -1
	global_inv scope:SCOPE_SE
	ds_store_b128 v0, v[5:8]
	ds_store_b128 v0, v[1:4] offset:16
	ds_store_b128 v0, v[13:16] offset:32
	;; [unrolled: 1-line block ×3, first 2 shown]
	; wave barrier
	s_wait_kmcnt 0x0
	s_min_u32 s8, s17, 16
	s_delay_alu instid0(SALU_CYCLE_1) | instskip(NEXT) | instid1(SALU_CYCLE_1)
	s_lshl_b32 s8, -1, s8
	s_not_b32 s9, s8
	v_and_b32_e32 v17, 0xffff, v78
	s_delay_alu instid0(VALU_DEP_1)
	v_and_b32_e32 v40, s9, v17
	ds_load_2addr_b64 v[21:24], v75 offset1:32
	ds_load_2addr_b64 v[17:20], v75 offset0:64 offset1:96
	ds_load_2addr_b64 v[29:32], v75 offset0:128 offset1:160
	;; [unrolled: 1-line block ×3, first 2 shown]
	s_wait_loadcnt_dscnt 0x0
	s_barrier_signal -1
	v_and_b32_e32 v0, 1, v40
	v_lshlrev_b32_e32 v33, 30, v40
	v_lshlrev_b32_e32 v36, 28, v40
	;; [unrolled: 1-line block ×3, first 2 shown]
	s_barrier_wait -1
	v_add_co_u32 v0, s8, v0, -1
	s_wait_alu 0xf1ff
	v_cndmask_b32_e64 v34, 0, 1, s8
	v_not_b32_e32 v35, v33
	v_cmp_gt_i32_e64 s8, 0, v33
	global_inv scope:SCOPE_SE
	v_cmp_ne_u32_e32 vcc_lo, 0, v34
	v_lshlrev_b32_e32 v34, 29, v40
	v_ashrrev_i32_e32 v33, 31, v35
	s_wait_alu 0xfffd
	v_xor_b32_e32 v0, vcc_lo, v0
	s_delay_alu instid0(VALU_DEP_3)
	v_not_b32_e32 v35, v34
	v_cmp_gt_i32_e32 vcc_lo, 0, v34
	s_wait_alu 0xf1ff
	v_xor_b32_e32 v33, s8, v33
	s_load_b32 s8, s[34:35], 0xc
	v_and_b32_e32 v0, exec_lo, v0
	v_ashrrev_i32_e32 v34, 31, v35
	v_not_b32_e32 v35, v36
	s_delay_alu instid0(VALU_DEP_3) | instskip(NEXT) | instid1(VALU_DEP_3)
	v_and_b32_e32 v0, v0, v33
	v_xor_b32_e32 v33, vcc_lo, v34
	v_cmp_gt_i32_e32 vcc_lo, 0, v36
	s_delay_alu instid0(VALU_DEP_4) | instskip(SKIP_1) | instid1(VALU_DEP_4)
	v_ashrrev_i32_e32 v34, 31, v35
	v_not_b32_e32 v35, v37
	v_and_b32_e32 v0, v0, v33
	v_lshlrev_b32_e32 v33, 26, v40
	s_wait_alu 0xfffd
	v_xor_b32_e32 v34, vcc_lo, v34
	v_cmp_gt_i32_e32 vcc_lo, 0, v37
	v_ashrrev_i32_e32 v35, 31, v35
	v_not_b32_e32 v36, v33
	s_delay_alu instid0(VALU_DEP_4)
	v_and_b32_e32 v0, v0, v34
	v_lshlrev_b32_e32 v34, 25, v40
	s_wait_alu 0xfffd
	v_xor_b32_e32 v35, vcc_lo, v35
	v_cmp_gt_i32_e32 vcc_lo, 0, v33
	v_ashrrev_i32_e32 v33, 31, v36
	s_wait_kmcnt 0x0
	s_lshr_b32 s10, s8, 16
	v_not_b32_e32 v36, v34
	v_and_b32_e32 v0, v0, v35
	v_lshlrev_b32_e32 v35, 24, v40
	s_wait_alu 0xfffd
	v_xor_b32_e32 v33, vcc_lo, v33
	v_cmp_gt_i32_e32 vcc_lo, 0, v34
	v_ashrrev_i32_e32 v34, 31, v36
	v_mad_u32_u24 v37, v74, s10, v73
	v_not_b32_e32 v36, v35
	v_and_b32_e32 v0, v0, v33
	s_and_b32 s8, s8, 0xffff
	s_wait_alu 0xfffd
	v_xor_b32_e32 v33, vcc_lo, v34
	v_cmp_gt_i32_e32 vcc_lo, 0, v35
	v_ashrrev_i32_e32 v34, 31, v36
	s_wait_alu 0xfffe
	v_mad_co_u64_u32 v[38:39], null, v37, s8, v[46:47]
	v_and_b32_e32 v0, v0, v33
	s_wait_alu 0xfffd
	v_xor_b32_e32 v33, vcc_lo, v34
	v_dual_mov_b32 v37, s15 :: v_dual_mov_b32 v36, s14
	v_dual_mov_b32 v35, s13 :: v_dual_mov_b32 v34, s12
	s_delay_alu instid0(VALU_DEP_3)
	v_and_b32_e32 v33, v0, v33
	v_lshrrev_b32_e32 v0, 5, v38
	ds_store_b128 v67, v[34:37] offset:64
	ds_store_b128 v67, v[34:37] offset:80
	v_mbcnt_lo_u32_b32 v90, v33, 0
	v_lshlrev_b32_e32 v0, 2, v0
	v_lshlrev_b32_e32 v34, 6, v40
	v_cmp_ne_u32_e64 s8, 0, v33
	s_wait_loadcnt_dscnt 0x0
	v_cmp_eq_u32_e32 vcc_lo, 0, v90
	s_barrier_signal -1
	v_add_nc_u32_e32 v91, v0, v34
	s_barrier_wait -1
	global_inv scope:SCOPE_SE
	s_and_b32 s10, s8, vcc_lo
	; wave barrier
	s_wait_alu 0xfffe
	s_and_saveexec_b32 s8, s10
; %bb.32:
	v_bcnt_u32_b32 v33, v33, 0
	ds_store_b32 v91, v33 offset:64
; %bb.33:
	s_wait_alu 0xfffe
	s_or_b32 exec_lo, exec_lo, s8
	v_and_b32_e32 v33, 0xffff, v79
	; wave barrier
	s_delay_alu instid0(VALU_DEP_1) | instskip(NEXT) | instid1(VALU_DEP_1)
	v_and_b32_e32 v33, s9, v33
	v_and_b32_e32 v34, 1, v33
	v_lshlrev_b32_e32 v35, 30, v33
	v_lshlrev_b32_e32 v36, 29, v33
	;; [unrolled: 1-line block ×4, first 2 shown]
	v_add_co_u32 v34, s8, v34, -1
	s_wait_alu 0xf1ff
	v_cndmask_b32_e64 v38, 0, 1, s8
	v_not_b32_e32 v87, v35
	v_cmp_gt_i32_e64 s8, 0, v35
	v_not_b32_e32 v35, v36
	v_lshlrev_b32_e32 v40, 26, v33
	v_cmp_ne_u32_e32 vcc_lo, 0, v38
	v_ashrrev_i32_e32 v87, 31, v87
	v_lshlrev_b32_e32 v86, 25, v33
	v_ashrrev_i32_e32 v35, 31, v35
	v_lshlrev_b32_e32 v38, 24, v33
	s_wait_alu 0xfffd
	v_xor_b32_e32 v34, vcc_lo, v34
	v_cmp_gt_i32_e32 vcc_lo, 0, v36
	v_not_b32_e32 v36, v37
	s_wait_alu 0xf1ff
	v_xor_b32_e32 v87, s8, v87
	v_cmp_gt_i32_e64 s8, 0, v37
	v_and_b32_e32 v34, exec_lo, v34
	v_not_b32_e32 v37, v39
	v_ashrrev_i32_e32 v36, 31, v36
	s_wait_alu 0xfffd
	v_xor_b32_e32 v35, vcc_lo, v35
	v_cmp_gt_i32_e32 vcc_lo, 0, v39
	v_and_b32_e32 v34, v34, v87
	v_not_b32_e32 v39, v40
	v_ashrrev_i32_e32 v37, 31, v37
	s_wait_alu 0xf1ff
	v_xor_b32_e32 v36, s8, v36
	v_cmp_gt_i32_e64 s8, 0, v40
	v_and_b32_e32 v34, v34, v35
	v_not_b32_e32 v35, v86
	v_ashrrev_i32_e32 v39, 31, v39
	s_wait_alu 0xfffd
	v_xor_b32_e32 v37, vcc_lo, v37
	v_cmp_gt_i32_e32 vcc_lo, 0, v86
	v_and_b32_e32 v34, v34, v36
	v_not_b32_e32 v36, v38
	v_ashrrev_i32_e32 v35, 31, v35
	s_wait_alu 0xf1ff
	v_xor_b32_e32 v39, s8, v39
	v_lshlrev_b32_e32 v33, 6, v33
	v_and_b32_e32 v34, v34, v37
	v_cmp_gt_i32_e64 s8, 0, v38
	v_ashrrev_i32_e32 v36, 31, v36
	s_wait_alu 0xfffd
	v_xor_b32_e32 v35, vcc_lo, v35
	v_add_nc_u32_e32 v94, v0, v33
	v_and_b32_e32 v34, v34, v39
	s_wait_alu 0xf1ff
	v_xor_b32_e32 v33, s8, v36
	ds_load_b32 v92, v94 offset:64
	v_and_b32_e32 v34, v34, v35
	; wave barrier
	s_delay_alu instid0(VALU_DEP_1) | instskip(NEXT) | instid1(VALU_DEP_1)
	v_and_b32_e32 v33, v34, v33
	v_mbcnt_lo_u32_b32 v93, v33, 0
	v_cmp_ne_u32_e64 s8, 0, v33
	s_delay_alu instid0(VALU_DEP_2)
	v_cmp_eq_u32_e32 vcc_lo, 0, v93
	s_and_b32 s10, s8, vcc_lo
	s_wait_alu 0xfffe
	s_and_saveexec_b32 s8, s10
	s_cbranch_execz .LBB165_35
; %bb.34:
	s_wait_dscnt 0x0
	v_bcnt_u32_b32 v33, v33, v92
	ds_store_b32 v94, v33 offset:64
.LBB165_35:
	s_wait_alu 0xfffe
	s_or_b32 exec_lo, exec_lo, s8
	v_and_b32_e32 v33, 0xffff, v80
	; wave barrier
	s_delay_alu instid0(VALU_DEP_1) | instskip(NEXT) | instid1(VALU_DEP_1)
	v_and_b32_e32 v33, s9, v33
	v_and_b32_e32 v34, 1, v33
	v_lshlrev_b32_e32 v35, 30, v33
	v_lshlrev_b32_e32 v36, 29, v33
	;; [unrolled: 1-line block ×4, first 2 shown]
	v_add_co_u32 v34, s8, v34, -1
	s_wait_alu 0xf1ff
	v_cndmask_b32_e64 v38, 0, 1, s8
	v_not_b32_e32 v87, v35
	v_cmp_gt_i32_e64 s8, 0, v35
	v_not_b32_e32 v35, v36
	v_lshlrev_b32_e32 v40, 26, v33
	v_cmp_ne_u32_e32 vcc_lo, 0, v38
	v_ashrrev_i32_e32 v87, 31, v87
	v_lshlrev_b32_e32 v86, 25, v33
	v_ashrrev_i32_e32 v35, 31, v35
	v_lshlrev_b32_e32 v38, 24, v33
	s_wait_alu 0xfffd
	v_xor_b32_e32 v34, vcc_lo, v34
	v_cmp_gt_i32_e32 vcc_lo, 0, v36
	v_not_b32_e32 v36, v37
	s_wait_alu 0xf1ff
	v_xor_b32_e32 v87, s8, v87
	v_cmp_gt_i32_e64 s8, 0, v37
	v_and_b32_e32 v34, exec_lo, v34
	v_not_b32_e32 v37, v39
	v_ashrrev_i32_e32 v36, 31, v36
	s_wait_alu 0xfffd
	v_xor_b32_e32 v35, vcc_lo, v35
	v_cmp_gt_i32_e32 vcc_lo, 0, v39
	v_and_b32_e32 v34, v34, v87
	v_not_b32_e32 v39, v40
	v_ashrrev_i32_e32 v37, 31, v37
	s_wait_alu 0xf1ff
	v_xor_b32_e32 v36, s8, v36
	v_cmp_gt_i32_e64 s8, 0, v40
	v_and_b32_e32 v34, v34, v35
	v_not_b32_e32 v35, v86
	v_ashrrev_i32_e32 v39, 31, v39
	s_wait_alu 0xfffd
	v_xor_b32_e32 v37, vcc_lo, v37
	v_cmp_gt_i32_e32 vcc_lo, 0, v86
	v_and_b32_e32 v34, v34, v36
	v_not_b32_e32 v36, v38
	v_ashrrev_i32_e32 v35, 31, v35
	s_wait_alu 0xf1ff
	v_xor_b32_e32 v39, s8, v39
	v_lshlrev_b32_e32 v33, 6, v33
	v_and_b32_e32 v34, v34, v37
	v_cmp_gt_i32_e64 s8, 0, v38
	v_ashrrev_i32_e32 v36, 31, v36
	s_wait_alu 0xfffd
	v_xor_b32_e32 v35, vcc_lo, v35
	v_add_nc_u32_e32 v97, v0, v33
	v_and_b32_e32 v34, v34, v39
	s_wait_alu 0xf1ff
	v_xor_b32_e32 v33, s8, v36
	ds_load_b32 v95, v97 offset:64
	v_and_b32_e32 v34, v34, v35
	; wave barrier
	s_delay_alu instid0(VALU_DEP_1) | instskip(NEXT) | instid1(VALU_DEP_1)
	v_and_b32_e32 v33, v34, v33
	v_mbcnt_lo_u32_b32 v96, v33, 0
	v_cmp_ne_u32_e64 s8, 0, v33
	s_delay_alu instid0(VALU_DEP_2)
	v_cmp_eq_u32_e32 vcc_lo, 0, v96
	s_and_b32 s10, s8, vcc_lo
	s_wait_alu 0xfffe
	s_and_saveexec_b32 s8, s10
	s_cbranch_execz .LBB165_37
; %bb.36:
	s_wait_dscnt 0x0
	v_bcnt_u32_b32 v33, v33, v95
	ds_store_b32 v97, v33 offset:64
.LBB165_37:
	s_wait_alu 0xfffe
	s_or_b32 exec_lo, exec_lo, s8
	v_and_b32_e32 v33, 0xffff, v81
	; wave barrier
	s_delay_alu instid0(VALU_DEP_1) | instskip(NEXT) | instid1(VALU_DEP_1)
	v_and_b32_e32 v33, s9, v33
	v_and_b32_e32 v34, 1, v33
	v_lshlrev_b32_e32 v35, 30, v33
	v_lshlrev_b32_e32 v36, 29, v33
	;; [unrolled: 1-line block ×4, first 2 shown]
	v_add_co_u32 v34, s8, v34, -1
	s_wait_alu 0xf1ff
	v_cndmask_b32_e64 v38, 0, 1, s8
	v_not_b32_e32 v87, v35
	v_cmp_gt_i32_e64 s8, 0, v35
	v_not_b32_e32 v35, v36
	v_lshlrev_b32_e32 v40, 26, v33
	v_cmp_ne_u32_e32 vcc_lo, 0, v38
	v_ashrrev_i32_e32 v87, 31, v87
	v_lshlrev_b32_e32 v86, 25, v33
	v_ashrrev_i32_e32 v35, 31, v35
	v_lshlrev_b32_e32 v38, 24, v33
	s_wait_alu 0xfffd
	v_xor_b32_e32 v34, vcc_lo, v34
	v_cmp_gt_i32_e32 vcc_lo, 0, v36
	v_not_b32_e32 v36, v37
	s_wait_alu 0xf1ff
	v_xor_b32_e32 v87, s8, v87
	v_cmp_gt_i32_e64 s8, 0, v37
	v_and_b32_e32 v34, exec_lo, v34
	v_not_b32_e32 v37, v39
	v_ashrrev_i32_e32 v36, 31, v36
	s_wait_alu 0xfffd
	v_xor_b32_e32 v35, vcc_lo, v35
	v_cmp_gt_i32_e32 vcc_lo, 0, v39
	v_and_b32_e32 v34, v34, v87
	v_not_b32_e32 v39, v40
	v_ashrrev_i32_e32 v37, 31, v37
	s_wait_alu 0xf1ff
	v_xor_b32_e32 v36, s8, v36
	v_cmp_gt_i32_e64 s8, 0, v40
	v_and_b32_e32 v34, v34, v35
	v_not_b32_e32 v35, v86
	v_ashrrev_i32_e32 v39, 31, v39
	s_wait_alu 0xfffd
	v_xor_b32_e32 v37, vcc_lo, v37
	v_cmp_gt_i32_e32 vcc_lo, 0, v86
	v_and_b32_e32 v34, v34, v36
	v_not_b32_e32 v36, v38
	v_ashrrev_i32_e32 v35, 31, v35
	s_wait_alu 0xf1ff
	v_xor_b32_e32 v39, s8, v39
	v_lshlrev_b32_e32 v33, 6, v33
	v_and_b32_e32 v34, v34, v37
	v_cmp_gt_i32_e64 s8, 0, v38
	v_ashrrev_i32_e32 v36, 31, v36
	s_wait_alu 0xfffd
	v_xor_b32_e32 v35, vcc_lo, v35
	v_add_nc_u32_e32 v100, v0, v33
	v_and_b32_e32 v34, v34, v39
	s_wait_alu 0xf1ff
	v_xor_b32_e32 v33, s8, v36
	ds_load_b32 v98, v100 offset:64
	v_and_b32_e32 v34, v34, v35
	; wave barrier
	s_delay_alu instid0(VALU_DEP_1) | instskip(NEXT) | instid1(VALU_DEP_1)
	v_and_b32_e32 v33, v34, v33
	v_mbcnt_lo_u32_b32 v99, v33, 0
	v_cmp_ne_u32_e64 s8, 0, v33
	s_delay_alu instid0(VALU_DEP_2)
	v_cmp_eq_u32_e32 vcc_lo, 0, v99
	s_and_b32 s10, s8, vcc_lo
	s_wait_alu 0xfffe
	s_and_saveexec_b32 s8, s10
	s_cbranch_execz .LBB165_39
; %bb.38:
	s_wait_dscnt 0x0
	v_bcnt_u32_b32 v33, v33, v98
	ds_store_b32 v100, v33 offset:64
.LBB165_39:
	s_wait_alu 0xfffe
	s_or_b32 exec_lo, exec_lo, s8
	v_and_b32_e32 v33, 0xffff, v82
	; wave barrier
	s_delay_alu instid0(VALU_DEP_1) | instskip(NEXT) | instid1(VALU_DEP_1)
	v_and_b32_e32 v33, s9, v33
	v_and_b32_e32 v34, 1, v33
	v_lshlrev_b32_e32 v35, 30, v33
	v_lshlrev_b32_e32 v36, 29, v33
	;; [unrolled: 1-line block ×4, first 2 shown]
	v_add_co_u32 v34, s8, v34, -1
	s_wait_alu 0xf1ff
	v_cndmask_b32_e64 v38, 0, 1, s8
	v_not_b32_e32 v87, v35
	v_cmp_gt_i32_e64 s8, 0, v35
	v_not_b32_e32 v35, v36
	v_lshlrev_b32_e32 v40, 26, v33
	v_cmp_ne_u32_e32 vcc_lo, 0, v38
	v_ashrrev_i32_e32 v87, 31, v87
	v_lshlrev_b32_e32 v86, 25, v33
	v_ashrrev_i32_e32 v35, 31, v35
	v_lshlrev_b32_e32 v38, 24, v33
	s_wait_alu 0xfffd
	v_xor_b32_e32 v34, vcc_lo, v34
	v_cmp_gt_i32_e32 vcc_lo, 0, v36
	v_not_b32_e32 v36, v37
	s_wait_alu 0xf1ff
	v_xor_b32_e32 v87, s8, v87
	v_cmp_gt_i32_e64 s8, 0, v37
	v_and_b32_e32 v34, exec_lo, v34
	v_not_b32_e32 v37, v39
	v_ashrrev_i32_e32 v36, 31, v36
	s_wait_alu 0xfffd
	v_xor_b32_e32 v35, vcc_lo, v35
	v_cmp_gt_i32_e32 vcc_lo, 0, v39
	v_and_b32_e32 v34, v34, v87
	v_not_b32_e32 v39, v40
	v_ashrrev_i32_e32 v37, 31, v37
	s_wait_alu 0xf1ff
	v_xor_b32_e32 v36, s8, v36
	v_cmp_gt_i32_e64 s8, 0, v40
	v_and_b32_e32 v34, v34, v35
	v_not_b32_e32 v35, v86
	v_ashrrev_i32_e32 v39, 31, v39
	s_wait_alu 0xfffd
	v_xor_b32_e32 v37, vcc_lo, v37
	v_cmp_gt_i32_e32 vcc_lo, 0, v86
	v_and_b32_e32 v34, v34, v36
	v_not_b32_e32 v36, v38
	v_ashrrev_i32_e32 v35, 31, v35
	s_wait_alu 0xf1ff
	v_xor_b32_e32 v39, s8, v39
	v_lshlrev_b32_e32 v33, 6, v33
	v_and_b32_e32 v34, v34, v37
	v_cmp_gt_i32_e64 s8, 0, v38
	v_ashrrev_i32_e32 v36, 31, v36
	s_wait_alu 0xfffd
	v_xor_b32_e32 v35, vcc_lo, v35
	v_add_nc_u32_e32 v103, v0, v33
	v_and_b32_e32 v34, v34, v39
	s_wait_alu 0xf1ff
	v_xor_b32_e32 v33, s8, v36
	ds_load_b32 v101, v103 offset:64
	v_and_b32_e32 v34, v34, v35
	; wave barrier
	s_delay_alu instid0(VALU_DEP_1) | instskip(NEXT) | instid1(VALU_DEP_1)
	v_and_b32_e32 v33, v34, v33
	v_mbcnt_lo_u32_b32 v102, v33, 0
	v_cmp_ne_u32_e64 s8, 0, v33
	s_delay_alu instid0(VALU_DEP_2)
	v_cmp_eq_u32_e32 vcc_lo, 0, v102
	s_and_b32 s10, s8, vcc_lo
	s_wait_alu 0xfffe
	s_and_saveexec_b32 s8, s10
	s_cbranch_execz .LBB165_41
; %bb.40:
	s_wait_dscnt 0x0
	v_bcnt_u32_b32 v33, v33, v101
	ds_store_b32 v103, v33 offset:64
.LBB165_41:
	s_wait_alu 0xfffe
	s_or_b32 exec_lo, exec_lo, s8
	v_and_b32_e32 v33, 0xffff, v83
	; wave barrier
	s_delay_alu instid0(VALU_DEP_1) | instskip(NEXT) | instid1(VALU_DEP_1)
	v_and_b32_e32 v33, s9, v33
	v_and_b32_e32 v34, 1, v33
	v_lshlrev_b32_e32 v35, 30, v33
	v_lshlrev_b32_e32 v36, 29, v33
	;; [unrolled: 1-line block ×4, first 2 shown]
	v_add_co_u32 v34, s8, v34, -1
	s_wait_alu 0xf1ff
	v_cndmask_b32_e64 v38, 0, 1, s8
	v_not_b32_e32 v87, v35
	v_cmp_gt_i32_e64 s8, 0, v35
	v_not_b32_e32 v35, v36
	v_lshlrev_b32_e32 v40, 26, v33
	v_cmp_ne_u32_e32 vcc_lo, 0, v38
	v_ashrrev_i32_e32 v87, 31, v87
	v_lshlrev_b32_e32 v86, 25, v33
	v_ashrrev_i32_e32 v35, 31, v35
	v_lshlrev_b32_e32 v38, 24, v33
	s_wait_alu 0xfffd
	v_xor_b32_e32 v34, vcc_lo, v34
	v_cmp_gt_i32_e32 vcc_lo, 0, v36
	v_not_b32_e32 v36, v37
	s_wait_alu 0xf1ff
	v_xor_b32_e32 v87, s8, v87
	v_cmp_gt_i32_e64 s8, 0, v37
	v_and_b32_e32 v34, exec_lo, v34
	v_not_b32_e32 v37, v39
	v_ashrrev_i32_e32 v36, 31, v36
	s_wait_alu 0xfffd
	v_xor_b32_e32 v35, vcc_lo, v35
	v_cmp_gt_i32_e32 vcc_lo, 0, v39
	v_and_b32_e32 v34, v34, v87
	v_not_b32_e32 v39, v40
	v_ashrrev_i32_e32 v37, 31, v37
	s_wait_alu 0xf1ff
	v_xor_b32_e32 v36, s8, v36
	v_cmp_gt_i32_e64 s8, 0, v40
	v_and_b32_e32 v34, v34, v35
	v_not_b32_e32 v35, v86
	v_ashrrev_i32_e32 v39, 31, v39
	s_wait_alu 0xfffd
	v_xor_b32_e32 v37, vcc_lo, v37
	v_cmp_gt_i32_e32 vcc_lo, 0, v86
	v_and_b32_e32 v34, v34, v36
	v_not_b32_e32 v36, v38
	v_ashrrev_i32_e32 v35, 31, v35
	s_wait_alu 0xf1ff
	v_xor_b32_e32 v39, s8, v39
	v_lshlrev_b32_e32 v33, 6, v33
	v_and_b32_e32 v34, v34, v37
	v_cmp_gt_i32_e64 s8, 0, v38
	v_ashrrev_i32_e32 v36, 31, v36
	s_wait_alu 0xfffd
	v_xor_b32_e32 v35, vcc_lo, v35
	v_add_nc_u32_e32 v106, v0, v33
	v_and_b32_e32 v34, v34, v39
	s_wait_alu 0xf1ff
	v_xor_b32_e32 v33, s8, v36
	ds_load_b32 v104, v106 offset:64
	v_and_b32_e32 v34, v34, v35
	; wave barrier
	s_delay_alu instid0(VALU_DEP_1) | instskip(NEXT) | instid1(VALU_DEP_1)
	v_and_b32_e32 v33, v34, v33
	v_mbcnt_lo_u32_b32 v105, v33, 0
	v_cmp_ne_u32_e64 s8, 0, v33
	s_delay_alu instid0(VALU_DEP_2)
	v_cmp_eq_u32_e32 vcc_lo, 0, v105
	s_and_b32 s10, s8, vcc_lo
	s_wait_alu 0xfffe
	s_and_saveexec_b32 s8, s10
	s_cbranch_execz .LBB165_43
; %bb.42:
	s_wait_dscnt 0x0
	v_bcnt_u32_b32 v33, v33, v104
	ds_store_b32 v106, v33 offset:64
.LBB165_43:
	s_wait_alu 0xfffe
	s_or_b32 exec_lo, exec_lo, s8
	v_and_b32_e32 v33, 0xffff, v84
	; wave barrier
	s_delay_alu instid0(VALU_DEP_1) | instskip(NEXT) | instid1(VALU_DEP_1)
	v_and_b32_e32 v33, s9, v33
	v_and_b32_e32 v34, 1, v33
	v_lshlrev_b32_e32 v35, 30, v33
	v_lshlrev_b32_e32 v36, 29, v33
	v_lshlrev_b32_e32 v37, 28, v33
	v_lshlrev_b32_e32 v39, 27, v33
	v_add_co_u32 v34, s8, v34, -1
	s_wait_alu 0xf1ff
	v_cndmask_b32_e64 v38, 0, 1, s8
	v_not_b32_e32 v87, v35
	v_cmp_gt_i32_e64 s8, 0, v35
	v_not_b32_e32 v35, v36
	v_lshlrev_b32_e32 v40, 26, v33
	v_cmp_ne_u32_e32 vcc_lo, 0, v38
	v_ashrrev_i32_e32 v87, 31, v87
	v_lshlrev_b32_e32 v86, 25, v33
	v_ashrrev_i32_e32 v35, 31, v35
	v_lshlrev_b32_e32 v38, 24, v33
	s_wait_alu 0xfffd
	v_xor_b32_e32 v34, vcc_lo, v34
	v_cmp_gt_i32_e32 vcc_lo, 0, v36
	v_not_b32_e32 v36, v37
	s_wait_alu 0xf1ff
	v_xor_b32_e32 v87, s8, v87
	v_cmp_gt_i32_e64 s8, 0, v37
	v_and_b32_e32 v34, exec_lo, v34
	v_not_b32_e32 v37, v39
	v_ashrrev_i32_e32 v36, 31, v36
	s_wait_alu 0xfffd
	v_xor_b32_e32 v35, vcc_lo, v35
	v_cmp_gt_i32_e32 vcc_lo, 0, v39
	v_and_b32_e32 v34, v34, v87
	v_not_b32_e32 v39, v40
	v_ashrrev_i32_e32 v37, 31, v37
	s_wait_alu 0xf1ff
	v_xor_b32_e32 v36, s8, v36
	v_cmp_gt_i32_e64 s8, 0, v40
	v_and_b32_e32 v34, v34, v35
	v_not_b32_e32 v35, v86
	v_ashrrev_i32_e32 v39, 31, v39
	s_wait_alu 0xfffd
	v_xor_b32_e32 v37, vcc_lo, v37
	v_cmp_gt_i32_e32 vcc_lo, 0, v86
	v_and_b32_e32 v34, v34, v36
	v_not_b32_e32 v36, v38
	v_ashrrev_i32_e32 v35, 31, v35
	s_wait_alu 0xf1ff
	v_xor_b32_e32 v39, s8, v39
	v_lshlrev_b32_e32 v33, 6, v33
	v_and_b32_e32 v34, v34, v37
	v_cmp_gt_i32_e64 s8, 0, v38
	v_ashrrev_i32_e32 v36, 31, v36
	s_wait_alu 0xfffd
	v_xor_b32_e32 v35, vcc_lo, v35
	v_add_nc_u32_e32 v109, v0, v33
	v_and_b32_e32 v34, v34, v39
	s_wait_alu 0xf1ff
	v_xor_b32_e32 v33, s8, v36
	ds_load_b32 v107, v109 offset:64
	v_and_b32_e32 v34, v34, v35
	; wave barrier
	s_delay_alu instid0(VALU_DEP_1) | instskip(NEXT) | instid1(VALU_DEP_1)
	v_and_b32_e32 v33, v34, v33
	v_mbcnt_lo_u32_b32 v108, v33, 0
	v_cmp_ne_u32_e64 s8, 0, v33
	s_delay_alu instid0(VALU_DEP_2)
	v_cmp_eq_u32_e32 vcc_lo, 0, v108
	s_and_b32 s10, s8, vcc_lo
	s_wait_alu 0xfffe
	s_and_saveexec_b32 s8, s10
	s_cbranch_execz .LBB165_45
; %bb.44:
	s_wait_dscnt 0x0
	v_bcnt_u32_b32 v33, v33, v107
	ds_store_b32 v109, v33 offset:64
.LBB165_45:
	s_wait_alu 0xfffe
	s_or_b32 exec_lo, exec_lo, s8
	v_and_b32_e32 v33, 0xffff, v85
	; wave barrier
	s_delay_alu instid0(VALU_DEP_1) | instskip(NEXT) | instid1(VALU_DEP_1)
	v_and_b32_e32 v33, s9, v33
	v_and_b32_e32 v34, 1, v33
	v_lshlrev_b32_e32 v35, 30, v33
	v_lshlrev_b32_e32 v36, 29, v33
	;; [unrolled: 1-line block ×4, first 2 shown]
	v_add_co_u32 v34, s8, v34, -1
	s_wait_alu 0xf1ff
	v_cndmask_b32_e64 v38, 0, 1, s8
	v_not_b32_e32 v87, v35
	v_cmp_gt_i32_e64 s8, 0, v35
	v_not_b32_e32 v35, v36
	v_lshlrev_b32_e32 v40, 26, v33
	v_cmp_ne_u32_e32 vcc_lo, 0, v38
	v_ashrrev_i32_e32 v87, 31, v87
	v_lshlrev_b32_e32 v86, 25, v33
	v_ashrrev_i32_e32 v35, 31, v35
	v_lshlrev_b32_e32 v38, 24, v33
	s_wait_alu 0xfffd
	v_xor_b32_e32 v34, vcc_lo, v34
	v_cmp_gt_i32_e32 vcc_lo, 0, v36
	v_not_b32_e32 v36, v37
	s_wait_alu 0xf1ff
	v_xor_b32_e32 v87, s8, v87
	v_cmp_gt_i32_e64 s8, 0, v37
	v_and_b32_e32 v34, exec_lo, v34
	v_not_b32_e32 v37, v39
	v_ashrrev_i32_e32 v36, 31, v36
	s_wait_alu 0xfffd
	v_xor_b32_e32 v35, vcc_lo, v35
	v_cmp_gt_i32_e32 vcc_lo, 0, v39
	v_and_b32_e32 v34, v34, v87
	v_not_b32_e32 v39, v40
	v_ashrrev_i32_e32 v37, 31, v37
	s_wait_alu 0xf1ff
	v_xor_b32_e32 v36, s8, v36
	v_cmp_gt_i32_e64 s8, 0, v40
	v_and_b32_e32 v34, v34, v35
	v_not_b32_e32 v35, v86
	v_ashrrev_i32_e32 v39, 31, v39
	s_wait_alu 0xfffd
	v_xor_b32_e32 v37, vcc_lo, v37
	v_cmp_gt_i32_e32 vcc_lo, 0, v86
	v_and_b32_e32 v34, v34, v36
	v_not_b32_e32 v36, v38
	v_ashrrev_i32_e32 v35, 31, v35
	s_wait_alu 0xf1ff
	v_xor_b32_e32 v39, s8, v39
	v_lshlrev_b32_e32 v33, 6, v33
	v_and_b32_e32 v34, v34, v37
	v_cmp_gt_i32_e64 s8, 0, v38
	v_ashrrev_i32_e32 v36, 31, v36
	s_wait_alu 0xfffd
	v_xor_b32_e32 v35, vcc_lo, v35
	v_add_nc_u32_e32 v112, v0, v33
	v_and_b32_e32 v34, v34, v39
	v_min_u32_e32 v86, 0x1e0, v72
	s_wait_alu 0xf1ff
	v_xor_b32_e32 v33, s8, v36
	ds_load_b32 v110, v112 offset:64
	v_and_b32_e32 v34, v34, v35
	; wave barrier
	s_delay_alu instid0(VALU_DEP_1) | instskip(NEXT) | instid1(VALU_DEP_1)
	v_and_b32_e32 v33, v34, v33
	v_mbcnt_lo_u32_b32 v111, v33, 0
	v_cmp_ne_u32_e64 s8, 0, v33
	s_delay_alu instid0(VALU_DEP_2)
	v_cmp_eq_u32_e32 vcc_lo, 0, v111
	s_and_b32 s9, s8, vcc_lo
	s_wait_alu 0xfffe
	s_and_saveexec_b32 s8, s9
	s_cbranch_execz .LBB165_47
; %bb.46:
	s_wait_dscnt 0x0
	v_bcnt_u32_b32 v33, v33, v110
	ds_store_b32 v112, v33 offset:64
.LBB165_47:
	s_wait_alu 0xfffe
	s_or_b32 exec_lo, exec_lo, s8
	; wave barrier
	s_wait_loadcnt_dscnt 0x0
	s_barrier_signal -1
	s_barrier_wait -1
	global_inv scope:SCOPE_SE
	ds_load_b128 v[37:40], v67 offset:64
	ds_load_b128 v[33:36], v67 offset:80
	v_and_b32_e32 v89, 16, v70
	v_or_b32_e32 v86, 31, v86
	s_delay_alu instid0(VALU_DEP_2) | instskip(NEXT) | instid1(VALU_DEP_2)
	v_cmp_eq_u32_e64 s15, 0, v89
	v_cmp_eq_u32_e64 s13, v46, v86
	s_wait_dscnt 0x1
	v_add_nc_u32_e32 v87, v38, v37
	s_delay_alu instid0(VALU_DEP_1) | instskip(SKIP_1) | instid1(VALU_DEP_1)
	v_add3_u32 v87, v87, v39, v40
	s_wait_dscnt 0x0
	v_add3_u32 v87, v87, v33, v34
	s_delay_alu instid0(VALU_DEP_1) | instskip(SKIP_1) | instid1(VALU_DEP_2)
	v_add3_u32 v36, v87, v35, v36
	v_and_b32_e32 v87, 15, v70
	v_mov_b32_dpp v88, v36 row_shr:1 row_mask:0xf bank_mask:0xf
	s_delay_alu instid0(VALU_DEP_2)
	v_cmp_eq_u32_e32 vcc_lo, 0, v87
	v_cmp_lt_u32_e64 s8, 1, v87
	v_cmp_lt_u32_e64 s9, 3, v87
	;; [unrolled: 1-line block ×3, first 2 shown]
	s_wait_alu 0xfffd
	v_cndmask_b32_e64 v88, v88, 0, vcc_lo
	s_delay_alu instid0(VALU_DEP_1) | instskip(NEXT) | instid1(VALU_DEP_1)
	v_add_nc_u32_e32 v36, v88, v36
	v_mov_b32_dpp v88, v36 row_shr:2 row_mask:0xf bank_mask:0xf
	s_wait_alu 0xf1ff
	s_delay_alu instid0(VALU_DEP_1) | instskip(NEXT) | instid1(VALU_DEP_1)
	v_cndmask_b32_e64 v88, 0, v88, s8
	v_add_nc_u32_e32 v36, v36, v88
	s_delay_alu instid0(VALU_DEP_1) | instskip(NEXT) | instid1(VALU_DEP_1)
	v_mov_b32_dpp v88, v36 row_shr:4 row_mask:0xf bank_mask:0xf
	v_cndmask_b32_e64 v88, 0, v88, s9
	s_delay_alu instid0(VALU_DEP_1) | instskip(NEXT) | instid1(VALU_DEP_1)
	v_add_nc_u32_e32 v36, v36, v88
	v_mov_b32_dpp v88, v36 row_shr:8 row_mask:0xf bank_mask:0xf
	s_delay_alu instid0(VALU_DEP_1) | instskip(NEXT) | instid1(VALU_DEP_1)
	v_cndmask_b32_e64 v87, 0, v88, s10
	v_add_nc_u32_e32 v88, v36, v87
	v_bfe_i32 v87, v70, 4, 1
	ds_swizzle_b32 v36, v88 offset:swizzle(BROADCAST,32,15)
	s_wait_dscnt 0x0
	v_and_b32_e32 v113, v87, v36
	v_mul_i32_i24_e32 v36, 0xffffffe4, v46
	v_lshlrev_b32_e32 v87, 2, v69
	s_delay_alu instid0(VALU_DEP_3)
	v_add_nc_u32_e32 v89, v88, v113
	s_and_saveexec_b32 s11, s13
; %bb.48:
	ds_store_b32 v87, v89
; %bb.49:
	s_wait_alu 0xfffe
	s_or_b32 exec_lo, exec_lo, s11
	v_cmp_gt_u32_e64 s12, 16, v46
	v_add_nc_u32_e32 v86, v67, v36
	s_wait_loadcnt_dscnt 0x0
	s_barrier_signal -1
	s_barrier_wait -1
	global_inv scope:SCOPE_SE
	s_and_saveexec_b32 s11, s12
	s_cbranch_execz .LBB165_51
; %bb.50:
	ds_load_b32 v36, v86
	s_wait_dscnt 0x0
	v_mov_b32_dpp v88, v36 row_shr:1 row_mask:0xf bank_mask:0xf
	s_delay_alu instid0(VALU_DEP_1) | instskip(NEXT) | instid1(VALU_DEP_1)
	v_cndmask_b32_e64 v88, v88, 0, vcc_lo
	v_add_nc_u32_e32 v36, v88, v36
	s_delay_alu instid0(VALU_DEP_1) | instskip(NEXT) | instid1(VALU_DEP_1)
	v_mov_b32_dpp v88, v36 row_shr:2 row_mask:0xf bank_mask:0xf
	v_cndmask_b32_e64 v88, 0, v88, s8
	s_delay_alu instid0(VALU_DEP_1) | instskip(NEXT) | instid1(VALU_DEP_1)
	v_add_nc_u32_e32 v36, v36, v88
	v_mov_b32_dpp v88, v36 row_shr:4 row_mask:0xf bank_mask:0xf
	s_delay_alu instid0(VALU_DEP_1) | instskip(NEXT) | instid1(VALU_DEP_1)
	v_cndmask_b32_e64 v88, 0, v88, s9
	v_add_nc_u32_e32 v36, v36, v88
	s_delay_alu instid0(VALU_DEP_1) | instskip(NEXT) | instid1(VALU_DEP_1)
	v_mov_b32_dpp v88, v36 row_shr:8 row_mask:0xf bank_mask:0xf
	v_cndmask_b32_e64 v88, 0, v88, s10
	s_delay_alu instid0(VALU_DEP_1)
	v_add_nc_u32_e32 v36, v36, v88
	ds_store_b32 v86, v36
.LBB165_51:
	s_wait_alu 0xfffe
	s_or_b32 exec_lo, exec_lo, s11
	v_sub_co_u32 v113, s11, v70, 1
	v_mul_u32_u24_e32 v36, 6, v71
	v_cmp_lt_u32_e64 s14, 31, v46
	v_add_nc_u32_e32 v88, -4, v87
	v_mov_b32_e32 v114, 0
	s_wait_loadcnt_dscnt 0x0
	s_barrier_signal -1
	s_barrier_wait -1
	global_inv scope:SCOPE_SE
	s_and_saveexec_b32 s16, s14
; %bb.52:
	ds_load_b32 v114, v88
; %bb.53:
	s_or_b32 exec_lo, exec_lo, s16
	v_cmp_gt_i32_e64 s16, 0, v113
	s_mov_b32 s20, 0
	s_min_u32 s17, s17, 8
	s_mov_b32 s21, s20
	s_mov_b32 s22, s20
	v_cndmask_b32_e64 v113, v113, v70, s16
	s_mov_b32 s23, s20
	s_wait_dscnt 0x0
	v_add_nc_u32_e32 v115, v114, v89
	v_cmp_eq_u32_e64 s16, 0, v46
	s_lshl_b32 s17, -1, s17
	v_lshlrev_b32_e32 v89, 2, v113
	s_wait_alu 0xfffe
	s_not_b32 s19, s17
	ds_bpermute_b32 v113, v89, v115
	s_wait_dscnt 0x0
	v_cndmask_b32_e64 v113, v113, v114, s11
	s_delay_alu instid0(VALU_DEP_1) | instskip(NEXT) | instid1(VALU_DEP_1)
	v_cndmask_b32_e64 v113, v113, 0, s16
	v_add_nc_u32_e32 v114, v113, v37
	s_delay_alu instid0(VALU_DEP_1) | instskip(NEXT) | instid1(VALU_DEP_1)
	v_add_nc_u32_e32 v115, v114, v38
	v_add_nc_u32_e32 v116, v115, v39
	s_delay_alu instid0(VALU_DEP_1) | instskip(NEXT) | instid1(VALU_DEP_1)
	v_add_nc_u32_e32 v37, v116, v40
	;; [unrolled: 3-line block ×3, first 2 shown]
	v_add_nc_u32_e32 v40, v39, v35
	ds_store_b128 v67, v[113:116] offset:64
	ds_store_b128 v67, v[37:40] offset:80
	s_wait_loadcnt_dscnt 0x0
	s_barrier_signal -1
	s_barrier_wait -1
	global_inv scope:SCOPE_SE
	ds_load_b32 v33, v91 offset:64
	ds_load_b32 v34, v94 offset:64
	;; [unrolled: 1-line block ×8, first 2 shown]
	v_add_nc_u32_e32 v94, v68, v36
	s_wait_loadcnt_dscnt 0x0
	s_barrier_signal -1
	s_barrier_wait -1
	global_inv scope:SCOPE_SE
	v_add_nc_u32_e32 v90, v33, v90
	v_add3_u32 v92, v93, v92, v34
	v_add3_u32 v93, v96, v95, v35
	v_add3_u32 v95, v99, v98, v37
	v_add3_u32 v96, v102, v101, v38
	v_add3_u32 v97, v105, v104, v39
	v_add3_u32 v98, v108, v107, v40
	v_add3_u32 v99, v111, v110, v91
	v_lshlrev_b32_e32 v33, 1, v90
	v_lshlrev_b32_e32 v34, 1, v92
	;; [unrolled: 1-line block ×8, first 2 shown]
	ds_store_b16 v33, v78
	ds_store_b16 v34, v79
	;; [unrolled: 1-line block ×8, first 2 shown]
	s_wait_loadcnt_dscnt 0x0
	s_barrier_signal -1
	s_barrier_wait -1
	global_inv scope:SCOPE_SE
	ds_load_u16 v78, v68
	ds_load_u16 v79, v68 offset:64
	ds_load_u16 v80, v68 offset:128
	;; [unrolled: 1-line block ×7, first 2 shown]
	v_mad_co_u64_u32 v[90:91], null, v90, 6, v[33:34]
	v_mad_co_u64_u32 v[33:34], null, v92, 6, v[34:35]
	;; [unrolled: 1-line block ×3, first 2 shown]
	s_wait_loadcnt_dscnt 0x0
	s_barrier_signal -1
	s_barrier_wait -1
	global_inv scope:SCOPE_SE
	v_mad_co_u64_u32 v[35:36], null, v95, 6, v[36:37]
	v_lshrrev_b16 v91, 8, v78
	ds_store_b64 v90, v[21:22]
	v_mad_co_u64_u32 v[36:37], null, v96, 6, v[37:38]
	v_mad_co_u64_u32 v[37:38], null, v97, 6, v[38:39]
	v_and_b32_e32 v21, 0xffff, v91
	v_mad_co_u64_u32 v[38:39], null, v98, 6, v[39:40]
	v_mad_co_u64_u32 v[39:40], null, v99, 6, v[40:41]
	s_wait_alu 0xfffe
	s_delay_alu instid0(VALU_DEP_3)
	v_and_b32_e32 v40, s19, v21
	ds_store_b64 v33, v[23:24]
	ds_store_b64 v34, v[17:18]
	;; [unrolled: 1-line block ×7, first 2 shown]
	v_and_b32_e32 v17, 1, v40
	v_lshlrev_b32_e32 v18, 30, v40
	v_lshlrev_b32_e32 v19, 29, v40
	;; [unrolled: 1-line block ×4, first 2 shown]
	v_add_co_u32 v17, s17, v17, -1
	s_wait_alu 0xf1ff
	v_cndmask_b32_e64 v21, 0, 1, s17
	v_not_b32_e32 v25, v18
	v_cmp_gt_i32_e64 s18, 0, v18
	v_not_b32_e32 v18, v19
	v_lshlrev_b32_e32 v23, 26, v40
	v_cmp_ne_u32_e64 s17, 0, v21
	v_ashrrev_i32_e32 v25, 31, v25
	v_lshlrev_b32_e32 v24, 25, v40
	v_ashrrev_i32_e32 v18, 31, v18
	v_lshlrev_b32_e32 v21, 24, v40
	s_wait_alu 0xf1ff
	v_xor_b32_e32 v17, s17, v17
	v_cmp_gt_i32_e64 s17, 0, v19
	v_not_b32_e32 v19, v20
	v_xor_b32_e32 v25, s18, v25
	v_cmp_gt_i32_e64 s18, 0, v20
	v_and_b32_e32 v17, exec_lo, v17
	v_not_b32_e32 v20, v22
	v_ashrrev_i32_e32 v19, 31, v19
	s_wait_alu 0xf1ff
	v_xor_b32_e32 v18, s17, v18
	v_cmp_gt_i32_e64 s17, 0, v22
	v_and_b32_e32 v17, v17, v25
	v_not_b32_e32 v22, v23
	v_ashrrev_i32_e32 v20, 31, v20
	v_xor_b32_e32 v19, s18, v19
	v_cmp_gt_i32_e64 s18, 0, v23
	v_and_b32_e32 v17, v17, v18
	v_not_b32_e32 v18, v24
	v_ashrrev_i32_e32 v22, 31, v22
	s_wait_alu 0xf1ff
	v_xor_b32_e32 v20, s17, v20
	v_cmp_gt_i32_e64 s17, 0, v24
	v_and_b32_e32 v17, v17, v19
	v_not_b32_e32 v19, v21
	v_ashrrev_i32_e32 v18, 31, v18
	v_xor_b32_e32 v22, s18, v22
	v_cmp_gt_i32_e64 s18, 0, v21
	v_and_b32_e32 v17, v17, v20
	v_ashrrev_i32_e32 v19, 31, v19
	s_wait_alu 0xf1ff
	v_xor_b32_e32 v18, s17, v18
	s_wait_loadcnt_dscnt 0x0
	s_barrier_signal -1
	v_and_b32_e32 v17, v17, v22
	v_xor_b32_e32 v33, s18, v19
	s_barrier_wait -1
	global_inv scope:SCOPE_SE
	ds_load_2addr_b64 v[21:24], v94 offset1:32
	v_and_b32_e32 v38, v17, v18
	ds_load_2addr_b64 v[29:32], v94 offset0:64 offset1:96
	ds_load_2addr_b64 v[25:28], v94 offset0:128 offset1:160
	;; [unrolled: 1-line block ×3, first 2 shown]
	v_dual_mov_b32 v37, s23 :: v_dual_mov_b32 v36, s22
	v_mov_b32_e32 v35, s21
	v_dual_mov_b32 v34, s20 :: v_dual_and_b32 v33, v38, v33
	v_lshl_add_u32 v91, v40, 6, v0
	s_wait_loadcnt_dscnt 0x0
	s_barrier_signal -1
	s_delay_alu instid0(VALU_DEP_2)
	v_mbcnt_lo_u32_b32 v90, v33, 0
	v_cmp_ne_u32_e64 s18, 0, v33
	s_barrier_wait -1
	global_inv scope:SCOPE_SE
	ds_store_b128 v67, v[34:37] offset:64
	ds_store_b128 v67, v[34:37] offset:80
	v_cmp_eq_u32_e64 s17, 0, v90
	s_wait_loadcnt_dscnt 0x0
	s_barrier_signal -1
	s_barrier_wait -1
	global_inv scope:SCOPE_SE
	s_and_b32 s18, s18, s17
	; wave barrier
	s_wait_alu 0xfffe
	s_and_saveexec_b32 s17, s18
; %bb.54:
	v_bcnt_u32_b32 v33, v33, 0
	ds_store_b32 v91, v33 offset:64
; %bb.55:
	s_wait_alu 0xfffe
	s_or_b32 exec_lo, exec_lo, s17
	v_lshrrev_b16 v33, 8, v79
	; wave barrier
	s_delay_alu instid0(VALU_DEP_1) | instskip(NEXT) | instid1(VALU_DEP_1)
	v_and_b32_e32 v33, s19, v33
	v_and_b32_e32 v34, 1, v33
	v_lshlrev_b32_e32 v35, 30, v33
	v_lshlrev_b32_e32 v36, 29, v33
	;; [unrolled: 1-line block ×4, first 2 shown]
	v_add_co_u32 v34, s17, v34, -1
	s_wait_alu 0xf1ff
	v_cndmask_b32_e64 v38, 0, 1, s17
	v_not_b32_e32 v93, v35
	v_cmp_gt_i32_e64 s18, 0, v35
	v_not_b32_e32 v35, v36
	v_lshlrev_b32_e32 v40, 26, v33
	v_cmp_ne_u32_e64 s17, 0, v38
	v_ashrrev_i32_e32 v93, 31, v93
	v_lshlrev_b32_e32 v92, 25, v33
	v_ashrrev_i32_e32 v35, 31, v35
	v_lshlrev_b32_e32 v38, 24, v33
	s_wait_alu 0xf1ff
	v_xor_b32_e32 v34, s17, v34
	v_cmp_gt_i32_e64 s17, 0, v36
	v_not_b32_e32 v36, v37
	v_xor_b32_e32 v93, s18, v93
	v_cmp_gt_i32_e64 s18, 0, v37
	v_and_b32_e32 v34, exec_lo, v34
	v_not_b32_e32 v37, v39
	v_ashrrev_i32_e32 v36, 31, v36
	s_wait_alu 0xf1ff
	v_xor_b32_e32 v35, s17, v35
	v_cmp_gt_i32_e64 s17, 0, v39
	v_and_b32_e32 v34, v34, v93
	v_not_b32_e32 v39, v40
	v_ashrrev_i32_e32 v37, 31, v37
	v_xor_b32_e32 v36, s18, v36
	v_cmp_gt_i32_e64 s18, 0, v40
	v_and_b32_e32 v34, v34, v35
	v_not_b32_e32 v35, v92
	v_ashrrev_i32_e32 v39, 31, v39
	s_wait_alu 0xf1ff
	v_xor_b32_e32 v37, s17, v37
	v_cmp_gt_i32_e64 s17, 0, v92
	v_and_b32_e32 v34, v34, v36
	v_not_b32_e32 v36, v38
	v_ashrrev_i32_e32 v35, 31, v35
	v_xor_b32_e32 v39, s18, v39
	v_cmp_gt_i32_e64 s18, 0, v38
	v_and_b32_e32 v34, v34, v37
	v_ashrrev_i32_e32 v36, 31, v36
	s_wait_alu 0xf1ff
	v_xor_b32_e32 v35, s17, v35
	v_lshl_add_u32 v94, v33, 6, v0
	v_and_b32_e32 v34, v34, v39
	v_xor_b32_e32 v33, s18, v36
	ds_load_b32 v92, v94 offset:64
	v_and_b32_e32 v34, v34, v35
	; wave barrier
	s_delay_alu instid0(VALU_DEP_1) | instskip(NEXT) | instid1(VALU_DEP_1)
	v_and_b32_e32 v33, v34, v33
	v_mbcnt_lo_u32_b32 v93, v33, 0
	v_cmp_ne_u32_e64 s18, 0, v33
	s_delay_alu instid0(VALU_DEP_2)
	v_cmp_eq_u32_e64 s17, 0, v93
	s_and_b32 s18, s18, s17
	s_wait_alu 0xfffe
	s_and_saveexec_b32 s17, s18
	s_cbranch_execz .LBB165_57
; %bb.56:
	s_wait_dscnt 0x0
	v_bcnt_u32_b32 v33, v33, v92
	ds_store_b32 v94, v33 offset:64
.LBB165_57:
	s_wait_alu 0xfffe
	s_or_b32 exec_lo, exec_lo, s17
	v_lshrrev_b16 v33, 8, v80
	; wave barrier
	s_delay_alu instid0(VALU_DEP_1) | instskip(NEXT) | instid1(VALU_DEP_1)
	v_and_b32_e32 v33, s19, v33
	v_and_b32_e32 v34, 1, v33
	v_lshlrev_b32_e32 v35, 30, v33
	v_lshlrev_b32_e32 v36, 29, v33
	;; [unrolled: 1-line block ×4, first 2 shown]
	v_add_co_u32 v34, s17, v34, -1
	s_wait_alu 0xf1ff
	v_cndmask_b32_e64 v38, 0, 1, s17
	v_not_b32_e32 v96, v35
	v_cmp_gt_i32_e64 s18, 0, v35
	v_not_b32_e32 v35, v36
	v_lshlrev_b32_e32 v40, 26, v33
	v_cmp_ne_u32_e64 s17, 0, v38
	v_ashrrev_i32_e32 v96, 31, v96
	v_lshlrev_b32_e32 v95, 25, v33
	v_ashrrev_i32_e32 v35, 31, v35
	v_lshlrev_b32_e32 v38, 24, v33
	s_wait_alu 0xf1ff
	v_xor_b32_e32 v34, s17, v34
	v_cmp_gt_i32_e64 s17, 0, v36
	v_not_b32_e32 v36, v37
	v_xor_b32_e32 v96, s18, v96
	v_cmp_gt_i32_e64 s18, 0, v37
	v_and_b32_e32 v34, exec_lo, v34
	v_not_b32_e32 v37, v39
	v_ashrrev_i32_e32 v36, 31, v36
	s_wait_alu 0xf1ff
	v_xor_b32_e32 v35, s17, v35
	v_cmp_gt_i32_e64 s17, 0, v39
	v_and_b32_e32 v34, v34, v96
	v_not_b32_e32 v39, v40
	v_ashrrev_i32_e32 v37, 31, v37
	v_xor_b32_e32 v36, s18, v36
	v_cmp_gt_i32_e64 s18, 0, v40
	v_and_b32_e32 v34, v34, v35
	v_not_b32_e32 v35, v95
	v_ashrrev_i32_e32 v39, 31, v39
	s_wait_alu 0xf1ff
	v_xor_b32_e32 v37, s17, v37
	v_cmp_gt_i32_e64 s17, 0, v95
	v_and_b32_e32 v34, v34, v36
	v_not_b32_e32 v36, v38
	v_ashrrev_i32_e32 v35, 31, v35
	v_xor_b32_e32 v39, s18, v39
	v_cmp_gt_i32_e64 s18, 0, v38
	v_and_b32_e32 v34, v34, v37
	v_ashrrev_i32_e32 v36, 31, v36
	s_wait_alu 0xf1ff
	v_xor_b32_e32 v35, s17, v35
	v_lshl_add_u32 v97, v33, 6, v0
	v_and_b32_e32 v34, v34, v39
	v_xor_b32_e32 v33, s18, v36
	ds_load_b32 v95, v97 offset:64
	v_and_b32_e32 v34, v34, v35
	; wave barrier
	s_delay_alu instid0(VALU_DEP_1) | instskip(NEXT) | instid1(VALU_DEP_1)
	v_and_b32_e32 v33, v34, v33
	v_mbcnt_lo_u32_b32 v96, v33, 0
	v_cmp_ne_u32_e64 s18, 0, v33
	s_delay_alu instid0(VALU_DEP_2)
	v_cmp_eq_u32_e64 s17, 0, v96
	s_and_b32 s18, s18, s17
	s_wait_alu 0xfffe
	s_and_saveexec_b32 s17, s18
	s_cbranch_execz .LBB165_59
; %bb.58:
	s_wait_dscnt 0x0
	v_bcnt_u32_b32 v33, v33, v95
	ds_store_b32 v97, v33 offset:64
.LBB165_59:
	s_wait_alu 0xfffe
	s_or_b32 exec_lo, exec_lo, s17
	v_lshrrev_b16 v33, 8, v81
	; wave barrier
	s_delay_alu instid0(VALU_DEP_1) | instskip(NEXT) | instid1(VALU_DEP_1)
	v_and_b32_e32 v33, s19, v33
	v_and_b32_e32 v34, 1, v33
	v_lshlrev_b32_e32 v35, 30, v33
	v_lshlrev_b32_e32 v36, 29, v33
	;; [unrolled: 1-line block ×4, first 2 shown]
	v_add_co_u32 v34, s17, v34, -1
	s_wait_alu 0xf1ff
	v_cndmask_b32_e64 v38, 0, 1, s17
	v_not_b32_e32 v99, v35
	v_cmp_gt_i32_e64 s18, 0, v35
	v_not_b32_e32 v35, v36
	v_lshlrev_b32_e32 v40, 26, v33
	v_cmp_ne_u32_e64 s17, 0, v38
	v_ashrrev_i32_e32 v99, 31, v99
	v_lshlrev_b32_e32 v98, 25, v33
	v_ashrrev_i32_e32 v35, 31, v35
	v_lshlrev_b32_e32 v38, 24, v33
	s_wait_alu 0xf1ff
	v_xor_b32_e32 v34, s17, v34
	v_cmp_gt_i32_e64 s17, 0, v36
	v_not_b32_e32 v36, v37
	v_xor_b32_e32 v99, s18, v99
	v_cmp_gt_i32_e64 s18, 0, v37
	v_and_b32_e32 v34, exec_lo, v34
	v_not_b32_e32 v37, v39
	v_ashrrev_i32_e32 v36, 31, v36
	s_wait_alu 0xf1ff
	v_xor_b32_e32 v35, s17, v35
	v_cmp_gt_i32_e64 s17, 0, v39
	v_and_b32_e32 v34, v34, v99
	v_not_b32_e32 v39, v40
	v_ashrrev_i32_e32 v37, 31, v37
	v_xor_b32_e32 v36, s18, v36
	v_cmp_gt_i32_e64 s18, 0, v40
	v_and_b32_e32 v34, v34, v35
	v_not_b32_e32 v35, v98
	v_ashrrev_i32_e32 v39, 31, v39
	s_wait_alu 0xf1ff
	v_xor_b32_e32 v37, s17, v37
	v_cmp_gt_i32_e64 s17, 0, v98
	v_and_b32_e32 v34, v34, v36
	v_not_b32_e32 v36, v38
	v_ashrrev_i32_e32 v35, 31, v35
	v_xor_b32_e32 v39, s18, v39
	v_cmp_gt_i32_e64 s18, 0, v38
	v_and_b32_e32 v34, v34, v37
	v_ashrrev_i32_e32 v36, 31, v36
	s_wait_alu 0xf1ff
	v_xor_b32_e32 v35, s17, v35
	v_lshl_add_u32 v100, v33, 6, v0
	v_and_b32_e32 v34, v34, v39
	v_xor_b32_e32 v33, s18, v36
	ds_load_b32 v98, v100 offset:64
	v_and_b32_e32 v34, v34, v35
	; wave barrier
	s_delay_alu instid0(VALU_DEP_1) | instskip(NEXT) | instid1(VALU_DEP_1)
	v_and_b32_e32 v33, v34, v33
	v_mbcnt_lo_u32_b32 v99, v33, 0
	v_cmp_ne_u32_e64 s18, 0, v33
	s_delay_alu instid0(VALU_DEP_2)
	v_cmp_eq_u32_e64 s17, 0, v99
	s_and_b32 s18, s18, s17
	s_wait_alu 0xfffe
	s_and_saveexec_b32 s17, s18
	s_cbranch_execz .LBB165_61
; %bb.60:
	s_wait_dscnt 0x0
	v_bcnt_u32_b32 v33, v33, v98
	ds_store_b32 v100, v33 offset:64
.LBB165_61:
	s_wait_alu 0xfffe
	s_or_b32 exec_lo, exec_lo, s17
	v_lshrrev_b16 v33, 8, v82
	; wave barrier
	s_delay_alu instid0(VALU_DEP_1) | instskip(NEXT) | instid1(VALU_DEP_1)
	v_and_b32_e32 v33, s19, v33
	v_and_b32_e32 v34, 1, v33
	v_lshlrev_b32_e32 v35, 30, v33
	v_lshlrev_b32_e32 v36, 29, v33
	;; [unrolled: 1-line block ×4, first 2 shown]
	v_add_co_u32 v34, s17, v34, -1
	s_wait_alu 0xf1ff
	v_cndmask_b32_e64 v38, 0, 1, s17
	v_not_b32_e32 v102, v35
	v_cmp_gt_i32_e64 s18, 0, v35
	v_not_b32_e32 v35, v36
	v_lshlrev_b32_e32 v40, 26, v33
	v_cmp_ne_u32_e64 s17, 0, v38
	v_ashrrev_i32_e32 v102, 31, v102
	v_lshlrev_b32_e32 v101, 25, v33
	v_ashrrev_i32_e32 v35, 31, v35
	v_lshlrev_b32_e32 v38, 24, v33
	s_wait_alu 0xf1ff
	v_xor_b32_e32 v34, s17, v34
	v_cmp_gt_i32_e64 s17, 0, v36
	v_not_b32_e32 v36, v37
	v_xor_b32_e32 v102, s18, v102
	v_cmp_gt_i32_e64 s18, 0, v37
	v_and_b32_e32 v34, exec_lo, v34
	v_not_b32_e32 v37, v39
	v_ashrrev_i32_e32 v36, 31, v36
	s_wait_alu 0xf1ff
	v_xor_b32_e32 v35, s17, v35
	v_cmp_gt_i32_e64 s17, 0, v39
	v_and_b32_e32 v34, v34, v102
	v_not_b32_e32 v39, v40
	v_ashrrev_i32_e32 v37, 31, v37
	v_xor_b32_e32 v36, s18, v36
	v_cmp_gt_i32_e64 s18, 0, v40
	v_and_b32_e32 v34, v34, v35
	v_not_b32_e32 v35, v101
	v_ashrrev_i32_e32 v39, 31, v39
	s_wait_alu 0xf1ff
	v_xor_b32_e32 v37, s17, v37
	v_cmp_gt_i32_e64 s17, 0, v101
	v_and_b32_e32 v34, v34, v36
	v_not_b32_e32 v36, v38
	v_ashrrev_i32_e32 v35, 31, v35
	v_xor_b32_e32 v39, s18, v39
	v_cmp_gt_i32_e64 s18, 0, v38
	v_and_b32_e32 v34, v34, v37
	v_ashrrev_i32_e32 v36, 31, v36
	s_wait_alu 0xf1ff
	v_xor_b32_e32 v35, s17, v35
	v_lshl_add_u32 v103, v33, 6, v0
	v_and_b32_e32 v34, v34, v39
	v_xor_b32_e32 v33, s18, v36
	ds_load_b32 v101, v103 offset:64
	v_and_b32_e32 v34, v34, v35
	; wave barrier
	s_delay_alu instid0(VALU_DEP_1) | instskip(NEXT) | instid1(VALU_DEP_1)
	v_and_b32_e32 v33, v34, v33
	v_mbcnt_lo_u32_b32 v102, v33, 0
	v_cmp_ne_u32_e64 s18, 0, v33
	s_delay_alu instid0(VALU_DEP_2)
	v_cmp_eq_u32_e64 s17, 0, v102
	s_and_b32 s18, s18, s17
	s_wait_alu 0xfffe
	s_and_saveexec_b32 s17, s18
	s_cbranch_execz .LBB165_63
; %bb.62:
	s_wait_dscnt 0x0
	v_bcnt_u32_b32 v33, v33, v101
	ds_store_b32 v103, v33 offset:64
.LBB165_63:
	s_wait_alu 0xfffe
	s_or_b32 exec_lo, exec_lo, s17
	v_lshrrev_b16 v33, 8, v83
	; wave barrier
	s_delay_alu instid0(VALU_DEP_1) | instskip(NEXT) | instid1(VALU_DEP_1)
	v_and_b32_e32 v33, s19, v33
	v_and_b32_e32 v34, 1, v33
	v_lshlrev_b32_e32 v35, 30, v33
	v_lshlrev_b32_e32 v36, 29, v33
	;; [unrolled: 1-line block ×4, first 2 shown]
	v_add_co_u32 v34, s17, v34, -1
	s_wait_alu 0xf1ff
	v_cndmask_b32_e64 v38, 0, 1, s17
	v_not_b32_e32 v105, v35
	v_cmp_gt_i32_e64 s18, 0, v35
	v_not_b32_e32 v35, v36
	v_lshlrev_b32_e32 v40, 26, v33
	v_cmp_ne_u32_e64 s17, 0, v38
	v_ashrrev_i32_e32 v105, 31, v105
	v_lshlrev_b32_e32 v104, 25, v33
	v_ashrrev_i32_e32 v35, 31, v35
	v_lshlrev_b32_e32 v38, 24, v33
	s_wait_alu 0xf1ff
	v_xor_b32_e32 v34, s17, v34
	v_cmp_gt_i32_e64 s17, 0, v36
	v_not_b32_e32 v36, v37
	v_xor_b32_e32 v105, s18, v105
	v_cmp_gt_i32_e64 s18, 0, v37
	v_and_b32_e32 v34, exec_lo, v34
	v_not_b32_e32 v37, v39
	v_ashrrev_i32_e32 v36, 31, v36
	s_wait_alu 0xf1ff
	v_xor_b32_e32 v35, s17, v35
	v_cmp_gt_i32_e64 s17, 0, v39
	v_and_b32_e32 v34, v34, v105
	v_not_b32_e32 v39, v40
	v_ashrrev_i32_e32 v37, 31, v37
	v_xor_b32_e32 v36, s18, v36
	v_cmp_gt_i32_e64 s18, 0, v40
	v_and_b32_e32 v34, v34, v35
	v_not_b32_e32 v35, v104
	v_ashrrev_i32_e32 v39, 31, v39
	s_wait_alu 0xf1ff
	v_xor_b32_e32 v37, s17, v37
	v_cmp_gt_i32_e64 s17, 0, v104
	v_and_b32_e32 v34, v34, v36
	v_not_b32_e32 v36, v38
	v_ashrrev_i32_e32 v35, 31, v35
	v_xor_b32_e32 v39, s18, v39
	v_cmp_gt_i32_e64 s18, 0, v38
	v_and_b32_e32 v34, v34, v37
	v_ashrrev_i32_e32 v36, 31, v36
	s_wait_alu 0xf1ff
	v_xor_b32_e32 v35, s17, v35
	v_lshl_add_u32 v106, v33, 6, v0
	v_and_b32_e32 v34, v34, v39
	v_xor_b32_e32 v33, s18, v36
	ds_load_b32 v104, v106 offset:64
	v_and_b32_e32 v34, v34, v35
	; wave barrier
	s_delay_alu instid0(VALU_DEP_1) | instskip(NEXT) | instid1(VALU_DEP_1)
	v_and_b32_e32 v33, v34, v33
	v_mbcnt_lo_u32_b32 v105, v33, 0
	v_cmp_ne_u32_e64 s18, 0, v33
	s_delay_alu instid0(VALU_DEP_2)
	v_cmp_eq_u32_e64 s17, 0, v105
	s_and_b32 s18, s18, s17
	s_wait_alu 0xfffe
	s_and_saveexec_b32 s17, s18
	s_cbranch_execz .LBB165_65
; %bb.64:
	s_wait_dscnt 0x0
	v_bcnt_u32_b32 v33, v33, v104
	ds_store_b32 v106, v33 offset:64
.LBB165_65:
	s_wait_alu 0xfffe
	s_or_b32 exec_lo, exec_lo, s17
	v_lshrrev_b16 v33, 8, v84
	; wave barrier
	s_delay_alu instid0(VALU_DEP_1) | instskip(NEXT) | instid1(VALU_DEP_1)
	v_and_b32_e32 v33, s19, v33
	v_and_b32_e32 v34, 1, v33
	v_lshlrev_b32_e32 v35, 30, v33
	v_lshlrev_b32_e32 v36, 29, v33
	;; [unrolled: 1-line block ×4, first 2 shown]
	v_add_co_u32 v34, s17, v34, -1
	s_wait_alu 0xf1ff
	v_cndmask_b32_e64 v38, 0, 1, s17
	v_not_b32_e32 v108, v35
	v_cmp_gt_i32_e64 s18, 0, v35
	v_not_b32_e32 v35, v36
	v_lshlrev_b32_e32 v40, 26, v33
	v_cmp_ne_u32_e64 s17, 0, v38
	v_ashrrev_i32_e32 v108, 31, v108
	v_lshlrev_b32_e32 v107, 25, v33
	v_ashrrev_i32_e32 v35, 31, v35
	v_lshlrev_b32_e32 v38, 24, v33
	s_wait_alu 0xf1ff
	v_xor_b32_e32 v34, s17, v34
	v_cmp_gt_i32_e64 s17, 0, v36
	v_not_b32_e32 v36, v37
	v_xor_b32_e32 v108, s18, v108
	v_cmp_gt_i32_e64 s18, 0, v37
	v_and_b32_e32 v34, exec_lo, v34
	v_not_b32_e32 v37, v39
	v_ashrrev_i32_e32 v36, 31, v36
	s_wait_alu 0xf1ff
	v_xor_b32_e32 v35, s17, v35
	v_cmp_gt_i32_e64 s17, 0, v39
	v_and_b32_e32 v34, v34, v108
	v_not_b32_e32 v39, v40
	v_ashrrev_i32_e32 v37, 31, v37
	v_xor_b32_e32 v36, s18, v36
	v_cmp_gt_i32_e64 s18, 0, v40
	v_and_b32_e32 v34, v34, v35
	v_not_b32_e32 v35, v107
	v_ashrrev_i32_e32 v39, 31, v39
	s_wait_alu 0xf1ff
	v_xor_b32_e32 v37, s17, v37
	v_cmp_gt_i32_e64 s17, 0, v107
	v_and_b32_e32 v34, v34, v36
	v_not_b32_e32 v36, v38
	v_ashrrev_i32_e32 v35, 31, v35
	v_xor_b32_e32 v39, s18, v39
	v_cmp_gt_i32_e64 s18, 0, v38
	v_and_b32_e32 v34, v34, v37
	v_ashrrev_i32_e32 v36, 31, v36
	s_wait_alu 0xf1ff
	v_xor_b32_e32 v35, s17, v35
	v_lshl_add_u32 v109, v33, 6, v0
	v_and_b32_e32 v34, v34, v39
	v_xor_b32_e32 v33, s18, v36
	ds_load_b32 v107, v109 offset:64
	v_and_b32_e32 v34, v34, v35
	; wave barrier
	s_delay_alu instid0(VALU_DEP_1) | instskip(NEXT) | instid1(VALU_DEP_1)
	v_and_b32_e32 v33, v34, v33
	v_mbcnt_lo_u32_b32 v108, v33, 0
	v_cmp_ne_u32_e64 s18, 0, v33
	s_delay_alu instid0(VALU_DEP_2)
	v_cmp_eq_u32_e64 s17, 0, v108
	s_and_b32 s18, s18, s17
	s_wait_alu 0xfffe
	s_and_saveexec_b32 s17, s18
	s_cbranch_execz .LBB165_67
; %bb.66:
	s_wait_dscnt 0x0
	v_bcnt_u32_b32 v33, v33, v107
	ds_store_b32 v109, v33 offset:64
.LBB165_67:
	s_wait_alu 0xfffe
	s_or_b32 exec_lo, exec_lo, s17
	v_lshrrev_b16 v33, 8, v85
	; wave barrier
	s_delay_alu instid0(VALU_DEP_1) | instskip(NEXT) | instid1(VALU_DEP_1)
	v_and_b32_e32 v33, s19, v33
	v_and_b32_e32 v34, 1, v33
	v_lshlrev_b32_e32 v35, 30, v33
	v_lshlrev_b32_e32 v36, 29, v33
	;; [unrolled: 1-line block ×4, first 2 shown]
	v_add_co_u32 v34, s17, v34, -1
	s_wait_alu 0xf1ff
	v_cndmask_b32_e64 v38, 0, 1, s17
	v_not_b32_e32 v111, v35
	v_cmp_gt_i32_e64 s18, 0, v35
	v_not_b32_e32 v35, v36
	v_lshlrev_b32_e32 v40, 26, v33
	v_cmp_ne_u32_e64 s17, 0, v38
	v_ashrrev_i32_e32 v111, 31, v111
	v_lshlrev_b32_e32 v110, 25, v33
	v_ashrrev_i32_e32 v35, 31, v35
	v_lshlrev_b32_e32 v38, 24, v33
	s_wait_alu 0xf1ff
	v_xor_b32_e32 v34, s17, v34
	v_cmp_gt_i32_e64 s17, 0, v36
	v_not_b32_e32 v36, v37
	v_xor_b32_e32 v111, s18, v111
	v_cmp_gt_i32_e64 s18, 0, v37
	v_and_b32_e32 v34, exec_lo, v34
	v_not_b32_e32 v37, v39
	v_ashrrev_i32_e32 v36, 31, v36
	s_wait_alu 0xf1ff
	v_xor_b32_e32 v35, s17, v35
	v_cmp_gt_i32_e64 s17, 0, v39
	v_and_b32_e32 v34, v34, v111
	v_not_b32_e32 v39, v40
	v_ashrrev_i32_e32 v37, 31, v37
	v_xor_b32_e32 v36, s18, v36
	v_cmp_gt_i32_e64 s18, 0, v40
	v_and_b32_e32 v34, v34, v35
	v_not_b32_e32 v35, v110
	v_ashrrev_i32_e32 v39, 31, v39
	s_wait_alu 0xf1ff
	v_xor_b32_e32 v37, s17, v37
	v_cmp_gt_i32_e64 s17, 0, v110
	v_and_b32_e32 v34, v34, v36
	v_not_b32_e32 v36, v38
	v_ashrrev_i32_e32 v35, 31, v35
	v_xor_b32_e32 v39, s18, v39
	v_cmp_gt_i32_e64 s18, 0, v38
	v_and_b32_e32 v34, v34, v37
	v_ashrrev_i32_e32 v36, 31, v36
	s_wait_alu 0xf1ff
	v_xor_b32_e32 v35, s17, v35
	v_lshl_add_u32 v111, v33, 6, v0
	v_and_b32_e32 v34, v34, v39
	v_xor_b32_e32 v33, s18, v36
	ds_load_b32 v0, v111 offset:64
	v_and_b32_e32 v34, v34, v35
	; wave barrier
	s_delay_alu instid0(VALU_DEP_1) | instskip(NEXT) | instid1(VALU_DEP_1)
	v_and_b32_e32 v33, v34, v33
	v_mbcnt_lo_u32_b32 v110, v33, 0
	v_cmp_ne_u32_e64 s18, 0, v33
	s_delay_alu instid0(VALU_DEP_2)
	v_cmp_eq_u32_e64 s17, 0, v110
	s_and_b32 s18, s18, s17
	s_wait_alu 0xfffe
	s_and_saveexec_b32 s17, s18
	s_cbranch_execz .LBB165_69
; %bb.68:
	s_wait_dscnt 0x0
	v_bcnt_u32_b32 v33, v33, v0
	ds_store_b32 v111, v33 offset:64
.LBB165_69:
	s_wait_alu 0xfffe
	s_or_b32 exec_lo, exec_lo, s17
	; wave barrier
	s_wait_loadcnt_dscnt 0x0
	s_barrier_signal -1
	s_barrier_wait -1
	global_inv scope:SCOPE_SE
	ds_load_b128 v[37:40], v67 offset:64
	ds_load_b128 v[33:36], v67 offset:80
	s_wait_dscnt 0x1
	v_add_nc_u32_e32 v112, v38, v37
	s_delay_alu instid0(VALU_DEP_1) | instskip(SKIP_1) | instid1(VALU_DEP_1)
	v_add3_u32 v112, v112, v39, v40
	s_wait_dscnt 0x0
	v_add3_u32 v112, v112, v33, v34
	s_delay_alu instid0(VALU_DEP_1) | instskip(NEXT) | instid1(VALU_DEP_1)
	v_add3_u32 v36, v112, v35, v36
	v_mov_b32_dpp v112, v36 row_shr:1 row_mask:0xf bank_mask:0xf
	s_delay_alu instid0(VALU_DEP_1) | instskip(NEXT) | instid1(VALU_DEP_1)
	v_cndmask_b32_e64 v112, v112, 0, vcc_lo
	v_add_nc_u32_e32 v36, v112, v36
	s_delay_alu instid0(VALU_DEP_1) | instskip(NEXT) | instid1(VALU_DEP_1)
	v_mov_b32_dpp v112, v36 row_shr:2 row_mask:0xf bank_mask:0xf
	v_cndmask_b32_e64 v112, 0, v112, s8
	s_delay_alu instid0(VALU_DEP_1) | instskip(NEXT) | instid1(VALU_DEP_1)
	v_add_nc_u32_e32 v36, v36, v112
	v_mov_b32_dpp v112, v36 row_shr:4 row_mask:0xf bank_mask:0xf
	s_delay_alu instid0(VALU_DEP_1) | instskip(NEXT) | instid1(VALU_DEP_1)
	v_cndmask_b32_e64 v112, 0, v112, s9
	v_add_nc_u32_e32 v36, v36, v112
	s_delay_alu instid0(VALU_DEP_1) | instskip(NEXT) | instid1(VALU_DEP_1)
	v_mov_b32_dpp v112, v36 row_shr:8 row_mask:0xf bank_mask:0xf
	v_cndmask_b32_e64 v112, 0, v112, s10
	s_delay_alu instid0(VALU_DEP_1) | instskip(SKIP_3) | instid1(VALU_DEP_1)
	v_add_nc_u32_e32 v36, v36, v112
	ds_swizzle_b32 v112, v36 offset:swizzle(BROADCAST,32,15)
	s_wait_dscnt 0x0
	v_cndmask_b32_e64 v112, v112, 0, s15
	v_add_nc_u32_e32 v36, v36, v112
	s_and_saveexec_b32 s15, s13
; %bb.70:
	ds_store_b32 v87, v36
; %bb.71:
	s_wait_alu 0xfffe
	s_or_b32 exec_lo, exec_lo, s15
	s_wait_loadcnt_dscnt 0x0
	s_barrier_signal -1
	s_barrier_wait -1
	global_inv scope:SCOPE_SE
	s_and_saveexec_b32 s13, s12
	s_cbranch_execz .LBB165_73
; %bb.72:
	ds_load_b32 v87, v86
	s_wait_dscnt 0x0
	v_mov_b32_dpp v112, v87 row_shr:1 row_mask:0xf bank_mask:0xf
	s_delay_alu instid0(VALU_DEP_1) | instskip(NEXT) | instid1(VALU_DEP_1)
	v_cndmask_b32_e64 v112, v112, 0, vcc_lo
	v_add_nc_u32_e32 v87, v112, v87
	s_delay_alu instid0(VALU_DEP_1) | instskip(NEXT) | instid1(VALU_DEP_1)
	v_mov_b32_dpp v112, v87 row_shr:2 row_mask:0xf bank_mask:0xf
	v_cndmask_b32_e64 v112, 0, v112, s8
	s_delay_alu instid0(VALU_DEP_1) | instskip(NEXT) | instid1(VALU_DEP_1)
	v_add_nc_u32_e32 v87, v87, v112
	v_mov_b32_dpp v112, v87 row_shr:4 row_mask:0xf bank_mask:0xf
	s_delay_alu instid0(VALU_DEP_1) | instskip(NEXT) | instid1(VALU_DEP_1)
	v_cndmask_b32_e64 v112, 0, v112, s9
	v_add_nc_u32_e32 v87, v87, v112
	s_delay_alu instid0(VALU_DEP_1) | instskip(NEXT) | instid1(VALU_DEP_1)
	v_mov_b32_dpp v112, v87 row_shr:8 row_mask:0xf bank_mask:0xf
	v_cndmask_b32_e64 v112, 0, v112, s10
	s_delay_alu instid0(VALU_DEP_1)
	v_add_nc_u32_e32 v87, v87, v112
	ds_store_b32 v86, v87
.LBB165_73:
	s_wait_alu 0xfffe
	s_or_b32 exec_lo, exec_lo, s13
	v_mov_b32_e32 v86, 0
	s_wait_loadcnt_dscnt 0x0
	s_barrier_signal -1
	s_barrier_wait -1
	global_inv scope:SCOPE_SE
	s_and_saveexec_b32 s8, s14
; %bb.74:
	ds_load_b32 v86, v88
; %bb.75:
	s_wait_alu 0xfffe
	s_or_b32 exec_lo, exec_lo, s8
	s_wait_dscnt 0x0
	v_add_nc_u32_e32 v36, v86, v36
	ds_bpermute_b32 v36, v89, v36
	s_wait_dscnt 0x0
	v_cndmask_b32_e64 v36, v36, v86, s11
	s_delay_alu instid0(VALU_DEP_1) | instskip(NEXT) | instid1(VALU_DEP_1)
	v_cndmask_b32_e64 v36, v36, 0, s16
	v_add_nc_u32_e32 v37, v36, v37
	s_delay_alu instid0(VALU_DEP_1) | instskip(NEXT) | instid1(VALU_DEP_1)
	v_add_nc_u32_e32 v38, v37, v38
	v_add_nc_u32_e32 v39, v38, v39
	s_delay_alu instid0(VALU_DEP_1) | instskip(NEXT) | instid1(VALU_DEP_1)
	v_add_nc_u32_e32 v86, v39, v40
	;; [unrolled: 3-line block ×3, first 2 shown]
	v_add_nc_u32_e32 v89, v88, v35
	ds_store_b128 v67, v[36:39] offset:64
	ds_store_b128 v67, v[86:89] offset:80
	s_wait_loadcnt_dscnt 0x0
	s_barrier_signal -1
	s_barrier_wait -1
	global_inv scope:SCOPE_SE
	ds_load_b32 v33, v111 offset:64
	ds_load_b32 v34, v109 offset:64
	;; [unrolled: 1-line block ×8, first 2 shown]
	v_lshlrev_b32_e32 v86, 1, v66
	s_wait_loadcnt_dscnt 0x0
	s_barrier_signal -1
	s_barrier_wait -1
	global_inv scope:SCOPE_SE
	v_mad_u32_u24 v87, v46, 48, v86
	v_add3_u32 v88, v110, v0, v33
	v_add3_u32 v89, v108, v107, v34
	;; [unrolled: 1-line block ×3, first 2 shown]
	v_add_nc_u32_e32 v90, v36, v90
	v_add3_u32 v92, v93, v92, v37
	v_add3_u32 v93, v96, v95, v38
	;; [unrolled: 1-line block ×4, first 2 shown]
	v_lshlrev_b32_e32 v0, 1, v90
	v_lshlrev_b32_e32 v33, 1, v92
	;; [unrolled: 1-line block ×8, first 2 shown]
	ds_store_b16 v0, v78
	ds_store_b16 v33, v79
	ds_store_b16 v34, v80
	ds_store_b16 v35, v81
	ds_store_b16 v36, v82
	ds_store_b16 v37, v83
	ds_store_b16 v38, v84
	ds_store_b16 v39, v85
	v_mad_co_u64_u32 v[78:79], null, v90, 6, v[0:1]
	v_mad_co_u64_u32 v[79:80], null, v92, 6, v[33:34]
	;; [unrolled: 1-line block ×5, first 2 shown]
	s_wait_loadcnt_dscnt 0x0
	s_barrier_signal -1
	s_barrier_wait -1
	global_inv scope:SCOPE_SE
	v_mad_co_u64_u32 v[83:84], null, v91, 6, v[37:38]
	ds_load_b128 v[33:36], v86
	v_mad_co_u64_u32 v[37:38], null, v89, 6, v[38:39]
	v_mad_co_u64_u32 v[38:39], null, v88, 6, v[39:40]
	s_wait_loadcnt_dscnt 0x0
	s_barrier_signal -1
	s_barrier_wait -1
	global_inv scope:SCOPE_SE
	ds_store_b64 v78, v[21:22]
	ds_store_b64 v79, v[23:24]
	ds_store_b64 v80, v[29:30]
	ds_store_b64 v81, v[31:32]
	ds_store_b64 v82, v[25:26]
	ds_store_b64 v83, v[27:28]
	ds_store_b64 v37, v[17:18]
	ds_store_b64 v38, v[19:20]
	s_wait_loadcnt_dscnt 0x0
	s_barrier_signal -1
	s_barrier_wait -1
	global_inv scope:SCOPE_SE
	ds_load_b128 v[29:32], v87
	ds_load_b128 v[25:28], v87 offset:16
	ds_load_b128 v[21:24], v87 offset:32
	;; [unrolled: 1-line block ×3, first 2 shown]
	v_xor_b32_e32 v0, 0x80008000, v33
	v_xor_b32_e32 v34, 0x80008000, v34
	;; [unrolled: 1-line block ×4, first 2 shown]
	s_branch .LBB165_128
.LBB165_76:
	v_lshlrev_b64_e32 v[1:2], 3, v[41:42]
	v_dual_mov_b32 v43, v42 :: v_dual_mov_b32 v10, v42
	v_dual_mov_b32 v9, v42 :: v_dual_mov_b32 v12, v42
	v_mov_b32_e32 v11, v42
	s_wait_alu 0xfffe
	s_delay_alu instid0(VALU_DEP_4)
	v_add_co_u32 v1, vcc_lo, s24, v1
	s_wait_alu 0xfffd
	v_add_co_ci_u32_e64 v2, null, s25, v2, vcc_lo
	v_dual_mov_b32 v3, v42 :: v_dual_mov_b32 v6, v42
	v_dual_mov_b32 v5, v42 :: v_dual_mov_b32 v8, v42
	global_load_b64 v[13:14], v[1:2], off
	v_dual_mov_b32 v1, v42 :: v_dual_mov_b32 v4, v42
	v_dual_mov_b32 v2, v42 :: v_dual_mov_b32 v7, v42
	s_or_b32 exec_lo, exec_lo, s9
	s_and_saveexec_b32 s9, s1
	s_cbranch_execz .LBB165_22
.LBB165_77:
	v_mul_lo_u32 v22, s28, v15
	v_mov_b32_e32 v23, 0
	s_delay_alu instid0(VALU_DEP_1) | instskip(SKIP_1) | instid1(VALU_DEP_1)
	v_lshlrev_b64_e32 v[22:23], 3, v[22:23]
	s_wait_alu 0xfffe
	v_add_co_u32 v22, vcc_lo, s24, v22
	s_wait_alu 0xfffd
	s_delay_alu instid0(VALU_DEP_2)
	v_add_co_ci_u32_e64 v23, null, s25, v23, vcc_lo
	global_load_b64 v[42:43], v[22:23], off
	s_or_b32 exec_lo, exec_lo, s9
	s_and_saveexec_b32 s9, s2
	s_cbranch_execz .LBB165_23
.LBB165_78:
	v_mul_lo_u32 v9, s28, v16
	v_mov_b32_e32 v10, 0
	s_delay_alu instid0(VALU_DEP_1) | instskip(SKIP_1) | instid1(VALU_DEP_1)
	v_lshlrev_b64_e32 v[9:10], 3, v[9:10]
	s_wait_alu 0xfffe
	v_add_co_u32 v9, vcc_lo, s24, v9
	s_wait_alu 0xfffd
	s_delay_alu instid0(VALU_DEP_2)
	v_add_co_ci_u32_e64 v10, null, s25, v10, vcc_lo
	global_load_b64 v[9:10], v[9:10], off
	s_or_b32 exec_lo, exec_lo, s9
	s_and_saveexec_b32 s9, s3
	s_cbranch_execz .LBB165_24
.LBB165_79:
	v_mul_lo_u32 v11, s28, v17
	v_mov_b32_e32 v12, 0
	s_delay_alu instid0(VALU_DEP_1) | instskip(SKIP_1) | instid1(VALU_DEP_1)
	v_lshlrev_b64_e32 v[11:12], 3, v[11:12]
	s_wait_alu 0xfffe
	v_add_co_u32 v11, vcc_lo, s24, v11
	s_wait_alu 0xfffd
	s_delay_alu instid0(VALU_DEP_2)
	v_add_co_ci_u32_e64 v12, null, s25, v12, vcc_lo
	global_load_b64 v[11:12], v[11:12], off
	s_or_b32 exec_lo, exec_lo, s9
	s_and_saveexec_b32 s9, s4
	s_cbranch_execz .LBB165_25
.LBB165_80:
	v_mul_lo_u32 v1, s28, v18
	v_mov_b32_e32 v2, 0
	s_delay_alu instid0(VALU_DEP_1) | instskip(SKIP_1) | instid1(VALU_DEP_1)
	v_lshlrev_b64_e32 v[1:2], 3, v[1:2]
	s_wait_alu 0xfffe
	v_add_co_u32 v1, vcc_lo, s24, v1
	s_wait_alu 0xfffd
	s_delay_alu instid0(VALU_DEP_2)
	v_add_co_ci_u32_e64 v2, null, s25, v2, vcc_lo
	global_load_b64 v[1:2], v[1:2], off
	s_or_b32 exec_lo, exec_lo, s9
	s_and_saveexec_b32 s9, s5
	s_cbranch_execz .LBB165_26
.LBB165_81:
	v_mul_lo_u32 v3, s28, v19
	v_mov_b32_e32 v4, 0
	s_delay_alu instid0(VALU_DEP_1) | instskip(SKIP_1) | instid1(VALU_DEP_1)
	v_lshlrev_b64_e32 v[3:4], 3, v[3:4]
	s_wait_alu 0xfffe
	v_add_co_u32 v3, vcc_lo, s24, v3
	s_wait_alu 0xfffd
	s_delay_alu instid0(VALU_DEP_2)
	v_add_co_ci_u32_e64 v4, null, s25, v4, vcc_lo
	global_load_b64 v[3:4], v[3:4], off
	s_or_b32 exec_lo, exec_lo, s9
	s_and_saveexec_b32 s9, s6
	s_cbranch_execnz .LBB165_27
	s_branch .LBB165_28
.LBB165_82:
                                        ; implicit-def: $vgpr33
                                        ; implicit-def: $vgpr34
                                        ; implicit-def: $vgpr0
                                        ; implicit-def: $vgpr19_vgpr20
                                        ; implicit-def: $vgpr23_vgpr24
                                        ; implicit-def: $vgpr27_vgpr28
                                        ; implicit-def: $vgpr31_vgpr32
                                        ; implicit-def: $vgpr35
	s_and_b32 vcc_lo, exec_lo, s8
	s_wait_alu 0xfffe
	s_cbranch_vccz .LBB165_128
; %bb.83:
	s_wait_dscnt 0x0
	v_xor_b32_e32 v17, 0x7fff7fff, v49
	v_xor_b32_e32 v18, 0x7fff7fff, v50
	;; [unrolled: 1-line block ×4, first 2 shown]
	s_getpc_b64 s[8:9]
	s_sext_i32_i16 s9, s9
	s_add_co_u32 s8, s8, _ZN7rocprim17ROCPRIM_400000_NS16block_radix_sortIsLj512ELj8ElLj1ELj1ELj0ELNS0_26block_radix_rank_algorithmE1ELNS0_18block_padding_hintE2ELNS0_4arch9wavefront6targetE0EE19radix_bits_per_passE@rel32@lo+8
	s_add_co_ci_u32 s9, s9, _ZN7rocprim17ROCPRIM_400000_NS16block_radix_sortIsLj512ELj8ElLj1ELj1ELj0ELNS0_26block_radix_rank_algorithmE1ELNS0_18block_padding_hintE2ELNS0_4arch9wavefront6targetE0EE19radix_bits_per_passE@rel32@hi+16
	s_mov_b32 s12, 0
	s_load_b32 s17, s[8:9], 0x0
	s_mov_b32 s13, s12
	ds_store_b128 v77, v[17:20]
	; wave barrier
	ds_load_u16 v25, v68
	s_mov_b32 s14, s12
	s_mov_b32 s15, s12
	v_mad_u32_u24 v0, v76, 6, v77
	ds_load_u16 v26, v68 offset:64
	ds_load_u16 v27, v68 offset:128
	;; [unrolled: 1-line block ×7, first 2 shown]
	s_wait_loadcnt_dscnt 0x0
	s_barrier_signal -1
	s_barrier_wait -1
	global_inv scope:SCOPE_SE
	ds_store_b128 v0, v[5:8]
	ds_store_b128 v0, v[1:4] offset:16
	ds_store_b128 v0, v[13:16] offset:32
	;; [unrolled: 1-line block ×3, first 2 shown]
	; wave barrier
	ds_load_2addr_b64 v[4:7], v75 offset1:32
	ds_load_2addr_b64 v[0:3], v75 offset0:64 offset1:96
	ds_load_2addr_b64 v[12:15], v75 offset0:128 offset1:160
	;; [unrolled: 1-line block ×3, first 2 shown]
	s_wait_kmcnt 0x0
	s_min_u32 s8, s17, 16
	s_wait_loadcnt_dscnt 0x0
	s_lshl_b32 s8, -1, s8
	s_barrier_signal -1
	s_not_b32 s9, s8
	v_and_b32_e32 v17, 0xffff, v25
	s_barrier_wait -1
	global_inv scope:SCOPE_SE
	s_load_b32 s10, s[34:35], 0xc
	v_and_b32_e32 v23, s9, v17
	s_delay_alu instid0(VALU_DEP_1) | instskip(SKIP_3) | instid1(VALU_DEP_4)
	v_and_b32_e32 v16, 1, v23
	v_lshlrev_b32_e32 v17, 30, v23
	v_lshlrev_b32_e32 v20, 28, v23
	;; [unrolled: 1-line block ×3, first 2 shown]
	v_add_co_u32 v16, s8, v16, -1
	s_wait_alu 0xf1ff
	v_cndmask_b32_e64 v18, 0, 1, s8
	v_not_b32_e32 v19, v17
	v_cmp_gt_i32_e64 s8, 0, v17
	s_delay_alu instid0(VALU_DEP_3) | instskip(SKIP_1) | instid1(VALU_DEP_4)
	v_cmp_ne_u32_e32 vcc_lo, 0, v18
	v_lshlrev_b32_e32 v18, 29, v23
	v_ashrrev_i32_e32 v17, 31, v19
	s_wait_alu 0xfffd
	v_xor_b32_e32 v16, vcc_lo, v16
	s_delay_alu instid0(VALU_DEP_3)
	v_not_b32_e32 v19, v18
	s_wait_alu 0xf1ff
	v_xor_b32_e32 v17, s8, v17
	v_cmp_gt_i32_e32 vcc_lo, 0, v18
	s_wait_kmcnt 0x0
	s_lshr_b32 s8, s10, 16
	v_and_b32_e32 v16, exec_lo, v16
	v_ashrrev_i32_e32 v18, 31, v19
	v_not_b32_e32 v19, v20
	s_and_b32 s10, s10, 0xffff
	s_delay_alu instid0(VALU_DEP_3)
	v_and_b32_e32 v16, v16, v17
	s_wait_alu 0xfffd
	v_xor_b32_e32 v17, vcc_lo, v18
	v_cmp_gt_i32_e32 vcc_lo, 0, v20
	v_ashrrev_i32_e32 v18, 31, v19
	v_not_b32_e32 v19, v21
	s_delay_alu instid0(VALU_DEP_4)
	v_and_b32_e32 v16, v16, v17
	v_lshlrev_b32_e32 v17, 26, v23
	s_wait_alu 0xfffd
	v_xor_b32_e32 v18, vcc_lo, v18
	v_cmp_gt_i32_e32 vcc_lo, 0, v21
	v_ashrrev_i32_e32 v19, 31, v19
	v_not_b32_e32 v20, v17
	s_delay_alu instid0(VALU_DEP_4)
	v_and_b32_e32 v16, v16, v18
	v_lshlrev_b32_e32 v18, 25, v23
	;; [unrolled: 8-line block ×3, first 2 shown]
	s_wait_alu 0xfffd
	v_xor_b32_e32 v17, vcc_lo, v17
	v_cmp_gt_i32_e32 vcc_lo, 0, v18
	v_ashrrev_i32_e32 v18, 31, v20
	s_wait_alu 0xfffe
	v_mad_u32_u24 v20, v74, s8, v73
	v_not_b32_e32 v21, v19
	v_and_b32_e32 v16, v16, v17
	s_wait_alu 0xfffd
	v_xor_b32_e32 v17, vcc_lo, v18
	v_cmp_gt_i32_e32 vcc_lo, 0, v19
	v_ashrrev_i32_e32 v18, 31, v21
	v_mad_co_u64_u32 v[21:22], null, v20, s10, v[46:47]
	s_delay_alu instid0(VALU_DEP_4) | instskip(SKIP_1) | instid1(VALU_DEP_3)
	v_and_b32_e32 v16, v16, v17
	s_wait_alu 0xfffd
	v_xor_b32_e32 v22, vcc_lo, v18
	v_dual_mov_b32 v20, s15 :: v_dual_mov_b32 v19, s14
	v_dual_mov_b32 v18, s13 :: v_dual_mov_b32 v17, s12
	s_delay_alu instid0(VALU_DEP_3)
	v_and_b32_e32 v16, v16, v22
	v_lshrrev_b32_e32 v21, 5, v21
	ds_store_b128 v67, v[17:20] offset:64
	ds_store_b128 v67, v[17:20] offset:80
	v_mbcnt_lo_u32_b32 v37, v16, 0
	v_lshlrev_b32_e32 v24, 2, v21
	v_lshlrev_b32_e32 v17, 6, v23
	v_cmp_ne_u32_e64 s8, 0, v16
	s_wait_loadcnt_dscnt 0x0
	v_cmp_eq_u32_e32 vcc_lo, 0, v37
	s_barrier_signal -1
	v_add_nc_u32_e32 v38, v24, v17
	s_barrier_wait -1
	global_inv scope:SCOPE_SE
	s_and_b32 s10, s8, vcc_lo
	; wave barrier
	s_wait_alu 0xfffe
	s_and_saveexec_b32 s8, s10
; %bb.84:
	v_bcnt_u32_b32 v16, v16, 0
	ds_store_b32 v38, v16 offset:64
; %bb.85:
	s_wait_alu 0xfffe
	s_or_b32 exec_lo, exec_lo, s8
	v_and_b32_e32 v16, 0xffff, v26
	; wave barrier
	s_delay_alu instid0(VALU_DEP_1) | instskip(NEXT) | instid1(VALU_DEP_1)
	v_and_b32_e32 v16, s9, v16
	v_and_b32_e32 v17, 1, v16
	v_lshlrev_b32_e32 v18, 30, v16
	v_lshlrev_b32_e32 v19, 29, v16
	v_lshlrev_b32_e32 v20, 28, v16
	v_lshlrev_b32_e32 v22, 27, v16
	v_add_co_u32 v17, s8, v17, -1
	s_wait_alu 0xf1ff
	v_cndmask_b32_e64 v21, 0, 1, s8
	v_not_b32_e32 v34, v18
	v_cmp_gt_i32_e64 s8, 0, v18
	v_not_b32_e32 v18, v19
	v_lshlrev_b32_e32 v23, 26, v16
	v_cmp_ne_u32_e32 vcc_lo, 0, v21
	v_ashrrev_i32_e32 v34, 31, v34
	v_lshlrev_b32_e32 v33, 25, v16
	v_ashrrev_i32_e32 v18, 31, v18
	v_lshlrev_b32_e32 v21, 24, v16
	s_wait_alu 0xfffd
	v_xor_b32_e32 v17, vcc_lo, v17
	v_cmp_gt_i32_e32 vcc_lo, 0, v19
	v_not_b32_e32 v19, v20
	s_wait_alu 0xf1ff
	v_xor_b32_e32 v34, s8, v34
	v_cmp_gt_i32_e64 s8, 0, v20
	v_and_b32_e32 v17, exec_lo, v17
	v_not_b32_e32 v20, v22
	v_ashrrev_i32_e32 v19, 31, v19
	s_wait_alu 0xfffd
	v_xor_b32_e32 v18, vcc_lo, v18
	v_cmp_gt_i32_e32 vcc_lo, 0, v22
	v_and_b32_e32 v17, v17, v34
	v_not_b32_e32 v22, v23
	v_ashrrev_i32_e32 v20, 31, v20
	s_wait_alu 0xf1ff
	v_xor_b32_e32 v19, s8, v19
	v_cmp_gt_i32_e64 s8, 0, v23
	v_and_b32_e32 v17, v17, v18
	v_not_b32_e32 v18, v33
	v_ashrrev_i32_e32 v22, 31, v22
	s_wait_alu 0xfffd
	v_xor_b32_e32 v20, vcc_lo, v20
	v_cmp_gt_i32_e32 vcc_lo, 0, v33
	v_and_b32_e32 v17, v17, v19
	v_not_b32_e32 v19, v21
	v_ashrrev_i32_e32 v18, 31, v18
	s_wait_alu 0xf1ff
	v_xor_b32_e32 v22, s8, v22
	v_lshlrev_b32_e32 v16, 6, v16
	v_and_b32_e32 v17, v17, v20
	v_cmp_gt_i32_e64 s8, 0, v21
	v_ashrrev_i32_e32 v19, 31, v19
	s_wait_alu 0xfffd
	v_xor_b32_e32 v18, vcc_lo, v18
	v_add_nc_u32_e32 v47, v24, v16
	v_and_b32_e32 v17, v17, v22
	s_wait_alu 0xf1ff
	v_xor_b32_e32 v16, s8, v19
	ds_load_b32 v39, v47 offset:64
	v_and_b32_e32 v17, v17, v18
	; wave barrier
	s_delay_alu instid0(VALU_DEP_1) | instskip(NEXT) | instid1(VALU_DEP_1)
	v_and_b32_e32 v16, v17, v16
	v_mbcnt_lo_u32_b32 v40, v16, 0
	v_cmp_ne_u32_e64 s8, 0, v16
	s_delay_alu instid0(VALU_DEP_2)
	v_cmp_eq_u32_e32 vcc_lo, 0, v40
	s_and_b32 s10, s8, vcc_lo
	s_wait_alu 0xfffe
	s_and_saveexec_b32 s8, s10
	s_cbranch_execz .LBB165_87
; %bb.86:
	s_wait_dscnt 0x0
	v_bcnt_u32_b32 v16, v16, v39
	ds_store_b32 v47, v16 offset:64
.LBB165_87:
	s_wait_alu 0xfffe
	s_or_b32 exec_lo, exec_lo, s8
	v_and_b32_e32 v16, 0xffff, v27
	; wave barrier
	s_delay_alu instid0(VALU_DEP_1) | instskip(NEXT) | instid1(VALU_DEP_1)
	v_and_b32_e32 v16, s9, v16
	v_and_b32_e32 v17, 1, v16
	v_lshlrev_b32_e32 v18, 30, v16
	v_lshlrev_b32_e32 v19, 29, v16
	v_lshlrev_b32_e32 v20, 28, v16
	v_lshlrev_b32_e32 v22, 27, v16
	v_add_co_u32 v17, s8, v17, -1
	s_wait_alu 0xf1ff
	v_cndmask_b32_e64 v21, 0, 1, s8
	v_not_b32_e32 v34, v18
	v_cmp_gt_i32_e64 s8, 0, v18
	v_not_b32_e32 v18, v19
	v_lshlrev_b32_e32 v23, 26, v16
	v_cmp_ne_u32_e32 vcc_lo, 0, v21
	v_ashrrev_i32_e32 v34, 31, v34
	v_lshlrev_b32_e32 v33, 25, v16
	v_ashrrev_i32_e32 v18, 31, v18
	v_lshlrev_b32_e32 v21, 24, v16
	s_wait_alu 0xfffd
	v_xor_b32_e32 v17, vcc_lo, v17
	v_cmp_gt_i32_e32 vcc_lo, 0, v19
	v_not_b32_e32 v19, v20
	s_wait_alu 0xf1ff
	v_xor_b32_e32 v34, s8, v34
	v_cmp_gt_i32_e64 s8, 0, v20
	v_and_b32_e32 v17, exec_lo, v17
	v_not_b32_e32 v20, v22
	v_ashrrev_i32_e32 v19, 31, v19
	s_wait_alu 0xfffd
	v_xor_b32_e32 v18, vcc_lo, v18
	v_cmp_gt_i32_e32 vcc_lo, 0, v22
	v_and_b32_e32 v17, v17, v34
	v_not_b32_e32 v22, v23
	v_ashrrev_i32_e32 v20, 31, v20
	s_wait_alu 0xf1ff
	v_xor_b32_e32 v19, s8, v19
	v_cmp_gt_i32_e64 s8, 0, v23
	v_and_b32_e32 v17, v17, v18
	v_not_b32_e32 v18, v33
	v_ashrrev_i32_e32 v22, 31, v22
	s_wait_alu 0xfffd
	v_xor_b32_e32 v20, vcc_lo, v20
	v_cmp_gt_i32_e32 vcc_lo, 0, v33
	v_and_b32_e32 v17, v17, v19
	v_not_b32_e32 v19, v21
	v_ashrrev_i32_e32 v18, 31, v18
	s_wait_alu 0xf1ff
	v_xor_b32_e32 v22, s8, v22
	v_lshlrev_b32_e32 v16, 6, v16
	v_and_b32_e32 v17, v17, v20
	v_cmp_gt_i32_e64 s8, 0, v21
	v_ashrrev_i32_e32 v19, 31, v19
	s_wait_alu 0xfffd
	v_xor_b32_e32 v18, vcc_lo, v18
	v_add_nc_u32_e32 v50, v24, v16
	v_and_b32_e32 v17, v17, v22
	s_wait_alu 0xf1ff
	v_xor_b32_e32 v16, s8, v19
	ds_load_b32 v48, v50 offset:64
	v_and_b32_e32 v17, v17, v18
	; wave barrier
	s_delay_alu instid0(VALU_DEP_1) | instskip(NEXT) | instid1(VALU_DEP_1)
	v_and_b32_e32 v16, v17, v16
	v_mbcnt_lo_u32_b32 v49, v16, 0
	v_cmp_ne_u32_e64 s8, 0, v16
	s_delay_alu instid0(VALU_DEP_2)
	v_cmp_eq_u32_e32 vcc_lo, 0, v49
	s_and_b32 s10, s8, vcc_lo
	s_wait_alu 0xfffe
	s_and_saveexec_b32 s8, s10
	s_cbranch_execz .LBB165_89
; %bb.88:
	s_wait_dscnt 0x0
	v_bcnt_u32_b32 v16, v16, v48
	ds_store_b32 v50, v16 offset:64
.LBB165_89:
	s_wait_alu 0xfffe
	s_or_b32 exec_lo, exec_lo, s8
	v_and_b32_e32 v16, 0xffff, v28
	; wave barrier
	s_delay_alu instid0(VALU_DEP_1) | instskip(NEXT) | instid1(VALU_DEP_1)
	v_and_b32_e32 v16, s9, v16
	v_and_b32_e32 v17, 1, v16
	v_lshlrev_b32_e32 v18, 30, v16
	v_lshlrev_b32_e32 v19, 29, v16
	;; [unrolled: 1-line block ×4, first 2 shown]
	v_add_co_u32 v17, s8, v17, -1
	s_wait_alu 0xf1ff
	v_cndmask_b32_e64 v21, 0, 1, s8
	v_not_b32_e32 v34, v18
	v_cmp_gt_i32_e64 s8, 0, v18
	v_not_b32_e32 v18, v19
	v_lshlrev_b32_e32 v23, 26, v16
	v_cmp_ne_u32_e32 vcc_lo, 0, v21
	v_ashrrev_i32_e32 v34, 31, v34
	v_lshlrev_b32_e32 v33, 25, v16
	v_ashrrev_i32_e32 v18, 31, v18
	v_lshlrev_b32_e32 v21, 24, v16
	s_wait_alu 0xfffd
	v_xor_b32_e32 v17, vcc_lo, v17
	v_cmp_gt_i32_e32 vcc_lo, 0, v19
	v_not_b32_e32 v19, v20
	s_wait_alu 0xf1ff
	v_xor_b32_e32 v34, s8, v34
	v_cmp_gt_i32_e64 s8, 0, v20
	v_and_b32_e32 v17, exec_lo, v17
	v_not_b32_e32 v20, v22
	v_ashrrev_i32_e32 v19, 31, v19
	s_wait_alu 0xfffd
	v_xor_b32_e32 v18, vcc_lo, v18
	v_cmp_gt_i32_e32 vcc_lo, 0, v22
	v_and_b32_e32 v17, v17, v34
	v_not_b32_e32 v22, v23
	v_ashrrev_i32_e32 v20, 31, v20
	s_wait_alu 0xf1ff
	v_xor_b32_e32 v19, s8, v19
	v_cmp_gt_i32_e64 s8, 0, v23
	v_and_b32_e32 v17, v17, v18
	v_not_b32_e32 v18, v33
	v_ashrrev_i32_e32 v22, 31, v22
	s_wait_alu 0xfffd
	v_xor_b32_e32 v20, vcc_lo, v20
	v_cmp_gt_i32_e32 vcc_lo, 0, v33
	v_and_b32_e32 v17, v17, v19
	v_not_b32_e32 v19, v21
	v_ashrrev_i32_e32 v18, 31, v18
	s_wait_alu 0xf1ff
	v_xor_b32_e32 v22, s8, v22
	v_lshlrev_b32_e32 v16, 6, v16
	v_and_b32_e32 v17, v17, v20
	v_cmp_gt_i32_e64 s8, 0, v21
	v_ashrrev_i32_e32 v19, 31, v19
	s_wait_alu 0xfffd
	v_xor_b32_e32 v18, vcc_lo, v18
	v_add_nc_u32_e32 v75, v24, v16
	v_and_b32_e32 v17, v17, v22
	s_wait_alu 0xf1ff
	v_xor_b32_e32 v16, s8, v19
	ds_load_b32 v73, v75 offset:64
	v_and_b32_e32 v17, v17, v18
	; wave barrier
	s_delay_alu instid0(VALU_DEP_1) | instskip(NEXT) | instid1(VALU_DEP_1)
	v_and_b32_e32 v16, v17, v16
	v_mbcnt_lo_u32_b32 v74, v16, 0
	v_cmp_ne_u32_e64 s8, 0, v16
	s_delay_alu instid0(VALU_DEP_2)
	v_cmp_eq_u32_e32 vcc_lo, 0, v74
	s_and_b32 s10, s8, vcc_lo
	s_wait_alu 0xfffe
	s_and_saveexec_b32 s8, s10
	s_cbranch_execz .LBB165_91
; %bb.90:
	s_wait_dscnt 0x0
	v_bcnt_u32_b32 v16, v16, v73
	ds_store_b32 v75, v16 offset:64
.LBB165_91:
	s_wait_alu 0xfffe
	s_or_b32 exec_lo, exec_lo, s8
	v_and_b32_e32 v16, 0xffff, v29
	; wave barrier
	s_delay_alu instid0(VALU_DEP_1) | instskip(NEXT) | instid1(VALU_DEP_1)
	v_and_b32_e32 v16, s9, v16
	v_and_b32_e32 v17, 1, v16
	v_lshlrev_b32_e32 v18, 30, v16
	v_lshlrev_b32_e32 v19, 29, v16
	;; [unrolled: 1-line block ×4, first 2 shown]
	v_add_co_u32 v17, s8, v17, -1
	s_wait_alu 0xf1ff
	v_cndmask_b32_e64 v21, 0, 1, s8
	v_not_b32_e32 v34, v18
	v_cmp_gt_i32_e64 s8, 0, v18
	v_not_b32_e32 v18, v19
	v_lshlrev_b32_e32 v23, 26, v16
	v_cmp_ne_u32_e32 vcc_lo, 0, v21
	v_ashrrev_i32_e32 v34, 31, v34
	v_lshlrev_b32_e32 v33, 25, v16
	v_ashrrev_i32_e32 v18, 31, v18
	v_lshlrev_b32_e32 v21, 24, v16
	s_wait_alu 0xfffd
	v_xor_b32_e32 v17, vcc_lo, v17
	v_cmp_gt_i32_e32 vcc_lo, 0, v19
	v_not_b32_e32 v19, v20
	s_wait_alu 0xf1ff
	v_xor_b32_e32 v34, s8, v34
	v_cmp_gt_i32_e64 s8, 0, v20
	v_and_b32_e32 v17, exec_lo, v17
	v_not_b32_e32 v20, v22
	v_ashrrev_i32_e32 v19, 31, v19
	s_wait_alu 0xfffd
	v_xor_b32_e32 v18, vcc_lo, v18
	v_cmp_gt_i32_e32 vcc_lo, 0, v22
	v_and_b32_e32 v17, v17, v34
	v_not_b32_e32 v22, v23
	v_ashrrev_i32_e32 v20, 31, v20
	s_wait_alu 0xf1ff
	v_xor_b32_e32 v19, s8, v19
	v_cmp_gt_i32_e64 s8, 0, v23
	v_and_b32_e32 v17, v17, v18
	v_not_b32_e32 v18, v33
	v_ashrrev_i32_e32 v22, 31, v22
	s_wait_alu 0xfffd
	v_xor_b32_e32 v20, vcc_lo, v20
	v_cmp_gt_i32_e32 vcc_lo, 0, v33
	v_and_b32_e32 v17, v17, v19
	v_not_b32_e32 v19, v21
	v_ashrrev_i32_e32 v18, 31, v18
	s_wait_alu 0xf1ff
	v_xor_b32_e32 v22, s8, v22
	v_lshlrev_b32_e32 v16, 6, v16
	v_and_b32_e32 v17, v17, v20
	v_cmp_gt_i32_e64 s8, 0, v21
	v_ashrrev_i32_e32 v19, 31, v19
	s_wait_alu 0xfffd
	v_xor_b32_e32 v18, vcc_lo, v18
	v_add_nc_u32_e32 v78, v24, v16
	v_and_b32_e32 v17, v17, v22
	s_wait_alu 0xf1ff
	v_xor_b32_e32 v16, s8, v19
	ds_load_b32 v76, v78 offset:64
	v_and_b32_e32 v17, v17, v18
	; wave barrier
	s_delay_alu instid0(VALU_DEP_1) | instskip(NEXT) | instid1(VALU_DEP_1)
	v_and_b32_e32 v16, v17, v16
	v_mbcnt_lo_u32_b32 v77, v16, 0
	v_cmp_ne_u32_e64 s8, 0, v16
	s_delay_alu instid0(VALU_DEP_2)
	v_cmp_eq_u32_e32 vcc_lo, 0, v77
	s_and_b32 s10, s8, vcc_lo
	s_wait_alu 0xfffe
	s_and_saveexec_b32 s8, s10
	s_cbranch_execz .LBB165_93
; %bb.92:
	s_wait_dscnt 0x0
	v_bcnt_u32_b32 v16, v16, v76
	ds_store_b32 v78, v16 offset:64
.LBB165_93:
	s_wait_alu 0xfffe
	s_or_b32 exec_lo, exec_lo, s8
	v_and_b32_e32 v16, 0xffff, v30
	; wave barrier
	s_delay_alu instid0(VALU_DEP_1) | instskip(NEXT) | instid1(VALU_DEP_1)
	v_and_b32_e32 v16, s9, v16
	v_and_b32_e32 v17, 1, v16
	v_lshlrev_b32_e32 v18, 30, v16
	v_lshlrev_b32_e32 v19, 29, v16
	v_lshlrev_b32_e32 v20, 28, v16
	v_lshlrev_b32_e32 v22, 27, v16
	v_add_co_u32 v17, s8, v17, -1
	s_wait_alu 0xf1ff
	v_cndmask_b32_e64 v21, 0, 1, s8
	v_not_b32_e32 v34, v18
	v_cmp_gt_i32_e64 s8, 0, v18
	v_not_b32_e32 v18, v19
	v_lshlrev_b32_e32 v23, 26, v16
	v_cmp_ne_u32_e32 vcc_lo, 0, v21
	v_ashrrev_i32_e32 v34, 31, v34
	v_lshlrev_b32_e32 v33, 25, v16
	v_ashrrev_i32_e32 v18, 31, v18
	v_lshlrev_b32_e32 v21, 24, v16
	s_wait_alu 0xfffd
	v_xor_b32_e32 v17, vcc_lo, v17
	v_cmp_gt_i32_e32 vcc_lo, 0, v19
	v_not_b32_e32 v19, v20
	s_wait_alu 0xf1ff
	v_xor_b32_e32 v34, s8, v34
	v_cmp_gt_i32_e64 s8, 0, v20
	v_and_b32_e32 v17, exec_lo, v17
	v_not_b32_e32 v20, v22
	v_ashrrev_i32_e32 v19, 31, v19
	s_wait_alu 0xfffd
	v_xor_b32_e32 v18, vcc_lo, v18
	v_cmp_gt_i32_e32 vcc_lo, 0, v22
	v_and_b32_e32 v17, v17, v34
	v_not_b32_e32 v22, v23
	v_ashrrev_i32_e32 v20, 31, v20
	s_wait_alu 0xf1ff
	v_xor_b32_e32 v19, s8, v19
	v_cmp_gt_i32_e64 s8, 0, v23
	v_and_b32_e32 v17, v17, v18
	v_not_b32_e32 v18, v33
	v_ashrrev_i32_e32 v22, 31, v22
	s_wait_alu 0xfffd
	v_xor_b32_e32 v20, vcc_lo, v20
	v_cmp_gt_i32_e32 vcc_lo, 0, v33
	v_and_b32_e32 v17, v17, v19
	v_not_b32_e32 v19, v21
	v_ashrrev_i32_e32 v18, 31, v18
	s_wait_alu 0xf1ff
	v_xor_b32_e32 v22, s8, v22
	v_lshlrev_b32_e32 v16, 6, v16
	v_and_b32_e32 v17, v17, v20
	v_cmp_gt_i32_e64 s8, 0, v21
	v_ashrrev_i32_e32 v19, 31, v19
	s_wait_alu 0xfffd
	v_xor_b32_e32 v18, vcc_lo, v18
	v_add_nc_u32_e32 v81, v24, v16
	v_and_b32_e32 v17, v17, v22
	s_wait_alu 0xf1ff
	v_xor_b32_e32 v16, s8, v19
	ds_load_b32 v79, v81 offset:64
	v_and_b32_e32 v17, v17, v18
	; wave barrier
	s_delay_alu instid0(VALU_DEP_1) | instskip(NEXT) | instid1(VALU_DEP_1)
	v_and_b32_e32 v16, v17, v16
	v_mbcnt_lo_u32_b32 v80, v16, 0
	v_cmp_ne_u32_e64 s8, 0, v16
	s_delay_alu instid0(VALU_DEP_2)
	v_cmp_eq_u32_e32 vcc_lo, 0, v80
	s_and_b32 s10, s8, vcc_lo
	s_wait_alu 0xfffe
	s_and_saveexec_b32 s8, s10
	s_cbranch_execz .LBB165_95
; %bb.94:
	s_wait_dscnt 0x0
	v_bcnt_u32_b32 v16, v16, v79
	ds_store_b32 v81, v16 offset:64
.LBB165_95:
	s_wait_alu 0xfffe
	s_or_b32 exec_lo, exec_lo, s8
	v_and_b32_e32 v16, 0xffff, v31
	; wave barrier
	s_delay_alu instid0(VALU_DEP_1) | instskip(NEXT) | instid1(VALU_DEP_1)
	v_and_b32_e32 v16, s9, v16
	v_and_b32_e32 v17, 1, v16
	v_lshlrev_b32_e32 v18, 30, v16
	v_lshlrev_b32_e32 v19, 29, v16
	;; [unrolled: 1-line block ×4, first 2 shown]
	v_add_co_u32 v17, s8, v17, -1
	s_wait_alu 0xf1ff
	v_cndmask_b32_e64 v21, 0, 1, s8
	v_not_b32_e32 v34, v18
	v_cmp_gt_i32_e64 s8, 0, v18
	v_not_b32_e32 v18, v19
	v_lshlrev_b32_e32 v23, 26, v16
	v_cmp_ne_u32_e32 vcc_lo, 0, v21
	v_ashrrev_i32_e32 v34, 31, v34
	v_lshlrev_b32_e32 v33, 25, v16
	v_ashrrev_i32_e32 v18, 31, v18
	v_lshlrev_b32_e32 v21, 24, v16
	s_wait_alu 0xfffd
	v_xor_b32_e32 v17, vcc_lo, v17
	v_cmp_gt_i32_e32 vcc_lo, 0, v19
	v_not_b32_e32 v19, v20
	s_wait_alu 0xf1ff
	v_xor_b32_e32 v34, s8, v34
	v_cmp_gt_i32_e64 s8, 0, v20
	v_and_b32_e32 v17, exec_lo, v17
	v_not_b32_e32 v20, v22
	v_ashrrev_i32_e32 v19, 31, v19
	s_wait_alu 0xfffd
	v_xor_b32_e32 v18, vcc_lo, v18
	v_cmp_gt_i32_e32 vcc_lo, 0, v22
	v_and_b32_e32 v17, v17, v34
	v_not_b32_e32 v22, v23
	v_ashrrev_i32_e32 v20, 31, v20
	s_wait_alu 0xf1ff
	v_xor_b32_e32 v19, s8, v19
	v_cmp_gt_i32_e64 s8, 0, v23
	v_and_b32_e32 v17, v17, v18
	v_not_b32_e32 v18, v33
	v_ashrrev_i32_e32 v22, 31, v22
	s_wait_alu 0xfffd
	v_xor_b32_e32 v20, vcc_lo, v20
	v_cmp_gt_i32_e32 vcc_lo, 0, v33
	v_and_b32_e32 v17, v17, v19
	v_not_b32_e32 v19, v21
	v_ashrrev_i32_e32 v18, 31, v18
	s_wait_alu 0xf1ff
	v_xor_b32_e32 v22, s8, v22
	v_lshlrev_b32_e32 v16, 6, v16
	v_and_b32_e32 v17, v17, v20
	v_cmp_gt_i32_e64 s8, 0, v21
	v_ashrrev_i32_e32 v19, 31, v19
	s_wait_alu 0xfffd
	v_xor_b32_e32 v18, vcc_lo, v18
	v_add_nc_u32_e32 v84, v24, v16
	v_and_b32_e32 v17, v17, v22
	s_wait_alu 0xf1ff
	v_xor_b32_e32 v16, s8, v19
	ds_load_b32 v82, v84 offset:64
	v_and_b32_e32 v17, v17, v18
	; wave barrier
	s_delay_alu instid0(VALU_DEP_1) | instskip(NEXT) | instid1(VALU_DEP_1)
	v_and_b32_e32 v16, v17, v16
	v_mbcnt_lo_u32_b32 v83, v16, 0
	v_cmp_ne_u32_e64 s8, 0, v16
	s_delay_alu instid0(VALU_DEP_2)
	v_cmp_eq_u32_e32 vcc_lo, 0, v83
	s_and_b32 s10, s8, vcc_lo
	s_wait_alu 0xfffe
	s_and_saveexec_b32 s8, s10
	s_cbranch_execz .LBB165_97
; %bb.96:
	s_wait_dscnt 0x0
	v_bcnt_u32_b32 v16, v16, v82
	ds_store_b32 v84, v16 offset:64
.LBB165_97:
	s_wait_alu 0xfffe
	s_or_b32 exec_lo, exec_lo, s8
	v_and_b32_e32 v16, 0xffff, v32
	; wave barrier
	s_delay_alu instid0(VALU_DEP_1) | instskip(NEXT) | instid1(VALU_DEP_1)
	v_and_b32_e32 v16, s9, v16
	v_and_b32_e32 v17, 1, v16
	v_lshlrev_b32_e32 v18, 30, v16
	v_lshlrev_b32_e32 v19, 29, v16
	;; [unrolled: 1-line block ×4, first 2 shown]
	v_add_co_u32 v17, s8, v17, -1
	s_wait_alu 0xf1ff
	v_cndmask_b32_e64 v21, 0, 1, s8
	v_not_b32_e32 v34, v18
	v_cmp_gt_i32_e64 s8, 0, v18
	v_not_b32_e32 v18, v19
	v_lshlrev_b32_e32 v23, 26, v16
	v_cmp_ne_u32_e32 vcc_lo, 0, v21
	v_ashrrev_i32_e32 v34, 31, v34
	v_lshlrev_b32_e32 v33, 25, v16
	v_ashrrev_i32_e32 v18, 31, v18
	v_lshlrev_b32_e32 v21, 24, v16
	s_wait_alu 0xfffd
	v_xor_b32_e32 v17, vcc_lo, v17
	v_cmp_gt_i32_e32 vcc_lo, 0, v19
	v_not_b32_e32 v19, v20
	s_wait_alu 0xf1ff
	v_xor_b32_e32 v34, s8, v34
	v_cmp_gt_i32_e64 s8, 0, v20
	v_and_b32_e32 v17, exec_lo, v17
	v_not_b32_e32 v20, v22
	v_ashrrev_i32_e32 v19, 31, v19
	s_wait_alu 0xfffd
	v_xor_b32_e32 v18, vcc_lo, v18
	v_cmp_gt_i32_e32 vcc_lo, 0, v22
	v_and_b32_e32 v17, v17, v34
	v_not_b32_e32 v22, v23
	v_ashrrev_i32_e32 v20, 31, v20
	s_wait_alu 0xf1ff
	v_xor_b32_e32 v19, s8, v19
	v_cmp_gt_i32_e64 s8, 0, v23
	v_and_b32_e32 v17, v17, v18
	v_not_b32_e32 v18, v33
	v_ashrrev_i32_e32 v22, 31, v22
	s_wait_alu 0xfffd
	v_xor_b32_e32 v20, vcc_lo, v20
	v_cmp_gt_i32_e32 vcc_lo, 0, v33
	v_and_b32_e32 v17, v17, v19
	v_not_b32_e32 v19, v21
	v_ashrrev_i32_e32 v18, 31, v18
	s_wait_alu 0xf1ff
	v_xor_b32_e32 v22, s8, v22
	v_lshlrev_b32_e32 v16, 6, v16
	v_and_b32_e32 v17, v17, v20
	v_cmp_gt_i32_e64 s8, 0, v21
	v_ashrrev_i32_e32 v19, 31, v19
	s_wait_alu 0xfffd
	v_xor_b32_e32 v18, vcc_lo, v18
	v_add_nc_u32_e32 v87, v24, v16
	v_and_b32_e32 v17, v17, v22
	v_min_u32_e32 v33, 0x1e0, v72
	s_wait_alu 0xf1ff
	v_xor_b32_e32 v16, s8, v19
	ds_load_b32 v85, v87 offset:64
	v_and_b32_e32 v17, v17, v18
	; wave barrier
	s_delay_alu instid0(VALU_DEP_1) | instskip(NEXT) | instid1(VALU_DEP_1)
	v_and_b32_e32 v16, v17, v16
	v_mbcnt_lo_u32_b32 v86, v16, 0
	v_cmp_ne_u32_e64 s8, 0, v16
	s_delay_alu instid0(VALU_DEP_2)
	v_cmp_eq_u32_e32 vcc_lo, 0, v86
	s_and_b32 s9, s8, vcc_lo
	s_wait_alu 0xfffe
	s_and_saveexec_b32 s8, s9
	s_cbranch_execz .LBB165_99
; %bb.98:
	s_wait_dscnt 0x0
	v_bcnt_u32_b32 v16, v16, v85
	ds_store_b32 v87, v16 offset:64
.LBB165_99:
	s_wait_alu 0xfffe
	s_or_b32 exec_lo, exec_lo, s8
	; wave barrier
	s_wait_loadcnt_dscnt 0x0
	s_barrier_signal -1
	s_barrier_wait -1
	global_inv scope:SCOPE_SE
	ds_load_b128 v[20:23], v67 offset:64
	ds_load_b128 v[16:19], v67 offset:80
	v_and_b32_e32 v36, 16, v70
	v_or_b32_e32 v33, 31, v33
	s_delay_alu instid0(VALU_DEP_2) | instskip(NEXT) | instid1(VALU_DEP_2)
	v_cmp_eq_u32_e64 s15, 0, v36
	v_cmp_eq_u32_e64 s13, v46, v33
	s_wait_dscnt 0x1
	v_add_nc_u32_e32 v34, v21, v20
	s_delay_alu instid0(VALU_DEP_1) | instskip(SKIP_1) | instid1(VALU_DEP_1)
	v_add3_u32 v34, v34, v22, v23
	s_wait_dscnt 0x0
	v_add3_u32 v34, v34, v16, v17
	s_delay_alu instid0(VALU_DEP_1) | instskip(SKIP_1) | instid1(VALU_DEP_2)
	v_add3_u32 v19, v34, v18, v19
	v_and_b32_e32 v34, 15, v70
	v_mov_b32_dpp v35, v19 row_shr:1 row_mask:0xf bank_mask:0xf
	s_delay_alu instid0(VALU_DEP_2)
	v_cmp_eq_u32_e32 vcc_lo, 0, v34
	v_cmp_lt_u32_e64 s8, 1, v34
	v_cmp_lt_u32_e64 s9, 3, v34
	;; [unrolled: 1-line block ×3, first 2 shown]
	s_wait_alu 0xfffd
	v_cndmask_b32_e64 v35, v35, 0, vcc_lo
	s_delay_alu instid0(VALU_DEP_1) | instskip(NEXT) | instid1(VALU_DEP_1)
	v_add_nc_u32_e32 v19, v35, v19
	v_mov_b32_dpp v35, v19 row_shr:2 row_mask:0xf bank_mask:0xf
	s_wait_alu 0xf1ff
	s_delay_alu instid0(VALU_DEP_1) | instskip(NEXT) | instid1(VALU_DEP_1)
	v_cndmask_b32_e64 v35, 0, v35, s8
	v_add_nc_u32_e32 v19, v19, v35
	s_delay_alu instid0(VALU_DEP_1) | instskip(NEXT) | instid1(VALU_DEP_1)
	v_mov_b32_dpp v35, v19 row_shr:4 row_mask:0xf bank_mask:0xf
	v_cndmask_b32_e64 v35, 0, v35, s9
	s_delay_alu instid0(VALU_DEP_1) | instskip(NEXT) | instid1(VALU_DEP_1)
	v_add_nc_u32_e32 v19, v19, v35
	v_mov_b32_dpp v35, v19 row_shr:8 row_mask:0xf bank_mask:0xf
	s_delay_alu instid0(VALU_DEP_1) | instskip(NEXT) | instid1(VALU_DEP_1)
	v_cndmask_b32_e64 v34, 0, v35, s10
	v_add_nc_u32_e32 v35, v19, v34
	v_bfe_i32 v34, v70, 4, 1
	ds_swizzle_b32 v19, v35 offset:swizzle(BROADCAST,32,15)
	s_wait_dscnt 0x0
	v_and_b32_e32 v72, v34, v19
	v_mul_i32_i24_e32 v19, 0xffffffe4, v46
	v_lshlrev_b32_e32 v34, 2, v69
	s_delay_alu instid0(VALU_DEP_3)
	v_add_nc_u32_e32 v36, v35, v72
	s_and_saveexec_b32 s11, s13
; %bb.100:
	ds_store_b32 v34, v36
; %bb.101:
	s_wait_alu 0xfffe
	s_or_b32 exec_lo, exec_lo, s11
	v_cmp_gt_u32_e64 s12, 16, v46
	v_add_nc_u32_e32 v33, v67, v19
	s_wait_loadcnt_dscnt 0x0
	s_barrier_signal -1
	s_barrier_wait -1
	global_inv scope:SCOPE_SE
	s_and_saveexec_b32 s11, s12
	s_cbranch_execz .LBB165_103
; %bb.102:
	ds_load_b32 v19, v33
	s_wait_dscnt 0x0
	v_mov_b32_dpp v35, v19 row_shr:1 row_mask:0xf bank_mask:0xf
	s_delay_alu instid0(VALU_DEP_1) | instskip(NEXT) | instid1(VALU_DEP_1)
	v_cndmask_b32_e64 v35, v35, 0, vcc_lo
	v_add_nc_u32_e32 v19, v35, v19
	s_delay_alu instid0(VALU_DEP_1) | instskip(NEXT) | instid1(VALU_DEP_1)
	v_mov_b32_dpp v35, v19 row_shr:2 row_mask:0xf bank_mask:0xf
	v_cndmask_b32_e64 v35, 0, v35, s8
	s_delay_alu instid0(VALU_DEP_1) | instskip(NEXT) | instid1(VALU_DEP_1)
	v_add_nc_u32_e32 v19, v19, v35
	v_mov_b32_dpp v35, v19 row_shr:4 row_mask:0xf bank_mask:0xf
	s_delay_alu instid0(VALU_DEP_1) | instskip(NEXT) | instid1(VALU_DEP_1)
	v_cndmask_b32_e64 v35, 0, v35, s9
	v_add_nc_u32_e32 v19, v19, v35
	s_delay_alu instid0(VALU_DEP_1) | instskip(NEXT) | instid1(VALU_DEP_1)
	v_mov_b32_dpp v35, v19 row_shr:8 row_mask:0xf bank_mask:0xf
	v_cndmask_b32_e64 v35, 0, v35, s10
	s_delay_alu instid0(VALU_DEP_1)
	v_add_nc_u32_e32 v19, v19, v35
	ds_store_b32 v33, v19
.LBB165_103:
	s_wait_alu 0xfffe
	s_or_b32 exec_lo, exec_lo, s11
	v_sub_co_u32 v69, s11, v70, 1
	v_mul_u32_u24_e32 v19, 6, v71
	v_cmp_lt_u32_e64 s14, 31, v46
	v_add_nc_u32_e32 v35, -4, v34
	v_mov_b32_e32 v71, 0
	s_wait_loadcnt_dscnt 0x0
	s_barrier_signal -1
	s_barrier_wait -1
	global_inv scope:SCOPE_SE
	s_and_saveexec_b32 s16, s14
; %bb.104:
	ds_load_b32 v71, v35
; %bb.105:
	s_or_b32 exec_lo, exec_lo, s16
	v_cmp_gt_i32_e64 s16, 0, v69
	s_mov_b32 s20, 0
	s_min_u32 s17, s17, 8
	s_mov_b32 s21, s20
	s_mov_b32 s22, s20
	v_cndmask_b32_e64 v69, v69, v70, s16
	s_mov_b32 s23, s20
	s_wait_dscnt 0x0
	v_add_nc_u32_e32 v70, v71, v36
	v_cmp_eq_u32_e64 s16, 0, v46
	s_lshl_b32 s17, -1, s17
	v_lshlrev_b32_e32 v36, 2, v69
	s_wait_alu 0xfffe
	s_not_b32 s19, s17
	ds_bpermute_b32 v69, v36, v70
	s_wait_dscnt 0x0
	v_cndmask_b32_e64 v69, v69, v71, s11
	s_delay_alu instid0(VALU_DEP_1) | instskip(NEXT) | instid1(VALU_DEP_1)
	v_cndmask_b32_e64 v69, v69, 0, s16
	v_add_nc_u32_e32 v70, v69, v20
	s_delay_alu instid0(VALU_DEP_1) | instskip(NEXT) | instid1(VALU_DEP_1)
	v_add_nc_u32_e32 v71, v70, v21
	v_add_nc_u32_e32 v72, v71, v22
	s_delay_alu instid0(VALU_DEP_1) | instskip(NEXT) | instid1(VALU_DEP_1)
	v_add_nc_u32_e32 v20, v72, v23
	;; [unrolled: 3-line block ×3, first 2 shown]
	v_add_nc_u32_e32 v23, v22, v18
	ds_store_b128 v67, v[69:72] offset:64
	ds_store_b128 v67, v[20:23] offset:80
	s_wait_loadcnt_dscnt 0x0
	s_barrier_signal -1
	s_barrier_wait -1
	global_inv scope:SCOPE_SE
	ds_load_b32 v16, v38 offset:64
	ds_load_b32 v17, v47 offset:64
	;; [unrolled: 1-line block ×8, first 2 shown]
	v_add_nc_u32_e32 v47, v68, v19
	s_wait_loadcnt_dscnt 0x0
	s_barrier_signal -1
	s_barrier_wait -1
	global_inv scope:SCOPE_SE
	v_add_nc_u32_e32 v37, v16, v37
	v_add3_u32 v39, v40, v39, v17
	v_add3_u32 v40, v49, v48, v18
	;; [unrolled: 1-line block ×7, first 2 shown]
	v_lshlrev_b32_e32 v16, 1, v37
	v_lshlrev_b32_e32 v17, 1, v39
	;; [unrolled: 1-line block ×8, first 2 shown]
	ds_store_b16 v16, v25
	ds_store_b16 v17, v26
	;; [unrolled: 1-line block ×8, first 2 shown]
	s_wait_loadcnt_dscnt 0x0
	s_barrier_signal -1
	s_barrier_wait -1
	global_inv scope:SCOPE_SE
	ds_load_u16 v25, v68
	ds_load_u16 v26, v68 offset:64
	ds_load_u16 v27, v68 offset:128
	;; [unrolled: 1-line block ×7, first 2 shown]
	v_mad_co_u64_u32 v[37:38], null, v37, 6, v[16:17]
	v_mad_co_u64_u32 v[16:17], null, v39, 6, v[17:18]
	;; [unrolled: 1-line block ×3, first 2 shown]
	s_wait_loadcnt_dscnt 0x0
	s_barrier_signal -1
	s_barrier_wait -1
	global_inv scope:SCOPE_SE
	v_mad_co_u64_u32 v[18:19], null, v48, 6, v[19:20]
	v_lshrrev_b16 v38, 8, v25
	ds_store_b64 v37, v[4:5]
	v_mad_co_u64_u32 v[19:20], null, v49, 6, v[20:21]
	v_mad_co_u64_u32 v[20:21], null, v50, 6, v[21:22]
	v_and_b32_e32 v4, 0xffff, v38
	v_mad_co_u64_u32 v[21:22], null, v69, 6, v[22:23]
	v_mad_co_u64_u32 v[22:23], null, v70, 6, v[23:24]
	s_wait_alu 0xfffe
	s_delay_alu instid0(VALU_DEP_3)
	v_and_b32_e32 v23, s19, v4
	ds_store_b64 v16, v[6:7]
	ds_store_b64 v17, v[0:1]
	;; [unrolled: 1-line block ×7, first 2 shown]
	v_and_b32_e32 v0, 1, v23
	v_lshlrev_b32_e32 v1, 30, v23
	v_lshlrev_b32_e32 v2, 29, v23
	v_lshlrev_b32_e32 v3, 28, v23
	v_lshlrev_b32_e32 v5, 27, v23
	v_add_co_u32 v0, s17, v0, -1
	s_wait_alu 0xf1ff
	v_cndmask_b32_e64 v4, 0, 1, s17
	v_not_b32_e32 v8, v1
	v_cmp_gt_i32_e64 s18, 0, v1
	v_not_b32_e32 v1, v2
	v_lshlrev_b32_e32 v6, 26, v23
	v_cmp_ne_u32_e64 s17, 0, v4
	v_ashrrev_i32_e32 v8, 31, v8
	v_lshlrev_b32_e32 v7, 25, v23
	v_ashrrev_i32_e32 v1, 31, v1
	v_lshlrev_b32_e32 v4, 24, v23
	s_wait_alu 0xf1ff
	v_xor_b32_e32 v0, s17, v0
	v_cmp_gt_i32_e64 s17, 0, v2
	v_not_b32_e32 v2, v3
	v_xor_b32_e32 v8, s18, v8
	v_cmp_gt_i32_e64 s18, 0, v3
	v_and_b32_e32 v0, exec_lo, v0
	v_not_b32_e32 v3, v5
	v_ashrrev_i32_e32 v2, 31, v2
	s_wait_alu 0xf1ff
	v_xor_b32_e32 v1, s17, v1
	v_cmp_gt_i32_e64 s17, 0, v5
	v_and_b32_e32 v0, v0, v8
	v_not_b32_e32 v5, v6
	v_ashrrev_i32_e32 v3, 31, v3
	v_xor_b32_e32 v2, s18, v2
	v_cmp_gt_i32_e64 s18, 0, v6
	v_and_b32_e32 v0, v0, v1
	v_not_b32_e32 v1, v7
	v_ashrrev_i32_e32 v5, 31, v5
	s_wait_alu 0xf1ff
	v_xor_b32_e32 v3, s17, v3
	v_cmp_gt_i32_e64 s17, 0, v7
	v_and_b32_e32 v0, v0, v2
	v_not_b32_e32 v2, v4
	v_ashrrev_i32_e32 v1, 31, v1
	v_xor_b32_e32 v5, s18, v5
	v_cmp_gt_i32_e64 s18, 0, v4
	v_and_b32_e32 v0, v0, v3
	v_ashrrev_i32_e32 v2, 31, v2
	s_wait_alu 0xf1ff
	v_xor_b32_e32 v1, s17, v1
	s_wait_loadcnt_dscnt 0x0
	s_barrier_signal -1
	v_and_b32_e32 v0, v0, v5
	v_xor_b32_e32 v16, s18, v2
	s_barrier_wait -1
	global_inv scope:SCOPE_SE
	ds_load_2addr_b64 v[4:7], v47 offset1:32
	v_and_b32_e32 v21, v0, v1
	ds_load_2addr_b64 v[12:15], v47 offset0:64 offset1:96
	ds_load_2addr_b64 v[8:11], v47 offset0:128 offset1:160
	;; [unrolled: 1-line block ×3, first 2 shown]
	v_dual_mov_b32 v17, s20 :: v_dual_mov_b32 v18, s21
	v_dual_mov_b32 v19, s22 :: v_dual_and_b32 v16, v21, v16
	v_mov_b32_e32 v20, s23
	v_lshl_add_u32 v38, v23, 6, v24
	s_wait_loadcnt_dscnt 0x0
	s_barrier_signal -1
	v_mbcnt_lo_u32_b32 v37, v16, 0
	v_cmp_ne_u32_e64 s18, 0, v16
	s_barrier_wait -1
	global_inv scope:SCOPE_SE
	ds_store_b128 v67, v[17:20] offset:64
	ds_store_b128 v67, v[17:20] offset:80
	v_cmp_eq_u32_e64 s17, 0, v37
	s_wait_loadcnt_dscnt 0x0
	s_barrier_signal -1
	s_barrier_wait -1
	global_inv scope:SCOPE_SE
	s_and_b32 s18, s18, s17
	; wave barrier
	s_wait_alu 0xfffe
	s_and_saveexec_b32 s17, s18
; %bb.106:
	v_bcnt_u32_b32 v16, v16, 0
	ds_store_b32 v38, v16 offset:64
; %bb.107:
	s_wait_alu 0xfffe
	s_or_b32 exec_lo, exec_lo, s17
	v_lshrrev_b16 v16, 8, v26
	; wave barrier
	s_delay_alu instid0(VALU_DEP_1) | instskip(NEXT) | instid1(VALU_DEP_1)
	v_and_b32_e32 v16, s19, v16
	v_and_b32_e32 v17, 1, v16
	v_lshlrev_b32_e32 v18, 30, v16
	v_lshlrev_b32_e32 v19, 29, v16
	;; [unrolled: 1-line block ×4, first 2 shown]
	v_add_co_u32 v17, s17, v17, -1
	s_wait_alu 0xf1ff
	v_cndmask_b32_e64 v21, 0, 1, s17
	v_not_b32_e32 v40, v18
	v_cmp_gt_i32_e64 s18, 0, v18
	v_not_b32_e32 v18, v19
	v_lshlrev_b32_e32 v23, 26, v16
	v_cmp_ne_u32_e64 s17, 0, v21
	v_ashrrev_i32_e32 v40, 31, v40
	v_lshlrev_b32_e32 v39, 25, v16
	v_ashrrev_i32_e32 v18, 31, v18
	v_lshlrev_b32_e32 v21, 24, v16
	s_wait_alu 0xf1ff
	v_xor_b32_e32 v17, s17, v17
	v_cmp_gt_i32_e64 s17, 0, v19
	v_not_b32_e32 v19, v20
	v_xor_b32_e32 v40, s18, v40
	v_cmp_gt_i32_e64 s18, 0, v20
	v_and_b32_e32 v17, exec_lo, v17
	v_not_b32_e32 v20, v22
	v_ashrrev_i32_e32 v19, 31, v19
	s_wait_alu 0xf1ff
	v_xor_b32_e32 v18, s17, v18
	v_cmp_gt_i32_e64 s17, 0, v22
	v_and_b32_e32 v17, v17, v40
	v_not_b32_e32 v22, v23
	v_ashrrev_i32_e32 v20, 31, v20
	v_xor_b32_e32 v19, s18, v19
	v_cmp_gt_i32_e64 s18, 0, v23
	v_and_b32_e32 v17, v17, v18
	v_not_b32_e32 v18, v39
	v_ashrrev_i32_e32 v22, 31, v22
	s_wait_alu 0xf1ff
	v_xor_b32_e32 v20, s17, v20
	v_cmp_gt_i32_e64 s17, 0, v39
	v_and_b32_e32 v17, v17, v19
	v_not_b32_e32 v19, v21
	v_ashrrev_i32_e32 v18, 31, v18
	v_xor_b32_e32 v22, s18, v22
	v_cmp_gt_i32_e64 s18, 0, v21
	v_and_b32_e32 v17, v17, v20
	v_ashrrev_i32_e32 v19, 31, v19
	s_wait_alu 0xf1ff
	v_xor_b32_e32 v18, s17, v18
	v_lshl_add_u32 v47, v16, 6, v24
	v_and_b32_e32 v17, v17, v22
	v_xor_b32_e32 v16, s18, v19
	ds_load_b32 v39, v47 offset:64
	v_and_b32_e32 v17, v17, v18
	; wave barrier
	s_delay_alu instid0(VALU_DEP_1) | instskip(NEXT) | instid1(VALU_DEP_1)
	v_and_b32_e32 v16, v17, v16
	v_mbcnt_lo_u32_b32 v40, v16, 0
	v_cmp_ne_u32_e64 s18, 0, v16
	s_delay_alu instid0(VALU_DEP_2)
	v_cmp_eq_u32_e64 s17, 0, v40
	s_and_b32 s18, s18, s17
	s_wait_alu 0xfffe
	s_and_saveexec_b32 s17, s18
	s_cbranch_execz .LBB165_109
; %bb.108:
	s_wait_dscnt 0x0
	v_bcnt_u32_b32 v16, v16, v39
	ds_store_b32 v47, v16 offset:64
.LBB165_109:
	s_wait_alu 0xfffe
	s_or_b32 exec_lo, exec_lo, s17
	v_lshrrev_b16 v16, 8, v27
	; wave barrier
	s_delay_alu instid0(VALU_DEP_1) | instskip(NEXT) | instid1(VALU_DEP_1)
	v_and_b32_e32 v16, s19, v16
	v_and_b32_e32 v17, 1, v16
	v_lshlrev_b32_e32 v18, 30, v16
	v_lshlrev_b32_e32 v19, 29, v16
	;; [unrolled: 1-line block ×4, first 2 shown]
	v_add_co_u32 v17, s17, v17, -1
	s_wait_alu 0xf1ff
	v_cndmask_b32_e64 v21, 0, 1, s17
	v_not_b32_e32 v49, v18
	v_cmp_gt_i32_e64 s18, 0, v18
	v_not_b32_e32 v18, v19
	v_lshlrev_b32_e32 v23, 26, v16
	v_cmp_ne_u32_e64 s17, 0, v21
	v_ashrrev_i32_e32 v49, 31, v49
	v_lshlrev_b32_e32 v48, 25, v16
	v_ashrrev_i32_e32 v18, 31, v18
	v_lshlrev_b32_e32 v21, 24, v16
	s_wait_alu 0xf1ff
	v_xor_b32_e32 v17, s17, v17
	v_cmp_gt_i32_e64 s17, 0, v19
	v_not_b32_e32 v19, v20
	v_xor_b32_e32 v49, s18, v49
	v_cmp_gt_i32_e64 s18, 0, v20
	v_and_b32_e32 v17, exec_lo, v17
	v_not_b32_e32 v20, v22
	v_ashrrev_i32_e32 v19, 31, v19
	s_wait_alu 0xf1ff
	v_xor_b32_e32 v18, s17, v18
	v_cmp_gt_i32_e64 s17, 0, v22
	v_and_b32_e32 v17, v17, v49
	v_not_b32_e32 v22, v23
	v_ashrrev_i32_e32 v20, 31, v20
	v_xor_b32_e32 v19, s18, v19
	v_cmp_gt_i32_e64 s18, 0, v23
	v_and_b32_e32 v17, v17, v18
	v_not_b32_e32 v18, v48
	v_ashrrev_i32_e32 v22, 31, v22
	s_wait_alu 0xf1ff
	v_xor_b32_e32 v20, s17, v20
	v_cmp_gt_i32_e64 s17, 0, v48
	v_and_b32_e32 v17, v17, v19
	v_not_b32_e32 v19, v21
	v_ashrrev_i32_e32 v18, 31, v18
	v_xor_b32_e32 v22, s18, v22
	v_cmp_gt_i32_e64 s18, 0, v21
	v_and_b32_e32 v17, v17, v20
	v_ashrrev_i32_e32 v19, 31, v19
	s_wait_alu 0xf1ff
	v_xor_b32_e32 v18, s17, v18
	v_lshl_add_u32 v50, v16, 6, v24
	v_and_b32_e32 v17, v17, v22
	v_xor_b32_e32 v16, s18, v19
	ds_load_b32 v48, v50 offset:64
	v_and_b32_e32 v17, v17, v18
	; wave barrier
	s_delay_alu instid0(VALU_DEP_1) | instskip(NEXT) | instid1(VALU_DEP_1)
	v_and_b32_e32 v16, v17, v16
	v_mbcnt_lo_u32_b32 v49, v16, 0
	v_cmp_ne_u32_e64 s18, 0, v16
	s_delay_alu instid0(VALU_DEP_2)
	v_cmp_eq_u32_e64 s17, 0, v49
	s_and_b32 s18, s18, s17
	s_wait_alu 0xfffe
	s_and_saveexec_b32 s17, s18
	s_cbranch_execz .LBB165_111
; %bb.110:
	s_wait_dscnt 0x0
	v_bcnt_u32_b32 v16, v16, v48
	ds_store_b32 v50, v16 offset:64
.LBB165_111:
	s_wait_alu 0xfffe
	s_or_b32 exec_lo, exec_lo, s17
	v_lshrrev_b16 v16, 8, v28
	; wave barrier
	s_delay_alu instid0(VALU_DEP_1) | instskip(NEXT) | instid1(VALU_DEP_1)
	v_and_b32_e32 v16, s19, v16
	v_and_b32_e32 v17, 1, v16
	v_lshlrev_b32_e32 v18, 30, v16
	v_lshlrev_b32_e32 v19, 29, v16
	;; [unrolled: 1-line block ×4, first 2 shown]
	v_add_co_u32 v17, s17, v17, -1
	s_wait_alu 0xf1ff
	v_cndmask_b32_e64 v21, 0, 1, s17
	v_not_b32_e32 v69, v18
	v_cmp_gt_i32_e64 s18, 0, v18
	v_not_b32_e32 v18, v19
	v_lshlrev_b32_e32 v23, 26, v16
	v_cmp_ne_u32_e64 s17, 0, v21
	v_ashrrev_i32_e32 v69, 31, v69
	v_lshlrev_b32_e32 v68, 25, v16
	v_ashrrev_i32_e32 v18, 31, v18
	v_lshlrev_b32_e32 v21, 24, v16
	s_wait_alu 0xf1ff
	v_xor_b32_e32 v17, s17, v17
	v_cmp_gt_i32_e64 s17, 0, v19
	v_not_b32_e32 v19, v20
	v_xor_b32_e32 v69, s18, v69
	v_cmp_gt_i32_e64 s18, 0, v20
	v_and_b32_e32 v17, exec_lo, v17
	v_not_b32_e32 v20, v22
	v_ashrrev_i32_e32 v19, 31, v19
	s_wait_alu 0xf1ff
	v_xor_b32_e32 v18, s17, v18
	v_cmp_gt_i32_e64 s17, 0, v22
	v_and_b32_e32 v17, v17, v69
	v_not_b32_e32 v22, v23
	v_ashrrev_i32_e32 v20, 31, v20
	v_xor_b32_e32 v19, s18, v19
	v_cmp_gt_i32_e64 s18, 0, v23
	v_and_b32_e32 v17, v17, v18
	v_not_b32_e32 v18, v68
	v_ashrrev_i32_e32 v22, 31, v22
	s_wait_alu 0xf1ff
	v_xor_b32_e32 v20, s17, v20
	v_cmp_gt_i32_e64 s17, 0, v68
	v_and_b32_e32 v17, v17, v19
	v_not_b32_e32 v19, v21
	v_ashrrev_i32_e32 v18, 31, v18
	v_xor_b32_e32 v22, s18, v22
	v_cmp_gt_i32_e64 s18, 0, v21
	v_and_b32_e32 v17, v17, v20
	v_ashrrev_i32_e32 v19, 31, v19
	s_wait_alu 0xf1ff
	v_xor_b32_e32 v18, s17, v18
	v_lshl_add_u32 v70, v16, 6, v24
	v_and_b32_e32 v17, v17, v22
	v_xor_b32_e32 v16, s18, v19
	ds_load_b32 v68, v70 offset:64
	v_and_b32_e32 v17, v17, v18
	; wave barrier
	s_delay_alu instid0(VALU_DEP_1) | instskip(NEXT) | instid1(VALU_DEP_1)
	v_and_b32_e32 v16, v17, v16
	v_mbcnt_lo_u32_b32 v69, v16, 0
	v_cmp_ne_u32_e64 s18, 0, v16
	s_delay_alu instid0(VALU_DEP_2)
	v_cmp_eq_u32_e64 s17, 0, v69
	s_and_b32 s18, s18, s17
	s_wait_alu 0xfffe
	s_and_saveexec_b32 s17, s18
	s_cbranch_execz .LBB165_113
; %bb.112:
	s_wait_dscnt 0x0
	v_bcnt_u32_b32 v16, v16, v68
	ds_store_b32 v70, v16 offset:64
.LBB165_113:
	s_wait_alu 0xfffe
	s_or_b32 exec_lo, exec_lo, s17
	v_lshrrev_b16 v16, 8, v29
	; wave barrier
	s_delay_alu instid0(VALU_DEP_1) | instskip(NEXT) | instid1(VALU_DEP_1)
	v_and_b32_e32 v16, s19, v16
	v_and_b32_e32 v17, 1, v16
	v_lshlrev_b32_e32 v18, 30, v16
	v_lshlrev_b32_e32 v19, 29, v16
	;; [unrolled: 1-line block ×4, first 2 shown]
	v_add_co_u32 v17, s17, v17, -1
	s_wait_alu 0xf1ff
	v_cndmask_b32_e64 v21, 0, 1, s17
	v_not_b32_e32 v72, v18
	v_cmp_gt_i32_e64 s18, 0, v18
	v_not_b32_e32 v18, v19
	v_lshlrev_b32_e32 v23, 26, v16
	v_cmp_ne_u32_e64 s17, 0, v21
	v_ashrrev_i32_e32 v72, 31, v72
	v_lshlrev_b32_e32 v71, 25, v16
	v_ashrrev_i32_e32 v18, 31, v18
	v_lshlrev_b32_e32 v21, 24, v16
	s_wait_alu 0xf1ff
	v_xor_b32_e32 v17, s17, v17
	v_cmp_gt_i32_e64 s17, 0, v19
	v_not_b32_e32 v19, v20
	v_xor_b32_e32 v72, s18, v72
	v_cmp_gt_i32_e64 s18, 0, v20
	v_and_b32_e32 v17, exec_lo, v17
	v_not_b32_e32 v20, v22
	v_ashrrev_i32_e32 v19, 31, v19
	s_wait_alu 0xf1ff
	v_xor_b32_e32 v18, s17, v18
	v_cmp_gt_i32_e64 s17, 0, v22
	v_and_b32_e32 v17, v17, v72
	v_not_b32_e32 v22, v23
	v_ashrrev_i32_e32 v20, 31, v20
	v_xor_b32_e32 v19, s18, v19
	v_cmp_gt_i32_e64 s18, 0, v23
	v_and_b32_e32 v17, v17, v18
	v_not_b32_e32 v18, v71
	v_ashrrev_i32_e32 v22, 31, v22
	s_wait_alu 0xf1ff
	v_xor_b32_e32 v20, s17, v20
	v_cmp_gt_i32_e64 s17, 0, v71
	v_and_b32_e32 v17, v17, v19
	v_not_b32_e32 v19, v21
	v_ashrrev_i32_e32 v18, 31, v18
	v_xor_b32_e32 v22, s18, v22
	v_cmp_gt_i32_e64 s18, 0, v21
	v_and_b32_e32 v17, v17, v20
	v_ashrrev_i32_e32 v19, 31, v19
	s_wait_alu 0xf1ff
	v_xor_b32_e32 v18, s17, v18
	v_lshl_add_u32 v73, v16, 6, v24
	v_and_b32_e32 v17, v17, v22
	v_xor_b32_e32 v16, s18, v19
	ds_load_b32 v71, v73 offset:64
	v_and_b32_e32 v17, v17, v18
	; wave barrier
	s_delay_alu instid0(VALU_DEP_1) | instskip(NEXT) | instid1(VALU_DEP_1)
	v_and_b32_e32 v16, v17, v16
	v_mbcnt_lo_u32_b32 v72, v16, 0
	v_cmp_ne_u32_e64 s18, 0, v16
	s_delay_alu instid0(VALU_DEP_2)
	v_cmp_eq_u32_e64 s17, 0, v72
	s_and_b32 s18, s18, s17
	s_wait_alu 0xfffe
	s_and_saveexec_b32 s17, s18
	s_cbranch_execz .LBB165_115
; %bb.114:
	s_wait_dscnt 0x0
	v_bcnt_u32_b32 v16, v16, v71
	ds_store_b32 v73, v16 offset:64
.LBB165_115:
	s_wait_alu 0xfffe
	s_or_b32 exec_lo, exec_lo, s17
	v_lshrrev_b16 v16, 8, v30
	; wave barrier
	s_delay_alu instid0(VALU_DEP_1) | instskip(NEXT) | instid1(VALU_DEP_1)
	v_and_b32_e32 v16, s19, v16
	v_and_b32_e32 v17, 1, v16
	v_lshlrev_b32_e32 v18, 30, v16
	v_lshlrev_b32_e32 v19, 29, v16
	;; [unrolled: 1-line block ×4, first 2 shown]
	v_add_co_u32 v17, s17, v17, -1
	s_wait_alu 0xf1ff
	v_cndmask_b32_e64 v21, 0, 1, s17
	v_not_b32_e32 v75, v18
	v_cmp_gt_i32_e64 s18, 0, v18
	v_not_b32_e32 v18, v19
	v_lshlrev_b32_e32 v23, 26, v16
	v_cmp_ne_u32_e64 s17, 0, v21
	v_ashrrev_i32_e32 v75, 31, v75
	v_lshlrev_b32_e32 v74, 25, v16
	v_ashrrev_i32_e32 v18, 31, v18
	v_lshlrev_b32_e32 v21, 24, v16
	s_wait_alu 0xf1ff
	v_xor_b32_e32 v17, s17, v17
	v_cmp_gt_i32_e64 s17, 0, v19
	v_not_b32_e32 v19, v20
	v_xor_b32_e32 v75, s18, v75
	v_cmp_gt_i32_e64 s18, 0, v20
	v_and_b32_e32 v17, exec_lo, v17
	v_not_b32_e32 v20, v22
	v_ashrrev_i32_e32 v19, 31, v19
	s_wait_alu 0xf1ff
	v_xor_b32_e32 v18, s17, v18
	v_cmp_gt_i32_e64 s17, 0, v22
	v_and_b32_e32 v17, v17, v75
	v_not_b32_e32 v22, v23
	v_ashrrev_i32_e32 v20, 31, v20
	v_xor_b32_e32 v19, s18, v19
	v_cmp_gt_i32_e64 s18, 0, v23
	v_and_b32_e32 v17, v17, v18
	v_not_b32_e32 v18, v74
	v_ashrrev_i32_e32 v22, 31, v22
	s_wait_alu 0xf1ff
	v_xor_b32_e32 v20, s17, v20
	v_cmp_gt_i32_e64 s17, 0, v74
	v_and_b32_e32 v17, v17, v19
	v_not_b32_e32 v19, v21
	v_ashrrev_i32_e32 v18, 31, v18
	v_xor_b32_e32 v22, s18, v22
	v_cmp_gt_i32_e64 s18, 0, v21
	v_and_b32_e32 v17, v17, v20
	v_ashrrev_i32_e32 v19, 31, v19
	s_wait_alu 0xf1ff
	v_xor_b32_e32 v18, s17, v18
	v_lshl_add_u32 v76, v16, 6, v24
	v_and_b32_e32 v17, v17, v22
	v_xor_b32_e32 v16, s18, v19
	ds_load_b32 v74, v76 offset:64
	v_and_b32_e32 v17, v17, v18
	; wave barrier
	s_delay_alu instid0(VALU_DEP_1) | instskip(NEXT) | instid1(VALU_DEP_1)
	v_and_b32_e32 v16, v17, v16
	v_mbcnt_lo_u32_b32 v75, v16, 0
	v_cmp_ne_u32_e64 s18, 0, v16
	s_delay_alu instid0(VALU_DEP_2)
	v_cmp_eq_u32_e64 s17, 0, v75
	s_and_b32 s18, s18, s17
	s_wait_alu 0xfffe
	s_and_saveexec_b32 s17, s18
	s_cbranch_execz .LBB165_117
; %bb.116:
	s_wait_dscnt 0x0
	v_bcnt_u32_b32 v16, v16, v74
	ds_store_b32 v76, v16 offset:64
.LBB165_117:
	s_wait_alu 0xfffe
	s_or_b32 exec_lo, exec_lo, s17
	v_lshrrev_b16 v16, 8, v31
	; wave barrier
	s_delay_alu instid0(VALU_DEP_1) | instskip(NEXT) | instid1(VALU_DEP_1)
	v_and_b32_e32 v16, s19, v16
	v_and_b32_e32 v17, 1, v16
	v_lshlrev_b32_e32 v18, 30, v16
	v_lshlrev_b32_e32 v19, 29, v16
	;; [unrolled: 1-line block ×4, first 2 shown]
	v_add_co_u32 v17, s17, v17, -1
	s_wait_alu 0xf1ff
	v_cndmask_b32_e64 v21, 0, 1, s17
	v_not_b32_e32 v78, v18
	v_cmp_gt_i32_e64 s18, 0, v18
	v_not_b32_e32 v18, v19
	v_lshlrev_b32_e32 v23, 26, v16
	v_cmp_ne_u32_e64 s17, 0, v21
	v_ashrrev_i32_e32 v78, 31, v78
	v_lshlrev_b32_e32 v77, 25, v16
	v_ashrrev_i32_e32 v18, 31, v18
	v_lshlrev_b32_e32 v21, 24, v16
	s_wait_alu 0xf1ff
	v_xor_b32_e32 v17, s17, v17
	v_cmp_gt_i32_e64 s17, 0, v19
	v_not_b32_e32 v19, v20
	v_xor_b32_e32 v78, s18, v78
	v_cmp_gt_i32_e64 s18, 0, v20
	v_and_b32_e32 v17, exec_lo, v17
	v_not_b32_e32 v20, v22
	v_ashrrev_i32_e32 v19, 31, v19
	s_wait_alu 0xf1ff
	v_xor_b32_e32 v18, s17, v18
	v_cmp_gt_i32_e64 s17, 0, v22
	v_and_b32_e32 v17, v17, v78
	v_not_b32_e32 v22, v23
	v_ashrrev_i32_e32 v20, 31, v20
	v_xor_b32_e32 v19, s18, v19
	v_cmp_gt_i32_e64 s18, 0, v23
	v_and_b32_e32 v17, v17, v18
	v_not_b32_e32 v18, v77
	v_ashrrev_i32_e32 v22, 31, v22
	s_wait_alu 0xf1ff
	v_xor_b32_e32 v20, s17, v20
	v_cmp_gt_i32_e64 s17, 0, v77
	v_and_b32_e32 v17, v17, v19
	v_not_b32_e32 v19, v21
	v_ashrrev_i32_e32 v18, 31, v18
	v_xor_b32_e32 v22, s18, v22
	v_cmp_gt_i32_e64 s18, 0, v21
	v_and_b32_e32 v17, v17, v20
	v_ashrrev_i32_e32 v19, 31, v19
	s_wait_alu 0xf1ff
	v_xor_b32_e32 v18, s17, v18
	v_lshl_add_u32 v79, v16, 6, v24
	v_and_b32_e32 v17, v17, v22
	v_xor_b32_e32 v16, s18, v19
	ds_load_b32 v77, v79 offset:64
	v_and_b32_e32 v17, v17, v18
	; wave barrier
	s_delay_alu instid0(VALU_DEP_1) | instskip(NEXT) | instid1(VALU_DEP_1)
	v_and_b32_e32 v16, v17, v16
	v_mbcnt_lo_u32_b32 v78, v16, 0
	v_cmp_ne_u32_e64 s18, 0, v16
	s_delay_alu instid0(VALU_DEP_2)
	v_cmp_eq_u32_e64 s17, 0, v78
	s_and_b32 s18, s18, s17
	s_wait_alu 0xfffe
	s_and_saveexec_b32 s17, s18
	s_cbranch_execz .LBB165_119
; %bb.118:
	s_wait_dscnt 0x0
	v_bcnt_u32_b32 v16, v16, v77
	ds_store_b32 v79, v16 offset:64
.LBB165_119:
	s_wait_alu 0xfffe
	s_or_b32 exec_lo, exec_lo, s17
	v_lshrrev_b16 v16, 8, v32
	; wave barrier
	s_delay_alu instid0(VALU_DEP_1) | instskip(NEXT) | instid1(VALU_DEP_1)
	v_and_b32_e32 v16, s19, v16
	v_and_b32_e32 v17, 1, v16
	v_lshlrev_b32_e32 v18, 30, v16
	v_lshlrev_b32_e32 v19, 29, v16
	v_lshlrev_b32_e32 v20, 28, v16
	v_lshlrev_b32_e32 v22, 27, v16
	v_add_co_u32 v17, s17, v17, -1
	s_wait_alu 0xf1ff
	v_cndmask_b32_e64 v21, 0, 1, s17
	v_not_b32_e32 v81, v18
	v_cmp_gt_i32_e64 s18, 0, v18
	v_not_b32_e32 v18, v19
	v_lshlrev_b32_e32 v23, 26, v16
	v_cmp_ne_u32_e64 s17, 0, v21
	v_ashrrev_i32_e32 v81, 31, v81
	v_lshlrev_b32_e32 v80, 25, v16
	v_ashrrev_i32_e32 v18, 31, v18
	v_lshlrev_b32_e32 v21, 24, v16
	s_wait_alu 0xf1ff
	v_xor_b32_e32 v17, s17, v17
	v_cmp_gt_i32_e64 s17, 0, v19
	v_not_b32_e32 v19, v20
	v_xor_b32_e32 v81, s18, v81
	v_cmp_gt_i32_e64 s18, 0, v20
	v_and_b32_e32 v17, exec_lo, v17
	v_not_b32_e32 v20, v22
	v_ashrrev_i32_e32 v19, 31, v19
	s_wait_alu 0xf1ff
	v_xor_b32_e32 v18, s17, v18
	v_cmp_gt_i32_e64 s17, 0, v22
	v_and_b32_e32 v17, v17, v81
	v_not_b32_e32 v22, v23
	v_ashrrev_i32_e32 v20, 31, v20
	v_xor_b32_e32 v19, s18, v19
	v_cmp_gt_i32_e64 s18, 0, v23
	v_and_b32_e32 v17, v17, v18
	v_not_b32_e32 v18, v80
	v_ashrrev_i32_e32 v22, 31, v22
	s_wait_alu 0xf1ff
	v_xor_b32_e32 v20, s17, v20
	v_cmp_gt_i32_e64 s17, 0, v80
	v_and_b32_e32 v17, v17, v19
	v_not_b32_e32 v19, v21
	v_ashrrev_i32_e32 v18, 31, v18
	v_xor_b32_e32 v22, s18, v22
	v_cmp_gt_i32_e64 s18, 0, v21
	v_and_b32_e32 v17, v17, v20
	v_ashrrev_i32_e32 v19, 31, v19
	s_wait_alu 0xf1ff
	v_xor_b32_e32 v18, s17, v18
	v_lshl_add_u32 v81, v16, 6, v24
	v_and_b32_e32 v17, v17, v22
	v_xor_b32_e32 v16, s18, v19
	ds_load_b32 v24, v81 offset:64
	v_and_b32_e32 v17, v17, v18
	; wave barrier
	s_delay_alu instid0(VALU_DEP_1) | instskip(NEXT) | instid1(VALU_DEP_1)
	v_and_b32_e32 v16, v17, v16
	v_mbcnt_lo_u32_b32 v80, v16, 0
	v_cmp_ne_u32_e64 s18, 0, v16
	s_delay_alu instid0(VALU_DEP_2)
	v_cmp_eq_u32_e64 s17, 0, v80
	s_and_b32 s18, s18, s17
	s_wait_alu 0xfffe
	s_and_saveexec_b32 s17, s18
	s_cbranch_execz .LBB165_121
; %bb.120:
	s_wait_dscnt 0x0
	v_bcnt_u32_b32 v16, v16, v24
	ds_store_b32 v81, v16 offset:64
.LBB165_121:
	s_wait_alu 0xfffe
	s_or_b32 exec_lo, exec_lo, s17
	; wave barrier
	s_wait_loadcnt_dscnt 0x0
	s_barrier_signal -1
	s_barrier_wait -1
	global_inv scope:SCOPE_SE
	ds_load_b128 v[20:23], v67 offset:64
	ds_load_b128 v[16:19], v67 offset:80
	s_wait_dscnt 0x1
	v_add_nc_u32_e32 v82, v21, v20
	s_delay_alu instid0(VALU_DEP_1) | instskip(SKIP_1) | instid1(VALU_DEP_1)
	v_add3_u32 v82, v82, v22, v23
	s_wait_dscnt 0x0
	v_add3_u32 v82, v82, v16, v17
	s_delay_alu instid0(VALU_DEP_1) | instskip(NEXT) | instid1(VALU_DEP_1)
	v_add3_u32 v19, v82, v18, v19
	v_mov_b32_dpp v82, v19 row_shr:1 row_mask:0xf bank_mask:0xf
	s_delay_alu instid0(VALU_DEP_1) | instskip(NEXT) | instid1(VALU_DEP_1)
	v_cndmask_b32_e64 v82, v82, 0, vcc_lo
	v_add_nc_u32_e32 v19, v82, v19
	s_delay_alu instid0(VALU_DEP_1) | instskip(NEXT) | instid1(VALU_DEP_1)
	v_mov_b32_dpp v82, v19 row_shr:2 row_mask:0xf bank_mask:0xf
	v_cndmask_b32_e64 v82, 0, v82, s8
	s_delay_alu instid0(VALU_DEP_1) | instskip(NEXT) | instid1(VALU_DEP_1)
	v_add_nc_u32_e32 v19, v19, v82
	v_mov_b32_dpp v82, v19 row_shr:4 row_mask:0xf bank_mask:0xf
	s_delay_alu instid0(VALU_DEP_1) | instskip(NEXT) | instid1(VALU_DEP_1)
	v_cndmask_b32_e64 v82, 0, v82, s9
	v_add_nc_u32_e32 v19, v19, v82
	s_delay_alu instid0(VALU_DEP_1) | instskip(NEXT) | instid1(VALU_DEP_1)
	v_mov_b32_dpp v82, v19 row_shr:8 row_mask:0xf bank_mask:0xf
	v_cndmask_b32_e64 v82, 0, v82, s10
	s_delay_alu instid0(VALU_DEP_1) | instskip(SKIP_3) | instid1(VALU_DEP_1)
	v_add_nc_u32_e32 v19, v19, v82
	ds_swizzle_b32 v82, v19 offset:swizzle(BROADCAST,32,15)
	s_wait_dscnt 0x0
	v_cndmask_b32_e64 v82, v82, 0, s15
	v_add_nc_u32_e32 v19, v19, v82
	s_and_saveexec_b32 s15, s13
; %bb.122:
	ds_store_b32 v34, v19
; %bb.123:
	s_wait_alu 0xfffe
	s_or_b32 exec_lo, exec_lo, s15
	s_wait_loadcnt_dscnt 0x0
	s_barrier_signal -1
	s_barrier_wait -1
	global_inv scope:SCOPE_SE
	s_and_saveexec_b32 s13, s12
	s_cbranch_execz .LBB165_125
; %bb.124:
	ds_load_b32 v34, v33
	s_wait_dscnt 0x0
	v_mov_b32_dpp v82, v34 row_shr:1 row_mask:0xf bank_mask:0xf
	s_delay_alu instid0(VALU_DEP_1) | instskip(NEXT) | instid1(VALU_DEP_1)
	v_cndmask_b32_e64 v82, v82, 0, vcc_lo
	v_add_nc_u32_e32 v34, v82, v34
	s_delay_alu instid0(VALU_DEP_1) | instskip(NEXT) | instid1(VALU_DEP_1)
	v_mov_b32_dpp v82, v34 row_shr:2 row_mask:0xf bank_mask:0xf
	v_cndmask_b32_e64 v82, 0, v82, s8
	s_delay_alu instid0(VALU_DEP_1) | instskip(NEXT) | instid1(VALU_DEP_1)
	v_add_nc_u32_e32 v34, v34, v82
	v_mov_b32_dpp v82, v34 row_shr:4 row_mask:0xf bank_mask:0xf
	s_delay_alu instid0(VALU_DEP_1) | instskip(NEXT) | instid1(VALU_DEP_1)
	v_cndmask_b32_e64 v82, 0, v82, s9
	v_add_nc_u32_e32 v34, v34, v82
	s_delay_alu instid0(VALU_DEP_1) | instskip(NEXT) | instid1(VALU_DEP_1)
	v_mov_b32_dpp v82, v34 row_shr:8 row_mask:0xf bank_mask:0xf
	v_cndmask_b32_e64 v82, 0, v82, s10
	s_delay_alu instid0(VALU_DEP_1)
	v_add_nc_u32_e32 v34, v34, v82
	ds_store_b32 v33, v34
.LBB165_125:
	s_wait_alu 0xfffe
	s_or_b32 exec_lo, exec_lo, s13
	v_mov_b32_e32 v33, 0
	s_wait_loadcnt_dscnt 0x0
	s_barrier_signal -1
	s_barrier_wait -1
	global_inv scope:SCOPE_SE
	s_and_saveexec_b32 s8, s14
; %bb.126:
	ds_load_b32 v33, v35
; %bb.127:
	s_wait_alu 0xfffe
	s_or_b32 exec_lo, exec_lo, s8
	s_wait_dscnt 0x0
	v_add_nc_u32_e32 v19, v33, v19
	ds_bpermute_b32 v19, v36, v19
	s_wait_dscnt 0x0
	v_cndmask_b32_e64 v19, v19, v33, s11
	s_delay_alu instid0(VALU_DEP_1) | instskip(NEXT) | instid1(VALU_DEP_1)
	v_cndmask_b32_e64 v19, v19, 0, s16
	v_add_nc_u32_e32 v20, v19, v20
	s_delay_alu instid0(VALU_DEP_1) | instskip(NEXT) | instid1(VALU_DEP_1)
	v_add_nc_u32_e32 v21, v20, v21
	v_add_nc_u32_e32 v22, v21, v22
	s_delay_alu instid0(VALU_DEP_1) | instskip(NEXT) | instid1(VALU_DEP_1)
	v_add_nc_u32_e32 v33, v22, v23
	;; [unrolled: 3-line block ×3, first 2 shown]
	v_add_nc_u32_e32 v36, v35, v18
	ds_store_b128 v67, v[19:22] offset:64
	ds_store_b128 v67, v[33:36] offset:80
	s_wait_loadcnt_dscnt 0x0
	s_barrier_signal -1
	s_barrier_wait -1
	global_inv scope:SCOPE_SE
	ds_load_b32 v16, v81 offset:64
	ds_load_b32 v17, v79 offset:64
	;; [unrolled: 1-line block ×8, first 2 shown]
	v_lshlrev_b32_e32 v33, 1, v66
	s_wait_loadcnt_dscnt 0x0
	s_barrier_signal -1
	s_barrier_wait -1
	global_inv scope:SCOPE_SE
	v_mad_u32_u24 v38, v46, 48, v33
	v_add3_u32 v34, v80, v24, v16
	v_add3_u32 v35, v78, v77, v17
	;; [unrolled: 1-line block ×3, first 2 shown]
	v_add_nc_u32_e32 v24, v19, v37
	v_add3_u32 v37, v40, v39, v20
	v_add3_u32 v39, v49, v48, v21
	;; [unrolled: 1-line block ×4, first 2 shown]
	v_lshlrev_b32_e32 v16, 1, v24
	v_lshlrev_b32_e32 v17, 1, v37
	;; [unrolled: 1-line block ×8, first 2 shown]
	ds_store_b16 v16, v25
	ds_store_b16 v17, v26
	;; [unrolled: 1-line block ×8, first 2 shown]
	v_mad_co_u64_u32 v[24:25], null, v24, 6, v[16:17]
	v_mad_co_u64_u32 v[16:17], null, v37, 6, v[17:18]
	;; [unrolled: 1-line block ×8, first 2 shown]
	s_wait_loadcnt_dscnt 0x0
	s_barrier_signal -1
	s_barrier_wait -1
	global_inv scope:SCOPE_SE
	ds_load_b128 v[33:36], v33
	s_wait_loadcnt_dscnt 0x0
	s_barrier_signal -1
	s_barrier_wait -1
	global_inv scope:SCOPE_SE
	ds_store_b64 v24, v[4:5]
	ds_store_b64 v16, v[6:7]
	;; [unrolled: 1-line block ×8, first 2 shown]
	s_wait_loadcnt_dscnt 0x0
	s_barrier_signal -1
	s_barrier_wait -1
	global_inv scope:SCOPE_SE
	ds_load_b128 v[29:32], v38
	ds_load_b128 v[25:28], v38 offset:16
	ds_load_b128 v[21:24], v38 offset:32
	;; [unrolled: 1-line block ×3, first 2 shown]
	v_xor_b32_e32 v0, 0x7fff7fff, v33
	v_xor_b32_e32 v34, 0x7fff7fff, v34
	v_xor_b32_e32 v33, 0x7fff7fff, v35
	v_xor_b32_e32 v35, 0x7fff7fff, v36
.LBB165_128:
	s_wait_loadcnt_dscnt 0x0
	s_barrier_signal -1
	s_barrier_wait -1
	global_inv scope:SCOPE_SE
	ds_store_2addr_b32 v58, v0, v34 offset1:1
	ds_store_2addr_b32 v58, v33, v35 offset0:2 offset1:3
	s_wait_loadcnt_dscnt 0x0
	s_barrier_signal -1
	s_barrier_wait -1
	global_inv scope:SCOPE_SE
	ds_load_u16 v8, v45 offset:1024
	ds_load_u16 v7, v52 offset:2048
	;; [unrolled: 1-line block ×7, first 2 shown]
	v_mov_b32_e32 v45, 0
	s_delay_alu instid0(VALU_DEP_1) | instskip(NEXT) | instid1(VALU_DEP_1)
	v_lshlrev_b64_e32 v[0:1], 1, v[44:45]
	v_add_co_u32 v0, vcc_lo, s30, v0
	s_wait_alu 0xfffd
	s_delay_alu instid0(VALU_DEP_2)
	v_add_co_ci_u32_e64 v1, null, s31, v1, vcc_lo
	s_and_saveexec_b32 s8, s0
	s_cbranch_execnz .LBB165_147
; %bb.129:
	s_wait_alu 0xfffe
	s_or_b32 exec_lo, exec_lo, s8
	s_and_saveexec_b32 s8, s1
	s_cbranch_execnz .LBB165_148
.LBB165_130:
	s_wait_alu 0xfffe
	s_or_b32 exec_lo, exec_lo, s8
	s_and_saveexec_b32 s8, s2
	s_cbranch_execnz .LBB165_149
.LBB165_131:
	s_wait_alu 0xfffe
	s_or_b32 exec_lo, exec_lo, s8
	s_and_saveexec_b32 s8, s3
	s_cbranch_execnz .LBB165_150
.LBB165_132:
	s_wait_alu 0xfffe
	s_or_b32 exec_lo, exec_lo, s8
	s_and_saveexec_b32 s8, s4
	s_cbranch_execnz .LBB165_151
.LBB165_133:
	s_wait_alu 0xfffe
	s_or_b32 exec_lo, exec_lo, s8
	s_and_saveexec_b32 s8, s5
	s_cbranch_execnz .LBB165_152
.LBB165_134:
	s_wait_alu 0xfffe
	s_or_b32 exec_lo, exec_lo, s8
	s_and_saveexec_b32 s8, s6
	s_cbranch_execnz .LBB165_153
.LBB165_135:
	s_wait_alu 0xfffe
	s_or_b32 exec_lo, exec_lo, s8
	s_and_saveexec_b32 s8, s7
	s_cbranch_execz .LBB165_137
.LBB165_136:
	s_mul_i32 s10, s26, 0xe00
	s_mov_b32 s11, 0
	s_wait_alu 0xfffe
	s_lshl_b64 s[10:11], s[10:11], 1
	s_wait_alu 0xfffe
	v_add_co_u32 v0, vcc_lo, v0, s10
	s_wait_alu 0xfffd
	v_add_co_ci_u32_e64 v1, null, s11, v1, vcc_lo
	s_wait_dscnt 0x0
	global_store_b16 v[0:1], v2, off
.LBB165_137:
	s_wait_alu 0xfffe
	s_or_b32 exec_lo, exec_lo, s8
	s_wait_storecnt 0x0
	s_wait_loadcnt_dscnt 0x0
	s_barrier_signal -1
	s_barrier_wait -1
	global_inv scope:SCOPE_SE
	ds_store_2addr_b64 v65, v[29:30], v[31:32] offset1:1
	ds_store_2addr_b64 v65, v[25:26], v[27:28] offset0:2 offset1:3
	ds_store_2addr_b64 v65, v[21:22], v[23:24] offset0:4 offset1:5
	;; [unrolled: 1-line block ×3, first 2 shown]
	s_wait_loadcnt_dscnt 0x0
	s_barrier_signal -1
	s_barrier_wait -1
	global_inv scope:SCOPE_SE
	ds_load_b64 v[14:15], v60 offset:4096
	ds_load_b64 v[12:13], v61 offset:8192
	;; [unrolled: 1-line block ×7, first 2 shown]
	v_mov_b32_e32 v42, 0
	s_delay_alu instid0(VALU_DEP_1) | instskip(NEXT) | instid1(VALU_DEP_1)
	v_lshlrev_b64_e32 v[2:3], 3, v[41:42]
	v_add_co_u32 v2, vcc_lo, s24, v2
	s_wait_alu 0xfffd
	s_delay_alu instid0(VALU_DEP_2)
	v_add_co_ci_u32_e64 v3, null, s25, v3, vcc_lo
	s_and_saveexec_b32 s8, s0
	s_cbranch_execnz .LBB165_154
; %bb.138:
	s_wait_alu 0xfffe
	s_or_b32 exec_lo, exec_lo, s8
	s_and_saveexec_b32 s0, s1
	s_cbranch_execnz .LBB165_155
.LBB165_139:
	s_wait_alu 0xfffe
	s_or_b32 exec_lo, exec_lo, s0
	s_and_saveexec_b32 s0, s2
	s_cbranch_execnz .LBB165_156
.LBB165_140:
	s_wait_alu 0xfffe
	s_or_b32 exec_lo, exec_lo, s0
	s_and_saveexec_b32 s0, s3
	s_cbranch_execnz .LBB165_157
.LBB165_141:
	s_wait_alu 0xfffe
	s_or_b32 exec_lo, exec_lo, s0
	s_and_saveexec_b32 s0, s4
	s_cbranch_execnz .LBB165_158
.LBB165_142:
	s_wait_alu 0xfffe
	s_or_b32 exec_lo, exec_lo, s0
	s_and_saveexec_b32 s0, s5
	s_cbranch_execnz .LBB165_159
.LBB165_143:
	s_wait_alu 0xfffe
	s_or_b32 exec_lo, exec_lo, s0
	s_and_saveexec_b32 s0, s6
	s_cbranch_execnz .LBB165_160
.LBB165_144:
	s_wait_alu 0xfffe
	s_or_b32 exec_lo, exec_lo, s0
	s_and_saveexec_b32 s0, s7
	s_cbranch_execz .LBB165_146
.LBB165_145:
	s_mul_i32 s0, s28, 0xe00
	s_mov_b32 s1, 0
	s_wait_alu 0xfffe
	s_lshl_b64 s[0:1], s[0:1], 3
	s_wait_alu 0xfffe
	v_add_co_u32 v2, vcc_lo, v2, s0
	s_wait_alu 0xfffd
	v_add_co_ci_u32_e64 v3, null, s1, v3, vcc_lo
	s_wait_dscnt 0x0
	global_store_b64 v[2:3], v[0:1], off
.LBB165_146:
	s_nop 0
	s_sendmsg sendmsg(MSG_DEALLOC_VGPRS)
	s_endpgm
.LBB165_147:
	ds_load_u16 v9, v51
	s_wait_dscnt 0x0
	global_store_b16 v[0:1], v9, off
	s_wait_alu 0xfffe
	s_or_b32 exec_lo, exec_lo, s8
	s_and_saveexec_b32 s8, s1
	s_cbranch_execz .LBB165_130
.LBB165_148:
	s_lshl_b32 s10, s26, 9
	s_mov_b32 s11, 0
	s_wait_alu 0xfffe
	s_lshl_b64 s[10:11], s[10:11], 1
	s_wait_alu 0xfffe
	v_add_co_u32 v9, vcc_lo, v0, s10
	s_wait_alu 0xfffd
	v_add_co_ci_u32_e64 v10, null, s11, v1, vcc_lo
	s_wait_dscnt 0x6
	global_store_b16 v[9:10], v8, off
	s_or_b32 exec_lo, exec_lo, s8
	s_and_saveexec_b32 s8, s2
	s_cbranch_execz .LBB165_131
.LBB165_149:
	s_lshl_b32 s10, s26, 10
	s_mov_b32 s11, 0
	s_wait_alu 0xfffe
	s_lshl_b64 s[10:11], s[10:11], 1
	s_wait_dscnt 0x6
	s_wait_alu 0xfffe
	v_add_co_u32 v8, vcc_lo, v0, s10
	s_wait_alu 0xfffd
	v_add_co_ci_u32_e64 v9, null, s11, v1, vcc_lo
	s_wait_dscnt 0x5
	global_store_b16 v[8:9], v7, off
	s_or_b32 exec_lo, exec_lo, s8
	s_and_saveexec_b32 s8, s3
	s_cbranch_execz .LBB165_132
.LBB165_150:
	s_mul_i32 s10, s26, 0x600
	s_mov_b32 s11, 0
	s_wait_alu 0xfffe
	s_lshl_b64 s[10:11], s[10:11], 1
	s_wait_dscnt 0x5
	s_wait_alu 0xfffe
	v_add_co_u32 v7, vcc_lo, v0, s10
	s_wait_alu 0xfffd
	v_add_co_ci_u32_e64 v8, null, s11, v1, vcc_lo
	s_wait_dscnt 0x4
	global_store_b16 v[7:8], v6, off
	s_or_b32 exec_lo, exec_lo, s8
	s_and_saveexec_b32 s8, s4
	s_cbranch_execz .LBB165_133
.LBB165_151:
	s_lshl_b32 s10, s26, 11
	s_mov_b32 s11, 0
	s_wait_alu 0xfffe
	s_lshl_b64 s[10:11], s[10:11], 1
	s_wait_dscnt 0x4
	s_wait_alu 0xfffe
	v_add_co_u32 v6, vcc_lo, v0, s10
	s_wait_alu 0xfffd
	v_add_co_ci_u32_e64 v7, null, s11, v1, vcc_lo
	s_wait_dscnt 0x3
	global_store_b16 v[6:7], v5, off
	s_or_b32 exec_lo, exec_lo, s8
	s_and_saveexec_b32 s8, s5
	s_cbranch_execz .LBB165_134
.LBB165_152:
	s_mul_i32 s10, s26, 0xa00
	s_mov_b32 s11, 0
	s_wait_alu 0xfffe
	s_lshl_b64 s[10:11], s[10:11], 1
	s_wait_dscnt 0x3
	s_wait_alu 0xfffe
	v_add_co_u32 v5, vcc_lo, v0, s10
	s_wait_alu 0xfffd
	v_add_co_ci_u32_e64 v6, null, s11, v1, vcc_lo
	s_wait_dscnt 0x2
	global_store_b16 v[5:6], v4, off
	s_or_b32 exec_lo, exec_lo, s8
	s_and_saveexec_b32 s8, s6
	s_cbranch_execz .LBB165_135
.LBB165_153:
	s_mul_i32 s10, s26, 0xc00
	s_mov_b32 s11, 0
	s_wait_alu 0xfffe
	s_lshl_b64 s[10:11], s[10:11], 1
	s_wait_dscnt 0x2
	s_wait_alu 0xfffe
	v_add_co_u32 v4, vcc_lo, v0, s10
	s_wait_alu 0xfffd
	v_add_co_ci_u32_e64 v5, null, s11, v1, vcc_lo
	s_wait_dscnt 0x1
	global_store_b16 v[4:5], v3, off
	s_or_b32 exec_lo, exec_lo, s8
	s_and_saveexec_b32 s8, s7
	s_cbranch_execnz .LBB165_136
	s_branch .LBB165_137
.LBB165_154:
	ds_load_b64 v[16:17], v59
	s_wait_dscnt 0x0
	global_store_b64 v[2:3], v[16:17], off
	s_wait_alu 0xfffe
	s_or_b32 exec_lo, exec_lo, s8
	s_and_saveexec_b32 s0, s1
	s_cbranch_execz .LBB165_139
.LBB165_155:
	s_lshl_b32 s8, s28, 9
	s_mov_b32 s9, 0
	s_wait_alu 0xfffe
	s_lshl_b64 s[8:9], s[8:9], 3
	s_wait_alu 0xfffe
	v_add_co_u32 v16, vcc_lo, v2, s8
	s_wait_alu 0xfffd
	v_add_co_ci_u32_e64 v17, null, s9, v3, vcc_lo
	s_wait_dscnt 0x6
	global_store_b64 v[16:17], v[14:15], off
	s_or_b32 exec_lo, exec_lo, s0
	s_and_saveexec_b32 s0, s2
	s_cbranch_execz .LBB165_140
.LBB165_156:
	s_lshl_b32 s8, s28, 10
	s_mov_b32 s9, 0
	s_wait_alu 0xfffe
	s_lshl_b64 s[8:9], s[8:9], 3
	s_wait_dscnt 0x6
	s_wait_alu 0xfffe
	v_add_co_u32 v14, vcc_lo, v2, s8
	s_wait_alu 0xfffd
	v_add_co_ci_u32_e64 v15, null, s9, v3, vcc_lo
	s_wait_dscnt 0x5
	global_store_b64 v[14:15], v[12:13], off
	s_or_b32 exec_lo, exec_lo, s0
	s_and_saveexec_b32 s0, s3
	s_cbranch_execz .LBB165_141
.LBB165_157:
	s_mul_i32 s2, s28, 0x600
	s_mov_b32 s3, 0
	s_wait_alu 0xfffe
	s_lshl_b64 s[2:3], s[2:3], 3
	s_wait_dscnt 0x5
	s_wait_alu 0xfffe
	v_add_co_u32 v12, vcc_lo, v2, s2
	s_wait_alu 0xfffd
	v_add_co_ci_u32_e64 v13, null, s3, v3, vcc_lo
	s_wait_dscnt 0x4
	global_store_b64 v[12:13], v[10:11], off
	s_or_b32 exec_lo, exec_lo, s0
	s_and_saveexec_b32 s0, s4
	s_cbranch_execz .LBB165_142
.LBB165_158:
	s_lshl_b32 s2, s28, 11
	s_mov_b32 s3, 0
	s_wait_alu 0xfffe
	s_lshl_b64 s[2:3], s[2:3], 3
	s_wait_dscnt 0x4
	s_wait_alu 0xfffe
	v_add_co_u32 v10, vcc_lo, v2, s2
	s_wait_alu 0xfffd
	v_add_co_ci_u32_e64 v11, null, s3, v3, vcc_lo
	s_wait_dscnt 0x3
	global_store_b64 v[10:11], v[8:9], off
	s_or_b32 exec_lo, exec_lo, s0
	s_and_saveexec_b32 s0, s5
	s_cbranch_execz .LBB165_143
.LBB165_159:
	s_mul_i32 s2, s28, 0xa00
	s_mov_b32 s3, 0
	s_wait_alu 0xfffe
	s_lshl_b64 s[2:3], s[2:3], 3
	s_wait_dscnt 0x3
	s_wait_alu 0xfffe
	v_add_co_u32 v8, vcc_lo, v2, s2
	s_wait_alu 0xfffd
	v_add_co_ci_u32_e64 v9, null, s3, v3, vcc_lo
	s_wait_dscnt 0x2
	global_store_b64 v[8:9], v[6:7], off
	s_or_b32 exec_lo, exec_lo, s0
	s_and_saveexec_b32 s0, s6
	s_cbranch_execz .LBB165_144
.LBB165_160:
	s_mul_i32 s2, s28, 0xc00
	s_mov_b32 s3, 0
	s_wait_alu 0xfffe
	s_lshl_b64 s[2:3], s[2:3], 3
	s_wait_dscnt 0x2
	s_wait_alu 0xfffe
	v_add_co_u32 v6, vcc_lo, v2, s2
	s_wait_alu 0xfffd
	v_add_co_ci_u32_e64 v7, null, s3, v3, vcc_lo
	s_wait_dscnt 0x1
	global_store_b64 v[6:7], v[4:5], off
	s_or_b32 exec_lo, exec_lo, s0
	s_and_saveexec_b32 s0, s7
	s_cbranch_execnz .LBB165_145
	s_branch .LBB165_146
	.section	.rodata,"a",@progbits
	.p2align	6, 0x0
	.amdhsa_kernel _ZN2at6native18radixSortKVInPlaceILi2ELin1ELi512ELi8EsljEEvNS_4cuda6detail10TensorInfoIT3_T5_EES6_S6_S6_NS4_IT4_S6_EES6_b
		.amdhsa_group_segment_fixed_size 33792
		.amdhsa_private_segment_fixed_size 0
		.amdhsa_kernarg_size 712
		.amdhsa_user_sgpr_count 2
		.amdhsa_user_sgpr_dispatch_ptr 0
		.amdhsa_user_sgpr_queue_ptr 0
		.amdhsa_user_sgpr_kernarg_segment_ptr 1
		.amdhsa_user_sgpr_dispatch_id 0
		.amdhsa_user_sgpr_private_segment_size 0
		.amdhsa_wavefront_size32 1
		.amdhsa_uses_dynamic_stack 0
		.amdhsa_enable_private_segment 0
		.amdhsa_system_sgpr_workgroup_id_x 1
		.amdhsa_system_sgpr_workgroup_id_y 1
		.amdhsa_system_sgpr_workgroup_id_z 1
		.amdhsa_system_sgpr_workgroup_info 0
		.amdhsa_system_vgpr_workitem_id 2
		.amdhsa_next_free_vgpr 117
		.amdhsa_next_free_sgpr 36
		.amdhsa_reserve_vcc 1
		.amdhsa_float_round_mode_32 0
		.amdhsa_float_round_mode_16_64 0
		.amdhsa_float_denorm_mode_32 3
		.amdhsa_float_denorm_mode_16_64 3
		.amdhsa_fp16_overflow 0
		.amdhsa_workgroup_processor_mode 1
		.amdhsa_memory_ordered 1
		.amdhsa_forward_progress 1
		.amdhsa_inst_pref_size 170
		.amdhsa_round_robin_scheduling 0
		.amdhsa_exception_fp_ieee_invalid_op 0
		.amdhsa_exception_fp_denorm_src 0
		.amdhsa_exception_fp_ieee_div_zero 0
		.amdhsa_exception_fp_ieee_overflow 0
		.amdhsa_exception_fp_ieee_underflow 0
		.amdhsa_exception_fp_ieee_inexact 0
		.amdhsa_exception_int_div_zero 0
	.end_amdhsa_kernel
	.section	.text._ZN2at6native18radixSortKVInPlaceILi2ELin1ELi512ELi8EsljEEvNS_4cuda6detail10TensorInfoIT3_T5_EES6_S6_S6_NS4_IT4_S6_EES6_b,"axG",@progbits,_ZN2at6native18radixSortKVInPlaceILi2ELin1ELi512ELi8EsljEEvNS_4cuda6detail10TensorInfoIT3_T5_EES6_S6_S6_NS4_IT4_S6_EES6_b,comdat
.Lfunc_end165:
	.size	_ZN2at6native18radixSortKVInPlaceILi2ELin1ELi512ELi8EsljEEvNS_4cuda6detail10TensorInfoIT3_T5_EES6_S6_S6_NS4_IT4_S6_EES6_b, .Lfunc_end165-_ZN2at6native18radixSortKVInPlaceILi2ELin1ELi512ELi8EsljEEvNS_4cuda6detail10TensorInfoIT3_T5_EES6_S6_S6_NS4_IT4_S6_EES6_b
                                        ; -- End function
	.set _ZN2at6native18radixSortKVInPlaceILi2ELin1ELi512ELi8EsljEEvNS_4cuda6detail10TensorInfoIT3_T5_EES6_S6_S6_NS4_IT4_S6_EES6_b.num_vgpr, 117
	.set _ZN2at6native18radixSortKVInPlaceILi2ELin1ELi512ELi8EsljEEvNS_4cuda6detail10TensorInfoIT3_T5_EES6_S6_S6_NS4_IT4_S6_EES6_b.num_agpr, 0
	.set _ZN2at6native18radixSortKVInPlaceILi2ELin1ELi512ELi8EsljEEvNS_4cuda6detail10TensorInfoIT3_T5_EES6_S6_S6_NS4_IT4_S6_EES6_b.numbered_sgpr, 36
	.set _ZN2at6native18radixSortKVInPlaceILi2ELin1ELi512ELi8EsljEEvNS_4cuda6detail10TensorInfoIT3_T5_EES6_S6_S6_NS4_IT4_S6_EES6_b.num_named_barrier, 0
	.set _ZN2at6native18radixSortKVInPlaceILi2ELin1ELi512ELi8EsljEEvNS_4cuda6detail10TensorInfoIT3_T5_EES6_S6_S6_NS4_IT4_S6_EES6_b.private_seg_size, 0
	.set _ZN2at6native18radixSortKVInPlaceILi2ELin1ELi512ELi8EsljEEvNS_4cuda6detail10TensorInfoIT3_T5_EES6_S6_S6_NS4_IT4_S6_EES6_b.uses_vcc, 1
	.set _ZN2at6native18radixSortKVInPlaceILi2ELin1ELi512ELi8EsljEEvNS_4cuda6detail10TensorInfoIT3_T5_EES6_S6_S6_NS4_IT4_S6_EES6_b.uses_flat_scratch, 0
	.set _ZN2at6native18radixSortKVInPlaceILi2ELin1ELi512ELi8EsljEEvNS_4cuda6detail10TensorInfoIT3_T5_EES6_S6_S6_NS4_IT4_S6_EES6_b.has_dyn_sized_stack, 0
	.set _ZN2at6native18radixSortKVInPlaceILi2ELin1ELi512ELi8EsljEEvNS_4cuda6detail10TensorInfoIT3_T5_EES6_S6_S6_NS4_IT4_S6_EES6_b.has_recursion, 0
	.set _ZN2at6native18radixSortKVInPlaceILi2ELin1ELi512ELi8EsljEEvNS_4cuda6detail10TensorInfoIT3_T5_EES6_S6_S6_NS4_IT4_S6_EES6_b.has_indirect_call, 0
	.section	.AMDGPU.csdata,"",@progbits
; Kernel info:
; codeLenInByte = 21684
; TotalNumSgprs: 38
; NumVgprs: 117
; ScratchSize: 0
; MemoryBound: 0
; FloatMode: 240
; IeeeMode: 1
; LDSByteSize: 33792 bytes/workgroup (compile time only)
; SGPRBlocks: 0
; VGPRBlocks: 14
; NumSGPRsForWavesPerEU: 38
; NumVGPRsForWavesPerEU: 117
; Occupancy: 12
; WaveLimiterHint : 1
; COMPUTE_PGM_RSRC2:SCRATCH_EN: 0
; COMPUTE_PGM_RSRC2:USER_SGPR: 2
; COMPUTE_PGM_RSRC2:TRAP_HANDLER: 0
; COMPUTE_PGM_RSRC2:TGID_X_EN: 1
; COMPUTE_PGM_RSRC2:TGID_Y_EN: 1
; COMPUTE_PGM_RSRC2:TGID_Z_EN: 1
; COMPUTE_PGM_RSRC2:TIDIG_COMP_CNT: 2
	.section	.text._ZN2at6native18radixSortKVInPlaceILi2ELin1ELi256ELi8EsljEEvNS_4cuda6detail10TensorInfoIT3_T5_EES6_S6_S6_NS4_IT4_S6_EES6_b,"axG",@progbits,_ZN2at6native18radixSortKVInPlaceILi2ELin1ELi256ELi8EsljEEvNS_4cuda6detail10TensorInfoIT3_T5_EES6_S6_S6_NS4_IT4_S6_EES6_b,comdat
	.protected	_ZN2at6native18radixSortKVInPlaceILi2ELin1ELi256ELi8EsljEEvNS_4cuda6detail10TensorInfoIT3_T5_EES6_S6_S6_NS4_IT4_S6_EES6_b ; -- Begin function _ZN2at6native18radixSortKVInPlaceILi2ELin1ELi256ELi8EsljEEvNS_4cuda6detail10TensorInfoIT3_T5_EES6_S6_S6_NS4_IT4_S6_EES6_b
	.globl	_ZN2at6native18radixSortKVInPlaceILi2ELin1ELi256ELi8EsljEEvNS_4cuda6detail10TensorInfoIT3_T5_EES6_S6_S6_NS4_IT4_S6_EES6_b
	.p2align	8
	.type	_ZN2at6native18radixSortKVInPlaceILi2ELin1ELi256ELi8EsljEEvNS_4cuda6detail10TensorInfoIT3_T5_EES6_S6_S6_NS4_IT4_S6_EES6_b,@function
_ZN2at6native18radixSortKVInPlaceILi2ELin1ELi256ELi8EsljEEvNS_4cuda6detail10TensorInfoIT3_T5_EES6_S6_S6_NS4_IT4_S6_EES6_b: ; @_ZN2at6native18radixSortKVInPlaceILi2ELin1ELi256ELi8EsljEEvNS_4cuda6detail10TensorInfoIT3_T5_EES6_S6_S6_NS4_IT4_S6_EES6_b
; %bb.0:
	s_clause 0x1
	s_load_b64 s[2:3], s[0:1], 0x1c8
	s_load_b96 s[20:22], s[0:1], 0xd8
	s_lshr_b32 s4, ttmp7, 16
	s_wait_kmcnt 0x0
	s_mul_i32 s3, s3, s4
	s_and_b32 s4, ttmp7, 0xffff
	s_delay_alu instid0(SALU_CYCLE_1) | instskip(NEXT) | instid1(SALU_CYCLE_1)
	s_add_co_i32 s3, s3, s4
	s_mul_i32 s2, s3, s2
	s_delay_alu instid0(SALU_CYCLE_1) | instskip(NEXT) | instid1(SALU_CYCLE_1)
	s_add_co_i32 s2, s2, ttmp9
	s_cmp_ge_u32 s2, s20
	s_cbranch_scc1 .LBB166_146
; %bb.1:
	s_clause 0x2
	s_load_b32 s15, s[0:1], 0xc
	s_load_b64 s[4:5], s[0:1], 0x6c
	s_load_b32 s12, s[0:1], 0x1b8
	s_add_nc_u64 s[10:11], s[0:1], 0xe8
	s_mov_b32 s14, s2
	s_wait_kmcnt 0x0
	s_cvt_f32_u32 s3, s15
	s_delay_alu instid0(SALU_CYCLE_3) | instskip(NEXT) | instid1(TRANS32_DEP_1)
	v_rcp_iflag_f32_e32 v1, s3
	v_readfirstlane_b32 s3, v1
	s_mul_f32 s3, s3, 0x4f7ffffe
	s_wait_alu 0xfffe
	s_delay_alu instid0(SALU_CYCLE_2) | instskip(SKIP_2) | instid1(SALU_CYCLE_1)
	s_cvt_u32_f32 s6, s3
	s_sub_co_i32 s3, 0, s15
	s_wait_alu 0xfffe
	s_mul_i32 s7, s3, s6
	s_mov_b32 s3, 0
	s_mul_hi_u32 s8, s6, s7
	s_wait_alu 0xfffe
	s_mov_b32 s7, s3
	s_add_co_i32 s6, s6, s8
	s_cmp_lt_i32 s12, 2
	s_mov_b32 s9, s3
	s_cbranch_scc1 .LBB166_4
; %bb.2:
	s_add_co_i32 s8, s12, -1
	s_mov_b32 s9, 0
	s_mov_b32 s14, s2
	s_lshl_b64 s[16:17], s[8:9], 2
	s_add_co_i32 s8, s12, 1
	s_add_nc_u64 s[16:17], s[10:11], s[16:17]
	s_delay_alu instid0(SALU_CYCLE_1)
	s_add_nc_u64 s[12:13], s[16:17], 8
.LBB166_3:                              ; =>This Inner Loop Header: Depth=1
	s_clause 0x1
	s_load_b32 s16, s[12:13], 0x0
	s_load_b32 s17, s[12:13], 0x64
	s_mov_b32 s20, s14
	s_add_nc_u64 s[12:13], s[12:13], -4
	s_wait_kmcnt 0x0
	s_cvt_f32_u32 s18, s16
	s_sub_co_i32 s19, 0, s16
	s_wait_alu 0xfffe
	s_delay_alu instid0(SALU_CYCLE_1) | instskip(NEXT) | instid1(TRANS32_DEP_1)
	v_rcp_iflag_f32_e32 v1, s18
	v_readfirstlane_b32 s18, v1
	s_mul_f32 s18, s18, 0x4f7ffffe
	s_wait_alu 0xfffe
	s_delay_alu instid0(SALU_CYCLE_2) | instskip(SKIP_1) | instid1(SALU_CYCLE_2)
	s_cvt_u32_f32 s18, s18
	s_wait_alu 0xfffe
	s_mul_i32 s19, s19, s18
	s_wait_alu 0xfffe
	s_mul_hi_u32 s19, s18, s19
	s_wait_alu 0xfffe
	s_add_co_i32 s18, s18, s19
	s_wait_alu 0xfffe
	s_mul_hi_u32 s14, s14, s18
	s_delay_alu instid0(SALU_CYCLE_1)
	s_mul_i32 s18, s14, s16
	s_add_co_i32 s19, s14, 1
	s_wait_alu 0xfffe
	s_sub_co_i32 s18, s20, s18
	s_wait_alu 0xfffe
	s_sub_co_i32 s23, s18, s16
	s_cmp_ge_u32 s18, s16
	s_cselect_b32 s14, s19, s14
	s_cselect_b32 s18, s23, s18
	s_add_co_i32 s19, s14, 1
	s_wait_alu 0xfffe
	s_cmp_ge_u32 s18, s16
	s_cselect_b32 s14, s19, s14
	s_add_co_i32 s8, s8, -1
	s_mul_i32 s16, s14, s16
	s_delay_alu instid0(SALU_CYCLE_1) | instskip(NEXT) | instid1(SALU_CYCLE_1)
	s_sub_co_i32 s16, s20, s16
	s_mul_i32 s16, s17, s16
	s_delay_alu instid0(SALU_CYCLE_1)
	s_add_co_i32 s9, s16, s9
	s_cmp_gt_u32 s8, 2
	s_cbranch_scc1 .LBB166_3
.LBB166_4:
	s_mul_u64 s[6:7], s[2:3], s[6:7]
	s_clause 0x1
	s_load_b64 s[12:13], s[0:1], 0x0
	s_load_b64 s[28:29], s[0:1], 0x1c0
	s_mul_i32 s3, s7, s15
	s_add_nc_u64 s[36:37], s[0:1], 0x1c8
	s_wait_alu 0xfffe
	s_sub_co_i32 s0, s2, s3
	s_add_co_i32 s1, s7, 1
	s_sub_co_i32 s3, s0, s15
	s_cmp_ge_u32 s0, s15
	s_cselect_b32 s1, s1, s7
	s_wait_alu 0xfffe
	s_cselect_b32 s0, s3, s0
	s_add_co_i32 s3, s1, 1
	s_cmp_ge_u32 s0, s15
	s_wait_alu 0xfffe
	s_cselect_b32 s0, s3, s1
	s_mov_b32 s3, 0
	s_mul_i32 s1, s0, s15
	s_mul_i32 s0, s0, s4
	s_sub_co_i32 s1, s2, s1
	s_delay_alu instid0(SALU_CYCLE_1) | instskip(NEXT) | instid1(SALU_CYCLE_1)
	s_mul_i32 s1, s1, s5
	s_add_co_i32 s2, s0, s1
	s_wait_kmcnt 0x0
	s_bitcmp1_b32 s29, 0
	s_mov_b32 s0, 0x8000
	s_cselect_b32 s8, -1, 0
	s_delay_alu instid0(SALU_CYCLE_1)
	s_and_b32 s1, s8, exec_lo
	s_cselect_b32 s1, s0, 0x7fff
	s_wait_alu 0xfffe
	s_lshl_b64 s[2:3], s[2:3], 1
	s_pack_ll_b32_b16 s4, s1, s1
	s_wait_alu 0xfffe
	s_add_nc_u64 s[30:31], s[12:13], s[2:3]
	s_mov_b32 s5, s4
	s_mov_b32 s6, s4
	;; [unrolled: 1-line block ×3, first 2 shown]
	v_dual_mov_b32 v1, s4 :: v_dual_and_b32 v46, 0x3ff, v0
	v_dual_mov_b32 v2, s5 :: v_dual_mov_b32 v3, s6
	v_dual_mov_b32 v4, s7 :: v_dual_mov_b32 v5, s1
	s_delay_alu instid0(VALU_DEP_3)
	v_mul_lo_u32 v44, s22, v46
	v_cmp_gt_u32_e64 s0, s21, v46
	s_and_saveexec_b32 s1, s0
	s_cbranch_execz .LBB166_6
; %bb.5:
	v_mov_b32_e32 v45, 0
	v_dual_mov_b32 v3, s4 :: v_dual_mov_b32 v4, s4
	s_delay_alu instid0(VALU_DEP_2) | instskip(NEXT) | instid1(VALU_DEP_1)
	v_lshlrev_b64_e32 v[1:2], 1, v[44:45]
	v_add_co_u32 v1, vcc_lo, s30, v1
	s_delay_alu instid0(VALU_DEP_1)
	v_add_co_ci_u32_e64 v2, null, s31, v2, vcc_lo
	global_load_u16 v5, v[1:2], off
	v_mov_b32_e32 v2, s4
	s_wait_loadcnt 0x0
	v_bfi_b32 v1, 0xffff, v5, s4
.LBB166_6:
	s_wait_alu 0xfffe
	s_or_b32 exec_lo, exec_lo, s1
	v_add_nc_u32_e32 v15, 0x100, v46
	s_delay_alu instid0(VALU_DEP_1)
	v_cmp_gt_u32_e64 s1, s21, v15
	s_and_saveexec_b32 s2, s1
	s_cbranch_execz .LBB166_8
; %bb.7:
	v_mul_lo_u32 v6, s22, v15
	v_mov_b32_e32 v7, 0
	s_delay_alu instid0(VALU_DEP_1) | instskip(NEXT) | instid1(VALU_DEP_1)
	v_lshlrev_b64_e32 v[6:7], 1, v[6:7]
	v_add_co_u32 v6, vcc_lo, s30, v6
	s_wait_alu 0xfffd
	s_delay_alu instid0(VALU_DEP_2)
	v_add_co_ci_u32_e64 v7, null, s31, v7, vcc_lo
	global_load_d16_hi_b16 v1, v[6:7], off
.LBB166_8:
	s_wait_alu 0xfffe
	s_or_b32 exec_lo, exec_lo, s2
	v_add_nc_u32_e32 v16, 0x200, v46
	s_delay_alu instid0(VALU_DEP_1)
	v_cmp_gt_u32_e64 s2, s21, v16
	s_and_saveexec_b32 s3, s2
	s_cbranch_execz .LBB166_10
; %bb.9:
	v_mul_lo_u32 v6, s22, v16
	v_mov_b32_e32 v7, 0
	s_delay_alu instid0(VALU_DEP_1) | instskip(NEXT) | instid1(VALU_DEP_1)
	v_lshlrev_b64_e32 v[6:7], 1, v[6:7]
	v_add_co_u32 v6, vcc_lo, s30, v6
	s_wait_alu 0xfffd
	s_delay_alu instid0(VALU_DEP_2)
	v_add_co_ci_u32_e64 v7, null, s31, v7, vcc_lo
	global_load_d16_b16 v2, v[6:7], off
.LBB166_10:
	s_wait_alu 0xfffe
	s_or_b32 exec_lo, exec_lo, s3
	v_add_nc_u32_e32 v17, 0x300, v46
	s_delay_alu instid0(VALU_DEP_1)
	v_cmp_gt_u32_e64 s3, s21, v17
	s_and_saveexec_b32 s4, s3
	s_cbranch_execz .LBB166_12
; %bb.11:
	v_mul_lo_u32 v6, s22, v17
	v_mov_b32_e32 v7, 0
	s_delay_alu instid0(VALU_DEP_1) | instskip(NEXT) | instid1(VALU_DEP_1)
	v_lshlrev_b64_e32 v[6:7], 1, v[6:7]
	v_add_co_u32 v6, vcc_lo, s30, v6
	s_wait_alu 0xfffd
	s_delay_alu instid0(VALU_DEP_2)
	v_add_co_ci_u32_e64 v7, null, s31, v7, vcc_lo
	s_wait_loadcnt 0x0
	global_load_d16_hi_b16 v2, v[6:7], off
.LBB166_12:
	s_wait_alu 0xfffe
	s_or_b32 exec_lo, exec_lo, s4
	v_or_b32_e32 v18, 0x400, v46
	s_delay_alu instid0(VALU_DEP_1)
	v_cmp_gt_u32_e64 s4, s21, v18
	s_and_saveexec_b32 s5, s4
	s_cbranch_execz .LBB166_14
; %bb.13:
	v_mul_lo_u32 v6, s22, v18
	v_mov_b32_e32 v7, 0
	s_delay_alu instid0(VALU_DEP_1) | instskip(NEXT) | instid1(VALU_DEP_1)
	v_lshlrev_b64_e32 v[6:7], 1, v[6:7]
	v_add_co_u32 v6, vcc_lo, s30, v6
	s_wait_alu 0xfffd
	s_delay_alu instid0(VALU_DEP_2)
	v_add_co_ci_u32_e64 v7, null, s31, v7, vcc_lo
	global_load_d16_b16 v3, v[6:7], off
.LBB166_14:
	s_wait_alu 0xfffe
	s_or_b32 exec_lo, exec_lo, s5
	v_add_nc_u32_e32 v19, 0x500, v46
	s_delay_alu instid0(VALU_DEP_1)
	v_cmp_gt_u32_e64 s5, s21, v19
	s_and_saveexec_b32 s6, s5
	s_cbranch_execz .LBB166_16
; %bb.15:
	v_mul_lo_u32 v6, s22, v19
	v_mov_b32_e32 v7, 0
	s_delay_alu instid0(VALU_DEP_1) | instskip(NEXT) | instid1(VALU_DEP_1)
	v_lshlrev_b64_e32 v[6:7], 1, v[6:7]
	v_add_co_u32 v6, vcc_lo, s30, v6
	s_wait_alu 0xfffd
	s_delay_alu instid0(VALU_DEP_2)
	v_add_co_ci_u32_e64 v7, null, s31, v7, vcc_lo
	s_wait_loadcnt 0x0
	global_load_d16_hi_b16 v3, v[6:7], off
.LBB166_16:
	s_wait_alu 0xfffe
	s_or_b32 exec_lo, exec_lo, s6
	v_add_nc_u32_e32 v20, 0x600, v46
	s_delay_alu instid0(VALU_DEP_1)
	v_cmp_gt_u32_e64 s6, s21, v20
	s_and_saveexec_b32 s7, s6
	s_cbranch_execz .LBB166_18
; %bb.17:
	v_mul_lo_u32 v6, s22, v20
	v_mov_b32_e32 v7, 0
	s_delay_alu instid0(VALU_DEP_1) | instskip(NEXT) | instid1(VALU_DEP_1)
	v_lshlrev_b64_e32 v[6:7], 1, v[6:7]
	v_add_co_u32 v6, vcc_lo, s30, v6
	s_wait_alu 0xfffd
	s_delay_alu instid0(VALU_DEP_2)
	v_add_co_ci_u32_e64 v7, null, s31, v7, vcc_lo
	global_load_d16_b16 v4, v[6:7], off
.LBB166_18:
	s_wait_alu 0xfffe
	s_or_b32 exec_lo, exec_lo, s7
	s_clause 0x1
	s_load_b32 s12, s[10:11], 0x6c
	s_load_b64 s[10:11], s[10:11], 0x0
	v_add_nc_u32_e32 v21, 0x700, v46
	s_delay_alu instid0(VALU_DEP_1)
	v_cmp_gt_u32_e64 s7, s21, v21
	s_and_saveexec_b32 s13, s7
	s_cbranch_execz .LBB166_20
; %bb.19:
	v_mul_lo_u32 v6, s22, v21
	v_mov_b32_e32 v7, 0
	s_delay_alu instid0(VALU_DEP_1) | instskip(NEXT) | instid1(VALU_DEP_1)
	v_lshlrev_b64_e32 v[6:7], 1, v[6:7]
	v_add_co_u32 v6, vcc_lo, s30, v6
	s_wait_alu 0xfffd
	s_delay_alu instid0(VALU_DEP_2)
	v_add_co_ci_u32_e64 v7, null, s31, v7, vcc_lo
	s_wait_loadcnt 0x0
	global_load_d16_hi_b16 v4, v[6:7], off
.LBB166_20:
	s_or_b32 exec_lo, exec_lo, s13
	v_lshrrev_b32_e32 v6, 4, v46
	v_lshrrev_b32_e32 v7, 4, v15
	;; [unrolled: 1-line block ×3, first 2 shown]
	v_dual_mov_b32 v42, 0 :: v_dual_lshlrev_b32 v9, 1, v46
	s_delay_alu instid0(VALU_DEP_4) | instskip(NEXT) | instid1(VALU_DEP_4)
	v_and_b32_e32 v6, 60, v6
	v_and_b32_e32 v7, 0x7c, v7
	s_delay_alu instid0(VALU_DEP_4)
	v_and_b32_e32 v8, 0x7c, v8
	v_lshrrev_b32_e32 v10, 4, v17
	v_lshrrev_b32_e32 v11, 4, v21
	v_mov_b32_e32 v43, v42
	v_add_nc_u32_e32 v51, v6, v9
	v_dual_mov_b32 v12, v42 :: v_dual_add_nc_u32 v45, v7, v9
	v_add_nc_u32_e32 v52, v8, v9
	v_and_b32_e32 v6, 0x7c, v10
	v_lshrrev_b32_e32 v7, 4, v18
	v_lshrrev_b32_e32 v8, 4, v19
	;; [unrolled: 1-line block ×3, first 2 shown]
	s_wait_kmcnt 0x0
	s_mul_i32 s12, s12, s14
	v_add_nc_u32_e32 v53, v6, v9
	v_and_b32_e32 v6, 0x7c, v7
	v_and_b32_e32 v7, 0xfc, v8
	v_and_b32_e32 v8, 0xfc, v10
	v_and_b32_e32 v10, 0xfc, v11
	v_lshrrev_b32_e32 v11, 1, v46
	v_dual_mov_b32 v13, 0 :: v_dual_add_nc_u32 v54, v6, v9
	v_add_nc_u32_e32 v55, v7, v9
	v_add_nc_u32_e32 v56, v8, v9
	s_delay_alu instid0(VALU_DEP_4) | instskip(SKIP_2) | instid1(VALU_DEP_3)
	v_dual_mov_b32 v11, v42 :: v_dual_and_b32 v6, 0x1fc, v11
	v_mov_b32_e32 v7, v42
	v_dual_mov_b32 v14, 0 :: v_dual_add_nc_u32 v57, v10, v9
	v_lshl_add_u32 v58, v46, 4, v6
	ds_store_b16 v51, v5
	s_wait_loadcnt 0x0
	ds_store_b16_d16_hi v45, v1 offset:512
	ds_store_b16 v52, v2 offset:1024
	ds_store_b16_d16_hi v53, v2 offset:1536
	ds_store_b16 v54, v3 offset:2048
	ds_store_b16_d16_hi v55, v3 offset:2560
	ds_store_b16 v56, v4 offset:3072
	ds_store_b16_d16_hi v57, v4 offset:3584
	s_wait_dscnt 0x0
	s_barrier_signal -1
	s_barrier_wait -1
	global_inv scope:SCOPE_SE
	ds_load_2addr_b32 v[49:50], v58 offset1:1
	ds_load_2addr_b32 v[47:48], v58 offset0:2 offset1:3
	v_mul_lo_u32 v41, s28, v46
	s_add_co_i32 s12, s12, s9
	s_mov_b32 s13, 0
	v_dual_mov_b32 v9, v42 :: v_dual_mov_b32 v10, v42
	v_dual_mov_b32 v1, v42 :: v_dual_mov_b32 v2, v42
	;; [unrolled: 1-line block ×4, first 2 shown]
	v_mov_b32_e32 v8, v42
	s_lshl_b64 s[12:13], s[12:13], 3
	s_wait_loadcnt_dscnt 0x0
	s_add_nc_u64 s[34:35], s[10:11], s[12:13]
	s_barrier_signal -1
	s_barrier_wait -1
	global_inv scope:SCOPE_SE
	s_and_saveexec_b32 s9, s0
	s_cbranch_execnz .LBB166_76
; %bb.21:
	s_or_b32 exec_lo, exec_lo, s9
	s_and_saveexec_b32 s9, s1
	s_cbranch_execnz .LBB166_77
.LBB166_22:
	s_or_b32 exec_lo, exec_lo, s9
	s_and_saveexec_b32 s9, s2
	s_cbranch_execnz .LBB166_78
.LBB166_23:
	s_or_b32 exec_lo, exec_lo, s9
	s_and_saveexec_b32 s9, s3
	s_cbranch_execnz .LBB166_79
.LBB166_24:
	s_or_b32 exec_lo, exec_lo, s9
	s_and_saveexec_b32 s9, s4
	s_cbranch_execnz .LBB166_80
.LBB166_25:
	s_or_b32 exec_lo, exec_lo, s9
	s_and_saveexec_b32 s9, s5
	s_cbranch_execnz .LBB166_81
.LBB166_26:
	s_or_b32 exec_lo, exec_lo, s9
	s_and_saveexec_b32 s9, s6
	s_cbranch_execz .LBB166_28
.LBB166_27:
	v_mul_lo_u32 v5, s28, v20
	v_mov_b32_e32 v6, 0
	s_delay_alu instid0(VALU_DEP_1) | instskip(NEXT) | instid1(VALU_DEP_1)
	v_lshlrev_b64_e32 v[5:6], 3, v[5:6]
	v_add_co_u32 v5, vcc_lo, s34, v5
	s_wait_alu 0xfffd
	s_delay_alu instid0(VALU_DEP_2)
	v_add_co_ci_u32_e64 v6, null, s35, v6, vcc_lo
	global_load_b64 v[5:6], v[5:6], off
.LBB166_28:
	s_or_b32 exec_lo, exec_lo, s9
	v_lshrrev_b32_e32 v69, 5, v46
	v_lshrrev_b32_e32 v25, 5, v15
	;; [unrolled: 1-line block ×8, first 2 shown]
	v_lshlrev_b32_e32 v66, 3, v46
	v_lshrrev_b32_e32 v15, 2, v46
	s_xor_b32 s8, s8, -1
	s_and_saveexec_b32 s9, s7
	s_cbranch_execz .LBB166_30
; %bb.29:
	v_mul_lo_u32 v7, s28, v21
	v_mov_b32_e32 v8, 0
	s_delay_alu instid0(VALU_DEP_1) | instskip(NEXT) | instid1(VALU_DEP_1)
	v_lshlrev_b64_e32 v[7:8], 3, v[7:8]
	v_add_co_u32 v7, vcc_lo, s34, v7
	s_wait_alu 0xfffd
	s_delay_alu instid0(VALU_DEP_2)
	v_add_co_ci_u32_e64 v8, null, s35, v8, vcc_lo
	global_load_b64 v[7:8], v[7:8], off
.LBB166_30:
	s_or_b32 exec_lo, exec_lo, s9
	v_lshl_add_u32 v59, v69, 3, v66
	v_lshl_add_u32 v60, v25, 3, v66
	;; [unrolled: 1-line block ×5, first 2 shown]
	s_wait_loadcnt 0x0
	ds_store_b64 v59, v[13:14]
	ds_store_b64 v60, v[42:43] offset:2048
	ds_store_b64 v61, v[9:10] offset:4096
	;; [unrolled: 1-line block ×3, first 2 shown]
	v_lshlrev_b32_e32 v9, 3, v66
	v_lshl_add_u32 v42, v22, 3, v66
	v_lshl_add_u32 v43, v18, 3, v66
	v_lshl_add_u32 v64, v16, 3, v66
	ds_store_b64 v42, v[1:2] offset:8192
	ds_store_b64 v43, v[3:4] offset:10240
	;; [unrolled: 1-line block ×4, first 2 shown]
	v_lshl_add_u32 v65, v15, 3, v9
	s_wait_dscnt 0x0
	s_barrier_signal -1
	s_barrier_wait -1
	global_inv scope:SCOPE_SE
	ds_load_2addr_b64 v[5:8], v65 offset1:1
	ds_load_2addr_b64 v[1:4], v65 offset0:2 offset1:3
	v_mbcnt_lo_u32_b32 v70, -1, 0
	v_and_b32_e32 v17, 0x1f00, v66
	ds_load_2addr_b64 v[13:16], v65 offset0:4 offset1:5
	ds_load_2addr_b64 v[9:12], v65 offset0:6 offset1:7
	v_and_b32_e32 v72, 0x3e0, v46
	v_bfe_u32 v73, v0, 10, 10
	v_bfe_u32 v74, v0, 20, 10
	v_or_b32_e32 v71, v70, v17
	v_lshlrev_b32_e32 v67, 2, v66
	v_or_b32_e32 v18, v70, v72
	s_mov_b32 s12, 0
	s_and_b32 vcc_lo, exec_lo, s8
	v_lshlrev_b32_e32 v68, 1, v71
	s_mov_b32 s8, -1
	v_lshlrev_b32_e32 v76, 3, v18
	v_lshlrev_b32_e32 v77, 4, v18
	s_wait_loadcnt_dscnt 0x0
	v_mad_u32_u24 v75, v71, 6, v68
	s_barrier_signal -1
	s_barrier_wait -1
	global_inv scope:SCOPE_SE
	s_wait_alu 0xfffe
	s_cbranch_vccz .LBB166_82
; %bb.31:
	v_xor_b32_e32 v17, 0x80008000, v49
	v_xor_b32_e32 v18, 0x80008000, v50
	;; [unrolled: 1-line block ×4, first 2 shown]
	s_getpc_b64 s[8:9]
	s_sext_i32_i16 s9, s9
	s_add_co_u32 s8, s8, _ZN7rocprim17ROCPRIM_400000_NS16block_radix_sortIsLj256ELj8ElLj1ELj1ELj0ELNS0_26block_radix_rank_algorithmE1ELNS0_18block_padding_hintE2ELNS0_4arch9wavefront6targetE0EE19radix_bits_per_passE@rel32@lo+8
	s_add_co_ci_u32 s9, s9, _ZN7rocprim17ROCPRIM_400000_NS16block_radix_sortIsLj256ELj8ElLj1ELj1ELj0ELNS0_26block_radix_rank_algorithmE1ELNS0_18block_padding_hintE2ELNS0_4arch9wavefront6targetE0EE19radix_bits_per_passE@rel32@hi+16
	s_mov_b32 s13, s12
	s_load_b32 s20, s[8:9], 0x0
	s_mov_b32 s14, s12
	ds_store_b128 v77, v[17:20]
	; wave barrier
	ds_load_u16 v78, v68
	s_mov_b32 s15, s12
	v_lshlrev_b32_e32 v0, 3, v76
	ds_load_u16 v79, v68 offset:64
	ds_load_u16 v80, v68 offset:128
	;; [unrolled: 1-line block ×7, first 2 shown]
	s_wait_loadcnt_dscnt 0x0
	s_barrier_signal -1
	s_barrier_wait -1
	global_inv scope:SCOPE_SE
	ds_store_b128 v0, v[5:8]
	ds_store_b128 v0, v[1:4] offset:16
	ds_store_b128 v0, v[13:16] offset:32
	;; [unrolled: 1-line block ×3, first 2 shown]
	; wave barrier
	s_wait_kmcnt 0x0
	s_min_u32 s8, s20, 16
	s_delay_alu instid0(SALU_CYCLE_1) | instskip(NEXT) | instid1(SALU_CYCLE_1)
	s_lshl_b32 s8, -1, s8
	s_not_b32 s9, s8
	v_and_b32_e32 v17, 0xffff, v78
	s_delay_alu instid0(VALU_DEP_1)
	v_and_b32_e32 v40, s9, v17
	ds_load_2addr_b64 v[21:24], v75 offset1:32
	ds_load_2addr_b64 v[17:20], v75 offset0:64 offset1:96
	ds_load_2addr_b64 v[29:32], v75 offset0:128 offset1:160
	;; [unrolled: 1-line block ×3, first 2 shown]
	s_wait_loadcnt_dscnt 0x0
	s_barrier_signal -1
	v_and_b32_e32 v0, 1, v40
	v_lshlrev_b32_e32 v33, 30, v40
	v_lshlrev_b32_e32 v36, 28, v40
	;; [unrolled: 1-line block ×3, first 2 shown]
	s_barrier_wait -1
	v_add_co_u32 v0, s8, v0, -1
	s_wait_alu 0xf1ff
	v_cndmask_b32_e64 v34, 0, 1, s8
	v_not_b32_e32 v35, v33
	v_cmp_gt_i32_e64 s8, 0, v33
	global_inv scope:SCOPE_SE
	v_cmp_ne_u32_e32 vcc_lo, 0, v34
	v_lshlrev_b32_e32 v34, 29, v40
	v_ashrrev_i32_e32 v33, 31, v35
	s_wait_alu 0xfffd
	v_xor_b32_e32 v0, vcc_lo, v0
	s_delay_alu instid0(VALU_DEP_3)
	v_not_b32_e32 v35, v34
	v_cmp_gt_i32_e32 vcc_lo, 0, v34
	s_wait_alu 0xf1ff
	v_xor_b32_e32 v33, s8, v33
	s_load_b32 s8, s[36:37], 0xc
	v_and_b32_e32 v0, exec_lo, v0
	v_ashrrev_i32_e32 v34, 31, v35
	v_not_b32_e32 v35, v36
	s_delay_alu instid0(VALU_DEP_3) | instskip(NEXT) | instid1(VALU_DEP_3)
	v_and_b32_e32 v0, v0, v33
	v_xor_b32_e32 v33, vcc_lo, v34
	v_cmp_gt_i32_e32 vcc_lo, 0, v36
	s_delay_alu instid0(VALU_DEP_4) | instskip(SKIP_1) | instid1(VALU_DEP_4)
	v_ashrrev_i32_e32 v34, 31, v35
	v_not_b32_e32 v35, v37
	v_and_b32_e32 v0, v0, v33
	v_lshlrev_b32_e32 v33, 26, v40
	s_wait_alu 0xfffd
	v_xor_b32_e32 v34, vcc_lo, v34
	v_cmp_gt_i32_e32 vcc_lo, 0, v37
	v_ashrrev_i32_e32 v35, 31, v35
	v_not_b32_e32 v36, v33
	s_delay_alu instid0(VALU_DEP_4)
	v_and_b32_e32 v0, v0, v34
	v_lshlrev_b32_e32 v34, 25, v40
	s_wait_alu 0xfffd
	v_xor_b32_e32 v35, vcc_lo, v35
	v_cmp_gt_i32_e32 vcc_lo, 0, v33
	v_ashrrev_i32_e32 v33, 31, v36
	s_wait_kmcnt 0x0
	s_lshr_b32 s10, s8, 16
	v_not_b32_e32 v36, v34
	v_and_b32_e32 v0, v0, v35
	v_lshlrev_b32_e32 v35, 24, v40
	s_wait_alu 0xfffd
	v_xor_b32_e32 v33, vcc_lo, v33
	v_cmp_gt_i32_e32 vcc_lo, 0, v34
	v_ashrrev_i32_e32 v34, 31, v36
	v_mad_u32_u24 v37, v74, s10, v73
	v_not_b32_e32 v36, v35
	v_and_b32_e32 v0, v0, v33
	s_and_b32 s8, s8, 0xffff
	s_wait_alu 0xfffd
	v_xor_b32_e32 v33, vcc_lo, v34
	v_cmp_gt_i32_e32 vcc_lo, 0, v35
	v_ashrrev_i32_e32 v34, 31, v36
	s_wait_alu 0xfffe
	v_mad_co_u64_u32 v[38:39], null, v37, s8, v[46:47]
	v_and_b32_e32 v0, v0, v33
	s_wait_alu 0xfffd
	v_xor_b32_e32 v33, vcc_lo, v34
	v_dual_mov_b32 v37, s15 :: v_dual_mov_b32 v36, s14
	v_dual_mov_b32 v35, s13 :: v_dual_mov_b32 v34, s12
	s_delay_alu instid0(VALU_DEP_3)
	v_and_b32_e32 v33, v0, v33
	v_lshrrev_b32_e32 v0, 5, v38
	ds_store_b128 v67, v[34:37] offset:32
	ds_store_b128 v67, v[34:37] offset:48
	v_mbcnt_lo_u32_b32 v90, v33, 0
	v_lshlrev_b32_e32 v0, 2, v0
	v_lshlrev_b32_e32 v34, 5, v40
	v_cmp_ne_u32_e64 s8, 0, v33
	s_wait_loadcnt_dscnt 0x0
	v_cmp_eq_u32_e32 vcc_lo, 0, v90
	s_barrier_signal -1
	v_add_nc_u32_e32 v91, v0, v34
	s_barrier_wait -1
	global_inv scope:SCOPE_SE
	s_and_b32 s10, s8, vcc_lo
	; wave barrier
	s_wait_alu 0xfffe
	s_and_saveexec_b32 s8, s10
; %bb.32:
	v_bcnt_u32_b32 v33, v33, 0
	ds_store_b32 v91, v33 offset:32
; %bb.33:
	s_wait_alu 0xfffe
	s_or_b32 exec_lo, exec_lo, s8
	v_and_b32_e32 v33, 0xffff, v79
	; wave barrier
	s_delay_alu instid0(VALU_DEP_1) | instskip(NEXT) | instid1(VALU_DEP_1)
	v_and_b32_e32 v33, s9, v33
	v_and_b32_e32 v34, 1, v33
	v_lshlrev_b32_e32 v35, 30, v33
	v_lshlrev_b32_e32 v36, 29, v33
	;; [unrolled: 1-line block ×4, first 2 shown]
	v_add_co_u32 v34, s8, v34, -1
	s_wait_alu 0xf1ff
	v_cndmask_b32_e64 v38, 0, 1, s8
	v_not_b32_e32 v87, v35
	v_cmp_gt_i32_e64 s8, 0, v35
	v_not_b32_e32 v35, v36
	v_lshlrev_b32_e32 v40, 26, v33
	v_cmp_ne_u32_e32 vcc_lo, 0, v38
	v_ashrrev_i32_e32 v87, 31, v87
	v_lshlrev_b32_e32 v86, 25, v33
	v_ashrrev_i32_e32 v35, 31, v35
	v_lshlrev_b32_e32 v38, 24, v33
	s_wait_alu 0xfffd
	v_xor_b32_e32 v34, vcc_lo, v34
	v_cmp_gt_i32_e32 vcc_lo, 0, v36
	v_not_b32_e32 v36, v37
	s_wait_alu 0xf1ff
	v_xor_b32_e32 v87, s8, v87
	v_cmp_gt_i32_e64 s8, 0, v37
	v_and_b32_e32 v34, exec_lo, v34
	v_not_b32_e32 v37, v39
	v_ashrrev_i32_e32 v36, 31, v36
	s_wait_alu 0xfffd
	v_xor_b32_e32 v35, vcc_lo, v35
	v_cmp_gt_i32_e32 vcc_lo, 0, v39
	v_and_b32_e32 v34, v34, v87
	v_not_b32_e32 v39, v40
	v_ashrrev_i32_e32 v37, 31, v37
	s_wait_alu 0xf1ff
	v_xor_b32_e32 v36, s8, v36
	v_cmp_gt_i32_e64 s8, 0, v40
	v_and_b32_e32 v34, v34, v35
	v_not_b32_e32 v35, v86
	v_ashrrev_i32_e32 v39, 31, v39
	s_wait_alu 0xfffd
	v_xor_b32_e32 v37, vcc_lo, v37
	v_cmp_gt_i32_e32 vcc_lo, 0, v86
	v_and_b32_e32 v34, v34, v36
	v_not_b32_e32 v36, v38
	v_ashrrev_i32_e32 v35, 31, v35
	s_wait_alu 0xf1ff
	v_xor_b32_e32 v39, s8, v39
	v_lshlrev_b32_e32 v33, 5, v33
	v_and_b32_e32 v34, v34, v37
	v_cmp_gt_i32_e64 s8, 0, v38
	v_ashrrev_i32_e32 v36, 31, v36
	s_wait_alu 0xfffd
	v_xor_b32_e32 v35, vcc_lo, v35
	v_add_nc_u32_e32 v94, v0, v33
	v_and_b32_e32 v34, v34, v39
	s_wait_alu 0xf1ff
	v_xor_b32_e32 v33, s8, v36
	ds_load_b32 v92, v94 offset:32
	v_and_b32_e32 v34, v34, v35
	; wave barrier
	s_delay_alu instid0(VALU_DEP_1) | instskip(NEXT) | instid1(VALU_DEP_1)
	v_and_b32_e32 v33, v34, v33
	v_mbcnt_lo_u32_b32 v93, v33, 0
	v_cmp_ne_u32_e64 s8, 0, v33
	s_delay_alu instid0(VALU_DEP_2)
	v_cmp_eq_u32_e32 vcc_lo, 0, v93
	s_and_b32 s10, s8, vcc_lo
	s_wait_alu 0xfffe
	s_and_saveexec_b32 s8, s10
	s_cbranch_execz .LBB166_35
; %bb.34:
	s_wait_dscnt 0x0
	v_bcnt_u32_b32 v33, v33, v92
	ds_store_b32 v94, v33 offset:32
.LBB166_35:
	s_wait_alu 0xfffe
	s_or_b32 exec_lo, exec_lo, s8
	v_and_b32_e32 v33, 0xffff, v80
	; wave barrier
	s_delay_alu instid0(VALU_DEP_1) | instskip(NEXT) | instid1(VALU_DEP_1)
	v_and_b32_e32 v33, s9, v33
	v_and_b32_e32 v34, 1, v33
	v_lshlrev_b32_e32 v35, 30, v33
	v_lshlrev_b32_e32 v36, 29, v33
	;; [unrolled: 1-line block ×4, first 2 shown]
	v_add_co_u32 v34, s8, v34, -1
	s_wait_alu 0xf1ff
	v_cndmask_b32_e64 v38, 0, 1, s8
	v_not_b32_e32 v87, v35
	v_cmp_gt_i32_e64 s8, 0, v35
	v_not_b32_e32 v35, v36
	v_lshlrev_b32_e32 v40, 26, v33
	v_cmp_ne_u32_e32 vcc_lo, 0, v38
	v_ashrrev_i32_e32 v87, 31, v87
	v_lshlrev_b32_e32 v86, 25, v33
	v_ashrrev_i32_e32 v35, 31, v35
	v_lshlrev_b32_e32 v38, 24, v33
	s_wait_alu 0xfffd
	v_xor_b32_e32 v34, vcc_lo, v34
	v_cmp_gt_i32_e32 vcc_lo, 0, v36
	v_not_b32_e32 v36, v37
	s_wait_alu 0xf1ff
	v_xor_b32_e32 v87, s8, v87
	v_cmp_gt_i32_e64 s8, 0, v37
	v_and_b32_e32 v34, exec_lo, v34
	v_not_b32_e32 v37, v39
	v_ashrrev_i32_e32 v36, 31, v36
	s_wait_alu 0xfffd
	v_xor_b32_e32 v35, vcc_lo, v35
	v_cmp_gt_i32_e32 vcc_lo, 0, v39
	v_and_b32_e32 v34, v34, v87
	v_not_b32_e32 v39, v40
	v_ashrrev_i32_e32 v37, 31, v37
	s_wait_alu 0xf1ff
	v_xor_b32_e32 v36, s8, v36
	v_cmp_gt_i32_e64 s8, 0, v40
	v_and_b32_e32 v34, v34, v35
	v_not_b32_e32 v35, v86
	v_ashrrev_i32_e32 v39, 31, v39
	s_wait_alu 0xfffd
	v_xor_b32_e32 v37, vcc_lo, v37
	v_cmp_gt_i32_e32 vcc_lo, 0, v86
	v_and_b32_e32 v34, v34, v36
	v_not_b32_e32 v36, v38
	v_ashrrev_i32_e32 v35, 31, v35
	s_wait_alu 0xf1ff
	v_xor_b32_e32 v39, s8, v39
	v_lshlrev_b32_e32 v33, 5, v33
	v_and_b32_e32 v34, v34, v37
	v_cmp_gt_i32_e64 s8, 0, v38
	v_ashrrev_i32_e32 v36, 31, v36
	s_wait_alu 0xfffd
	v_xor_b32_e32 v35, vcc_lo, v35
	v_add_nc_u32_e32 v97, v0, v33
	v_and_b32_e32 v34, v34, v39
	s_wait_alu 0xf1ff
	v_xor_b32_e32 v33, s8, v36
	ds_load_b32 v95, v97 offset:32
	v_and_b32_e32 v34, v34, v35
	; wave barrier
	s_delay_alu instid0(VALU_DEP_1) | instskip(NEXT) | instid1(VALU_DEP_1)
	v_and_b32_e32 v33, v34, v33
	v_mbcnt_lo_u32_b32 v96, v33, 0
	v_cmp_ne_u32_e64 s8, 0, v33
	s_delay_alu instid0(VALU_DEP_2)
	v_cmp_eq_u32_e32 vcc_lo, 0, v96
	s_and_b32 s10, s8, vcc_lo
	s_wait_alu 0xfffe
	s_and_saveexec_b32 s8, s10
	s_cbranch_execz .LBB166_37
; %bb.36:
	s_wait_dscnt 0x0
	v_bcnt_u32_b32 v33, v33, v95
	ds_store_b32 v97, v33 offset:32
.LBB166_37:
	s_wait_alu 0xfffe
	s_or_b32 exec_lo, exec_lo, s8
	v_and_b32_e32 v33, 0xffff, v81
	; wave barrier
	s_delay_alu instid0(VALU_DEP_1) | instskip(NEXT) | instid1(VALU_DEP_1)
	v_and_b32_e32 v33, s9, v33
	v_and_b32_e32 v34, 1, v33
	v_lshlrev_b32_e32 v35, 30, v33
	v_lshlrev_b32_e32 v36, 29, v33
	;; [unrolled: 1-line block ×4, first 2 shown]
	v_add_co_u32 v34, s8, v34, -1
	s_wait_alu 0xf1ff
	v_cndmask_b32_e64 v38, 0, 1, s8
	v_not_b32_e32 v87, v35
	v_cmp_gt_i32_e64 s8, 0, v35
	v_not_b32_e32 v35, v36
	v_lshlrev_b32_e32 v40, 26, v33
	v_cmp_ne_u32_e32 vcc_lo, 0, v38
	v_ashrrev_i32_e32 v87, 31, v87
	v_lshlrev_b32_e32 v86, 25, v33
	v_ashrrev_i32_e32 v35, 31, v35
	v_lshlrev_b32_e32 v38, 24, v33
	s_wait_alu 0xfffd
	v_xor_b32_e32 v34, vcc_lo, v34
	v_cmp_gt_i32_e32 vcc_lo, 0, v36
	v_not_b32_e32 v36, v37
	s_wait_alu 0xf1ff
	v_xor_b32_e32 v87, s8, v87
	v_cmp_gt_i32_e64 s8, 0, v37
	v_and_b32_e32 v34, exec_lo, v34
	v_not_b32_e32 v37, v39
	v_ashrrev_i32_e32 v36, 31, v36
	s_wait_alu 0xfffd
	v_xor_b32_e32 v35, vcc_lo, v35
	v_cmp_gt_i32_e32 vcc_lo, 0, v39
	v_and_b32_e32 v34, v34, v87
	v_not_b32_e32 v39, v40
	v_ashrrev_i32_e32 v37, 31, v37
	s_wait_alu 0xf1ff
	v_xor_b32_e32 v36, s8, v36
	v_cmp_gt_i32_e64 s8, 0, v40
	v_and_b32_e32 v34, v34, v35
	v_not_b32_e32 v35, v86
	v_ashrrev_i32_e32 v39, 31, v39
	s_wait_alu 0xfffd
	v_xor_b32_e32 v37, vcc_lo, v37
	v_cmp_gt_i32_e32 vcc_lo, 0, v86
	v_and_b32_e32 v34, v34, v36
	v_not_b32_e32 v36, v38
	v_ashrrev_i32_e32 v35, 31, v35
	s_wait_alu 0xf1ff
	v_xor_b32_e32 v39, s8, v39
	v_lshlrev_b32_e32 v33, 5, v33
	v_and_b32_e32 v34, v34, v37
	v_cmp_gt_i32_e64 s8, 0, v38
	v_ashrrev_i32_e32 v36, 31, v36
	s_wait_alu 0xfffd
	v_xor_b32_e32 v35, vcc_lo, v35
	v_add_nc_u32_e32 v100, v0, v33
	v_and_b32_e32 v34, v34, v39
	s_wait_alu 0xf1ff
	v_xor_b32_e32 v33, s8, v36
	ds_load_b32 v98, v100 offset:32
	v_and_b32_e32 v34, v34, v35
	; wave barrier
	s_delay_alu instid0(VALU_DEP_1) | instskip(NEXT) | instid1(VALU_DEP_1)
	v_and_b32_e32 v33, v34, v33
	v_mbcnt_lo_u32_b32 v99, v33, 0
	v_cmp_ne_u32_e64 s8, 0, v33
	s_delay_alu instid0(VALU_DEP_2)
	v_cmp_eq_u32_e32 vcc_lo, 0, v99
	s_and_b32 s10, s8, vcc_lo
	s_wait_alu 0xfffe
	s_and_saveexec_b32 s8, s10
	s_cbranch_execz .LBB166_39
; %bb.38:
	s_wait_dscnt 0x0
	v_bcnt_u32_b32 v33, v33, v98
	ds_store_b32 v100, v33 offset:32
.LBB166_39:
	s_wait_alu 0xfffe
	s_or_b32 exec_lo, exec_lo, s8
	v_and_b32_e32 v33, 0xffff, v82
	; wave barrier
	s_delay_alu instid0(VALU_DEP_1) | instskip(NEXT) | instid1(VALU_DEP_1)
	v_and_b32_e32 v33, s9, v33
	v_and_b32_e32 v34, 1, v33
	v_lshlrev_b32_e32 v35, 30, v33
	v_lshlrev_b32_e32 v36, 29, v33
	;; [unrolled: 1-line block ×4, first 2 shown]
	v_add_co_u32 v34, s8, v34, -1
	s_wait_alu 0xf1ff
	v_cndmask_b32_e64 v38, 0, 1, s8
	v_not_b32_e32 v87, v35
	v_cmp_gt_i32_e64 s8, 0, v35
	v_not_b32_e32 v35, v36
	v_lshlrev_b32_e32 v40, 26, v33
	v_cmp_ne_u32_e32 vcc_lo, 0, v38
	v_ashrrev_i32_e32 v87, 31, v87
	v_lshlrev_b32_e32 v86, 25, v33
	v_ashrrev_i32_e32 v35, 31, v35
	v_lshlrev_b32_e32 v38, 24, v33
	s_wait_alu 0xfffd
	v_xor_b32_e32 v34, vcc_lo, v34
	v_cmp_gt_i32_e32 vcc_lo, 0, v36
	v_not_b32_e32 v36, v37
	s_wait_alu 0xf1ff
	v_xor_b32_e32 v87, s8, v87
	v_cmp_gt_i32_e64 s8, 0, v37
	v_and_b32_e32 v34, exec_lo, v34
	v_not_b32_e32 v37, v39
	v_ashrrev_i32_e32 v36, 31, v36
	s_wait_alu 0xfffd
	v_xor_b32_e32 v35, vcc_lo, v35
	v_cmp_gt_i32_e32 vcc_lo, 0, v39
	v_and_b32_e32 v34, v34, v87
	v_not_b32_e32 v39, v40
	v_ashrrev_i32_e32 v37, 31, v37
	s_wait_alu 0xf1ff
	v_xor_b32_e32 v36, s8, v36
	v_cmp_gt_i32_e64 s8, 0, v40
	v_and_b32_e32 v34, v34, v35
	v_not_b32_e32 v35, v86
	v_ashrrev_i32_e32 v39, 31, v39
	s_wait_alu 0xfffd
	v_xor_b32_e32 v37, vcc_lo, v37
	v_cmp_gt_i32_e32 vcc_lo, 0, v86
	v_and_b32_e32 v34, v34, v36
	v_not_b32_e32 v36, v38
	v_ashrrev_i32_e32 v35, 31, v35
	s_wait_alu 0xf1ff
	v_xor_b32_e32 v39, s8, v39
	v_lshlrev_b32_e32 v33, 5, v33
	v_and_b32_e32 v34, v34, v37
	v_cmp_gt_i32_e64 s8, 0, v38
	v_ashrrev_i32_e32 v36, 31, v36
	s_wait_alu 0xfffd
	v_xor_b32_e32 v35, vcc_lo, v35
	v_add_nc_u32_e32 v103, v0, v33
	v_and_b32_e32 v34, v34, v39
	s_wait_alu 0xf1ff
	v_xor_b32_e32 v33, s8, v36
	ds_load_b32 v101, v103 offset:32
	v_and_b32_e32 v34, v34, v35
	; wave barrier
	s_delay_alu instid0(VALU_DEP_1) | instskip(NEXT) | instid1(VALU_DEP_1)
	v_and_b32_e32 v33, v34, v33
	v_mbcnt_lo_u32_b32 v102, v33, 0
	v_cmp_ne_u32_e64 s8, 0, v33
	s_delay_alu instid0(VALU_DEP_2)
	v_cmp_eq_u32_e32 vcc_lo, 0, v102
	s_and_b32 s10, s8, vcc_lo
	s_wait_alu 0xfffe
	s_and_saveexec_b32 s8, s10
	s_cbranch_execz .LBB166_41
; %bb.40:
	s_wait_dscnt 0x0
	v_bcnt_u32_b32 v33, v33, v101
	ds_store_b32 v103, v33 offset:32
.LBB166_41:
	s_wait_alu 0xfffe
	s_or_b32 exec_lo, exec_lo, s8
	v_and_b32_e32 v33, 0xffff, v83
	; wave barrier
	s_delay_alu instid0(VALU_DEP_1) | instskip(NEXT) | instid1(VALU_DEP_1)
	v_and_b32_e32 v33, s9, v33
	v_and_b32_e32 v34, 1, v33
	v_lshlrev_b32_e32 v35, 30, v33
	v_lshlrev_b32_e32 v36, 29, v33
	;; [unrolled: 1-line block ×4, first 2 shown]
	v_add_co_u32 v34, s8, v34, -1
	s_wait_alu 0xf1ff
	v_cndmask_b32_e64 v38, 0, 1, s8
	v_not_b32_e32 v87, v35
	v_cmp_gt_i32_e64 s8, 0, v35
	v_not_b32_e32 v35, v36
	v_lshlrev_b32_e32 v40, 26, v33
	v_cmp_ne_u32_e32 vcc_lo, 0, v38
	v_ashrrev_i32_e32 v87, 31, v87
	v_lshlrev_b32_e32 v86, 25, v33
	v_ashrrev_i32_e32 v35, 31, v35
	v_lshlrev_b32_e32 v38, 24, v33
	s_wait_alu 0xfffd
	v_xor_b32_e32 v34, vcc_lo, v34
	v_cmp_gt_i32_e32 vcc_lo, 0, v36
	v_not_b32_e32 v36, v37
	s_wait_alu 0xf1ff
	v_xor_b32_e32 v87, s8, v87
	v_cmp_gt_i32_e64 s8, 0, v37
	v_and_b32_e32 v34, exec_lo, v34
	v_not_b32_e32 v37, v39
	v_ashrrev_i32_e32 v36, 31, v36
	s_wait_alu 0xfffd
	v_xor_b32_e32 v35, vcc_lo, v35
	v_cmp_gt_i32_e32 vcc_lo, 0, v39
	v_and_b32_e32 v34, v34, v87
	v_not_b32_e32 v39, v40
	v_ashrrev_i32_e32 v37, 31, v37
	s_wait_alu 0xf1ff
	v_xor_b32_e32 v36, s8, v36
	v_cmp_gt_i32_e64 s8, 0, v40
	v_and_b32_e32 v34, v34, v35
	v_not_b32_e32 v35, v86
	v_ashrrev_i32_e32 v39, 31, v39
	s_wait_alu 0xfffd
	v_xor_b32_e32 v37, vcc_lo, v37
	v_cmp_gt_i32_e32 vcc_lo, 0, v86
	v_and_b32_e32 v34, v34, v36
	v_not_b32_e32 v36, v38
	v_ashrrev_i32_e32 v35, 31, v35
	s_wait_alu 0xf1ff
	v_xor_b32_e32 v39, s8, v39
	v_lshlrev_b32_e32 v33, 5, v33
	v_and_b32_e32 v34, v34, v37
	v_cmp_gt_i32_e64 s8, 0, v38
	v_ashrrev_i32_e32 v36, 31, v36
	s_wait_alu 0xfffd
	v_xor_b32_e32 v35, vcc_lo, v35
	v_add_nc_u32_e32 v106, v0, v33
	v_and_b32_e32 v34, v34, v39
	s_wait_alu 0xf1ff
	v_xor_b32_e32 v33, s8, v36
	ds_load_b32 v104, v106 offset:32
	v_and_b32_e32 v34, v34, v35
	; wave barrier
	s_delay_alu instid0(VALU_DEP_1) | instskip(NEXT) | instid1(VALU_DEP_1)
	v_and_b32_e32 v33, v34, v33
	v_mbcnt_lo_u32_b32 v105, v33, 0
	v_cmp_ne_u32_e64 s8, 0, v33
	s_delay_alu instid0(VALU_DEP_2)
	v_cmp_eq_u32_e32 vcc_lo, 0, v105
	s_and_b32 s10, s8, vcc_lo
	s_wait_alu 0xfffe
	s_and_saveexec_b32 s8, s10
	s_cbranch_execz .LBB166_43
; %bb.42:
	s_wait_dscnt 0x0
	v_bcnt_u32_b32 v33, v33, v104
	ds_store_b32 v106, v33 offset:32
.LBB166_43:
	s_wait_alu 0xfffe
	s_or_b32 exec_lo, exec_lo, s8
	v_and_b32_e32 v33, 0xffff, v84
	; wave barrier
	s_delay_alu instid0(VALU_DEP_1) | instskip(NEXT) | instid1(VALU_DEP_1)
	v_and_b32_e32 v33, s9, v33
	v_and_b32_e32 v34, 1, v33
	v_lshlrev_b32_e32 v35, 30, v33
	v_lshlrev_b32_e32 v36, 29, v33
	;; [unrolled: 1-line block ×4, first 2 shown]
	v_add_co_u32 v34, s8, v34, -1
	s_wait_alu 0xf1ff
	v_cndmask_b32_e64 v38, 0, 1, s8
	v_not_b32_e32 v87, v35
	v_cmp_gt_i32_e64 s8, 0, v35
	v_not_b32_e32 v35, v36
	v_lshlrev_b32_e32 v40, 26, v33
	v_cmp_ne_u32_e32 vcc_lo, 0, v38
	v_ashrrev_i32_e32 v87, 31, v87
	v_lshlrev_b32_e32 v86, 25, v33
	v_ashrrev_i32_e32 v35, 31, v35
	v_lshlrev_b32_e32 v38, 24, v33
	s_wait_alu 0xfffd
	v_xor_b32_e32 v34, vcc_lo, v34
	v_cmp_gt_i32_e32 vcc_lo, 0, v36
	v_not_b32_e32 v36, v37
	s_wait_alu 0xf1ff
	v_xor_b32_e32 v87, s8, v87
	v_cmp_gt_i32_e64 s8, 0, v37
	v_and_b32_e32 v34, exec_lo, v34
	v_not_b32_e32 v37, v39
	v_ashrrev_i32_e32 v36, 31, v36
	s_wait_alu 0xfffd
	v_xor_b32_e32 v35, vcc_lo, v35
	v_cmp_gt_i32_e32 vcc_lo, 0, v39
	v_and_b32_e32 v34, v34, v87
	v_not_b32_e32 v39, v40
	v_ashrrev_i32_e32 v37, 31, v37
	s_wait_alu 0xf1ff
	v_xor_b32_e32 v36, s8, v36
	v_cmp_gt_i32_e64 s8, 0, v40
	v_and_b32_e32 v34, v34, v35
	v_not_b32_e32 v35, v86
	v_ashrrev_i32_e32 v39, 31, v39
	s_wait_alu 0xfffd
	v_xor_b32_e32 v37, vcc_lo, v37
	v_cmp_gt_i32_e32 vcc_lo, 0, v86
	v_and_b32_e32 v34, v34, v36
	v_not_b32_e32 v36, v38
	v_ashrrev_i32_e32 v35, 31, v35
	s_wait_alu 0xf1ff
	v_xor_b32_e32 v39, s8, v39
	v_lshlrev_b32_e32 v33, 5, v33
	v_and_b32_e32 v34, v34, v37
	v_cmp_gt_i32_e64 s8, 0, v38
	v_ashrrev_i32_e32 v36, 31, v36
	s_wait_alu 0xfffd
	v_xor_b32_e32 v35, vcc_lo, v35
	v_add_nc_u32_e32 v109, v0, v33
	v_and_b32_e32 v34, v34, v39
	s_wait_alu 0xf1ff
	v_xor_b32_e32 v33, s8, v36
	ds_load_b32 v107, v109 offset:32
	v_and_b32_e32 v34, v34, v35
	; wave barrier
	s_delay_alu instid0(VALU_DEP_1) | instskip(NEXT) | instid1(VALU_DEP_1)
	v_and_b32_e32 v33, v34, v33
	v_mbcnt_lo_u32_b32 v108, v33, 0
	v_cmp_ne_u32_e64 s8, 0, v33
	s_delay_alu instid0(VALU_DEP_2)
	v_cmp_eq_u32_e32 vcc_lo, 0, v108
	s_and_b32 s10, s8, vcc_lo
	s_wait_alu 0xfffe
	s_and_saveexec_b32 s8, s10
	s_cbranch_execz .LBB166_45
; %bb.44:
	s_wait_dscnt 0x0
	v_bcnt_u32_b32 v33, v33, v107
	ds_store_b32 v109, v33 offset:32
.LBB166_45:
	s_wait_alu 0xfffe
	s_or_b32 exec_lo, exec_lo, s8
	v_and_b32_e32 v33, 0xffff, v85
	; wave barrier
	s_delay_alu instid0(VALU_DEP_1) | instskip(NEXT) | instid1(VALU_DEP_1)
	v_and_b32_e32 v33, s9, v33
	v_and_b32_e32 v34, 1, v33
	v_lshlrev_b32_e32 v35, 30, v33
	v_lshlrev_b32_e32 v36, 29, v33
	;; [unrolled: 1-line block ×4, first 2 shown]
	v_add_co_u32 v34, s8, v34, -1
	s_wait_alu 0xf1ff
	v_cndmask_b32_e64 v38, 0, 1, s8
	v_not_b32_e32 v87, v35
	v_cmp_gt_i32_e64 s8, 0, v35
	v_not_b32_e32 v35, v36
	v_lshlrev_b32_e32 v40, 26, v33
	v_cmp_ne_u32_e32 vcc_lo, 0, v38
	v_ashrrev_i32_e32 v87, 31, v87
	v_lshlrev_b32_e32 v86, 25, v33
	v_ashrrev_i32_e32 v35, 31, v35
	v_lshlrev_b32_e32 v38, 24, v33
	s_wait_alu 0xfffd
	v_xor_b32_e32 v34, vcc_lo, v34
	v_cmp_gt_i32_e32 vcc_lo, 0, v36
	v_not_b32_e32 v36, v37
	s_wait_alu 0xf1ff
	v_xor_b32_e32 v87, s8, v87
	v_cmp_gt_i32_e64 s8, 0, v37
	v_and_b32_e32 v34, exec_lo, v34
	v_not_b32_e32 v37, v39
	v_ashrrev_i32_e32 v36, 31, v36
	s_wait_alu 0xfffd
	v_xor_b32_e32 v35, vcc_lo, v35
	v_cmp_gt_i32_e32 vcc_lo, 0, v39
	v_and_b32_e32 v34, v34, v87
	v_not_b32_e32 v39, v40
	v_ashrrev_i32_e32 v37, 31, v37
	s_wait_alu 0xf1ff
	v_xor_b32_e32 v36, s8, v36
	v_cmp_gt_i32_e64 s8, 0, v40
	v_and_b32_e32 v34, v34, v35
	v_not_b32_e32 v35, v86
	v_ashrrev_i32_e32 v39, 31, v39
	s_wait_alu 0xfffd
	v_xor_b32_e32 v37, vcc_lo, v37
	v_cmp_gt_i32_e32 vcc_lo, 0, v86
	v_and_b32_e32 v34, v34, v36
	v_not_b32_e32 v36, v38
	v_ashrrev_i32_e32 v35, 31, v35
	s_wait_alu 0xf1ff
	v_xor_b32_e32 v39, s8, v39
	v_lshlrev_b32_e32 v33, 5, v33
	v_and_b32_e32 v34, v34, v37
	v_cmp_gt_i32_e64 s8, 0, v38
	v_ashrrev_i32_e32 v36, 31, v36
	s_wait_alu 0xfffd
	v_xor_b32_e32 v35, vcc_lo, v35
	v_add_nc_u32_e32 v112, v0, v33
	v_and_b32_e32 v34, v34, v39
	v_min_u32_e32 v86, 0xe0, v72
	s_wait_alu 0xf1ff
	v_xor_b32_e32 v33, s8, v36
	ds_load_b32 v110, v112 offset:32
	v_and_b32_e32 v34, v34, v35
	; wave barrier
	s_delay_alu instid0(VALU_DEP_1) | instskip(NEXT) | instid1(VALU_DEP_1)
	v_and_b32_e32 v33, v34, v33
	v_mbcnt_lo_u32_b32 v111, v33, 0
	v_cmp_ne_u32_e64 s8, 0, v33
	s_delay_alu instid0(VALU_DEP_2)
	v_cmp_eq_u32_e32 vcc_lo, 0, v111
	s_and_b32 s9, s8, vcc_lo
	s_wait_alu 0xfffe
	s_and_saveexec_b32 s8, s9
	s_cbranch_execz .LBB166_47
; %bb.46:
	s_wait_dscnt 0x0
	v_bcnt_u32_b32 v33, v33, v110
	ds_store_b32 v112, v33 offset:32
.LBB166_47:
	s_wait_alu 0xfffe
	s_or_b32 exec_lo, exec_lo, s8
	; wave barrier
	s_wait_loadcnt_dscnt 0x0
	s_barrier_signal -1
	s_barrier_wait -1
	global_inv scope:SCOPE_SE
	ds_load_b128 v[37:40], v67 offset:32
	ds_load_b128 v[33:36], v67 offset:48
	v_and_b32_e32 v89, 16, v70
	v_or_b32_e32 v86, 31, v86
	s_delay_alu instid0(VALU_DEP_2) | instskip(NEXT) | instid1(VALU_DEP_2)
	v_cmp_eq_u32_e64 s17, 0, v89
	v_cmp_eq_u32_e64 s15, v46, v86
	s_wait_dscnt 0x1
	v_add_nc_u32_e32 v87, v38, v37
	s_delay_alu instid0(VALU_DEP_1) | instskip(SKIP_1) | instid1(VALU_DEP_1)
	v_add3_u32 v87, v87, v39, v40
	s_wait_dscnt 0x0
	v_add3_u32 v87, v87, v33, v34
	s_delay_alu instid0(VALU_DEP_1) | instskip(SKIP_1) | instid1(VALU_DEP_2)
	v_add3_u32 v36, v87, v35, v36
	v_and_b32_e32 v87, 15, v70
	v_mov_b32_dpp v88, v36 row_shr:1 row_mask:0xf bank_mask:0xf
	s_delay_alu instid0(VALU_DEP_2)
	v_cmp_eq_u32_e64 s9, 0, v87
	v_cmp_lt_u32_e64 s11, 1, v87
	v_cmp_lt_u32_e64 s12, 3, v87
	;; [unrolled: 1-line block ×3, first 2 shown]
	s_wait_alu 0xf1ff
	v_cndmask_b32_e64 v88, v88, 0, s9
	s_delay_alu instid0(VALU_DEP_1) | instskip(NEXT) | instid1(VALU_DEP_1)
	v_add_nc_u32_e32 v36, v88, v36
	v_mov_b32_dpp v88, v36 row_shr:2 row_mask:0xf bank_mask:0xf
	s_delay_alu instid0(VALU_DEP_1) | instskip(NEXT) | instid1(VALU_DEP_1)
	v_cndmask_b32_e64 v88, 0, v88, s11
	v_add_nc_u32_e32 v36, v36, v88
	s_delay_alu instid0(VALU_DEP_1) | instskip(NEXT) | instid1(VALU_DEP_1)
	v_mov_b32_dpp v88, v36 row_shr:4 row_mask:0xf bank_mask:0xf
	v_cndmask_b32_e64 v88, 0, v88, s12
	s_delay_alu instid0(VALU_DEP_1) | instskip(NEXT) | instid1(VALU_DEP_1)
	v_add_nc_u32_e32 v36, v36, v88
	v_mov_b32_dpp v88, v36 row_shr:8 row_mask:0xf bank_mask:0xf
	s_delay_alu instid0(VALU_DEP_1) | instskip(NEXT) | instid1(VALU_DEP_1)
	v_cndmask_b32_e64 v87, 0, v88, s14
	v_add_nc_u32_e32 v88, v36, v87
	v_bfe_i32 v87, v70, 4, 1
	ds_swizzle_b32 v36, v88 offset:swizzle(BROADCAST,32,15)
	s_wait_dscnt 0x0
	v_and_b32_e32 v113, v87, v36
	v_mul_i32_i24_e32 v36, 0xffffffe4, v46
	v_lshlrev_b32_e32 v87, 2, v69
	s_delay_alu instid0(VALU_DEP_3)
	v_add_nc_u32_e32 v89, v88, v113
	s_and_saveexec_b32 s8, s15
; %bb.48:
	ds_store_b32 v87, v89
; %bb.49:
	s_wait_alu 0xfffe
	s_or_b32 exec_lo, exec_lo, s8
	v_and_b32_e32 v86, 7, v70
	v_cmp_gt_u32_e64 s16, 8, v46
	s_wait_loadcnt_dscnt 0x0
	s_barrier_signal -1
	s_barrier_wait -1
	v_cmp_eq_u32_e64 s13, 0, v86
	v_cmp_lt_u32_e64 s10, 1, v86
	v_cmp_lt_u32_e32 vcc_lo, 3, v86
	v_add_nc_u32_e32 v86, v67, v36
	global_inv scope:SCOPE_SE
	s_and_saveexec_b32 s8, s16
	s_cbranch_execz .LBB166_51
; %bb.50:
	ds_load_b32 v36, v86
	s_wait_dscnt 0x0
	v_mov_b32_dpp v88, v36 row_shr:1 row_mask:0xf bank_mask:0xf
	s_wait_alu 0xf1ff
	s_delay_alu instid0(VALU_DEP_1) | instskip(NEXT) | instid1(VALU_DEP_1)
	v_cndmask_b32_e64 v88, v88, 0, s13
	v_add_nc_u32_e32 v36, v88, v36
	s_delay_alu instid0(VALU_DEP_1) | instskip(NEXT) | instid1(VALU_DEP_1)
	v_mov_b32_dpp v88, v36 row_shr:2 row_mask:0xf bank_mask:0xf
	v_cndmask_b32_e64 v88, 0, v88, s10
	s_delay_alu instid0(VALU_DEP_1) | instskip(NEXT) | instid1(VALU_DEP_1)
	v_add_nc_u32_e32 v36, v36, v88
	v_mov_b32_dpp v88, v36 row_shr:4 row_mask:0xf bank_mask:0xf
	s_wait_alu 0xfffd
	s_delay_alu instid0(VALU_DEP_1) | instskip(NEXT) | instid1(VALU_DEP_1)
	v_cndmask_b32_e32 v88, 0, v88, vcc_lo
	v_add_nc_u32_e32 v36, v36, v88
	ds_store_b32 v86, v36
.LBB166_51:
	s_wait_alu 0xfffe
	s_or_b32 exec_lo, exec_lo, s8
	v_sub_co_u32 v113, s8, v70, 1
	v_mul_u32_u24_e32 v36, 6, v71
	v_cmp_lt_u32_e64 s18, 31, v46
	v_add_nc_u32_e32 v88, -4, v87
	v_mov_b32_e32 v114, 0
	s_wait_loadcnt_dscnt 0x0
	s_barrier_signal -1
	s_barrier_wait -1
	global_inv scope:SCOPE_SE
	s_and_saveexec_b32 s19, s18
; %bb.52:
	ds_load_b32 v114, v88
; %bb.53:
	s_wait_alu 0xfffe
	s_or_b32 exec_lo, exec_lo, s19
	v_cmp_gt_i32_e64 s19, 0, v113
	s_mov_b32 s24, 0
	s_min_u32 s20, s20, 8
	s_mov_b32 s25, s24
	s_mov_b32 s26, s24
	v_cndmask_b32_e64 v113, v113, v70, s19
	s_mov_b32 s27, s24
	s_wait_dscnt 0x0
	v_add_nc_u32_e32 v115, v114, v89
	v_cmp_eq_u32_e64 s19, 0, v46
	s_wait_alu 0xfffe
	s_lshl_b32 s20, -1, s20
	v_lshlrev_b32_e32 v89, 2, v113
	s_wait_alu 0xfffe
	s_not_b32 s23, s20
	ds_bpermute_b32 v113, v89, v115
	s_wait_dscnt 0x0
	v_cndmask_b32_e64 v113, v113, v114, s8
	s_delay_alu instid0(VALU_DEP_1) | instskip(NEXT) | instid1(VALU_DEP_1)
	v_cndmask_b32_e64 v113, v113, 0, s19
	v_add_nc_u32_e32 v114, v113, v37
	s_delay_alu instid0(VALU_DEP_1) | instskip(NEXT) | instid1(VALU_DEP_1)
	v_add_nc_u32_e32 v115, v114, v38
	v_add_nc_u32_e32 v116, v115, v39
	s_delay_alu instid0(VALU_DEP_1) | instskip(NEXT) | instid1(VALU_DEP_1)
	v_add_nc_u32_e32 v37, v116, v40
	;; [unrolled: 3-line block ×3, first 2 shown]
	v_add_nc_u32_e32 v40, v39, v35
	ds_store_b128 v67, v[113:116] offset:32
	ds_store_b128 v67, v[37:40] offset:48
	s_wait_loadcnt_dscnt 0x0
	s_barrier_signal -1
	s_barrier_wait -1
	global_inv scope:SCOPE_SE
	ds_load_b32 v33, v91 offset:32
	ds_load_b32 v34, v94 offset:32
	;; [unrolled: 1-line block ×8, first 2 shown]
	v_add_nc_u32_e32 v94, v68, v36
	s_wait_loadcnt_dscnt 0x0
	s_barrier_signal -1
	s_barrier_wait -1
	global_inv scope:SCOPE_SE
	v_add_nc_u32_e32 v90, v33, v90
	v_add3_u32 v92, v93, v92, v34
	v_add3_u32 v93, v96, v95, v35
	;; [unrolled: 1-line block ×7, first 2 shown]
	v_lshlrev_b32_e32 v33, 1, v90
	v_lshlrev_b32_e32 v34, 1, v92
	;; [unrolled: 1-line block ×8, first 2 shown]
	ds_store_b16 v33, v78
	ds_store_b16 v34, v79
	;; [unrolled: 1-line block ×8, first 2 shown]
	s_wait_loadcnt_dscnt 0x0
	s_barrier_signal -1
	s_barrier_wait -1
	global_inv scope:SCOPE_SE
	ds_load_u16 v78, v68
	ds_load_u16 v79, v68 offset:64
	ds_load_u16 v80, v68 offset:128
	;; [unrolled: 1-line block ×7, first 2 shown]
	v_mad_co_u64_u32 v[90:91], null, v90, 6, v[33:34]
	v_mad_co_u64_u32 v[33:34], null, v92, 6, v[34:35]
	;; [unrolled: 1-line block ×3, first 2 shown]
	s_wait_loadcnt_dscnt 0x0
	s_barrier_signal -1
	s_barrier_wait -1
	global_inv scope:SCOPE_SE
	v_mad_co_u64_u32 v[35:36], null, v95, 6, v[36:37]
	v_lshrrev_b16 v91, 8, v78
	ds_store_b64 v90, v[21:22]
	v_mad_co_u64_u32 v[36:37], null, v96, 6, v[37:38]
	v_mad_co_u64_u32 v[37:38], null, v97, 6, v[38:39]
	v_and_b32_e32 v21, 0xffff, v91
	v_mad_co_u64_u32 v[38:39], null, v98, 6, v[39:40]
	v_mad_co_u64_u32 v[39:40], null, v99, 6, v[40:41]
	s_wait_alu 0xfffe
	s_delay_alu instid0(VALU_DEP_3)
	v_and_b32_e32 v40, s23, v21
	ds_store_b64 v33, v[23:24]
	ds_store_b64 v34, v[17:18]
	;; [unrolled: 1-line block ×7, first 2 shown]
	v_and_b32_e32 v17, 1, v40
	v_lshlrev_b32_e32 v18, 30, v40
	v_lshlrev_b32_e32 v19, 29, v40
	;; [unrolled: 1-line block ×4, first 2 shown]
	v_add_co_u32 v17, s20, v17, -1
	s_wait_alu 0xf1ff
	v_cndmask_b32_e64 v21, 0, 1, s20
	v_not_b32_e32 v25, v18
	v_cmp_gt_i32_e64 s21, 0, v18
	v_not_b32_e32 v18, v19
	v_lshlrev_b32_e32 v23, 26, v40
	v_cmp_ne_u32_e64 s20, 0, v21
	v_ashrrev_i32_e32 v25, 31, v25
	v_lshlrev_b32_e32 v24, 25, v40
	v_ashrrev_i32_e32 v18, 31, v18
	v_lshlrev_b32_e32 v21, 24, v40
	s_wait_alu 0xf1ff
	v_xor_b32_e32 v17, s20, v17
	v_cmp_gt_i32_e64 s20, 0, v19
	v_not_b32_e32 v19, v20
	v_xor_b32_e32 v25, s21, v25
	v_cmp_gt_i32_e64 s21, 0, v20
	v_and_b32_e32 v17, exec_lo, v17
	v_not_b32_e32 v20, v22
	v_ashrrev_i32_e32 v19, 31, v19
	s_wait_alu 0xf1ff
	v_xor_b32_e32 v18, s20, v18
	v_cmp_gt_i32_e64 s20, 0, v22
	v_and_b32_e32 v17, v17, v25
	v_not_b32_e32 v22, v23
	v_ashrrev_i32_e32 v20, 31, v20
	v_xor_b32_e32 v19, s21, v19
	v_cmp_gt_i32_e64 s21, 0, v23
	v_and_b32_e32 v17, v17, v18
	v_not_b32_e32 v18, v24
	v_ashrrev_i32_e32 v22, 31, v22
	s_wait_alu 0xf1ff
	v_xor_b32_e32 v20, s20, v20
	v_cmp_gt_i32_e64 s20, 0, v24
	v_and_b32_e32 v17, v17, v19
	v_not_b32_e32 v19, v21
	v_ashrrev_i32_e32 v18, 31, v18
	v_xor_b32_e32 v22, s21, v22
	v_cmp_gt_i32_e64 s21, 0, v21
	v_and_b32_e32 v17, v17, v20
	v_ashrrev_i32_e32 v19, 31, v19
	s_wait_alu 0xf1ff
	v_xor_b32_e32 v18, s20, v18
	s_wait_loadcnt_dscnt 0x0
	s_barrier_signal -1
	v_and_b32_e32 v17, v17, v22
	v_xor_b32_e32 v33, s21, v19
	s_barrier_wait -1
	global_inv scope:SCOPE_SE
	ds_load_2addr_b64 v[21:24], v94 offset1:32
	v_and_b32_e32 v38, v17, v18
	ds_load_2addr_b64 v[29:32], v94 offset0:64 offset1:96
	ds_load_2addr_b64 v[25:28], v94 offset0:128 offset1:160
	;; [unrolled: 1-line block ×3, first 2 shown]
	v_dual_mov_b32 v37, s27 :: v_dual_mov_b32 v36, s26
	v_mov_b32_e32 v35, s25
	v_dual_mov_b32 v34, s24 :: v_dual_and_b32 v33, v38, v33
	v_lshl_add_u32 v91, v40, 5, v0
	s_wait_loadcnt_dscnt 0x0
	s_barrier_signal -1
	s_delay_alu instid0(VALU_DEP_2)
	v_mbcnt_lo_u32_b32 v90, v33, 0
	v_cmp_ne_u32_e64 s21, 0, v33
	s_barrier_wait -1
	global_inv scope:SCOPE_SE
	ds_store_b128 v67, v[34:37] offset:32
	ds_store_b128 v67, v[34:37] offset:48
	v_cmp_eq_u32_e64 s20, 0, v90
	s_wait_loadcnt_dscnt 0x0
	s_barrier_signal -1
	s_barrier_wait -1
	global_inv scope:SCOPE_SE
	s_and_b32 s21, s21, s20
	; wave barrier
	s_wait_alu 0xfffe
	s_and_saveexec_b32 s20, s21
; %bb.54:
	v_bcnt_u32_b32 v33, v33, 0
	ds_store_b32 v91, v33 offset:32
; %bb.55:
	s_wait_alu 0xfffe
	s_or_b32 exec_lo, exec_lo, s20
	v_lshrrev_b16 v33, 8, v79
	; wave barrier
	s_delay_alu instid0(VALU_DEP_1) | instskip(NEXT) | instid1(VALU_DEP_1)
	v_and_b32_e32 v33, s23, v33
	v_and_b32_e32 v34, 1, v33
	v_lshlrev_b32_e32 v35, 30, v33
	v_lshlrev_b32_e32 v36, 29, v33
	;; [unrolled: 1-line block ×4, first 2 shown]
	v_add_co_u32 v34, s20, v34, -1
	s_wait_alu 0xf1ff
	v_cndmask_b32_e64 v38, 0, 1, s20
	v_not_b32_e32 v93, v35
	v_cmp_gt_i32_e64 s21, 0, v35
	v_not_b32_e32 v35, v36
	v_lshlrev_b32_e32 v40, 26, v33
	v_cmp_ne_u32_e64 s20, 0, v38
	v_ashrrev_i32_e32 v93, 31, v93
	v_lshlrev_b32_e32 v92, 25, v33
	v_ashrrev_i32_e32 v35, 31, v35
	v_lshlrev_b32_e32 v38, 24, v33
	s_wait_alu 0xf1ff
	v_xor_b32_e32 v34, s20, v34
	v_cmp_gt_i32_e64 s20, 0, v36
	v_not_b32_e32 v36, v37
	v_xor_b32_e32 v93, s21, v93
	v_cmp_gt_i32_e64 s21, 0, v37
	v_and_b32_e32 v34, exec_lo, v34
	v_not_b32_e32 v37, v39
	v_ashrrev_i32_e32 v36, 31, v36
	s_wait_alu 0xf1ff
	v_xor_b32_e32 v35, s20, v35
	v_cmp_gt_i32_e64 s20, 0, v39
	v_and_b32_e32 v34, v34, v93
	v_not_b32_e32 v39, v40
	v_ashrrev_i32_e32 v37, 31, v37
	v_xor_b32_e32 v36, s21, v36
	v_cmp_gt_i32_e64 s21, 0, v40
	v_and_b32_e32 v34, v34, v35
	v_not_b32_e32 v35, v92
	v_ashrrev_i32_e32 v39, 31, v39
	s_wait_alu 0xf1ff
	v_xor_b32_e32 v37, s20, v37
	v_cmp_gt_i32_e64 s20, 0, v92
	v_and_b32_e32 v34, v34, v36
	v_not_b32_e32 v36, v38
	v_ashrrev_i32_e32 v35, 31, v35
	v_xor_b32_e32 v39, s21, v39
	v_cmp_gt_i32_e64 s21, 0, v38
	v_and_b32_e32 v34, v34, v37
	v_ashrrev_i32_e32 v36, 31, v36
	s_wait_alu 0xf1ff
	v_xor_b32_e32 v35, s20, v35
	v_lshl_add_u32 v94, v33, 5, v0
	v_and_b32_e32 v34, v34, v39
	v_xor_b32_e32 v33, s21, v36
	ds_load_b32 v92, v94 offset:32
	v_and_b32_e32 v34, v34, v35
	; wave barrier
	s_delay_alu instid0(VALU_DEP_1) | instskip(NEXT) | instid1(VALU_DEP_1)
	v_and_b32_e32 v33, v34, v33
	v_mbcnt_lo_u32_b32 v93, v33, 0
	v_cmp_ne_u32_e64 s21, 0, v33
	s_delay_alu instid0(VALU_DEP_2)
	v_cmp_eq_u32_e64 s20, 0, v93
	s_and_b32 s21, s21, s20
	s_wait_alu 0xfffe
	s_and_saveexec_b32 s20, s21
	s_cbranch_execz .LBB166_57
; %bb.56:
	s_wait_dscnt 0x0
	v_bcnt_u32_b32 v33, v33, v92
	ds_store_b32 v94, v33 offset:32
.LBB166_57:
	s_wait_alu 0xfffe
	s_or_b32 exec_lo, exec_lo, s20
	v_lshrrev_b16 v33, 8, v80
	; wave barrier
	s_delay_alu instid0(VALU_DEP_1) | instskip(NEXT) | instid1(VALU_DEP_1)
	v_and_b32_e32 v33, s23, v33
	v_and_b32_e32 v34, 1, v33
	v_lshlrev_b32_e32 v35, 30, v33
	v_lshlrev_b32_e32 v36, 29, v33
	;; [unrolled: 1-line block ×4, first 2 shown]
	v_add_co_u32 v34, s20, v34, -1
	s_wait_alu 0xf1ff
	v_cndmask_b32_e64 v38, 0, 1, s20
	v_not_b32_e32 v96, v35
	v_cmp_gt_i32_e64 s21, 0, v35
	v_not_b32_e32 v35, v36
	v_lshlrev_b32_e32 v40, 26, v33
	v_cmp_ne_u32_e64 s20, 0, v38
	v_ashrrev_i32_e32 v96, 31, v96
	v_lshlrev_b32_e32 v95, 25, v33
	v_ashrrev_i32_e32 v35, 31, v35
	v_lshlrev_b32_e32 v38, 24, v33
	s_wait_alu 0xf1ff
	v_xor_b32_e32 v34, s20, v34
	v_cmp_gt_i32_e64 s20, 0, v36
	v_not_b32_e32 v36, v37
	v_xor_b32_e32 v96, s21, v96
	v_cmp_gt_i32_e64 s21, 0, v37
	v_and_b32_e32 v34, exec_lo, v34
	v_not_b32_e32 v37, v39
	v_ashrrev_i32_e32 v36, 31, v36
	s_wait_alu 0xf1ff
	v_xor_b32_e32 v35, s20, v35
	v_cmp_gt_i32_e64 s20, 0, v39
	v_and_b32_e32 v34, v34, v96
	v_not_b32_e32 v39, v40
	v_ashrrev_i32_e32 v37, 31, v37
	v_xor_b32_e32 v36, s21, v36
	v_cmp_gt_i32_e64 s21, 0, v40
	v_and_b32_e32 v34, v34, v35
	v_not_b32_e32 v35, v95
	v_ashrrev_i32_e32 v39, 31, v39
	s_wait_alu 0xf1ff
	v_xor_b32_e32 v37, s20, v37
	v_cmp_gt_i32_e64 s20, 0, v95
	v_and_b32_e32 v34, v34, v36
	v_not_b32_e32 v36, v38
	v_ashrrev_i32_e32 v35, 31, v35
	v_xor_b32_e32 v39, s21, v39
	v_cmp_gt_i32_e64 s21, 0, v38
	v_and_b32_e32 v34, v34, v37
	v_ashrrev_i32_e32 v36, 31, v36
	s_wait_alu 0xf1ff
	v_xor_b32_e32 v35, s20, v35
	v_lshl_add_u32 v97, v33, 5, v0
	v_and_b32_e32 v34, v34, v39
	v_xor_b32_e32 v33, s21, v36
	ds_load_b32 v95, v97 offset:32
	v_and_b32_e32 v34, v34, v35
	; wave barrier
	s_delay_alu instid0(VALU_DEP_1) | instskip(NEXT) | instid1(VALU_DEP_1)
	v_and_b32_e32 v33, v34, v33
	v_mbcnt_lo_u32_b32 v96, v33, 0
	v_cmp_ne_u32_e64 s21, 0, v33
	s_delay_alu instid0(VALU_DEP_2)
	v_cmp_eq_u32_e64 s20, 0, v96
	s_and_b32 s21, s21, s20
	s_wait_alu 0xfffe
	s_and_saveexec_b32 s20, s21
	s_cbranch_execz .LBB166_59
; %bb.58:
	s_wait_dscnt 0x0
	v_bcnt_u32_b32 v33, v33, v95
	ds_store_b32 v97, v33 offset:32
.LBB166_59:
	s_wait_alu 0xfffe
	s_or_b32 exec_lo, exec_lo, s20
	v_lshrrev_b16 v33, 8, v81
	; wave barrier
	s_delay_alu instid0(VALU_DEP_1) | instskip(NEXT) | instid1(VALU_DEP_1)
	v_and_b32_e32 v33, s23, v33
	v_and_b32_e32 v34, 1, v33
	v_lshlrev_b32_e32 v35, 30, v33
	v_lshlrev_b32_e32 v36, 29, v33
	;; [unrolled: 1-line block ×4, first 2 shown]
	v_add_co_u32 v34, s20, v34, -1
	s_wait_alu 0xf1ff
	v_cndmask_b32_e64 v38, 0, 1, s20
	v_not_b32_e32 v99, v35
	v_cmp_gt_i32_e64 s21, 0, v35
	v_not_b32_e32 v35, v36
	v_lshlrev_b32_e32 v40, 26, v33
	v_cmp_ne_u32_e64 s20, 0, v38
	v_ashrrev_i32_e32 v99, 31, v99
	v_lshlrev_b32_e32 v98, 25, v33
	v_ashrrev_i32_e32 v35, 31, v35
	v_lshlrev_b32_e32 v38, 24, v33
	s_wait_alu 0xf1ff
	v_xor_b32_e32 v34, s20, v34
	v_cmp_gt_i32_e64 s20, 0, v36
	v_not_b32_e32 v36, v37
	v_xor_b32_e32 v99, s21, v99
	v_cmp_gt_i32_e64 s21, 0, v37
	v_and_b32_e32 v34, exec_lo, v34
	v_not_b32_e32 v37, v39
	v_ashrrev_i32_e32 v36, 31, v36
	s_wait_alu 0xf1ff
	v_xor_b32_e32 v35, s20, v35
	v_cmp_gt_i32_e64 s20, 0, v39
	v_and_b32_e32 v34, v34, v99
	v_not_b32_e32 v39, v40
	v_ashrrev_i32_e32 v37, 31, v37
	v_xor_b32_e32 v36, s21, v36
	v_cmp_gt_i32_e64 s21, 0, v40
	v_and_b32_e32 v34, v34, v35
	v_not_b32_e32 v35, v98
	v_ashrrev_i32_e32 v39, 31, v39
	s_wait_alu 0xf1ff
	v_xor_b32_e32 v37, s20, v37
	v_cmp_gt_i32_e64 s20, 0, v98
	v_and_b32_e32 v34, v34, v36
	v_not_b32_e32 v36, v38
	v_ashrrev_i32_e32 v35, 31, v35
	v_xor_b32_e32 v39, s21, v39
	v_cmp_gt_i32_e64 s21, 0, v38
	v_and_b32_e32 v34, v34, v37
	v_ashrrev_i32_e32 v36, 31, v36
	s_wait_alu 0xf1ff
	v_xor_b32_e32 v35, s20, v35
	v_lshl_add_u32 v100, v33, 5, v0
	v_and_b32_e32 v34, v34, v39
	v_xor_b32_e32 v33, s21, v36
	ds_load_b32 v98, v100 offset:32
	v_and_b32_e32 v34, v34, v35
	; wave barrier
	s_delay_alu instid0(VALU_DEP_1) | instskip(NEXT) | instid1(VALU_DEP_1)
	v_and_b32_e32 v33, v34, v33
	v_mbcnt_lo_u32_b32 v99, v33, 0
	v_cmp_ne_u32_e64 s21, 0, v33
	s_delay_alu instid0(VALU_DEP_2)
	v_cmp_eq_u32_e64 s20, 0, v99
	s_and_b32 s21, s21, s20
	s_wait_alu 0xfffe
	s_and_saveexec_b32 s20, s21
	s_cbranch_execz .LBB166_61
; %bb.60:
	s_wait_dscnt 0x0
	v_bcnt_u32_b32 v33, v33, v98
	ds_store_b32 v100, v33 offset:32
.LBB166_61:
	s_wait_alu 0xfffe
	s_or_b32 exec_lo, exec_lo, s20
	v_lshrrev_b16 v33, 8, v82
	; wave barrier
	s_delay_alu instid0(VALU_DEP_1) | instskip(NEXT) | instid1(VALU_DEP_1)
	v_and_b32_e32 v33, s23, v33
	v_and_b32_e32 v34, 1, v33
	v_lshlrev_b32_e32 v35, 30, v33
	v_lshlrev_b32_e32 v36, 29, v33
	;; [unrolled: 1-line block ×4, first 2 shown]
	v_add_co_u32 v34, s20, v34, -1
	s_wait_alu 0xf1ff
	v_cndmask_b32_e64 v38, 0, 1, s20
	v_not_b32_e32 v102, v35
	v_cmp_gt_i32_e64 s21, 0, v35
	v_not_b32_e32 v35, v36
	v_lshlrev_b32_e32 v40, 26, v33
	v_cmp_ne_u32_e64 s20, 0, v38
	v_ashrrev_i32_e32 v102, 31, v102
	v_lshlrev_b32_e32 v101, 25, v33
	v_ashrrev_i32_e32 v35, 31, v35
	v_lshlrev_b32_e32 v38, 24, v33
	s_wait_alu 0xf1ff
	v_xor_b32_e32 v34, s20, v34
	v_cmp_gt_i32_e64 s20, 0, v36
	v_not_b32_e32 v36, v37
	v_xor_b32_e32 v102, s21, v102
	v_cmp_gt_i32_e64 s21, 0, v37
	v_and_b32_e32 v34, exec_lo, v34
	v_not_b32_e32 v37, v39
	v_ashrrev_i32_e32 v36, 31, v36
	s_wait_alu 0xf1ff
	v_xor_b32_e32 v35, s20, v35
	v_cmp_gt_i32_e64 s20, 0, v39
	v_and_b32_e32 v34, v34, v102
	v_not_b32_e32 v39, v40
	v_ashrrev_i32_e32 v37, 31, v37
	v_xor_b32_e32 v36, s21, v36
	v_cmp_gt_i32_e64 s21, 0, v40
	v_and_b32_e32 v34, v34, v35
	v_not_b32_e32 v35, v101
	v_ashrrev_i32_e32 v39, 31, v39
	s_wait_alu 0xf1ff
	v_xor_b32_e32 v37, s20, v37
	v_cmp_gt_i32_e64 s20, 0, v101
	v_and_b32_e32 v34, v34, v36
	v_not_b32_e32 v36, v38
	v_ashrrev_i32_e32 v35, 31, v35
	v_xor_b32_e32 v39, s21, v39
	v_cmp_gt_i32_e64 s21, 0, v38
	v_and_b32_e32 v34, v34, v37
	v_ashrrev_i32_e32 v36, 31, v36
	s_wait_alu 0xf1ff
	v_xor_b32_e32 v35, s20, v35
	v_lshl_add_u32 v103, v33, 5, v0
	v_and_b32_e32 v34, v34, v39
	v_xor_b32_e32 v33, s21, v36
	ds_load_b32 v101, v103 offset:32
	v_and_b32_e32 v34, v34, v35
	; wave barrier
	s_delay_alu instid0(VALU_DEP_1) | instskip(NEXT) | instid1(VALU_DEP_1)
	v_and_b32_e32 v33, v34, v33
	v_mbcnt_lo_u32_b32 v102, v33, 0
	v_cmp_ne_u32_e64 s21, 0, v33
	s_delay_alu instid0(VALU_DEP_2)
	v_cmp_eq_u32_e64 s20, 0, v102
	s_and_b32 s21, s21, s20
	s_wait_alu 0xfffe
	s_and_saveexec_b32 s20, s21
	s_cbranch_execz .LBB166_63
; %bb.62:
	s_wait_dscnt 0x0
	v_bcnt_u32_b32 v33, v33, v101
	ds_store_b32 v103, v33 offset:32
.LBB166_63:
	s_wait_alu 0xfffe
	s_or_b32 exec_lo, exec_lo, s20
	v_lshrrev_b16 v33, 8, v83
	; wave barrier
	s_delay_alu instid0(VALU_DEP_1) | instskip(NEXT) | instid1(VALU_DEP_1)
	v_and_b32_e32 v33, s23, v33
	v_and_b32_e32 v34, 1, v33
	v_lshlrev_b32_e32 v35, 30, v33
	v_lshlrev_b32_e32 v36, 29, v33
	;; [unrolled: 1-line block ×4, first 2 shown]
	v_add_co_u32 v34, s20, v34, -1
	s_wait_alu 0xf1ff
	v_cndmask_b32_e64 v38, 0, 1, s20
	v_not_b32_e32 v105, v35
	v_cmp_gt_i32_e64 s21, 0, v35
	v_not_b32_e32 v35, v36
	v_lshlrev_b32_e32 v40, 26, v33
	v_cmp_ne_u32_e64 s20, 0, v38
	v_ashrrev_i32_e32 v105, 31, v105
	v_lshlrev_b32_e32 v104, 25, v33
	v_ashrrev_i32_e32 v35, 31, v35
	v_lshlrev_b32_e32 v38, 24, v33
	s_wait_alu 0xf1ff
	v_xor_b32_e32 v34, s20, v34
	v_cmp_gt_i32_e64 s20, 0, v36
	v_not_b32_e32 v36, v37
	v_xor_b32_e32 v105, s21, v105
	v_cmp_gt_i32_e64 s21, 0, v37
	v_and_b32_e32 v34, exec_lo, v34
	v_not_b32_e32 v37, v39
	v_ashrrev_i32_e32 v36, 31, v36
	s_wait_alu 0xf1ff
	v_xor_b32_e32 v35, s20, v35
	v_cmp_gt_i32_e64 s20, 0, v39
	v_and_b32_e32 v34, v34, v105
	v_not_b32_e32 v39, v40
	v_ashrrev_i32_e32 v37, 31, v37
	v_xor_b32_e32 v36, s21, v36
	v_cmp_gt_i32_e64 s21, 0, v40
	v_and_b32_e32 v34, v34, v35
	v_not_b32_e32 v35, v104
	v_ashrrev_i32_e32 v39, 31, v39
	s_wait_alu 0xf1ff
	v_xor_b32_e32 v37, s20, v37
	v_cmp_gt_i32_e64 s20, 0, v104
	v_and_b32_e32 v34, v34, v36
	v_not_b32_e32 v36, v38
	v_ashrrev_i32_e32 v35, 31, v35
	v_xor_b32_e32 v39, s21, v39
	v_cmp_gt_i32_e64 s21, 0, v38
	v_and_b32_e32 v34, v34, v37
	v_ashrrev_i32_e32 v36, 31, v36
	s_wait_alu 0xf1ff
	v_xor_b32_e32 v35, s20, v35
	v_lshl_add_u32 v106, v33, 5, v0
	v_and_b32_e32 v34, v34, v39
	v_xor_b32_e32 v33, s21, v36
	ds_load_b32 v104, v106 offset:32
	v_and_b32_e32 v34, v34, v35
	; wave barrier
	s_delay_alu instid0(VALU_DEP_1) | instskip(NEXT) | instid1(VALU_DEP_1)
	v_and_b32_e32 v33, v34, v33
	v_mbcnt_lo_u32_b32 v105, v33, 0
	v_cmp_ne_u32_e64 s21, 0, v33
	s_delay_alu instid0(VALU_DEP_2)
	v_cmp_eq_u32_e64 s20, 0, v105
	s_and_b32 s21, s21, s20
	s_wait_alu 0xfffe
	s_and_saveexec_b32 s20, s21
	s_cbranch_execz .LBB166_65
; %bb.64:
	s_wait_dscnt 0x0
	v_bcnt_u32_b32 v33, v33, v104
	ds_store_b32 v106, v33 offset:32
.LBB166_65:
	s_wait_alu 0xfffe
	s_or_b32 exec_lo, exec_lo, s20
	v_lshrrev_b16 v33, 8, v84
	; wave barrier
	s_delay_alu instid0(VALU_DEP_1) | instskip(NEXT) | instid1(VALU_DEP_1)
	v_and_b32_e32 v33, s23, v33
	v_and_b32_e32 v34, 1, v33
	v_lshlrev_b32_e32 v35, 30, v33
	v_lshlrev_b32_e32 v36, 29, v33
	;; [unrolled: 1-line block ×4, first 2 shown]
	v_add_co_u32 v34, s20, v34, -1
	s_wait_alu 0xf1ff
	v_cndmask_b32_e64 v38, 0, 1, s20
	v_not_b32_e32 v108, v35
	v_cmp_gt_i32_e64 s21, 0, v35
	v_not_b32_e32 v35, v36
	v_lshlrev_b32_e32 v40, 26, v33
	v_cmp_ne_u32_e64 s20, 0, v38
	v_ashrrev_i32_e32 v108, 31, v108
	v_lshlrev_b32_e32 v107, 25, v33
	v_ashrrev_i32_e32 v35, 31, v35
	v_lshlrev_b32_e32 v38, 24, v33
	s_wait_alu 0xf1ff
	v_xor_b32_e32 v34, s20, v34
	v_cmp_gt_i32_e64 s20, 0, v36
	v_not_b32_e32 v36, v37
	v_xor_b32_e32 v108, s21, v108
	v_cmp_gt_i32_e64 s21, 0, v37
	v_and_b32_e32 v34, exec_lo, v34
	v_not_b32_e32 v37, v39
	v_ashrrev_i32_e32 v36, 31, v36
	s_wait_alu 0xf1ff
	v_xor_b32_e32 v35, s20, v35
	v_cmp_gt_i32_e64 s20, 0, v39
	v_and_b32_e32 v34, v34, v108
	v_not_b32_e32 v39, v40
	v_ashrrev_i32_e32 v37, 31, v37
	v_xor_b32_e32 v36, s21, v36
	v_cmp_gt_i32_e64 s21, 0, v40
	v_and_b32_e32 v34, v34, v35
	v_not_b32_e32 v35, v107
	v_ashrrev_i32_e32 v39, 31, v39
	s_wait_alu 0xf1ff
	v_xor_b32_e32 v37, s20, v37
	v_cmp_gt_i32_e64 s20, 0, v107
	v_and_b32_e32 v34, v34, v36
	v_not_b32_e32 v36, v38
	v_ashrrev_i32_e32 v35, 31, v35
	v_xor_b32_e32 v39, s21, v39
	v_cmp_gt_i32_e64 s21, 0, v38
	v_and_b32_e32 v34, v34, v37
	v_ashrrev_i32_e32 v36, 31, v36
	s_wait_alu 0xf1ff
	v_xor_b32_e32 v35, s20, v35
	v_lshl_add_u32 v109, v33, 5, v0
	v_and_b32_e32 v34, v34, v39
	v_xor_b32_e32 v33, s21, v36
	ds_load_b32 v107, v109 offset:32
	v_and_b32_e32 v34, v34, v35
	; wave barrier
	s_delay_alu instid0(VALU_DEP_1) | instskip(NEXT) | instid1(VALU_DEP_1)
	v_and_b32_e32 v33, v34, v33
	v_mbcnt_lo_u32_b32 v108, v33, 0
	v_cmp_ne_u32_e64 s21, 0, v33
	s_delay_alu instid0(VALU_DEP_2)
	v_cmp_eq_u32_e64 s20, 0, v108
	s_and_b32 s21, s21, s20
	s_wait_alu 0xfffe
	s_and_saveexec_b32 s20, s21
	s_cbranch_execz .LBB166_67
; %bb.66:
	s_wait_dscnt 0x0
	v_bcnt_u32_b32 v33, v33, v107
	ds_store_b32 v109, v33 offset:32
.LBB166_67:
	s_wait_alu 0xfffe
	s_or_b32 exec_lo, exec_lo, s20
	v_lshrrev_b16 v33, 8, v85
	; wave barrier
	s_delay_alu instid0(VALU_DEP_1) | instskip(NEXT) | instid1(VALU_DEP_1)
	v_and_b32_e32 v33, s23, v33
	v_and_b32_e32 v34, 1, v33
	v_lshlrev_b32_e32 v35, 30, v33
	v_lshlrev_b32_e32 v36, 29, v33
	;; [unrolled: 1-line block ×4, first 2 shown]
	v_add_co_u32 v34, s20, v34, -1
	s_wait_alu 0xf1ff
	v_cndmask_b32_e64 v38, 0, 1, s20
	v_not_b32_e32 v111, v35
	v_cmp_gt_i32_e64 s21, 0, v35
	v_not_b32_e32 v35, v36
	v_lshlrev_b32_e32 v40, 26, v33
	v_cmp_ne_u32_e64 s20, 0, v38
	v_ashrrev_i32_e32 v111, 31, v111
	v_lshlrev_b32_e32 v110, 25, v33
	v_ashrrev_i32_e32 v35, 31, v35
	v_lshlrev_b32_e32 v38, 24, v33
	s_wait_alu 0xf1ff
	v_xor_b32_e32 v34, s20, v34
	v_cmp_gt_i32_e64 s20, 0, v36
	v_not_b32_e32 v36, v37
	v_xor_b32_e32 v111, s21, v111
	v_cmp_gt_i32_e64 s21, 0, v37
	v_and_b32_e32 v34, exec_lo, v34
	v_not_b32_e32 v37, v39
	v_ashrrev_i32_e32 v36, 31, v36
	s_wait_alu 0xf1ff
	v_xor_b32_e32 v35, s20, v35
	v_cmp_gt_i32_e64 s20, 0, v39
	v_and_b32_e32 v34, v34, v111
	v_not_b32_e32 v39, v40
	v_ashrrev_i32_e32 v37, 31, v37
	v_xor_b32_e32 v36, s21, v36
	v_cmp_gt_i32_e64 s21, 0, v40
	v_and_b32_e32 v34, v34, v35
	v_not_b32_e32 v35, v110
	v_ashrrev_i32_e32 v39, 31, v39
	s_wait_alu 0xf1ff
	v_xor_b32_e32 v37, s20, v37
	v_cmp_gt_i32_e64 s20, 0, v110
	v_and_b32_e32 v34, v34, v36
	v_not_b32_e32 v36, v38
	v_ashrrev_i32_e32 v35, 31, v35
	v_xor_b32_e32 v39, s21, v39
	v_cmp_gt_i32_e64 s21, 0, v38
	v_and_b32_e32 v34, v34, v37
	v_ashrrev_i32_e32 v36, 31, v36
	s_wait_alu 0xf1ff
	v_xor_b32_e32 v35, s20, v35
	v_lshl_add_u32 v111, v33, 5, v0
	v_and_b32_e32 v34, v34, v39
	v_xor_b32_e32 v33, s21, v36
	ds_load_b32 v0, v111 offset:32
	v_and_b32_e32 v34, v34, v35
	; wave barrier
	s_delay_alu instid0(VALU_DEP_1) | instskip(NEXT) | instid1(VALU_DEP_1)
	v_and_b32_e32 v33, v34, v33
	v_mbcnt_lo_u32_b32 v110, v33, 0
	v_cmp_ne_u32_e64 s21, 0, v33
	s_delay_alu instid0(VALU_DEP_2)
	v_cmp_eq_u32_e64 s20, 0, v110
	s_and_b32 s21, s21, s20
	s_wait_alu 0xfffe
	s_and_saveexec_b32 s20, s21
	s_cbranch_execz .LBB166_69
; %bb.68:
	s_wait_dscnt 0x0
	v_bcnt_u32_b32 v33, v33, v0
	ds_store_b32 v111, v33 offset:32
.LBB166_69:
	s_wait_alu 0xfffe
	s_or_b32 exec_lo, exec_lo, s20
	; wave barrier
	s_wait_loadcnt_dscnt 0x0
	s_barrier_signal -1
	s_barrier_wait -1
	global_inv scope:SCOPE_SE
	ds_load_b128 v[37:40], v67 offset:32
	ds_load_b128 v[33:36], v67 offset:48
	s_wait_dscnt 0x1
	v_add_nc_u32_e32 v112, v38, v37
	s_delay_alu instid0(VALU_DEP_1) | instskip(SKIP_1) | instid1(VALU_DEP_1)
	v_add3_u32 v112, v112, v39, v40
	s_wait_dscnt 0x0
	v_add3_u32 v112, v112, v33, v34
	s_delay_alu instid0(VALU_DEP_1) | instskip(NEXT) | instid1(VALU_DEP_1)
	v_add3_u32 v36, v112, v35, v36
	v_mov_b32_dpp v112, v36 row_shr:1 row_mask:0xf bank_mask:0xf
	s_delay_alu instid0(VALU_DEP_1) | instskip(NEXT) | instid1(VALU_DEP_1)
	v_cndmask_b32_e64 v112, v112, 0, s9
	v_add_nc_u32_e32 v36, v112, v36
	s_delay_alu instid0(VALU_DEP_1) | instskip(NEXT) | instid1(VALU_DEP_1)
	v_mov_b32_dpp v112, v36 row_shr:2 row_mask:0xf bank_mask:0xf
	v_cndmask_b32_e64 v112, 0, v112, s11
	s_delay_alu instid0(VALU_DEP_1) | instskip(NEXT) | instid1(VALU_DEP_1)
	v_add_nc_u32_e32 v36, v36, v112
	v_mov_b32_dpp v112, v36 row_shr:4 row_mask:0xf bank_mask:0xf
	s_delay_alu instid0(VALU_DEP_1) | instskip(NEXT) | instid1(VALU_DEP_1)
	v_cndmask_b32_e64 v112, 0, v112, s12
	v_add_nc_u32_e32 v36, v36, v112
	s_delay_alu instid0(VALU_DEP_1) | instskip(NEXT) | instid1(VALU_DEP_1)
	v_mov_b32_dpp v112, v36 row_shr:8 row_mask:0xf bank_mask:0xf
	v_cndmask_b32_e64 v112, 0, v112, s14
	s_delay_alu instid0(VALU_DEP_1) | instskip(SKIP_3) | instid1(VALU_DEP_1)
	v_add_nc_u32_e32 v36, v36, v112
	ds_swizzle_b32 v112, v36 offset:swizzle(BROADCAST,32,15)
	s_wait_dscnt 0x0
	v_cndmask_b32_e64 v112, v112, 0, s17
	v_add_nc_u32_e32 v36, v36, v112
	s_and_saveexec_b32 s9, s15
; %bb.70:
	ds_store_b32 v87, v36
; %bb.71:
	s_wait_alu 0xfffe
	s_or_b32 exec_lo, exec_lo, s9
	s_wait_loadcnt_dscnt 0x0
	s_barrier_signal -1
	s_barrier_wait -1
	global_inv scope:SCOPE_SE
	s_and_saveexec_b32 s9, s16
	s_cbranch_execz .LBB166_73
; %bb.72:
	ds_load_b32 v87, v86
	s_wait_dscnt 0x0
	v_mov_b32_dpp v112, v87 row_shr:1 row_mask:0xf bank_mask:0xf
	s_delay_alu instid0(VALU_DEP_1) | instskip(NEXT) | instid1(VALU_DEP_1)
	v_cndmask_b32_e64 v112, v112, 0, s13
	v_add_nc_u32_e32 v87, v112, v87
	s_delay_alu instid0(VALU_DEP_1) | instskip(NEXT) | instid1(VALU_DEP_1)
	v_mov_b32_dpp v112, v87 row_shr:2 row_mask:0xf bank_mask:0xf
	v_cndmask_b32_e64 v112, 0, v112, s10
	s_delay_alu instid0(VALU_DEP_1) | instskip(NEXT) | instid1(VALU_DEP_1)
	v_add_nc_u32_e32 v87, v87, v112
	v_mov_b32_dpp v112, v87 row_shr:4 row_mask:0xf bank_mask:0xf
	s_wait_alu 0xfffd
	s_delay_alu instid0(VALU_DEP_1) | instskip(NEXT) | instid1(VALU_DEP_1)
	v_cndmask_b32_e32 v112, 0, v112, vcc_lo
	v_add_nc_u32_e32 v87, v87, v112
	ds_store_b32 v86, v87
.LBB166_73:
	s_wait_alu 0xfffe
	s_or_b32 exec_lo, exec_lo, s9
	v_mov_b32_e32 v86, 0
	s_wait_loadcnt_dscnt 0x0
	s_barrier_signal -1
	s_barrier_wait -1
	global_inv scope:SCOPE_SE
	s_and_saveexec_b32 s9, s18
; %bb.74:
	ds_load_b32 v86, v88
; %bb.75:
	s_wait_alu 0xfffe
	s_or_b32 exec_lo, exec_lo, s9
	s_wait_dscnt 0x0
	v_add_nc_u32_e32 v36, v86, v36
	ds_bpermute_b32 v36, v89, v36
	s_wait_dscnt 0x0
	v_cndmask_b32_e64 v36, v36, v86, s8
	s_delay_alu instid0(VALU_DEP_1) | instskip(NEXT) | instid1(VALU_DEP_1)
	v_cndmask_b32_e64 v36, v36, 0, s19
	v_add_nc_u32_e32 v37, v36, v37
	s_delay_alu instid0(VALU_DEP_1) | instskip(NEXT) | instid1(VALU_DEP_1)
	v_add_nc_u32_e32 v38, v37, v38
	v_add_nc_u32_e32 v39, v38, v39
	s_delay_alu instid0(VALU_DEP_1) | instskip(NEXT) | instid1(VALU_DEP_1)
	v_add_nc_u32_e32 v86, v39, v40
	;; [unrolled: 3-line block ×3, first 2 shown]
	v_add_nc_u32_e32 v89, v88, v35
	ds_store_b128 v67, v[36:39] offset:32
	ds_store_b128 v67, v[86:89] offset:48
	s_wait_loadcnt_dscnt 0x0
	s_barrier_signal -1
	s_barrier_wait -1
	global_inv scope:SCOPE_SE
	ds_load_b32 v33, v111 offset:32
	ds_load_b32 v34, v109 offset:32
	;; [unrolled: 1-line block ×8, first 2 shown]
	v_lshlrev_b32_e32 v86, 1, v66
	s_wait_loadcnt_dscnt 0x0
	s_barrier_signal -1
	s_barrier_wait -1
	global_inv scope:SCOPE_SE
	v_mad_u32_u24 v87, v46, 48, v86
	v_add3_u32 v88, v110, v0, v33
	v_add3_u32 v89, v108, v107, v34
	;; [unrolled: 1-line block ×3, first 2 shown]
	v_add_nc_u32_e32 v90, v36, v90
	v_add3_u32 v92, v93, v92, v37
	v_add3_u32 v93, v96, v95, v38
	;; [unrolled: 1-line block ×4, first 2 shown]
	v_lshlrev_b32_e32 v0, 1, v90
	v_lshlrev_b32_e32 v33, 1, v92
	;; [unrolled: 1-line block ×8, first 2 shown]
	ds_store_b16 v0, v78
	ds_store_b16 v33, v79
	;; [unrolled: 1-line block ×8, first 2 shown]
	v_mad_co_u64_u32 v[78:79], null, v90, 6, v[0:1]
	v_mad_co_u64_u32 v[79:80], null, v92, 6, v[33:34]
	;; [unrolled: 1-line block ×5, first 2 shown]
	s_wait_loadcnt_dscnt 0x0
	s_barrier_signal -1
	s_barrier_wait -1
	global_inv scope:SCOPE_SE
	v_mad_co_u64_u32 v[83:84], null, v91, 6, v[37:38]
	ds_load_b128 v[33:36], v86
	v_mad_co_u64_u32 v[37:38], null, v89, 6, v[38:39]
	v_mad_co_u64_u32 v[38:39], null, v88, 6, v[39:40]
	s_wait_loadcnt_dscnt 0x0
	s_barrier_signal -1
	s_barrier_wait -1
	global_inv scope:SCOPE_SE
	ds_store_b64 v78, v[21:22]
	ds_store_b64 v79, v[23:24]
	;; [unrolled: 1-line block ×8, first 2 shown]
	s_wait_loadcnt_dscnt 0x0
	s_barrier_signal -1
	s_barrier_wait -1
	global_inv scope:SCOPE_SE
	ds_load_b128 v[29:32], v87
	ds_load_b128 v[25:28], v87 offset:16
	ds_load_b128 v[21:24], v87 offset:32
	;; [unrolled: 1-line block ×3, first 2 shown]
	v_xor_b32_e32 v0, 0x80008000, v33
	v_xor_b32_e32 v34, 0x80008000, v34
	;; [unrolled: 1-line block ×4, first 2 shown]
	s_branch .LBB166_128
.LBB166_76:
	v_lshlrev_b64_e32 v[1:2], 3, v[41:42]
	v_dual_mov_b32 v43, v42 :: v_dual_mov_b32 v10, v42
	v_dual_mov_b32 v9, v42 :: v_dual_mov_b32 v12, v42
	v_mov_b32_e32 v11, v42
	s_delay_alu instid0(VALU_DEP_4)
	v_add_co_u32 v1, vcc_lo, s34, v1
	s_wait_alu 0xfffd
	v_add_co_ci_u32_e64 v2, null, s35, v2, vcc_lo
	v_dual_mov_b32 v3, v42 :: v_dual_mov_b32 v6, v42
	v_dual_mov_b32 v5, v42 :: v_dual_mov_b32 v8, v42
	global_load_b64 v[13:14], v[1:2], off
	v_dual_mov_b32 v1, v42 :: v_dual_mov_b32 v4, v42
	v_dual_mov_b32 v2, v42 :: v_dual_mov_b32 v7, v42
	s_or_b32 exec_lo, exec_lo, s9
	s_and_saveexec_b32 s9, s1
	s_cbranch_execz .LBB166_22
.LBB166_77:
	v_mul_lo_u32 v22, s28, v15
	v_mov_b32_e32 v23, 0
	s_delay_alu instid0(VALU_DEP_1) | instskip(NEXT) | instid1(VALU_DEP_1)
	v_lshlrev_b64_e32 v[22:23], 3, v[22:23]
	v_add_co_u32 v22, vcc_lo, s34, v22
	s_wait_alu 0xfffd
	s_delay_alu instid0(VALU_DEP_2)
	v_add_co_ci_u32_e64 v23, null, s35, v23, vcc_lo
	global_load_b64 v[42:43], v[22:23], off
	s_or_b32 exec_lo, exec_lo, s9
	s_and_saveexec_b32 s9, s2
	s_cbranch_execz .LBB166_23
.LBB166_78:
	v_mul_lo_u32 v9, s28, v16
	v_mov_b32_e32 v10, 0
	s_delay_alu instid0(VALU_DEP_1) | instskip(NEXT) | instid1(VALU_DEP_1)
	v_lshlrev_b64_e32 v[9:10], 3, v[9:10]
	v_add_co_u32 v9, vcc_lo, s34, v9
	s_wait_alu 0xfffd
	s_delay_alu instid0(VALU_DEP_2)
	v_add_co_ci_u32_e64 v10, null, s35, v10, vcc_lo
	global_load_b64 v[9:10], v[9:10], off
	s_or_b32 exec_lo, exec_lo, s9
	s_and_saveexec_b32 s9, s3
	s_cbranch_execz .LBB166_24
.LBB166_79:
	v_mul_lo_u32 v11, s28, v17
	v_mov_b32_e32 v12, 0
	s_delay_alu instid0(VALU_DEP_1) | instskip(NEXT) | instid1(VALU_DEP_1)
	v_lshlrev_b64_e32 v[11:12], 3, v[11:12]
	v_add_co_u32 v11, vcc_lo, s34, v11
	s_wait_alu 0xfffd
	s_delay_alu instid0(VALU_DEP_2)
	v_add_co_ci_u32_e64 v12, null, s35, v12, vcc_lo
	global_load_b64 v[11:12], v[11:12], off
	s_or_b32 exec_lo, exec_lo, s9
	s_and_saveexec_b32 s9, s4
	s_cbranch_execz .LBB166_25
.LBB166_80:
	v_mul_lo_u32 v1, s28, v18
	v_mov_b32_e32 v2, 0
	s_delay_alu instid0(VALU_DEP_1) | instskip(NEXT) | instid1(VALU_DEP_1)
	v_lshlrev_b64_e32 v[1:2], 3, v[1:2]
	v_add_co_u32 v1, vcc_lo, s34, v1
	s_wait_alu 0xfffd
	s_delay_alu instid0(VALU_DEP_2)
	v_add_co_ci_u32_e64 v2, null, s35, v2, vcc_lo
	global_load_b64 v[1:2], v[1:2], off
	s_or_b32 exec_lo, exec_lo, s9
	s_and_saveexec_b32 s9, s5
	s_cbranch_execz .LBB166_26
.LBB166_81:
	v_mul_lo_u32 v3, s28, v19
	v_mov_b32_e32 v4, 0
	s_delay_alu instid0(VALU_DEP_1) | instskip(NEXT) | instid1(VALU_DEP_1)
	v_lshlrev_b64_e32 v[3:4], 3, v[3:4]
	v_add_co_u32 v3, vcc_lo, s34, v3
	s_wait_alu 0xfffd
	s_delay_alu instid0(VALU_DEP_2)
	v_add_co_ci_u32_e64 v4, null, s35, v4, vcc_lo
	global_load_b64 v[3:4], v[3:4], off
	s_or_b32 exec_lo, exec_lo, s9
	s_and_saveexec_b32 s9, s6
	s_cbranch_execnz .LBB166_27
	s_branch .LBB166_28
.LBB166_82:
                                        ; implicit-def: $vgpr33
                                        ; implicit-def: $vgpr34
                                        ; implicit-def: $vgpr0
                                        ; implicit-def: $vgpr19_vgpr20
                                        ; implicit-def: $vgpr23_vgpr24
                                        ; implicit-def: $vgpr27_vgpr28
                                        ; implicit-def: $vgpr31_vgpr32
                                        ; implicit-def: $vgpr35
	s_and_b32 vcc_lo, exec_lo, s8
	s_wait_alu 0xfffe
	s_cbranch_vccz .LBB166_128
; %bb.83:
	s_wait_dscnt 0x0
	v_xor_b32_e32 v17, 0x7fff7fff, v49
	v_xor_b32_e32 v18, 0x7fff7fff, v50
	;; [unrolled: 1-line block ×4, first 2 shown]
	s_getpc_b64 s[8:9]
	s_sext_i32_i16 s9, s9
	s_add_co_u32 s8, s8, _ZN7rocprim17ROCPRIM_400000_NS16block_radix_sortIsLj256ELj8ElLj1ELj1ELj0ELNS0_26block_radix_rank_algorithmE1ELNS0_18block_padding_hintE2ELNS0_4arch9wavefront6targetE0EE19radix_bits_per_passE@rel32@lo+8
	s_add_co_ci_u32 s9, s9, _ZN7rocprim17ROCPRIM_400000_NS16block_radix_sortIsLj256ELj8ElLj1ELj1ELj0ELNS0_26block_radix_rank_algorithmE1ELNS0_18block_padding_hintE2ELNS0_4arch9wavefront6targetE0EE19radix_bits_per_passE@rel32@hi+16
	s_mov_b32 s12, 0
	s_load_b32 s20, s[8:9], 0x0
	s_mov_b32 s13, s12
	ds_store_b128 v77, v[17:20]
	; wave barrier
	ds_load_u16 v25, v68
	s_mov_b32 s14, s12
	s_mov_b32 s15, s12
	v_mad_u32_u24 v0, v76, 6, v77
	ds_load_u16 v26, v68 offset:64
	ds_load_u16 v27, v68 offset:128
	;; [unrolled: 1-line block ×7, first 2 shown]
	s_wait_loadcnt_dscnt 0x0
	s_barrier_signal -1
	s_barrier_wait -1
	global_inv scope:SCOPE_SE
	ds_store_b128 v0, v[5:8]
	ds_store_b128 v0, v[1:4] offset:16
	ds_store_b128 v0, v[13:16] offset:32
	;; [unrolled: 1-line block ×3, first 2 shown]
	; wave barrier
	ds_load_2addr_b64 v[4:7], v75 offset1:32
	ds_load_2addr_b64 v[0:3], v75 offset0:64 offset1:96
	ds_load_2addr_b64 v[12:15], v75 offset0:128 offset1:160
	;; [unrolled: 1-line block ×3, first 2 shown]
	s_wait_kmcnt 0x0
	s_min_u32 s8, s20, 16
	s_wait_loadcnt_dscnt 0x0
	s_lshl_b32 s8, -1, s8
	s_barrier_signal -1
	s_not_b32 s9, s8
	v_and_b32_e32 v17, 0xffff, v25
	s_barrier_wait -1
	global_inv scope:SCOPE_SE
	s_load_b32 s10, s[36:37], 0xc
	v_and_b32_e32 v23, s9, v17
	s_delay_alu instid0(VALU_DEP_1) | instskip(SKIP_3) | instid1(VALU_DEP_4)
	v_and_b32_e32 v16, 1, v23
	v_lshlrev_b32_e32 v17, 30, v23
	v_lshlrev_b32_e32 v20, 28, v23
	;; [unrolled: 1-line block ×3, first 2 shown]
	v_add_co_u32 v16, s8, v16, -1
	s_wait_alu 0xf1ff
	v_cndmask_b32_e64 v18, 0, 1, s8
	v_not_b32_e32 v19, v17
	v_cmp_gt_i32_e64 s8, 0, v17
	s_delay_alu instid0(VALU_DEP_3) | instskip(SKIP_1) | instid1(VALU_DEP_4)
	v_cmp_ne_u32_e32 vcc_lo, 0, v18
	v_lshlrev_b32_e32 v18, 29, v23
	v_ashrrev_i32_e32 v17, 31, v19
	s_wait_alu 0xfffd
	v_xor_b32_e32 v16, vcc_lo, v16
	s_delay_alu instid0(VALU_DEP_3)
	v_not_b32_e32 v19, v18
	s_wait_alu 0xf1ff
	v_xor_b32_e32 v17, s8, v17
	v_cmp_gt_i32_e32 vcc_lo, 0, v18
	s_wait_kmcnt 0x0
	s_lshr_b32 s8, s10, 16
	v_and_b32_e32 v16, exec_lo, v16
	v_ashrrev_i32_e32 v18, 31, v19
	v_not_b32_e32 v19, v20
	s_and_b32 s10, s10, 0xffff
	s_delay_alu instid0(VALU_DEP_3)
	v_and_b32_e32 v16, v16, v17
	s_wait_alu 0xfffd
	v_xor_b32_e32 v17, vcc_lo, v18
	v_cmp_gt_i32_e32 vcc_lo, 0, v20
	v_ashrrev_i32_e32 v18, 31, v19
	v_not_b32_e32 v19, v21
	s_delay_alu instid0(VALU_DEP_4)
	v_and_b32_e32 v16, v16, v17
	v_lshlrev_b32_e32 v17, 26, v23
	s_wait_alu 0xfffd
	v_xor_b32_e32 v18, vcc_lo, v18
	v_cmp_gt_i32_e32 vcc_lo, 0, v21
	v_ashrrev_i32_e32 v19, 31, v19
	v_not_b32_e32 v20, v17
	s_delay_alu instid0(VALU_DEP_4)
	v_and_b32_e32 v16, v16, v18
	v_lshlrev_b32_e32 v18, 25, v23
	;; [unrolled: 8-line block ×3, first 2 shown]
	s_wait_alu 0xfffd
	v_xor_b32_e32 v17, vcc_lo, v17
	v_cmp_gt_i32_e32 vcc_lo, 0, v18
	v_ashrrev_i32_e32 v18, 31, v20
	s_wait_alu 0xfffe
	v_mad_u32_u24 v20, v74, s8, v73
	v_not_b32_e32 v21, v19
	v_and_b32_e32 v16, v16, v17
	s_wait_alu 0xfffd
	v_xor_b32_e32 v17, vcc_lo, v18
	v_cmp_gt_i32_e32 vcc_lo, 0, v19
	v_ashrrev_i32_e32 v18, 31, v21
	v_mad_co_u64_u32 v[21:22], null, v20, s10, v[46:47]
	s_delay_alu instid0(VALU_DEP_4) | instskip(SKIP_1) | instid1(VALU_DEP_3)
	v_and_b32_e32 v16, v16, v17
	s_wait_alu 0xfffd
	v_xor_b32_e32 v22, vcc_lo, v18
	v_dual_mov_b32 v20, s15 :: v_dual_mov_b32 v19, s14
	v_dual_mov_b32 v18, s13 :: v_dual_mov_b32 v17, s12
	s_delay_alu instid0(VALU_DEP_3)
	v_and_b32_e32 v16, v16, v22
	v_lshrrev_b32_e32 v21, 5, v21
	ds_store_b128 v67, v[17:20] offset:32
	ds_store_b128 v67, v[17:20] offset:48
	v_mbcnt_lo_u32_b32 v37, v16, 0
	v_lshlrev_b32_e32 v24, 2, v21
	v_lshlrev_b32_e32 v17, 5, v23
	v_cmp_ne_u32_e64 s8, 0, v16
	s_wait_loadcnt_dscnt 0x0
	v_cmp_eq_u32_e32 vcc_lo, 0, v37
	s_barrier_signal -1
	v_add_nc_u32_e32 v38, v24, v17
	s_barrier_wait -1
	global_inv scope:SCOPE_SE
	s_and_b32 s10, s8, vcc_lo
	; wave barrier
	s_wait_alu 0xfffe
	s_and_saveexec_b32 s8, s10
; %bb.84:
	v_bcnt_u32_b32 v16, v16, 0
	ds_store_b32 v38, v16 offset:32
; %bb.85:
	s_wait_alu 0xfffe
	s_or_b32 exec_lo, exec_lo, s8
	v_and_b32_e32 v16, 0xffff, v26
	; wave barrier
	s_delay_alu instid0(VALU_DEP_1) | instskip(NEXT) | instid1(VALU_DEP_1)
	v_and_b32_e32 v16, s9, v16
	v_and_b32_e32 v17, 1, v16
	v_lshlrev_b32_e32 v18, 30, v16
	v_lshlrev_b32_e32 v19, 29, v16
	;; [unrolled: 1-line block ×4, first 2 shown]
	v_add_co_u32 v17, s8, v17, -1
	s_wait_alu 0xf1ff
	v_cndmask_b32_e64 v21, 0, 1, s8
	v_not_b32_e32 v34, v18
	v_cmp_gt_i32_e64 s8, 0, v18
	v_not_b32_e32 v18, v19
	v_lshlrev_b32_e32 v23, 26, v16
	v_cmp_ne_u32_e32 vcc_lo, 0, v21
	v_ashrrev_i32_e32 v34, 31, v34
	v_lshlrev_b32_e32 v33, 25, v16
	v_ashrrev_i32_e32 v18, 31, v18
	v_lshlrev_b32_e32 v21, 24, v16
	s_wait_alu 0xfffd
	v_xor_b32_e32 v17, vcc_lo, v17
	v_cmp_gt_i32_e32 vcc_lo, 0, v19
	v_not_b32_e32 v19, v20
	s_wait_alu 0xf1ff
	v_xor_b32_e32 v34, s8, v34
	v_cmp_gt_i32_e64 s8, 0, v20
	v_and_b32_e32 v17, exec_lo, v17
	v_not_b32_e32 v20, v22
	v_ashrrev_i32_e32 v19, 31, v19
	s_wait_alu 0xfffd
	v_xor_b32_e32 v18, vcc_lo, v18
	v_cmp_gt_i32_e32 vcc_lo, 0, v22
	v_and_b32_e32 v17, v17, v34
	v_not_b32_e32 v22, v23
	v_ashrrev_i32_e32 v20, 31, v20
	s_wait_alu 0xf1ff
	v_xor_b32_e32 v19, s8, v19
	v_cmp_gt_i32_e64 s8, 0, v23
	v_and_b32_e32 v17, v17, v18
	v_not_b32_e32 v18, v33
	v_ashrrev_i32_e32 v22, 31, v22
	s_wait_alu 0xfffd
	v_xor_b32_e32 v20, vcc_lo, v20
	v_cmp_gt_i32_e32 vcc_lo, 0, v33
	v_and_b32_e32 v17, v17, v19
	v_not_b32_e32 v19, v21
	v_ashrrev_i32_e32 v18, 31, v18
	s_wait_alu 0xf1ff
	v_xor_b32_e32 v22, s8, v22
	v_lshlrev_b32_e32 v16, 5, v16
	v_and_b32_e32 v17, v17, v20
	v_cmp_gt_i32_e64 s8, 0, v21
	v_ashrrev_i32_e32 v19, 31, v19
	s_wait_alu 0xfffd
	v_xor_b32_e32 v18, vcc_lo, v18
	v_add_nc_u32_e32 v47, v24, v16
	v_and_b32_e32 v17, v17, v22
	s_wait_alu 0xf1ff
	v_xor_b32_e32 v16, s8, v19
	ds_load_b32 v39, v47 offset:32
	v_and_b32_e32 v17, v17, v18
	; wave barrier
	s_delay_alu instid0(VALU_DEP_1) | instskip(NEXT) | instid1(VALU_DEP_1)
	v_and_b32_e32 v16, v17, v16
	v_mbcnt_lo_u32_b32 v40, v16, 0
	v_cmp_ne_u32_e64 s8, 0, v16
	s_delay_alu instid0(VALU_DEP_2)
	v_cmp_eq_u32_e32 vcc_lo, 0, v40
	s_and_b32 s10, s8, vcc_lo
	s_wait_alu 0xfffe
	s_and_saveexec_b32 s8, s10
	s_cbranch_execz .LBB166_87
; %bb.86:
	s_wait_dscnt 0x0
	v_bcnt_u32_b32 v16, v16, v39
	ds_store_b32 v47, v16 offset:32
.LBB166_87:
	s_wait_alu 0xfffe
	s_or_b32 exec_lo, exec_lo, s8
	v_and_b32_e32 v16, 0xffff, v27
	; wave barrier
	s_delay_alu instid0(VALU_DEP_1) | instskip(NEXT) | instid1(VALU_DEP_1)
	v_and_b32_e32 v16, s9, v16
	v_and_b32_e32 v17, 1, v16
	v_lshlrev_b32_e32 v18, 30, v16
	v_lshlrev_b32_e32 v19, 29, v16
	;; [unrolled: 1-line block ×4, first 2 shown]
	v_add_co_u32 v17, s8, v17, -1
	s_wait_alu 0xf1ff
	v_cndmask_b32_e64 v21, 0, 1, s8
	v_not_b32_e32 v34, v18
	v_cmp_gt_i32_e64 s8, 0, v18
	v_not_b32_e32 v18, v19
	v_lshlrev_b32_e32 v23, 26, v16
	v_cmp_ne_u32_e32 vcc_lo, 0, v21
	v_ashrrev_i32_e32 v34, 31, v34
	v_lshlrev_b32_e32 v33, 25, v16
	v_ashrrev_i32_e32 v18, 31, v18
	v_lshlrev_b32_e32 v21, 24, v16
	s_wait_alu 0xfffd
	v_xor_b32_e32 v17, vcc_lo, v17
	v_cmp_gt_i32_e32 vcc_lo, 0, v19
	v_not_b32_e32 v19, v20
	s_wait_alu 0xf1ff
	v_xor_b32_e32 v34, s8, v34
	v_cmp_gt_i32_e64 s8, 0, v20
	v_and_b32_e32 v17, exec_lo, v17
	v_not_b32_e32 v20, v22
	v_ashrrev_i32_e32 v19, 31, v19
	s_wait_alu 0xfffd
	v_xor_b32_e32 v18, vcc_lo, v18
	v_cmp_gt_i32_e32 vcc_lo, 0, v22
	v_and_b32_e32 v17, v17, v34
	v_not_b32_e32 v22, v23
	v_ashrrev_i32_e32 v20, 31, v20
	s_wait_alu 0xf1ff
	v_xor_b32_e32 v19, s8, v19
	v_cmp_gt_i32_e64 s8, 0, v23
	v_and_b32_e32 v17, v17, v18
	v_not_b32_e32 v18, v33
	v_ashrrev_i32_e32 v22, 31, v22
	s_wait_alu 0xfffd
	v_xor_b32_e32 v20, vcc_lo, v20
	v_cmp_gt_i32_e32 vcc_lo, 0, v33
	v_and_b32_e32 v17, v17, v19
	v_not_b32_e32 v19, v21
	v_ashrrev_i32_e32 v18, 31, v18
	s_wait_alu 0xf1ff
	v_xor_b32_e32 v22, s8, v22
	v_lshlrev_b32_e32 v16, 5, v16
	v_and_b32_e32 v17, v17, v20
	v_cmp_gt_i32_e64 s8, 0, v21
	v_ashrrev_i32_e32 v19, 31, v19
	s_wait_alu 0xfffd
	v_xor_b32_e32 v18, vcc_lo, v18
	v_add_nc_u32_e32 v50, v24, v16
	v_and_b32_e32 v17, v17, v22
	s_wait_alu 0xf1ff
	v_xor_b32_e32 v16, s8, v19
	ds_load_b32 v48, v50 offset:32
	v_and_b32_e32 v17, v17, v18
	; wave barrier
	s_delay_alu instid0(VALU_DEP_1) | instskip(NEXT) | instid1(VALU_DEP_1)
	v_and_b32_e32 v16, v17, v16
	v_mbcnt_lo_u32_b32 v49, v16, 0
	v_cmp_ne_u32_e64 s8, 0, v16
	s_delay_alu instid0(VALU_DEP_2)
	v_cmp_eq_u32_e32 vcc_lo, 0, v49
	s_and_b32 s10, s8, vcc_lo
	s_wait_alu 0xfffe
	s_and_saveexec_b32 s8, s10
	s_cbranch_execz .LBB166_89
; %bb.88:
	s_wait_dscnt 0x0
	v_bcnt_u32_b32 v16, v16, v48
	ds_store_b32 v50, v16 offset:32
.LBB166_89:
	s_wait_alu 0xfffe
	s_or_b32 exec_lo, exec_lo, s8
	v_and_b32_e32 v16, 0xffff, v28
	; wave barrier
	s_delay_alu instid0(VALU_DEP_1) | instskip(NEXT) | instid1(VALU_DEP_1)
	v_and_b32_e32 v16, s9, v16
	v_and_b32_e32 v17, 1, v16
	v_lshlrev_b32_e32 v18, 30, v16
	v_lshlrev_b32_e32 v19, 29, v16
	;; [unrolled: 1-line block ×4, first 2 shown]
	v_add_co_u32 v17, s8, v17, -1
	s_wait_alu 0xf1ff
	v_cndmask_b32_e64 v21, 0, 1, s8
	v_not_b32_e32 v34, v18
	v_cmp_gt_i32_e64 s8, 0, v18
	v_not_b32_e32 v18, v19
	v_lshlrev_b32_e32 v23, 26, v16
	v_cmp_ne_u32_e32 vcc_lo, 0, v21
	v_ashrrev_i32_e32 v34, 31, v34
	v_lshlrev_b32_e32 v33, 25, v16
	v_ashrrev_i32_e32 v18, 31, v18
	v_lshlrev_b32_e32 v21, 24, v16
	s_wait_alu 0xfffd
	v_xor_b32_e32 v17, vcc_lo, v17
	v_cmp_gt_i32_e32 vcc_lo, 0, v19
	v_not_b32_e32 v19, v20
	s_wait_alu 0xf1ff
	v_xor_b32_e32 v34, s8, v34
	v_cmp_gt_i32_e64 s8, 0, v20
	v_and_b32_e32 v17, exec_lo, v17
	v_not_b32_e32 v20, v22
	v_ashrrev_i32_e32 v19, 31, v19
	s_wait_alu 0xfffd
	v_xor_b32_e32 v18, vcc_lo, v18
	v_cmp_gt_i32_e32 vcc_lo, 0, v22
	v_and_b32_e32 v17, v17, v34
	v_not_b32_e32 v22, v23
	v_ashrrev_i32_e32 v20, 31, v20
	s_wait_alu 0xf1ff
	v_xor_b32_e32 v19, s8, v19
	v_cmp_gt_i32_e64 s8, 0, v23
	v_and_b32_e32 v17, v17, v18
	v_not_b32_e32 v18, v33
	v_ashrrev_i32_e32 v22, 31, v22
	s_wait_alu 0xfffd
	v_xor_b32_e32 v20, vcc_lo, v20
	v_cmp_gt_i32_e32 vcc_lo, 0, v33
	v_and_b32_e32 v17, v17, v19
	v_not_b32_e32 v19, v21
	v_ashrrev_i32_e32 v18, 31, v18
	s_wait_alu 0xf1ff
	v_xor_b32_e32 v22, s8, v22
	v_lshlrev_b32_e32 v16, 5, v16
	v_and_b32_e32 v17, v17, v20
	v_cmp_gt_i32_e64 s8, 0, v21
	v_ashrrev_i32_e32 v19, 31, v19
	s_wait_alu 0xfffd
	v_xor_b32_e32 v18, vcc_lo, v18
	v_add_nc_u32_e32 v75, v24, v16
	v_and_b32_e32 v17, v17, v22
	s_wait_alu 0xf1ff
	v_xor_b32_e32 v16, s8, v19
	ds_load_b32 v73, v75 offset:32
	v_and_b32_e32 v17, v17, v18
	; wave barrier
	s_delay_alu instid0(VALU_DEP_1) | instskip(NEXT) | instid1(VALU_DEP_1)
	v_and_b32_e32 v16, v17, v16
	v_mbcnt_lo_u32_b32 v74, v16, 0
	v_cmp_ne_u32_e64 s8, 0, v16
	s_delay_alu instid0(VALU_DEP_2)
	v_cmp_eq_u32_e32 vcc_lo, 0, v74
	s_and_b32 s10, s8, vcc_lo
	s_wait_alu 0xfffe
	s_and_saveexec_b32 s8, s10
	s_cbranch_execz .LBB166_91
; %bb.90:
	s_wait_dscnt 0x0
	v_bcnt_u32_b32 v16, v16, v73
	ds_store_b32 v75, v16 offset:32
.LBB166_91:
	s_wait_alu 0xfffe
	s_or_b32 exec_lo, exec_lo, s8
	v_and_b32_e32 v16, 0xffff, v29
	; wave barrier
	s_delay_alu instid0(VALU_DEP_1) | instskip(NEXT) | instid1(VALU_DEP_1)
	v_and_b32_e32 v16, s9, v16
	v_and_b32_e32 v17, 1, v16
	v_lshlrev_b32_e32 v18, 30, v16
	v_lshlrev_b32_e32 v19, 29, v16
	;; [unrolled: 1-line block ×4, first 2 shown]
	v_add_co_u32 v17, s8, v17, -1
	s_wait_alu 0xf1ff
	v_cndmask_b32_e64 v21, 0, 1, s8
	v_not_b32_e32 v34, v18
	v_cmp_gt_i32_e64 s8, 0, v18
	v_not_b32_e32 v18, v19
	v_lshlrev_b32_e32 v23, 26, v16
	v_cmp_ne_u32_e32 vcc_lo, 0, v21
	v_ashrrev_i32_e32 v34, 31, v34
	v_lshlrev_b32_e32 v33, 25, v16
	v_ashrrev_i32_e32 v18, 31, v18
	v_lshlrev_b32_e32 v21, 24, v16
	s_wait_alu 0xfffd
	v_xor_b32_e32 v17, vcc_lo, v17
	v_cmp_gt_i32_e32 vcc_lo, 0, v19
	v_not_b32_e32 v19, v20
	s_wait_alu 0xf1ff
	v_xor_b32_e32 v34, s8, v34
	v_cmp_gt_i32_e64 s8, 0, v20
	v_and_b32_e32 v17, exec_lo, v17
	v_not_b32_e32 v20, v22
	v_ashrrev_i32_e32 v19, 31, v19
	s_wait_alu 0xfffd
	v_xor_b32_e32 v18, vcc_lo, v18
	v_cmp_gt_i32_e32 vcc_lo, 0, v22
	v_and_b32_e32 v17, v17, v34
	v_not_b32_e32 v22, v23
	v_ashrrev_i32_e32 v20, 31, v20
	s_wait_alu 0xf1ff
	v_xor_b32_e32 v19, s8, v19
	v_cmp_gt_i32_e64 s8, 0, v23
	v_and_b32_e32 v17, v17, v18
	v_not_b32_e32 v18, v33
	v_ashrrev_i32_e32 v22, 31, v22
	s_wait_alu 0xfffd
	v_xor_b32_e32 v20, vcc_lo, v20
	v_cmp_gt_i32_e32 vcc_lo, 0, v33
	v_and_b32_e32 v17, v17, v19
	v_not_b32_e32 v19, v21
	v_ashrrev_i32_e32 v18, 31, v18
	s_wait_alu 0xf1ff
	v_xor_b32_e32 v22, s8, v22
	v_lshlrev_b32_e32 v16, 5, v16
	v_and_b32_e32 v17, v17, v20
	v_cmp_gt_i32_e64 s8, 0, v21
	v_ashrrev_i32_e32 v19, 31, v19
	s_wait_alu 0xfffd
	v_xor_b32_e32 v18, vcc_lo, v18
	v_add_nc_u32_e32 v78, v24, v16
	v_and_b32_e32 v17, v17, v22
	s_wait_alu 0xf1ff
	v_xor_b32_e32 v16, s8, v19
	ds_load_b32 v76, v78 offset:32
	v_and_b32_e32 v17, v17, v18
	; wave barrier
	s_delay_alu instid0(VALU_DEP_1) | instskip(NEXT) | instid1(VALU_DEP_1)
	v_and_b32_e32 v16, v17, v16
	v_mbcnt_lo_u32_b32 v77, v16, 0
	v_cmp_ne_u32_e64 s8, 0, v16
	s_delay_alu instid0(VALU_DEP_2)
	v_cmp_eq_u32_e32 vcc_lo, 0, v77
	s_and_b32 s10, s8, vcc_lo
	s_wait_alu 0xfffe
	s_and_saveexec_b32 s8, s10
	s_cbranch_execz .LBB166_93
; %bb.92:
	s_wait_dscnt 0x0
	v_bcnt_u32_b32 v16, v16, v76
	ds_store_b32 v78, v16 offset:32
.LBB166_93:
	s_wait_alu 0xfffe
	s_or_b32 exec_lo, exec_lo, s8
	v_and_b32_e32 v16, 0xffff, v30
	; wave barrier
	s_delay_alu instid0(VALU_DEP_1) | instskip(NEXT) | instid1(VALU_DEP_1)
	v_and_b32_e32 v16, s9, v16
	v_and_b32_e32 v17, 1, v16
	v_lshlrev_b32_e32 v18, 30, v16
	v_lshlrev_b32_e32 v19, 29, v16
	;; [unrolled: 1-line block ×4, first 2 shown]
	v_add_co_u32 v17, s8, v17, -1
	s_wait_alu 0xf1ff
	v_cndmask_b32_e64 v21, 0, 1, s8
	v_not_b32_e32 v34, v18
	v_cmp_gt_i32_e64 s8, 0, v18
	v_not_b32_e32 v18, v19
	v_lshlrev_b32_e32 v23, 26, v16
	v_cmp_ne_u32_e32 vcc_lo, 0, v21
	v_ashrrev_i32_e32 v34, 31, v34
	v_lshlrev_b32_e32 v33, 25, v16
	v_ashrrev_i32_e32 v18, 31, v18
	v_lshlrev_b32_e32 v21, 24, v16
	s_wait_alu 0xfffd
	v_xor_b32_e32 v17, vcc_lo, v17
	v_cmp_gt_i32_e32 vcc_lo, 0, v19
	v_not_b32_e32 v19, v20
	s_wait_alu 0xf1ff
	v_xor_b32_e32 v34, s8, v34
	v_cmp_gt_i32_e64 s8, 0, v20
	v_and_b32_e32 v17, exec_lo, v17
	v_not_b32_e32 v20, v22
	v_ashrrev_i32_e32 v19, 31, v19
	s_wait_alu 0xfffd
	v_xor_b32_e32 v18, vcc_lo, v18
	v_cmp_gt_i32_e32 vcc_lo, 0, v22
	v_and_b32_e32 v17, v17, v34
	v_not_b32_e32 v22, v23
	v_ashrrev_i32_e32 v20, 31, v20
	s_wait_alu 0xf1ff
	v_xor_b32_e32 v19, s8, v19
	v_cmp_gt_i32_e64 s8, 0, v23
	v_and_b32_e32 v17, v17, v18
	v_not_b32_e32 v18, v33
	v_ashrrev_i32_e32 v22, 31, v22
	s_wait_alu 0xfffd
	v_xor_b32_e32 v20, vcc_lo, v20
	v_cmp_gt_i32_e32 vcc_lo, 0, v33
	v_and_b32_e32 v17, v17, v19
	v_not_b32_e32 v19, v21
	v_ashrrev_i32_e32 v18, 31, v18
	s_wait_alu 0xf1ff
	v_xor_b32_e32 v22, s8, v22
	v_lshlrev_b32_e32 v16, 5, v16
	v_and_b32_e32 v17, v17, v20
	v_cmp_gt_i32_e64 s8, 0, v21
	v_ashrrev_i32_e32 v19, 31, v19
	s_wait_alu 0xfffd
	v_xor_b32_e32 v18, vcc_lo, v18
	v_add_nc_u32_e32 v81, v24, v16
	v_and_b32_e32 v17, v17, v22
	s_wait_alu 0xf1ff
	v_xor_b32_e32 v16, s8, v19
	ds_load_b32 v79, v81 offset:32
	v_and_b32_e32 v17, v17, v18
	; wave barrier
	s_delay_alu instid0(VALU_DEP_1) | instskip(NEXT) | instid1(VALU_DEP_1)
	v_and_b32_e32 v16, v17, v16
	v_mbcnt_lo_u32_b32 v80, v16, 0
	v_cmp_ne_u32_e64 s8, 0, v16
	s_delay_alu instid0(VALU_DEP_2)
	v_cmp_eq_u32_e32 vcc_lo, 0, v80
	s_and_b32 s10, s8, vcc_lo
	s_wait_alu 0xfffe
	s_and_saveexec_b32 s8, s10
	s_cbranch_execz .LBB166_95
; %bb.94:
	s_wait_dscnt 0x0
	v_bcnt_u32_b32 v16, v16, v79
	ds_store_b32 v81, v16 offset:32
.LBB166_95:
	s_wait_alu 0xfffe
	s_or_b32 exec_lo, exec_lo, s8
	v_and_b32_e32 v16, 0xffff, v31
	; wave barrier
	s_delay_alu instid0(VALU_DEP_1) | instskip(NEXT) | instid1(VALU_DEP_1)
	v_and_b32_e32 v16, s9, v16
	v_and_b32_e32 v17, 1, v16
	v_lshlrev_b32_e32 v18, 30, v16
	v_lshlrev_b32_e32 v19, 29, v16
	;; [unrolled: 1-line block ×4, first 2 shown]
	v_add_co_u32 v17, s8, v17, -1
	s_wait_alu 0xf1ff
	v_cndmask_b32_e64 v21, 0, 1, s8
	v_not_b32_e32 v34, v18
	v_cmp_gt_i32_e64 s8, 0, v18
	v_not_b32_e32 v18, v19
	v_lshlrev_b32_e32 v23, 26, v16
	v_cmp_ne_u32_e32 vcc_lo, 0, v21
	v_ashrrev_i32_e32 v34, 31, v34
	v_lshlrev_b32_e32 v33, 25, v16
	v_ashrrev_i32_e32 v18, 31, v18
	v_lshlrev_b32_e32 v21, 24, v16
	s_wait_alu 0xfffd
	v_xor_b32_e32 v17, vcc_lo, v17
	v_cmp_gt_i32_e32 vcc_lo, 0, v19
	v_not_b32_e32 v19, v20
	s_wait_alu 0xf1ff
	v_xor_b32_e32 v34, s8, v34
	v_cmp_gt_i32_e64 s8, 0, v20
	v_and_b32_e32 v17, exec_lo, v17
	v_not_b32_e32 v20, v22
	v_ashrrev_i32_e32 v19, 31, v19
	s_wait_alu 0xfffd
	v_xor_b32_e32 v18, vcc_lo, v18
	v_cmp_gt_i32_e32 vcc_lo, 0, v22
	v_and_b32_e32 v17, v17, v34
	v_not_b32_e32 v22, v23
	v_ashrrev_i32_e32 v20, 31, v20
	s_wait_alu 0xf1ff
	v_xor_b32_e32 v19, s8, v19
	v_cmp_gt_i32_e64 s8, 0, v23
	v_and_b32_e32 v17, v17, v18
	v_not_b32_e32 v18, v33
	v_ashrrev_i32_e32 v22, 31, v22
	s_wait_alu 0xfffd
	v_xor_b32_e32 v20, vcc_lo, v20
	v_cmp_gt_i32_e32 vcc_lo, 0, v33
	v_and_b32_e32 v17, v17, v19
	v_not_b32_e32 v19, v21
	v_ashrrev_i32_e32 v18, 31, v18
	s_wait_alu 0xf1ff
	v_xor_b32_e32 v22, s8, v22
	v_lshlrev_b32_e32 v16, 5, v16
	v_and_b32_e32 v17, v17, v20
	v_cmp_gt_i32_e64 s8, 0, v21
	v_ashrrev_i32_e32 v19, 31, v19
	s_wait_alu 0xfffd
	v_xor_b32_e32 v18, vcc_lo, v18
	v_add_nc_u32_e32 v84, v24, v16
	v_and_b32_e32 v17, v17, v22
	s_wait_alu 0xf1ff
	v_xor_b32_e32 v16, s8, v19
	ds_load_b32 v82, v84 offset:32
	v_and_b32_e32 v17, v17, v18
	; wave barrier
	s_delay_alu instid0(VALU_DEP_1) | instskip(NEXT) | instid1(VALU_DEP_1)
	v_and_b32_e32 v16, v17, v16
	v_mbcnt_lo_u32_b32 v83, v16, 0
	v_cmp_ne_u32_e64 s8, 0, v16
	s_delay_alu instid0(VALU_DEP_2)
	v_cmp_eq_u32_e32 vcc_lo, 0, v83
	s_and_b32 s10, s8, vcc_lo
	s_wait_alu 0xfffe
	s_and_saveexec_b32 s8, s10
	s_cbranch_execz .LBB166_97
; %bb.96:
	s_wait_dscnt 0x0
	v_bcnt_u32_b32 v16, v16, v82
	ds_store_b32 v84, v16 offset:32
.LBB166_97:
	s_wait_alu 0xfffe
	s_or_b32 exec_lo, exec_lo, s8
	v_and_b32_e32 v16, 0xffff, v32
	; wave barrier
	s_delay_alu instid0(VALU_DEP_1) | instskip(NEXT) | instid1(VALU_DEP_1)
	v_and_b32_e32 v16, s9, v16
	v_and_b32_e32 v17, 1, v16
	v_lshlrev_b32_e32 v18, 30, v16
	v_lshlrev_b32_e32 v19, 29, v16
	;; [unrolled: 1-line block ×4, first 2 shown]
	v_add_co_u32 v17, s8, v17, -1
	s_wait_alu 0xf1ff
	v_cndmask_b32_e64 v21, 0, 1, s8
	v_not_b32_e32 v34, v18
	v_cmp_gt_i32_e64 s8, 0, v18
	v_not_b32_e32 v18, v19
	v_lshlrev_b32_e32 v23, 26, v16
	v_cmp_ne_u32_e32 vcc_lo, 0, v21
	v_ashrrev_i32_e32 v34, 31, v34
	v_lshlrev_b32_e32 v33, 25, v16
	v_ashrrev_i32_e32 v18, 31, v18
	v_lshlrev_b32_e32 v21, 24, v16
	s_wait_alu 0xfffd
	v_xor_b32_e32 v17, vcc_lo, v17
	v_cmp_gt_i32_e32 vcc_lo, 0, v19
	v_not_b32_e32 v19, v20
	s_wait_alu 0xf1ff
	v_xor_b32_e32 v34, s8, v34
	v_cmp_gt_i32_e64 s8, 0, v20
	v_and_b32_e32 v17, exec_lo, v17
	v_not_b32_e32 v20, v22
	v_ashrrev_i32_e32 v19, 31, v19
	s_wait_alu 0xfffd
	v_xor_b32_e32 v18, vcc_lo, v18
	v_cmp_gt_i32_e32 vcc_lo, 0, v22
	v_and_b32_e32 v17, v17, v34
	v_not_b32_e32 v22, v23
	v_ashrrev_i32_e32 v20, 31, v20
	s_wait_alu 0xf1ff
	v_xor_b32_e32 v19, s8, v19
	v_cmp_gt_i32_e64 s8, 0, v23
	v_and_b32_e32 v17, v17, v18
	v_not_b32_e32 v18, v33
	v_ashrrev_i32_e32 v22, 31, v22
	s_wait_alu 0xfffd
	v_xor_b32_e32 v20, vcc_lo, v20
	v_cmp_gt_i32_e32 vcc_lo, 0, v33
	v_and_b32_e32 v17, v17, v19
	v_not_b32_e32 v19, v21
	v_ashrrev_i32_e32 v18, 31, v18
	s_wait_alu 0xf1ff
	v_xor_b32_e32 v22, s8, v22
	v_lshlrev_b32_e32 v16, 5, v16
	v_and_b32_e32 v17, v17, v20
	v_cmp_gt_i32_e64 s8, 0, v21
	v_ashrrev_i32_e32 v19, 31, v19
	s_wait_alu 0xfffd
	v_xor_b32_e32 v18, vcc_lo, v18
	v_add_nc_u32_e32 v87, v24, v16
	v_and_b32_e32 v17, v17, v22
	v_min_u32_e32 v33, 0xe0, v72
	s_wait_alu 0xf1ff
	v_xor_b32_e32 v16, s8, v19
	ds_load_b32 v85, v87 offset:32
	v_and_b32_e32 v17, v17, v18
	; wave barrier
	s_delay_alu instid0(VALU_DEP_1) | instskip(NEXT) | instid1(VALU_DEP_1)
	v_and_b32_e32 v16, v17, v16
	v_mbcnt_lo_u32_b32 v86, v16, 0
	v_cmp_ne_u32_e64 s8, 0, v16
	s_delay_alu instid0(VALU_DEP_2)
	v_cmp_eq_u32_e32 vcc_lo, 0, v86
	s_and_b32 s9, s8, vcc_lo
	s_wait_alu 0xfffe
	s_and_saveexec_b32 s8, s9
	s_cbranch_execz .LBB166_99
; %bb.98:
	s_wait_dscnt 0x0
	v_bcnt_u32_b32 v16, v16, v85
	ds_store_b32 v87, v16 offset:32
.LBB166_99:
	s_wait_alu 0xfffe
	s_or_b32 exec_lo, exec_lo, s8
	; wave barrier
	s_wait_loadcnt_dscnt 0x0
	s_barrier_signal -1
	s_barrier_wait -1
	global_inv scope:SCOPE_SE
	ds_load_b128 v[20:23], v67 offset:32
	ds_load_b128 v[16:19], v67 offset:48
	v_and_b32_e32 v36, 16, v70
	v_or_b32_e32 v33, 31, v33
	s_delay_alu instid0(VALU_DEP_2) | instskip(NEXT) | instid1(VALU_DEP_2)
	v_cmp_eq_u32_e64 s17, 0, v36
	v_cmp_eq_u32_e64 s15, v46, v33
	s_wait_dscnt 0x1
	v_add_nc_u32_e32 v34, v21, v20
	s_delay_alu instid0(VALU_DEP_1) | instskip(SKIP_1) | instid1(VALU_DEP_1)
	v_add3_u32 v34, v34, v22, v23
	s_wait_dscnt 0x0
	v_add3_u32 v34, v34, v16, v17
	s_delay_alu instid0(VALU_DEP_1) | instskip(SKIP_1) | instid1(VALU_DEP_2)
	v_add3_u32 v19, v34, v18, v19
	v_and_b32_e32 v34, 15, v70
	v_mov_b32_dpp v35, v19 row_shr:1 row_mask:0xf bank_mask:0xf
	s_delay_alu instid0(VALU_DEP_2)
	v_cmp_eq_u32_e64 s9, 0, v34
	v_cmp_lt_u32_e64 s11, 1, v34
	v_cmp_lt_u32_e64 s12, 3, v34
	;; [unrolled: 1-line block ×3, first 2 shown]
	s_wait_alu 0xf1ff
	v_cndmask_b32_e64 v35, v35, 0, s9
	s_delay_alu instid0(VALU_DEP_1) | instskip(NEXT) | instid1(VALU_DEP_1)
	v_add_nc_u32_e32 v19, v35, v19
	v_mov_b32_dpp v35, v19 row_shr:2 row_mask:0xf bank_mask:0xf
	s_delay_alu instid0(VALU_DEP_1) | instskip(NEXT) | instid1(VALU_DEP_1)
	v_cndmask_b32_e64 v35, 0, v35, s11
	v_add_nc_u32_e32 v19, v19, v35
	s_delay_alu instid0(VALU_DEP_1) | instskip(NEXT) | instid1(VALU_DEP_1)
	v_mov_b32_dpp v35, v19 row_shr:4 row_mask:0xf bank_mask:0xf
	v_cndmask_b32_e64 v35, 0, v35, s12
	s_delay_alu instid0(VALU_DEP_1) | instskip(NEXT) | instid1(VALU_DEP_1)
	v_add_nc_u32_e32 v19, v19, v35
	v_mov_b32_dpp v35, v19 row_shr:8 row_mask:0xf bank_mask:0xf
	s_delay_alu instid0(VALU_DEP_1) | instskip(NEXT) | instid1(VALU_DEP_1)
	v_cndmask_b32_e64 v34, 0, v35, s14
	v_add_nc_u32_e32 v35, v19, v34
	v_bfe_i32 v34, v70, 4, 1
	ds_swizzle_b32 v19, v35 offset:swizzle(BROADCAST,32,15)
	s_wait_dscnt 0x0
	v_and_b32_e32 v72, v34, v19
	v_mul_i32_i24_e32 v19, 0xffffffe4, v46
	v_lshlrev_b32_e32 v34, 2, v69
	s_delay_alu instid0(VALU_DEP_3)
	v_add_nc_u32_e32 v36, v35, v72
	s_and_saveexec_b32 s8, s15
; %bb.100:
	ds_store_b32 v34, v36
; %bb.101:
	s_wait_alu 0xfffe
	s_or_b32 exec_lo, exec_lo, s8
	v_and_b32_e32 v33, 7, v70
	v_cmp_gt_u32_e64 s16, 8, v46
	s_wait_loadcnt_dscnt 0x0
	s_barrier_signal -1
	s_barrier_wait -1
	v_cmp_eq_u32_e64 s13, 0, v33
	v_cmp_lt_u32_e64 s10, 1, v33
	v_cmp_lt_u32_e32 vcc_lo, 3, v33
	v_add_nc_u32_e32 v33, v67, v19
	global_inv scope:SCOPE_SE
	s_and_saveexec_b32 s8, s16
	s_cbranch_execz .LBB166_103
; %bb.102:
	ds_load_b32 v19, v33
	s_wait_dscnt 0x0
	v_mov_b32_dpp v35, v19 row_shr:1 row_mask:0xf bank_mask:0xf
	s_wait_alu 0xf1ff
	s_delay_alu instid0(VALU_DEP_1) | instskip(NEXT) | instid1(VALU_DEP_1)
	v_cndmask_b32_e64 v35, v35, 0, s13
	v_add_nc_u32_e32 v19, v35, v19
	s_delay_alu instid0(VALU_DEP_1) | instskip(NEXT) | instid1(VALU_DEP_1)
	v_mov_b32_dpp v35, v19 row_shr:2 row_mask:0xf bank_mask:0xf
	v_cndmask_b32_e64 v35, 0, v35, s10
	s_delay_alu instid0(VALU_DEP_1) | instskip(NEXT) | instid1(VALU_DEP_1)
	v_add_nc_u32_e32 v19, v19, v35
	v_mov_b32_dpp v35, v19 row_shr:4 row_mask:0xf bank_mask:0xf
	s_wait_alu 0xfffd
	s_delay_alu instid0(VALU_DEP_1) | instskip(NEXT) | instid1(VALU_DEP_1)
	v_cndmask_b32_e32 v35, 0, v35, vcc_lo
	v_add_nc_u32_e32 v19, v19, v35
	ds_store_b32 v33, v19
.LBB166_103:
	s_wait_alu 0xfffe
	s_or_b32 exec_lo, exec_lo, s8
	v_sub_co_u32 v69, s8, v70, 1
	v_mul_u32_u24_e32 v19, 6, v71
	v_cmp_lt_u32_e64 s18, 31, v46
	v_add_nc_u32_e32 v35, -4, v34
	v_mov_b32_e32 v71, 0
	s_wait_loadcnt_dscnt 0x0
	s_barrier_signal -1
	s_barrier_wait -1
	global_inv scope:SCOPE_SE
	s_and_saveexec_b32 s19, s18
; %bb.104:
	ds_load_b32 v71, v35
; %bb.105:
	s_wait_alu 0xfffe
	s_or_b32 exec_lo, exec_lo, s19
	v_cmp_gt_i32_e64 s19, 0, v69
	s_mov_b32 s24, 0
	s_min_u32 s20, s20, 8
	s_mov_b32 s25, s24
	s_mov_b32 s26, s24
	v_cndmask_b32_e64 v69, v69, v70, s19
	s_mov_b32 s27, s24
	s_wait_dscnt 0x0
	v_add_nc_u32_e32 v70, v71, v36
	v_cmp_eq_u32_e64 s19, 0, v46
	s_wait_alu 0xfffe
	s_lshl_b32 s20, -1, s20
	v_lshlrev_b32_e32 v36, 2, v69
	s_wait_alu 0xfffe
	s_not_b32 s23, s20
	ds_bpermute_b32 v69, v36, v70
	s_wait_dscnt 0x0
	v_cndmask_b32_e64 v69, v69, v71, s8
	s_delay_alu instid0(VALU_DEP_1) | instskip(NEXT) | instid1(VALU_DEP_1)
	v_cndmask_b32_e64 v69, v69, 0, s19
	v_add_nc_u32_e32 v70, v69, v20
	s_delay_alu instid0(VALU_DEP_1) | instskip(NEXT) | instid1(VALU_DEP_1)
	v_add_nc_u32_e32 v71, v70, v21
	v_add_nc_u32_e32 v72, v71, v22
	s_delay_alu instid0(VALU_DEP_1) | instskip(NEXT) | instid1(VALU_DEP_1)
	v_add_nc_u32_e32 v20, v72, v23
	;; [unrolled: 3-line block ×3, first 2 shown]
	v_add_nc_u32_e32 v23, v22, v18
	ds_store_b128 v67, v[69:72] offset:32
	ds_store_b128 v67, v[20:23] offset:48
	s_wait_loadcnt_dscnt 0x0
	s_barrier_signal -1
	s_barrier_wait -1
	global_inv scope:SCOPE_SE
	ds_load_b32 v16, v38 offset:32
	ds_load_b32 v17, v47 offset:32
	;; [unrolled: 1-line block ×8, first 2 shown]
	v_add_nc_u32_e32 v47, v68, v19
	s_wait_loadcnt_dscnt 0x0
	s_barrier_signal -1
	s_barrier_wait -1
	global_inv scope:SCOPE_SE
	v_add_nc_u32_e32 v37, v16, v37
	v_add3_u32 v39, v40, v39, v17
	v_add3_u32 v40, v49, v48, v18
	;; [unrolled: 1-line block ×7, first 2 shown]
	v_lshlrev_b32_e32 v16, 1, v37
	v_lshlrev_b32_e32 v17, 1, v39
	;; [unrolled: 1-line block ×8, first 2 shown]
	ds_store_b16 v16, v25
	ds_store_b16 v17, v26
	;; [unrolled: 1-line block ×8, first 2 shown]
	s_wait_loadcnt_dscnt 0x0
	s_barrier_signal -1
	s_barrier_wait -1
	global_inv scope:SCOPE_SE
	ds_load_u16 v25, v68
	ds_load_u16 v26, v68 offset:64
	ds_load_u16 v27, v68 offset:128
	;; [unrolled: 1-line block ×7, first 2 shown]
	v_mad_co_u64_u32 v[37:38], null, v37, 6, v[16:17]
	v_mad_co_u64_u32 v[16:17], null, v39, 6, v[17:18]
	;; [unrolled: 1-line block ×3, first 2 shown]
	s_wait_loadcnt_dscnt 0x0
	s_barrier_signal -1
	s_barrier_wait -1
	global_inv scope:SCOPE_SE
	v_mad_co_u64_u32 v[18:19], null, v48, 6, v[19:20]
	v_lshrrev_b16 v38, 8, v25
	ds_store_b64 v37, v[4:5]
	v_mad_co_u64_u32 v[19:20], null, v49, 6, v[20:21]
	v_mad_co_u64_u32 v[20:21], null, v50, 6, v[21:22]
	v_and_b32_e32 v4, 0xffff, v38
	v_mad_co_u64_u32 v[21:22], null, v69, 6, v[22:23]
	v_mad_co_u64_u32 v[22:23], null, v70, 6, v[23:24]
	s_wait_alu 0xfffe
	s_delay_alu instid0(VALU_DEP_3)
	v_and_b32_e32 v23, s23, v4
	ds_store_b64 v16, v[6:7]
	ds_store_b64 v17, v[0:1]
	;; [unrolled: 1-line block ×7, first 2 shown]
	v_and_b32_e32 v0, 1, v23
	v_lshlrev_b32_e32 v1, 30, v23
	v_lshlrev_b32_e32 v2, 29, v23
	;; [unrolled: 1-line block ×4, first 2 shown]
	v_add_co_u32 v0, s20, v0, -1
	s_wait_alu 0xf1ff
	v_cndmask_b32_e64 v4, 0, 1, s20
	v_not_b32_e32 v8, v1
	v_cmp_gt_i32_e64 s21, 0, v1
	v_not_b32_e32 v1, v2
	v_lshlrev_b32_e32 v6, 26, v23
	v_cmp_ne_u32_e64 s20, 0, v4
	v_ashrrev_i32_e32 v8, 31, v8
	v_lshlrev_b32_e32 v7, 25, v23
	v_ashrrev_i32_e32 v1, 31, v1
	v_lshlrev_b32_e32 v4, 24, v23
	s_wait_alu 0xf1ff
	v_xor_b32_e32 v0, s20, v0
	v_cmp_gt_i32_e64 s20, 0, v2
	v_not_b32_e32 v2, v3
	v_xor_b32_e32 v8, s21, v8
	v_cmp_gt_i32_e64 s21, 0, v3
	v_and_b32_e32 v0, exec_lo, v0
	v_not_b32_e32 v3, v5
	v_ashrrev_i32_e32 v2, 31, v2
	s_wait_alu 0xf1ff
	v_xor_b32_e32 v1, s20, v1
	v_cmp_gt_i32_e64 s20, 0, v5
	v_and_b32_e32 v0, v0, v8
	v_not_b32_e32 v5, v6
	v_ashrrev_i32_e32 v3, 31, v3
	v_xor_b32_e32 v2, s21, v2
	v_cmp_gt_i32_e64 s21, 0, v6
	v_and_b32_e32 v0, v0, v1
	v_not_b32_e32 v1, v7
	v_ashrrev_i32_e32 v5, 31, v5
	s_wait_alu 0xf1ff
	v_xor_b32_e32 v3, s20, v3
	v_cmp_gt_i32_e64 s20, 0, v7
	v_and_b32_e32 v0, v0, v2
	v_not_b32_e32 v2, v4
	v_ashrrev_i32_e32 v1, 31, v1
	v_xor_b32_e32 v5, s21, v5
	v_cmp_gt_i32_e64 s21, 0, v4
	v_and_b32_e32 v0, v0, v3
	v_ashrrev_i32_e32 v2, 31, v2
	s_wait_alu 0xf1ff
	v_xor_b32_e32 v1, s20, v1
	s_wait_loadcnt_dscnt 0x0
	s_barrier_signal -1
	v_and_b32_e32 v0, v0, v5
	v_xor_b32_e32 v16, s21, v2
	s_barrier_wait -1
	global_inv scope:SCOPE_SE
	ds_load_2addr_b64 v[4:7], v47 offset1:32
	v_and_b32_e32 v21, v0, v1
	ds_load_2addr_b64 v[12:15], v47 offset0:64 offset1:96
	ds_load_2addr_b64 v[8:11], v47 offset0:128 offset1:160
	ds_load_2addr_b64 v[0:3], v47 offset0:192 offset1:224
	v_dual_mov_b32 v17, s24 :: v_dual_mov_b32 v18, s25
	v_dual_mov_b32 v19, s26 :: v_dual_and_b32 v16, v21, v16
	v_mov_b32_e32 v20, s27
	v_lshl_add_u32 v38, v23, 5, v24
	s_wait_loadcnt_dscnt 0x0
	s_barrier_signal -1
	v_mbcnt_lo_u32_b32 v37, v16, 0
	v_cmp_ne_u32_e64 s21, 0, v16
	s_barrier_wait -1
	global_inv scope:SCOPE_SE
	ds_store_b128 v67, v[17:20] offset:32
	ds_store_b128 v67, v[17:20] offset:48
	v_cmp_eq_u32_e64 s20, 0, v37
	s_wait_loadcnt_dscnt 0x0
	s_barrier_signal -1
	s_barrier_wait -1
	global_inv scope:SCOPE_SE
	s_and_b32 s21, s21, s20
	; wave barrier
	s_wait_alu 0xfffe
	s_and_saveexec_b32 s20, s21
; %bb.106:
	v_bcnt_u32_b32 v16, v16, 0
	ds_store_b32 v38, v16 offset:32
; %bb.107:
	s_wait_alu 0xfffe
	s_or_b32 exec_lo, exec_lo, s20
	v_lshrrev_b16 v16, 8, v26
	; wave barrier
	s_delay_alu instid0(VALU_DEP_1) | instskip(NEXT) | instid1(VALU_DEP_1)
	v_and_b32_e32 v16, s23, v16
	v_and_b32_e32 v17, 1, v16
	v_lshlrev_b32_e32 v18, 30, v16
	v_lshlrev_b32_e32 v19, 29, v16
	;; [unrolled: 1-line block ×4, first 2 shown]
	v_add_co_u32 v17, s20, v17, -1
	s_wait_alu 0xf1ff
	v_cndmask_b32_e64 v21, 0, 1, s20
	v_not_b32_e32 v40, v18
	v_cmp_gt_i32_e64 s21, 0, v18
	v_not_b32_e32 v18, v19
	v_lshlrev_b32_e32 v23, 26, v16
	v_cmp_ne_u32_e64 s20, 0, v21
	v_ashrrev_i32_e32 v40, 31, v40
	v_lshlrev_b32_e32 v39, 25, v16
	v_ashrrev_i32_e32 v18, 31, v18
	v_lshlrev_b32_e32 v21, 24, v16
	s_wait_alu 0xf1ff
	v_xor_b32_e32 v17, s20, v17
	v_cmp_gt_i32_e64 s20, 0, v19
	v_not_b32_e32 v19, v20
	v_xor_b32_e32 v40, s21, v40
	v_cmp_gt_i32_e64 s21, 0, v20
	v_and_b32_e32 v17, exec_lo, v17
	v_not_b32_e32 v20, v22
	v_ashrrev_i32_e32 v19, 31, v19
	s_wait_alu 0xf1ff
	v_xor_b32_e32 v18, s20, v18
	v_cmp_gt_i32_e64 s20, 0, v22
	v_and_b32_e32 v17, v17, v40
	v_not_b32_e32 v22, v23
	v_ashrrev_i32_e32 v20, 31, v20
	v_xor_b32_e32 v19, s21, v19
	v_cmp_gt_i32_e64 s21, 0, v23
	v_and_b32_e32 v17, v17, v18
	v_not_b32_e32 v18, v39
	v_ashrrev_i32_e32 v22, 31, v22
	s_wait_alu 0xf1ff
	v_xor_b32_e32 v20, s20, v20
	v_cmp_gt_i32_e64 s20, 0, v39
	v_and_b32_e32 v17, v17, v19
	v_not_b32_e32 v19, v21
	v_ashrrev_i32_e32 v18, 31, v18
	v_xor_b32_e32 v22, s21, v22
	v_cmp_gt_i32_e64 s21, 0, v21
	v_and_b32_e32 v17, v17, v20
	v_ashrrev_i32_e32 v19, 31, v19
	s_wait_alu 0xf1ff
	v_xor_b32_e32 v18, s20, v18
	v_lshl_add_u32 v47, v16, 5, v24
	v_and_b32_e32 v17, v17, v22
	v_xor_b32_e32 v16, s21, v19
	ds_load_b32 v39, v47 offset:32
	v_and_b32_e32 v17, v17, v18
	; wave barrier
	s_delay_alu instid0(VALU_DEP_1) | instskip(NEXT) | instid1(VALU_DEP_1)
	v_and_b32_e32 v16, v17, v16
	v_mbcnt_lo_u32_b32 v40, v16, 0
	v_cmp_ne_u32_e64 s21, 0, v16
	s_delay_alu instid0(VALU_DEP_2)
	v_cmp_eq_u32_e64 s20, 0, v40
	s_and_b32 s21, s21, s20
	s_wait_alu 0xfffe
	s_and_saveexec_b32 s20, s21
	s_cbranch_execz .LBB166_109
; %bb.108:
	s_wait_dscnt 0x0
	v_bcnt_u32_b32 v16, v16, v39
	ds_store_b32 v47, v16 offset:32
.LBB166_109:
	s_wait_alu 0xfffe
	s_or_b32 exec_lo, exec_lo, s20
	v_lshrrev_b16 v16, 8, v27
	; wave barrier
	s_delay_alu instid0(VALU_DEP_1) | instskip(NEXT) | instid1(VALU_DEP_1)
	v_and_b32_e32 v16, s23, v16
	v_and_b32_e32 v17, 1, v16
	v_lshlrev_b32_e32 v18, 30, v16
	v_lshlrev_b32_e32 v19, 29, v16
	;; [unrolled: 1-line block ×4, first 2 shown]
	v_add_co_u32 v17, s20, v17, -1
	s_wait_alu 0xf1ff
	v_cndmask_b32_e64 v21, 0, 1, s20
	v_not_b32_e32 v49, v18
	v_cmp_gt_i32_e64 s21, 0, v18
	v_not_b32_e32 v18, v19
	v_lshlrev_b32_e32 v23, 26, v16
	v_cmp_ne_u32_e64 s20, 0, v21
	v_ashrrev_i32_e32 v49, 31, v49
	v_lshlrev_b32_e32 v48, 25, v16
	v_ashrrev_i32_e32 v18, 31, v18
	v_lshlrev_b32_e32 v21, 24, v16
	s_wait_alu 0xf1ff
	v_xor_b32_e32 v17, s20, v17
	v_cmp_gt_i32_e64 s20, 0, v19
	v_not_b32_e32 v19, v20
	v_xor_b32_e32 v49, s21, v49
	v_cmp_gt_i32_e64 s21, 0, v20
	v_and_b32_e32 v17, exec_lo, v17
	v_not_b32_e32 v20, v22
	v_ashrrev_i32_e32 v19, 31, v19
	s_wait_alu 0xf1ff
	v_xor_b32_e32 v18, s20, v18
	v_cmp_gt_i32_e64 s20, 0, v22
	v_and_b32_e32 v17, v17, v49
	v_not_b32_e32 v22, v23
	v_ashrrev_i32_e32 v20, 31, v20
	v_xor_b32_e32 v19, s21, v19
	v_cmp_gt_i32_e64 s21, 0, v23
	v_and_b32_e32 v17, v17, v18
	v_not_b32_e32 v18, v48
	v_ashrrev_i32_e32 v22, 31, v22
	s_wait_alu 0xf1ff
	v_xor_b32_e32 v20, s20, v20
	v_cmp_gt_i32_e64 s20, 0, v48
	v_and_b32_e32 v17, v17, v19
	v_not_b32_e32 v19, v21
	v_ashrrev_i32_e32 v18, 31, v18
	v_xor_b32_e32 v22, s21, v22
	v_cmp_gt_i32_e64 s21, 0, v21
	v_and_b32_e32 v17, v17, v20
	v_ashrrev_i32_e32 v19, 31, v19
	s_wait_alu 0xf1ff
	v_xor_b32_e32 v18, s20, v18
	v_lshl_add_u32 v50, v16, 5, v24
	v_and_b32_e32 v17, v17, v22
	v_xor_b32_e32 v16, s21, v19
	ds_load_b32 v48, v50 offset:32
	v_and_b32_e32 v17, v17, v18
	; wave barrier
	s_delay_alu instid0(VALU_DEP_1) | instskip(NEXT) | instid1(VALU_DEP_1)
	v_and_b32_e32 v16, v17, v16
	v_mbcnt_lo_u32_b32 v49, v16, 0
	v_cmp_ne_u32_e64 s21, 0, v16
	s_delay_alu instid0(VALU_DEP_2)
	v_cmp_eq_u32_e64 s20, 0, v49
	s_and_b32 s21, s21, s20
	s_wait_alu 0xfffe
	s_and_saveexec_b32 s20, s21
	s_cbranch_execz .LBB166_111
; %bb.110:
	s_wait_dscnt 0x0
	v_bcnt_u32_b32 v16, v16, v48
	ds_store_b32 v50, v16 offset:32
.LBB166_111:
	s_wait_alu 0xfffe
	s_or_b32 exec_lo, exec_lo, s20
	v_lshrrev_b16 v16, 8, v28
	; wave barrier
	s_delay_alu instid0(VALU_DEP_1) | instskip(NEXT) | instid1(VALU_DEP_1)
	v_and_b32_e32 v16, s23, v16
	v_and_b32_e32 v17, 1, v16
	v_lshlrev_b32_e32 v18, 30, v16
	v_lshlrev_b32_e32 v19, 29, v16
	;; [unrolled: 1-line block ×4, first 2 shown]
	v_add_co_u32 v17, s20, v17, -1
	s_wait_alu 0xf1ff
	v_cndmask_b32_e64 v21, 0, 1, s20
	v_not_b32_e32 v69, v18
	v_cmp_gt_i32_e64 s21, 0, v18
	v_not_b32_e32 v18, v19
	v_lshlrev_b32_e32 v23, 26, v16
	v_cmp_ne_u32_e64 s20, 0, v21
	v_ashrrev_i32_e32 v69, 31, v69
	v_lshlrev_b32_e32 v68, 25, v16
	v_ashrrev_i32_e32 v18, 31, v18
	v_lshlrev_b32_e32 v21, 24, v16
	s_wait_alu 0xf1ff
	v_xor_b32_e32 v17, s20, v17
	v_cmp_gt_i32_e64 s20, 0, v19
	v_not_b32_e32 v19, v20
	v_xor_b32_e32 v69, s21, v69
	v_cmp_gt_i32_e64 s21, 0, v20
	v_and_b32_e32 v17, exec_lo, v17
	v_not_b32_e32 v20, v22
	v_ashrrev_i32_e32 v19, 31, v19
	s_wait_alu 0xf1ff
	v_xor_b32_e32 v18, s20, v18
	v_cmp_gt_i32_e64 s20, 0, v22
	v_and_b32_e32 v17, v17, v69
	v_not_b32_e32 v22, v23
	v_ashrrev_i32_e32 v20, 31, v20
	v_xor_b32_e32 v19, s21, v19
	v_cmp_gt_i32_e64 s21, 0, v23
	v_and_b32_e32 v17, v17, v18
	v_not_b32_e32 v18, v68
	v_ashrrev_i32_e32 v22, 31, v22
	s_wait_alu 0xf1ff
	v_xor_b32_e32 v20, s20, v20
	v_cmp_gt_i32_e64 s20, 0, v68
	v_and_b32_e32 v17, v17, v19
	v_not_b32_e32 v19, v21
	v_ashrrev_i32_e32 v18, 31, v18
	v_xor_b32_e32 v22, s21, v22
	v_cmp_gt_i32_e64 s21, 0, v21
	v_and_b32_e32 v17, v17, v20
	v_ashrrev_i32_e32 v19, 31, v19
	s_wait_alu 0xf1ff
	v_xor_b32_e32 v18, s20, v18
	v_lshl_add_u32 v70, v16, 5, v24
	v_and_b32_e32 v17, v17, v22
	v_xor_b32_e32 v16, s21, v19
	ds_load_b32 v68, v70 offset:32
	v_and_b32_e32 v17, v17, v18
	; wave barrier
	s_delay_alu instid0(VALU_DEP_1) | instskip(NEXT) | instid1(VALU_DEP_1)
	v_and_b32_e32 v16, v17, v16
	v_mbcnt_lo_u32_b32 v69, v16, 0
	v_cmp_ne_u32_e64 s21, 0, v16
	s_delay_alu instid0(VALU_DEP_2)
	v_cmp_eq_u32_e64 s20, 0, v69
	s_and_b32 s21, s21, s20
	s_wait_alu 0xfffe
	s_and_saveexec_b32 s20, s21
	s_cbranch_execz .LBB166_113
; %bb.112:
	s_wait_dscnt 0x0
	v_bcnt_u32_b32 v16, v16, v68
	ds_store_b32 v70, v16 offset:32
.LBB166_113:
	s_wait_alu 0xfffe
	s_or_b32 exec_lo, exec_lo, s20
	v_lshrrev_b16 v16, 8, v29
	; wave barrier
	s_delay_alu instid0(VALU_DEP_1) | instskip(NEXT) | instid1(VALU_DEP_1)
	v_and_b32_e32 v16, s23, v16
	v_and_b32_e32 v17, 1, v16
	v_lshlrev_b32_e32 v18, 30, v16
	v_lshlrev_b32_e32 v19, 29, v16
	v_lshlrev_b32_e32 v20, 28, v16
	v_lshlrev_b32_e32 v22, 27, v16
	v_add_co_u32 v17, s20, v17, -1
	s_wait_alu 0xf1ff
	v_cndmask_b32_e64 v21, 0, 1, s20
	v_not_b32_e32 v72, v18
	v_cmp_gt_i32_e64 s21, 0, v18
	v_not_b32_e32 v18, v19
	v_lshlrev_b32_e32 v23, 26, v16
	v_cmp_ne_u32_e64 s20, 0, v21
	v_ashrrev_i32_e32 v72, 31, v72
	v_lshlrev_b32_e32 v71, 25, v16
	v_ashrrev_i32_e32 v18, 31, v18
	v_lshlrev_b32_e32 v21, 24, v16
	s_wait_alu 0xf1ff
	v_xor_b32_e32 v17, s20, v17
	v_cmp_gt_i32_e64 s20, 0, v19
	v_not_b32_e32 v19, v20
	v_xor_b32_e32 v72, s21, v72
	v_cmp_gt_i32_e64 s21, 0, v20
	v_and_b32_e32 v17, exec_lo, v17
	v_not_b32_e32 v20, v22
	v_ashrrev_i32_e32 v19, 31, v19
	s_wait_alu 0xf1ff
	v_xor_b32_e32 v18, s20, v18
	v_cmp_gt_i32_e64 s20, 0, v22
	v_and_b32_e32 v17, v17, v72
	v_not_b32_e32 v22, v23
	v_ashrrev_i32_e32 v20, 31, v20
	v_xor_b32_e32 v19, s21, v19
	v_cmp_gt_i32_e64 s21, 0, v23
	v_and_b32_e32 v17, v17, v18
	v_not_b32_e32 v18, v71
	v_ashrrev_i32_e32 v22, 31, v22
	s_wait_alu 0xf1ff
	v_xor_b32_e32 v20, s20, v20
	v_cmp_gt_i32_e64 s20, 0, v71
	v_and_b32_e32 v17, v17, v19
	v_not_b32_e32 v19, v21
	v_ashrrev_i32_e32 v18, 31, v18
	v_xor_b32_e32 v22, s21, v22
	v_cmp_gt_i32_e64 s21, 0, v21
	v_and_b32_e32 v17, v17, v20
	v_ashrrev_i32_e32 v19, 31, v19
	s_wait_alu 0xf1ff
	v_xor_b32_e32 v18, s20, v18
	v_lshl_add_u32 v73, v16, 5, v24
	v_and_b32_e32 v17, v17, v22
	v_xor_b32_e32 v16, s21, v19
	ds_load_b32 v71, v73 offset:32
	v_and_b32_e32 v17, v17, v18
	; wave barrier
	s_delay_alu instid0(VALU_DEP_1) | instskip(NEXT) | instid1(VALU_DEP_1)
	v_and_b32_e32 v16, v17, v16
	v_mbcnt_lo_u32_b32 v72, v16, 0
	v_cmp_ne_u32_e64 s21, 0, v16
	s_delay_alu instid0(VALU_DEP_2)
	v_cmp_eq_u32_e64 s20, 0, v72
	s_and_b32 s21, s21, s20
	s_wait_alu 0xfffe
	s_and_saveexec_b32 s20, s21
	s_cbranch_execz .LBB166_115
; %bb.114:
	s_wait_dscnt 0x0
	v_bcnt_u32_b32 v16, v16, v71
	ds_store_b32 v73, v16 offset:32
.LBB166_115:
	s_wait_alu 0xfffe
	s_or_b32 exec_lo, exec_lo, s20
	v_lshrrev_b16 v16, 8, v30
	; wave barrier
	s_delay_alu instid0(VALU_DEP_1) | instskip(NEXT) | instid1(VALU_DEP_1)
	v_and_b32_e32 v16, s23, v16
	v_and_b32_e32 v17, 1, v16
	v_lshlrev_b32_e32 v18, 30, v16
	v_lshlrev_b32_e32 v19, 29, v16
	;; [unrolled: 1-line block ×4, first 2 shown]
	v_add_co_u32 v17, s20, v17, -1
	s_wait_alu 0xf1ff
	v_cndmask_b32_e64 v21, 0, 1, s20
	v_not_b32_e32 v75, v18
	v_cmp_gt_i32_e64 s21, 0, v18
	v_not_b32_e32 v18, v19
	v_lshlrev_b32_e32 v23, 26, v16
	v_cmp_ne_u32_e64 s20, 0, v21
	v_ashrrev_i32_e32 v75, 31, v75
	v_lshlrev_b32_e32 v74, 25, v16
	v_ashrrev_i32_e32 v18, 31, v18
	v_lshlrev_b32_e32 v21, 24, v16
	s_wait_alu 0xf1ff
	v_xor_b32_e32 v17, s20, v17
	v_cmp_gt_i32_e64 s20, 0, v19
	v_not_b32_e32 v19, v20
	v_xor_b32_e32 v75, s21, v75
	v_cmp_gt_i32_e64 s21, 0, v20
	v_and_b32_e32 v17, exec_lo, v17
	v_not_b32_e32 v20, v22
	v_ashrrev_i32_e32 v19, 31, v19
	s_wait_alu 0xf1ff
	v_xor_b32_e32 v18, s20, v18
	v_cmp_gt_i32_e64 s20, 0, v22
	v_and_b32_e32 v17, v17, v75
	v_not_b32_e32 v22, v23
	v_ashrrev_i32_e32 v20, 31, v20
	v_xor_b32_e32 v19, s21, v19
	v_cmp_gt_i32_e64 s21, 0, v23
	v_and_b32_e32 v17, v17, v18
	v_not_b32_e32 v18, v74
	v_ashrrev_i32_e32 v22, 31, v22
	s_wait_alu 0xf1ff
	v_xor_b32_e32 v20, s20, v20
	v_cmp_gt_i32_e64 s20, 0, v74
	v_and_b32_e32 v17, v17, v19
	v_not_b32_e32 v19, v21
	v_ashrrev_i32_e32 v18, 31, v18
	v_xor_b32_e32 v22, s21, v22
	v_cmp_gt_i32_e64 s21, 0, v21
	v_and_b32_e32 v17, v17, v20
	v_ashrrev_i32_e32 v19, 31, v19
	s_wait_alu 0xf1ff
	v_xor_b32_e32 v18, s20, v18
	v_lshl_add_u32 v76, v16, 5, v24
	v_and_b32_e32 v17, v17, v22
	v_xor_b32_e32 v16, s21, v19
	ds_load_b32 v74, v76 offset:32
	v_and_b32_e32 v17, v17, v18
	; wave barrier
	s_delay_alu instid0(VALU_DEP_1) | instskip(NEXT) | instid1(VALU_DEP_1)
	v_and_b32_e32 v16, v17, v16
	v_mbcnt_lo_u32_b32 v75, v16, 0
	v_cmp_ne_u32_e64 s21, 0, v16
	s_delay_alu instid0(VALU_DEP_2)
	v_cmp_eq_u32_e64 s20, 0, v75
	s_and_b32 s21, s21, s20
	s_wait_alu 0xfffe
	s_and_saveexec_b32 s20, s21
	s_cbranch_execz .LBB166_117
; %bb.116:
	s_wait_dscnt 0x0
	v_bcnt_u32_b32 v16, v16, v74
	ds_store_b32 v76, v16 offset:32
.LBB166_117:
	s_wait_alu 0xfffe
	s_or_b32 exec_lo, exec_lo, s20
	v_lshrrev_b16 v16, 8, v31
	; wave barrier
	s_delay_alu instid0(VALU_DEP_1) | instskip(NEXT) | instid1(VALU_DEP_1)
	v_and_b32_e32 v16, s23, v16
	v_and_b32_e32 v17, 1, v16
	v_lshlrev_b32_e32 v18, 30, v16
	v_lshlrev_b32_e32 v19, 29, v16
	v_lshlrev_b32_e32 v20, 28, v16
	v_lshlrev_b32_e32 v22, 27, v16
	v_add_co_u32 v17, s20, v17, -1
	s_wait_alu 0xf1ff
	v_cndmask_b32_e64 v21, 0, 1, s20
	v_not_b32_e32 v78, v18
	v_cmp_gt_i32_e64 s21, 0, v18
	v_not_b32_e32 v18, v19
	v_lshlrev_b32_e32 v23, 26, v16
	v_cmp_ne_u32_e64 s20, 0, v21
	v_ashrrev_i32_e32 v78, 31, v78
	v_lshlrev_b32_e32 v77, 25, v16
	v_ashrrev_i32_e32 v18, 31, v18
	v_lshlrev_b32_e32 v21, 24, v16
	s_wait_alu 0xf1ff
	v_xor_b32_e32 v17, s20, v17
	v_cmp_gt_i32_e64 s20, 0, v19
	v_not_b32_e32 v19, v20
	v_xor_b32_e32 v78, s21, v78
	v_cmp_gt_i32_e64 s21, 0, v20
	v_and_b32_e32 v17, exec_lo, v17
	v_not_b32_e32 v20, v22
	v_ashrrev_i32_e32 v19, 31, v19
	s_wait_alu 0xf1ff
	v_xor_b32_e32 v18, s20, v18
	v_cmp_gt_i32_e64 s20, 0, v22
	v_and_b32_e32 v17, v17, v78
	v_not_b32_e32 v22, v23
	v_ashrrev_i32_e32 v20, 31, v20
	v_xor_b32_e32 v19, s21, v19
	v_cmp_gt_i32_e64 s21, 0, v23
	v_and_b32_e32 v17, v17, v18
	v_not_b32_e32 v18, v77
	v_ashrrev_i32_e32 v22, 31, v22
	s_wait_alu 0xf1ff
	v_xor_b32_e32 v20, s20, v20
	v_cmp_gt_i32_e64 s20, 0, v77
	v_and_b32_e32 v17, v17, v19
	v_not_b32_e32 v19, v21
	v_ashrrev_i32_e32 v18, 31, v18
	v_xor_b32_e32 v22, s21, v22
	v_cmp_gt_i32_e64 s21, 0, v21
	v_and_b32_e32 v17, v17, v20
	v_ashrrev_i32_e32 v19, 31, v19
	s_wait_alu 0xf1ff
	v_xor_b32_e32 v18, s20, v18
	v_lshl_add_u32 v79, v16, 5, v24
	v_and_b32_e32 v17, v17, v22
	v_xor_b32_e32 v16, s21, v19
	ds_load_b32 v77, v79 offset:32
	v_and_b32_e32 v17, v17, v18
	; wave barrier
	s_delay_alu instid0(VALU_DEP_1) | instskip(NEXT) | instid1(VALU_DEP_1)
	v_and_b32_e32 v16, v17, v16
	v_mbcnt_lo_u32_b32 v78, v16, 0
	v_cmp_ne_u32_e64 s21, 0, v16
	s_delay_alu instid0(VALU_DEP_2)
	v_cmp_eq_u32_e64 s20, 0, v78
	s_and_b32 s21, s21, s20
	s_wait_alu 0xfffe
	s_and_saveexec_b32 s20, s21
	s_cbranch_execz .LBB166_119
; %bb.118:
	s_wait_dscnt 0x0
	v_bcnt_u32_b32 v16, v16, v77
	ds_store_b32 v79, v16 offset:32
.LBB166_119:
	s_wait_alu 0xfffe
	s_or_b32 exec_lo, exec_lo, s20
	v_lshrrev_b16 v16, 8, v32
	; wave barrier
	s_delay_alu instid0(VALU_DEP_1) | instskip(NEXT) | instid1(VALU_DEP_1)
	v_and_b32_e32 v16, s23, v16
	v_and_b32_e32 v17, 1, v16
	v_lshlrev_b32_e32 v18, 30, v16
	v_lshlrev_b32_e32 v19, 29, v16
	;; [unrolled: 1-line block ×4, first 2 shown]
	v_add_co_u32 v17, s20, v17, -1
	s_wait_alu 0xf1ff
	v_cndmask_b32_e64 v21, 0, 1, s20
	v_not_b32_e32 v81, v18
	v_cmp_gt_i32_e64 s21, 0, v18
	v_not_b32_e32 v18, v19
	v_lshlrev_b32_e32 v23, 26, v16
	v_cmp_ne_u32_e64 s20, 0, v21
	v_ashrrev_i32_e32 v81, 31, v81
	v_lshlrev_b32_e32 v80, 25, v16
	v_ashrrev_i32_e32 v18, 31, v18
	v_lshlrev_b32_e32 v21, 24, v16
	s_wait_alu 0xf1ff
	v_xor_b32_e32 v17, s20, v17
	v_cmp_gt_i32_e64 s20, 0, v19
	v_not_b32_e32 v19, v20
	v_xor_b32_e32 v81, s21, v81
	v_cmp_gt_i32_e64 s21, 0, v20
	v_and_b32_e32 v17, exec_lo, v17
	v_not_b32_e32 v20, v22
	v_ashrrev_i32_e32 v19, 31, v19
	s_wait_alu 0xf1ff
	v_xor_b32_e32 v18, s20, v18
	v_cmp_gt_i32_e64 s20, 0, v22
	v_and_b32_e32 v17, v17, v81
	v_not_b32_e32 v22, v23
	v_ashrrev_i32_e32 v20, 31, v20
	v_xor_b32_e32 v19, s21, v19
	v_cmp_gt_i32_e64 s21, 0, v23
	v_and_b32_e32 v17, v17, v18
	v_not_b32_e32 v18, v80
	v_ashrrev_i32_e32 v22, 31, v22
	s_wait_alu 0xf1ff
	v_xor_b32_e32 v20, s20, v20
	v_cmp_gt_i32_e64 s20, 0, v80
	v_and_b32_e32 v17, v17, v19
	v_not_b32_e32 v19, v21
	v_ashrrev_i32_e32 v18, 31, v18
	v_xor_b32_e32 v22, s21, v22
	v_cmp_gt_i32_e64 s21, 0, v21
	v_and_b32_e32 v17, v17, v20
	v_ashrrev_i32_e32 v19, 31, v19
	s_wait_alu 0xf1ff
	v_xor_b32_e32 v18, s20, v18
	v_lshl_add_u32 v81, v16, 5, v24
	v_and_b32_e32 v17, v17, v22
	v_xor_b32_e32 v16, s21, v19
	ds_load_b32 v24, v81 offset:32
	v_and_b32_e32 v17, v17, v18
	; wave barrier
	s_delay_alu instid0(VALU_DEP_1) | instskip(NEXT) | instid1(VALU_DEP_1)
	v_and_b32_e32 v16, v17, v16
	v_mbcnt_lo_u32_b32 v80, v16, 0
	v_cmp_ne_u32_e64 s21, 0, v16
	s_delay_alu instid0(VALU_DEP_2)
	v_cmp_eq_u32_e64 s20, 0, v80
	s_and_b32 s21, s21, s20
	s_wait_alu 0xfffe
	s_and_saveexec_b32 s20, s21
	s_cbranch_execz .LBB166_121
; %bb.120:
	s_wait_dscnt 0x0
	v_bcnt_u32_b32 v16, v16, v24
	ds_store_b32 v81, v16 offset:32
.LBB166_121:
	s_wait_alu 0xfffe
	s_or_b32 exec_lo, exec_lo, s20
	; wave barrier
	s_wait_loadcnt_dscnt 0x0
	s_barrier_signal -1
	s_barrier_wait -1
	global_inv scope:SCOPE_SE
	ds_load_b128 v[20:23], v67 offset:32
	ds_load_b128 v[16:19], v67 offset:48
	s_wait_dscnt 0x1
	v_add_nc_u32_e32 v82, v21, v20
	s_delay_alu instid0(VALU_DEP_1) | instskip(SKIP_1) | instid1(VALU_DEP_1)
	v_add3_u32 v82, v82, v22, v23
	s_wait_dscnt 0x0
	v_add3_u32 v82, v82, v16, v17
	s_delay_alu instid0(VALU_DEP_1) | instskip(NEXT) | instid1(VALU_DEP_1)
	v_add3_u32 v19, v82, v18, v19
	v_mov_b32_dpp v82, v19 row_shr:1 row_mask:0xf bank_mask:0xf
	s_delay_alu instid0(VALU_DEP_1) | instskip(NEXT) | instid1(VALU_DEP_1)
	v_cndmask_b32_e64 v82, v82, 0, s9
	v_add_nc_u32_e32 v19, v82, v19
	s_delay_alu instid0(VALU_DEP_1) | instskip(NEXT) | instid1(VALU_DEP_1)
	v_mov_b32_dpp v82, v19 row_shr:2 row_mask:0xf bank_mask:0xf
	v_cndmask_b32_e64 v82, 0, v82, s11
	s_delay_alu instid0(VALU_DEP_1) | instskip(NEXT) | instid1(VALU_DEP_1)
	v_add_nc_u32_e32 v19, v19, v82
	v_mov_b32_dpp v82, v19 row_shr:4 row_mask:0xf bank_mask:0xf
	s_delay_alu instid0(VALU_DEP_1) | instskip(NEXT) | instid1(VALU_DEP_1)
	v_cndmask_b32_e64 v82, 0, v82, s12
	v_add_nc_u32_e32 v19, v19, v82
	s_delay_alu instid0(VALU_DEP_1) | instskip(NEXT) | instid1(VALU_DEP_1)
	v_mov_b32_dpp v82, v19 row_shr:8 row_mask:0xf bank_mask:0xf
	v_cndmask_b32_e64 v82, 0, v82, s14
	s_delay_alu instid0(VALU_DEP_1) | instskip(SKIP_3) | instid1(VALU_DEP_1)
	v_add_nc_u32_e32 v19, v19, v82
	ds_swizzle_b32 v82, v19 offset:swizzle(BROADCAST,32,15)
	s_wait_dscnt 0x0
	v_cndmask_b32_e64 v82, v82, 0, s17
	v_add_nc_u32_e32 v19, v19, v82
	s_and_saveexec_b32 s9, s15
; %bb.122:
	ds_store_b32 v34, v19
; %bb.123:
	s_wait_alu 0xfffe
	s_or_b32 exec_lo, exec_lo, s9
	s_wait_loadcnt_dscnt 0x0
	s_barrier_signal -1
	s_barrier_wait -1
	global_inv scope:SCOPE_SE
	s_and_saveexec_b32 s9, s16
	s_cbranch_execz .LBB166_125
; %bb.124:
	ds_load_b32 v34, v33
	s_wait_dscnt 0x0
	v_mov_b32_dpp v82, v34 row_shr:1 row_mask:0xf bank_mask:0xf
	s_delay_alu instid0(VALU_DEP_1) | instskip(NEXT) | instid1(VALU_DEP_1)
	v_cndmask_b32_e64 v82, v82, 0, s13
	v_add_nc_u32_e32 v34, v82, v34
	s_delay_alu instid0(VALU_DEP_1) | instskip(NEXT) | instid1(VALU_DEP_1)
	v_mov_b32_dpp v82, v34 row_shr:2 row_mask:0xf bank_mask:0xf
	v_cndmask_b32_e64 v82, 0, v82, s10
	s_delay_alu instid0(VALU_DEP_1) | instskip(NEXT) | instid1(VALU_DEP_1)
	v_add_nc_u32_e32 v34, v34, v82
	v_mov_b32_dpp v82, v34 row_shr:4 row_mask:0xf bank_mask:0xf
	s_wait_alu 0xfffd
	s_delay_alu instid0(VALU_DEP_1) | instskip(NEXT) | instid1(VALU_DEP_1)
	v_cndmask_b32_e32 v82, 0, v82, vcc_lo
	v_add_nc_u32_e32 v34, v34, v82
	ds_store_b32 v33, v34
.LBB166_125:
	s_wait_alu 0xfffe
	s_or_b32 exec_lo, exec_lo, s9
	v_mov_b32_e32 v33, 0
	s_wait_loadcnt_dscnt 0x0
	s_barrier_signal -1
	s_barrier_wait -1
	global_inv scope:SCOPE_SE
	s_and_saveexec_b32 s9, s18
; %bb.126:
	ds_load_b32 v33, v35
; %bb.127:
	s_wait_alu 0xfffe
	s_or_b32 exec_lo, exec_lo, s9
	s_wait_dscnt 0x0
	v_add_nc_u32_e32 v19, v33, v19
	ds_bpermute_b32 v19, v36, v19
	s_wait_dscnt 0x0
	v_cndmask_b32_e64 v19, v19, v33, s8
	s_delay_alu instid0(VALU_DEP_1) | instskip(NEXT) | instid1(VALU_DEP_1)
	v_cndmask_b32_e64 v19, v19, 0, s19
	v_add_nc_u32_e32 v20, v19, v20
	s_delay_alu instid0(VALU_DEP_1) | instskip(NEXT) | instid1(VALU_DEP_1)
	v_add_nc_u32_e32 v21, v20, v21
	v_add_nc_u32_e32 v22, v21, v22
	s_delay_alu instid0(VALU_DEP_1) | instskip(NEXT) | instid1(VALU_DEP_1)
	v_add_nc_u32_e32 v33, v22, v23
	;; [unrolled: 3-line block ×3, first 2 shown]
	v_add_nc_u32_e32 v36, v35, v18
	ds_store_b128 v67, v[19:22] offset:32
	ds_store_b128 v67, v[33:36] offset:48
	s_wait_loadcnt_dscnt 0x0
	s_barrier_signal -1
	s_barrier_wait -1
	global_inv scope:SCOPE_SE
	ds_load_b32 v16, v81 offset:32
	ds_load_b32 v17, v79 offset:32
	;; [unrolled: 1-line block ×8, first 2 shown]
	v_lshlrev_b32_e32 v33, 1, v66
	s_wait_loadcnt_dscnt 0x0
	s_barrier_signal -1
	s_barrier_wait -1
	global_inv scope:SCOPE_SE
	v_mad_u32_u24 v38, v46, 48, v33
	v_add3_u32 v34, v80, v24, v16
	v_add3_u32 v35, v78, v77, v17
	;; [unrolled: 1-line block ×3, first 2 shown]
	v_add_nc_u32_e32 v24, v19, v37
	v_add3_u32 v37, v40, v39, v20
	v_add3_u32 v39, v49, v48, v21
	;; [unrolled: 1-line block ×4, first 2 shown]
	v_lshlrev_b32_e32 v16, 1, v24
	v_lshlrev_b32_e32 v17, 1, v37
	;; [unrolled: 1-line block ×8, first 2 shown]
	ds_store_b16 v16, v25
	ds_store_b16 v17, v26
	;; [unrolled: 1-line block ×8, first 2 shown]
	v_mad_co_u64_u32 v[24:25], null, v24, 6, v[16:17]
	v_mad_co_u64_u32 v[16:17], null, v37, 6, v[17:18]
	;; [unrolled: 1-line block ×8, first 2 shown]
	s_wait_loadcnt_dscnt 0x0
	s_barrier_signal -1
	s_barrier_wait -1
	global_inv scope:SCOPE_SE
	ds_load_b128 v[33:36], v33
	s_wait_loadcnt_dscnt 0x0
	s_barrier_signal -1
	s_barrier_wait -1
	global_inv scope:SCOPE_SE
	ds_store_b64 v24, v[4:5]
	ds_store_b64 v16, v[6:7]
	;; [unrolled: 1-line block ×8, first 2 shown]
	s_wait_loadcnt_dscnt 0x0
	s_barrier_signal -1
	s_barrier_wait -1
	global_inv scope:SCOPE_SE
	ds_load_b128 v[29:32], v38
	ds_load_b128 v[25:28], v38 offset:16
	ds_load_b128 v[21:24], v38 offset:32
	;; [unrolled: 1-line block ×3, first 2 shown]
	v_xor_b32_e32 v0, 0x7fff7fff, v33
	v_xor_b32_e32 v34, 0x7fff7fff, v34
	;; [unrolled: 1-line block ×4, first 2 shown]
.LBB166_128:
	s_wait_loadcnt_dscnt 0x0
	s_barrier_signal -1
	s_barrier_wait -1
	global_inv scope:SCOPE_SE
	ds_store_2addr_b32 v58, v0, v34 offset1:1
	ds_store_2addr_b32 v58, v33, v35 offset0:2 offset1:3
	s_wait_loadcnt_dscnt 0x0
	s_barrier_signal -1
	s_barrier_wait -1
	global_inv scope:SCOPE_SE
	ds_load_u16 v8, v45 offset:512
	ds_load_u16 v7, v52 offset:1024
	;; [unrolled: 1-line block ×7, first 2 shown]
	v_mov_b32_e32 v45, 0
	s_delay_alu instid0(VALU_DEP_1) | instskip(NEXT) | instid1(VALU_DEP_1)
	v_lshlrev_b64_e32 v[0:1], 1, v[44:45]
	v_add_co_u32 v0, vcc_lo, s30, v0
	s_wait_alu 0xfffd
	s_delay_alu instid0(VALU_DEP_2)
	v_add_co_ci_u32_e64 v1, null, s31, v1, vcc_lo
	s_and_saveexec_b32 s8, s0
	s_cbranch_execnz .LBB166_147
; %bb.129:
	s_wait_alu 0xfffe
	s_or_b32 exec_lo, exec_lo, s8
	s_and_saveexec_b32 s8, s1
	s_cbranch_execnz .LBB166_148
.LBB166_130:
	s_wait_alu 0xfffe
	s_or_b32 exec_lo, exec_lo, s8
	s_and_saveexec_b32 s8, s2
	s_cbranch_execnz .LBB166_149
.LBB166_131:
	s_wait_alu 0xfffe
	s_or_b32 exec_lo, exec_lo, s8
	s_and_saveexec_b32 s8, s3
	s_cbranch_execnz .LBB166_150
.LBB166_132:
	s_wait_alu 0xfffe
	s_or_b32 exec_lo, exec_lo, s8
	s_and_saveexec_b32 s8, s4
	s_cbranch_execnz .LBB166_151
.LBB166_133:
	s_wait_alu 0xfffe
	s_or_b32 exec_lo, exec_lo, s8
	s_and_saveexec_b32 s8, s5
	s_cbranch_execnz .LBB166_152
.LBB166_134:
	s_wait_alu 0xfffe
	s_or_b32 exec_lo, exec_lo, s8
	s_and_saveexec_b32 s8, s6
	s_cbranch_execnz .LBB166_153
.LBB166_135:
	s_wait_alu 0xfffe
	s_or_b32 exec_lo, exec_lo, s8
	s_and_saveexec_b32 s8, s7
	s_cbranch_execz .LBB166_137
.LBB166_136:
	s_mul_i32 s10, s22, 0x700
	s_mov_b32 s11, 0
	s_wait_alu 0xfffe
	s_lshl_b64 s[10:11], s[10:11], 1
	s_wait_alu 0xfffe
	v_add_co_u32 v0, vcc_lo, v0, s10
	s_wait_alu 0xfffd
	v_add_co_ci_u32_e64 v1, null, s11, v1, vcc_lo
	s_wait_dscnt 0x0
	global_store_b16 v[0:1], v2, off
.LBB166_137:
	s_wait_alu 0xfffe
	s_or_b32 exec_lo, exec_lo, s8
	s_wait_storecnt 0x0
	s_wait_loadcnt_dscnt 0x0
	s_barrier_signal -1
	s_barrier_wait -1
	global_inv scope:SCOPE_SE
	ds_store_2addr_b64 v65, v[29:30], v[31:32] offset1:1
	ds_store_2addr_b64 v65, v[25:26], v[27:28] offset0:2 offset1:3
	ds_store_2addr_b64 v65, v[21:22], v[23:24] offset0:4 offset1:5
	;; [unrolled: 1-line block ×3, first 2 shown]
	s_wait_loadcnt_dscnt 0x0
	s_barrier_signal -1
	s_barrier_wait -1
	global_inv scope:SCOPE_SE
	ds_load_b64 v[14:15], v60 offset:2048
	ds_load_b64 v[12:13], v61 offset:4096
	;; [unrolled: 1-line block ×7, first 2 shown]
	v_mov_b32_e32 v42, 0
	s_delay_alu instid0(VALU_DEP_1) | instskip(NEXT) | instid1(VALU_DEP_1)
	v_lshlrev_b64_e32 v[2:3], 3, v[41:42]
	v_add_co_u32 v2, vcc_lo, s34, v2
	s_wait_alu 0xfffd
	s_delay_alu instid0(VALU_DEP_2)
	v_add_co_ci_u32_e64 v3, null, s35, v3, vcc_lo
	s_and_saveexec_b32 s8, s0
	s_cbranch_execnz .LBB166_154
; %bb.138:
	s_wait_alu 0xfffe
	s_or_b32 exec_lo, exec_lo, s8
	s_and_saveexec_b32 s0, s1
	s_cbranch_execnz .LBB166_155
.LBB166_139:
	s_wait_alu 0xfffe
	s_or_b32 exec_lo, exec_lo, s0
	s_and_saveexec_b32 s0, s2
	s_cbranch_execnz .LBB166_156
.LBB166_140:
	s_wait_alu 0xfffe
	s_or_b32 exec_lo, exec_lo, s0
	s_and_saveexec_b32 s0, s3
	s_cbranch_execnz .LBB166_157
.LBB166_141:
	s_wait_alu 0xfffe
	s_or_b32 exec_lo, exec_lo, s0
	s_and_saveexec_b32 s0, s4
	s_cbranch_execnz .LBB166_158
.LBB166_142:
	s_wait_alu 0xfffe
	s_or_b32 exec_lo, exec_lo, s0
	s_and_saveexec_b32 s0, s5
	s_cbranch_execnz .LBB166_159
.LBB166_143:
	s_wait_alu 0xfffe
	s_or_b32 exec_lo, exec_lo, s0
	s_and_saveexec_b32 s0, s6
	s_cbranch_execnz .LBB166_160
.LBB166_144:
	s_wait_alu 0xfffe
	s_or_b32 exec_lo, exec_lo, s0
	s_and_saveexec_b32 s0, s7
	s_cbranch_execz .LBB166_146
.LBB166_145:
	s_mul_i32 s0, s28, 0x700
	s_mov_b32 s1, 0
	s_wait_alu 0xfffe
	s_lshl_b64 s[0:1], s[0:1], 3
	s_wait_alu 0xfffe
	v_add_co_u32 v2, vcc_lo, v2, s0
	s_wait_alu 0xfffd
	v_add_co_ci_u32_e64 v3, null, s1, v3, vcc_lo
	s_wait_dscnt 0x0
	global_store_b64 v[2:3], v[0:1], off
.LBB166_146:
	s_nop 0
	s_sendmsg sendmsg(MSG_DEALLOC_VGPRS)
	s_endpgm
.LBB166_147:
	ds_load_u16 v9, v51
	s_wait_dscnt 0x0
	global_store_b16 v[0:1], v9, off
	s_wait_alu 0xfffe
	s_or_b32 exec_lo, exec_lo, s8
	s_and_saveexec_b32 s8, s1
	s_cbranch_execz .LBB166_130
.LBB166_148:
	s_lshl_b32 s10, s22, 8
	s_mov_b32 s11, 0
	s_wait_alu 0xfffe
	s_lshl_b64 s[10:11], s[10:11], 1
	s_wait_alu 0xfffe
	v_add_co_u32 v9, vcc_lo, v0, s10
	s_wait_alu 0xfffd
	v_add_co_ci_u32_e64 v10, null, s11, v1, vcc_lo
	s_wait_dscnt 0x6
	global_store_b16 v[9:10], v8, off
	s_or_b32 exec_lo, exec_lo, s8
	s_and_saveexec_b32 s8, s2
	s_cbranch_execz .LBB166_131
.LBB166_149:
	s_lshl_b32 s10, s22, 9
	s_mov_b32 s11, 0
	s_wait_alu 0xfffe
	s_lshl_b64 s[10:11], s[10:11], 1
	s_wait_dscnt 0x6
	s_wait_alu 0xfffe
	v_add_co_u32 v8, vcc_lo, v0, s10
	s_wait_alu 0xfffd
	v_add_co_ci_u32_e64 v9, null, s11, v1, vcc_lo
	s_wait_dscnt 0x5
	global_store_b16 v[8:9], v7, off
	s_or_b32 exec_lo, exec_lo, s8
	s_and_saveexec_b32 s8, s3
	s_cbranch_execz .LBB166_132
.LBB166_150:
	s_mul_i32 s10, s22, 0x300
	s_mov_b32 s11, 0
	s_wait_alu 0xfffe
	s_lshl_b64 s[10:11], s[10:11], 1
	s_wait_dscnt 0x5
	s_wait_alu 0xfffe
	v_add_co_u32 v7, vcc_lo, v0, s10
	s_wait_alu 0xfffd
	v_add_co_ci_u32_e64 v8, null, s11, v1, vcc_lo
	s_wait_dscnt 0x4
	global_store_b16 v[7:8], v6, off
	s_or_b32 exec_lo, exec_lo, s8
	s_and_saveexec_b32 s8, s4
	s_cbranch_execz .LBB166_133
.LBB166_151:
	s_lshl_b32 s10, s22, 10
	s_mov_b32 s11, 0
	s_wait_alu 0xfffe
	s_lshl_b64 s[10:11], s[10:11], 1
	s_wait_dscnt 0x4
	s_wait_alu 0xfffe
	v_add_co_u32 v6, vcc_lo, v0, s10
	s_wait_alu 0xfffd
	v_add_co_ci_u32_e64 v7, null, s11, v1, vcc_lo
	s_wait_dscnt 0x3
	global_store_b16 v[6:7], v5, off
	s_or_b32 exec_lo, exec_lo, s8
	s_and_saveexec_b32 s8, s5
	s_cbranch_execz .LBB166_134
.LBB166_152:
	s_mul_i32 s10, s22, 0x500
	s_mov_b32 s11, 0
	s_wait_alu 0xfffe
	s_lshl_b64 s[10:11], s[10:11], 1
	s_wait_dscnt 0x3
	s_wait_alu 0xfffe
	v_add_co_u32 v5, vcc_lo, v0, s10
	s_wait_alu 0xfffd
	v_add_co_ci_u32_e64 v6, null, s11, v1, vcc_lo
	s_wait_dscnt 0x2
	global_store_b16 v[5:6], v4, off
	s_or_b32 exec_lo, exec_lo, s8
	s_and_saveexec_b32 s8, s6
	s_cbranch_execz .LBB166_135
.LBB166_153:
	s_mul_i32 s10, s22, 0x600
	s_mov_b32 s11, 0
	s_wait_alu 0xfffe
	s_lshl_b64 s[10:11], s[10:11], 1
	s_wait_dscnt 0x2
	s_wait_alu 0xfffe
	v_add_co_u32 v4, vcc_lo, v0, s10
	s_wait_alu 0xfffd
	v_add_co_ci_u32_e64 v5, null, s11, v1, vcc_lo
	s_wait_dscnt 0x1
	global_store_b16 v[4:5], v3, off
	s_or_b32 exec_lo, exec_lo, s8
	s_and_saveexec_b32 s8, s7
	s_cbranch_execnz .LBB166_136
	s_branch .LBB166_137
.LBB166_154:
	ds_load_b64 v[16:17], v59
	s_wait_dscnt 0x0
	global_store_b64 v[2:3], v[16:17], off
	s_wait_alu 0xfffe
	s_or_b32 exec_lo, exec_lo, s8
	s_and_saveexec_b32 s0, s1
	s_cbranch_execz .LBB166_139
.LBB166_155:
	s_lshl_b32 s8, s28, 8
	s_mov_b32 s9, 0
	s_wait_alu 0xfffe
	s_lshl_b64 s[8:9], s[8:9], 3
	s_wait_alu 0xfffe
	v_add_co_u32 v16, vcc_lo, v2, s8
	s_wait_alu 0xfffd
	v_add_co_ci_u32_e64 v17, null, s9, v3, vcc_lo
	s_wait_dscnt 0x6
	global_store_b64 v[16:17], v[14:15], off
	s_or_b32 exec_lo, exec_lo, s0
	s_and_saveexec_b32 s0, s2
	s_cbranch_execz .LBB166_140
.LBB166_156:
	s_lshl_b32 s8, s28, 9
	s_mov_b32 s9, 0
	s_wait_alu 0xfffe
	s_lshl_b64 s[8:9], s[8:9], 3
	s_wait_dscnt 0x6
	s_wait_alu 0xfffe
	v_add_co_u32 v14, vcc_lo, v2, s8
	s_wait_alu 0xfffd
	v_add_co_ci_u32_e64 v15, null, s9, v3, vcc_lo
	s_wait_dscnt 0x5
	global_store_b64 v[14:15], v[12:13], off
	s_or_b32 exec_lo, exec_lo, s0
	s_and_saveexec_b32 s0, s3
	s_cbranch_execz .LBB166_141
.LBB166_157:
	s_mul_i32 s2, s28, 0x300
	s_mov_b32 s3, 0
	s_wait_alu 0xfffe
	s_lshl_b64 s[2:3], s[2:3], 3
	s_wait_dscnt 0x5
	s_wait_alu 0xfffe
	v_add_co_u32 v12, vcc_lo, v2, s2
	s_wait_alu 0xfffd
	v_add_co_ci_u32_e64 v13, null, s3, v3, vcc_lo
	s_wait_dscnt 0x4
	global_store_b64 v[12:13], v[10:11], off
	s_or_b32 exec_lo, exec_lo, s0
	s_and_saveexec_b32 s0, s4
	s_cbranch_execz .LBB166_142
.LBB166_158:
	s_lshl_b32 s2, s28, 10
	s_mov_b32 s3, 0
	s_wait_alu 0xfffe
	s_lshl_b64 s[2:3], s[2:3], 3
	s_wait_dscnt 0x4
	s_wait_alu 0xfffe
	v_add_co_u32 v10, vcc_lo, v2, s2
	s_wait_alu 0xfffd
	v_add_co_ci_u32_e64 v11, null, s3, v3, vcc_lo
	s_wait_dscnt 0x3
	global_store_b64 v[10:11], v[8:9], off
	s_or_b32 exec_lo, exec_lo, s0
	s_and_saveexec_b32 s0, s5
	s_cbranch_execz .LBB166_143
.LBB166_159:
	s_mul_i32 s2, s28, 0x500
	s_mov_b32 s3, 0
	s_wait_alu 0xfffe
	s_lshl_b64 s[2:3], s[2:3], 3
	s_wait_dscnt 0x3
	s_wait_alu 0xfffe
	v_add_co_u32 v8, vcc_lo, v2, s2
	s_wait_alu 0xfffd
	v_add_co_ci_u32_e64 v9, null, s3, v3, vcc_lo
	s_wait_dscnt 0x2
	global_store_b64 v[8:9], v[6:7], off
	s_or_b32 exec_lo, exec_lo, s0
	s_and_saveexec_b32 s0, s6
	s_cbranch_execz .LBB166_144
.LBB166_160:
	s_mul_i32 s2, s28, 0x600
	s_mov_b32 s3, 0
	s_wait_alu 0xfffe
	s_lshl_b64 s[2:3], s[2:3], 3
	s_wait_dscnt 0x2
	s_wait_alu 0xfffe
	v_add_co_u32 v6, vcc_lo, v2, s2
	s_wait_alu 0xfffd
	v_add_co_ci_u32_e64 v7, null, s3, v3, vcc_lo
	s_wait_dscnt 0x1
	global_store_b64 v[6:7], v[4:5], off
	s_or_b32 exec_lo, exec_lo, s0
	s_and_saveexec_b32 s0, s7
	s_cbranch_execnz .LBB166_145
	s_branch .LBB166_146
	.section	.rodata,"a",@progbits
	.p2align	6, 0x0
	.amdhsa_kernel _ZN2at6native18radixSortKVInPlaceILi2ELin1ELi256ELi8EsljEEvNS_4cuda6detail10TensorInfoIT3_T5_EES6_S6_S6_NS4_IT4_S6_EES6_b
		.amdhsa_group_segment_fixed_size 16896
		.amdhsa_private_segment_fixed_size 0
		.amdhsa_kernarg_size 712
		.amdhsa_user_sgpr_count 2
		.amdhsa_user_sgpr_dispatch_ptr 0
		.amdhsa_user_sgpr_queue_ptr 0
		.amdhsa_user_sgpr_kernarg_segment_ptr 1
		.amdhsa_user_sgpr_dispatch_id 0
		.amdhsa_user_sgpr_private_segment_size 0
		.amdhsa_wavefront_size32 1
		.amdhsa_uses_dynamic_stack 0
		.amdhsa_enable_private_segment 0
		.amdhsa_system_sgpr_workgroup_id_x 1
		.amdhsa_system_sgpr_workgroup_id_y 1
		.amdhsa_system_sgpr_workgroup_id_z 1
		.amdhsa_system_sgpr_workgroup_info 0
		.amdhsa_system_vgpr_workitem_id 2
		.amdhsa_next_free_vgpr 117
		.amdhsa_next_free_sgpr 38
		.amdhsa_reserve_vcc 1
		.amdhsa_float_round_mode_32 0
		.amdhsa_float_round_mode_16_64 0
		.amdhsa_float_denorm_mode_32 3
		.amdhsa_float_denorm_mode_16_64 3
		.amdhsa_fp16_overflow 0
		.amdhsa_workgroup_processor_mode 1
		.amdhsa_memory_ordered 1
		.amdhsa_forward_progress 1
		.amdhsa_inst_pref_size 169
		.amdhsa_round_robin_scheduling 0
		.amdhsa_exception_fp_ieee_invalid_op 0
		.amdhsa_exception_fp_denorm_src 0
		.amdhsa_exception_fp_ieee_div_zero 0
		.amdhsa_exception_fp_ieee_overflow 0
		.amdhsa_exception_fp_ieee_underflow 0
		.amdhsa_exception_fp_ieee_inexact 0
		.amdhsa_exception_int_div_zero 0
	.end_amdhsa_kernel
	.section	.text._ZN2at6native18radixSortKVInPlaceILi2ELin1ELi256ELi8EsljEEvNS_4cuda6detail10TensorInfoIT3_T5_EES6_S6_S6_NS4_IT4_S6_EES6_b,"axG",@progbits,_ZN2at6native18radixSortKVInPlaceILi2ELin1ELi256ELi8EsljEEvNS_4cuda6detail10TensorInfoIT3_T5_EES6_S6_S6_NS4_IT4_S6_EES6_b,comdat
.Lfunc_end166:
	.size	_ZN2at6native18radixSortKVInPlaceILi2ELin1ELi256ELi8EsljEEvNS_4cuda6detail10TensorInfoIT3_T5_EES6_S6_S6_NS4_IT4_S6_EES6_b, .Lfunc_end166-_ZN2at6native18radixSortKVInPlaceILi2ELin1ELi256ELi8EsljEEvNS_4cuda6detail10TensorInfoIT3_T5_EES6_S6_S6_NS4_IT4_S6_EES6_b
                                        ; -- End function
	.set _ZN2at6native18radixSortKVInPlaceILi2ELin1ELi256ELi8EsljEEvNS_4cuda6detail10TensorInfoIT3_T5_EES6_S6_S6_NS4_IT4_S6_EES6_b.num_vgpr, 117
	.set _ZN2at6native18radixSortKVInPlaceILi2ELin1ELi256ELi8EsljEEvNS_4cuda6detail10TensorInfoIT3_T5_EES6_S6_S6_NS4_IT4_S6_EES6_b.num_agpr, 0
	.set _ZN2at6native18radixSortKVInPlaceILi2ELin1ELi256ELi8EsljEEvNS_4cuda6detail10TensorInfoIT3_T5_EES6_S6_S6_NS4_IT4_S6_EES6_b.numbered_sgpr, 38
	.set _ZN2at6native18radixSortKVInPlaceILi2ELin1ELi256ELi8EsljEEvNS_4cuda6detail10TensorInfoIT3_T5_EES6_S6_S6_NS4_IT4_S6_EES6_b.num_named_barrier, 0
	.set _ZN2at6native18radixSortKVInPlaceILi2ELin1ELi256ELi8EsljEEvNS_4cuda6detail10TensorInfoIT3_T5_EES6_S6_S6_NS4_IT4_S6_EES6_b.private_seg_size, 0
	.set _ZN2at6native18radixSortKVInPlaceILi2ELin1ELi256ELi8EsljEEvNS_4cuda6detail10TensorInfoIT3_T5_EES6_S6_S6_NS4_IT4_S6_EES6_b.uses_vcc, 1
	.set _ZN2at6native18radixSortKVInPlaceILi2ELin1ELi256ELi8EsljEEvNS_4cuda6detail10TensorInfoIT3_T5_EES6_S6_S6_NS4_IT4_S6_EES6_b.uses_flat_scratch, 0
	.set _ZN2at6native18radixSortKVInPlaceILi2ELin1ELi256ELi8EsljEEvNS_4cuda6detail10TensorInfoIT3_T5_EES6_S6_S6_NS4_IT4_S6_EES6_b.has_dyn_sized_stack, 0
	.set _ZN2at6native18radixSortKVInPlaceILi2ELin1ELi256ELi8EsljEEvNS_4cuda6detail10TensorInfoIT3_T5_EES6_S6_S6_NS4_IT4_S6_EES6_b.has_recursion, 0
	.set _ZN2at6native18radixSortKVInPlaceILi2ELin1ELi256ELi8EsljEEvNS_4cuda6detail10TensorInfoIT3_T5_EES6_S6_S6_NS4_IT4_S6_EES6_b.has_indirect_call, 0
	.section	.AMDGPU.csdata,"",@progbits
; Kernel info:
; codeLenInByte = 21612
; TotalNumSgprs: 40
; NumVgprs: 117
; ScratchSize: 0
; MemoryBound: 0
; FloatMode: 240
; IeeeMode: 1
; LDSByteSize: 16896 bytes/workgroup (compile time only)
; SGPRBlocks: 0
; VGPRBlocks: 14
; NumSGPRsForWavesPerEU: 40
; NumVGPRsForWavesPerEU: 117
; Occupancy: 12
; WaveLimiterHint : 1
; COMPUTE_PGM_RSRC2:SCRATCH_EN: 0
; COMPUTE_PGM_RSRC2:USER_SGPR: 2
; COMPUTE_PGM_RSRC2:TRAP_HANDLER: 0
; COMPUTE_PGM_RSRC2:TGID_X_EN: 1
; COMPUTE_PGM_RSRC2:TGID_Y_EN: 1
; COMPUTE_PGM_RSRC2:TGID_Z_EN: 1
; COMPUTE_PGM_RSRC2:TIDIG_COMP_CNT: 2
	.section	.text._ZN2at6native18radixSortKVInPlaceILi2ELin1ELi128ELi8EsljEEvNS_4cuda6detail10TensorInfoIT3_T5_EES6_S6_S6_NS4_IT4_S6_EES6_b,"axG",@progbits,_ZN2at6native18radixSortKVInPlaceILi2ELin1ELi128ELi8EsljEEvNS_4cuda6detail10TensorInfoIT3_T5_EES6_S6_S6_NS4_IT4_S6_EES6_b,comdat
	.protected	_ZN2at6native18radixSortKVInPlaceILi2ELin1ELi128ELi8EsljEEvNS_4cuda6detail10TensorInfoIT3_T5_EES6_S6_S6_NS4_IT4_S6_EES6_b ; -- Begin function _ZN2at6native18radixSortKVInPlaceILi2ELin1ELi128ELi8EsljEEvNS_4cuda6detail10TensorInfoIT3_T5_EES6_S6_S6_NS4_IT4_S6_EES6_b
	.globl	_ZN2at6native18radixSortKVInPlaceILi2ELin1ELi128ELi8EsljEEvNS_4cuda6detail10TensorInfoIT3_T5_EES6_S6_S6_NS4_IT4_S6_EES6_b
	.p2align	8
	.type	_ZN2at6native18radixSortKVInPlaceILi2ELin1ELi128ELi8EsljEEvNS_4cuda6detail10TensorInfoIT3_T5_EES6_S6_S6_NS4_IT4_S6_EES6_b,@function
_ZN2at6native18radixSortKVInPlaceILi2ELin1ELi128ELi8EsljEEvNS_4cuda6detail10TensorInfoIT3_T5_EES6_S6_S6_NS4_IT4_S6_EES6_b: ; @_ZN2at6native18radixSortKVInPlaceILi2ELin1ELi128ELi8EsljEEvNS_4cuda6detail10TensorInfoIT3_T5_EES6_S6_S6_NS4_IT4_S6_EES6_b
; %bb.0:
	s_clause 0x1
	s_load_b64 s[2:3], s[0:1], 0x1c8
	s_load_b96 s[20:22], s[0:1], 0xd8
	s_lshr_b32 s4, ttmp7, 16
	s_wait_kmcnt 0x0
	s_mul_i32 s3, s3, s4
	s_and_b32 s4, ttmp7, 0xffff
	s_delay_alu instid0(SALU_CYCLE_1) | instskip(NEXT) | instid1(SALU_CYCLE_1)
	s_add_co_i32 s3, s3, s4
	s_mul_i32 s2, s3, s2
	s_delay_alu instid0(SALU_CYCLE_1) | instskip(NEXT) | instid1(SALU_CYCLE_1)
	s_add_co_i32 s2, s2, ttmp9
	s_cmp_ge_u32 s2, s20
	s_cbranch_scc1 .LBB167_146
; %bb.1:
	s_clause 0x2
	s_load_b32 s15, s[0:1], 0xc
	s_load_b64 s[4:5], s[0:1], 0x6c
	s_load_b32 s12, s[0:1], 0x1b8
	s_add_nc_u64 s[10:11], s[0:1], 0xe8
	s_mov_b32 s14, s2
	s_wait_kmcnt 0x0
	s_cvt_f32_u32 s3, s15
	s_delay_alu instid0(SALU_CYCLE_3) | instskip(NEXT) | instid1(TRANS32_DEP_1)
	v_rcp_iflag_f32_e32 v1, s3
	v_readfirstlane_b32 s3, v1
	s_mul_f32 s3, s3, 0x4f7ffffe
	s_wait_alu 0xfffe
	s_delay_alu instid0(SALU_CYCLE_2) | instskip(SKIP_2) | instid1(SALU_CYCLE_1)
	s_cvt_u32_f32 s6, s3
	s_sub_co_i32 s3, 0, s15
	s_wait_alu 0xfffe
	s_mul_i32 s7, s3, s6
	s_mov_b32 s3, 0
	s_mul_hi_u32 s8, s6, s7
	s_wait_alu 0xfffe
	s_mov_b32 s7, s3
	s_add_co_i32 s6, s6, s8
	s_cmp_lt_i32 s12, 2
	s_mov_b32 s9, s3
	s_cbranch_scc1 .LBB167_4
; %bb.2:
	s_add_co_i32 s8, s12, -1
	s_mov_b32 s9, 0
	s_mov_b32 s14, s2
	s_lshl_b64 s[16:17], s[8:9], 2
	s_add_co_i32 s8, s12, 1
	s_add_nc_u64 s[16:17], s[10:11], s[16:17]
	s_delay_alu instid0(SALU_CYCLE_1)
	s_add_nc_u64 s[12:13], s[16:17], 8
.LBB167_3:                              ; =>This Inner Loop Header: Depth=1
	s_clause 0x1
	s_load_b32 s16, s[12:13], 0x0
	s_load_b32 s17, s[12:13], 0x64
	s_mov_b32 s20, s14
	s_add_nc_u64 s[12:13], s[12:13], -4
	s_wait_kmcnt 0x0
	s_cvt_f32_u32 s18, s16
	s_sub_co_i32 s19, 0, s16
	s_wait_alu 0xfffe
	s_delay_alu instid0(SALU_CYCLE_1) | instskip(NEXT) | instid1(TRANS32_DEP_1)
	v_rcp_iflag_f32_e32 v1, s18
	v_readfirstlane_b32 s18, v1
	s_mul_f32 s18, s18, 0x4f7ffffe
	s_wait_alu 0xfffe
	s_delay_alu instid0(SALU_CYCLE_2) | instskip(SKIP_1) | instid1(SALU_CYCLE_2)
	s_cvt_u32_f32 s18, s18
	s_wait_alu 0xfffe
	s_mul_i32 s19, s19, s18
	s_wait_alu 0xfffe
	s_mul_hi_u32 s19, s18, s19
	s_wait_alu 0xfffe
	s_add_co_i32 s18, s18, s19
	s_wait_alu 0xfffe
	s_mul_hi_u32 s14, s14, s18
	s_delay_alu instid0(SALU_CYCLE_1)
	s_mul_i32 s18, s14, s16
	s_add_co_i32 s19, s14, 1
	s_wait_alu 0xfffe
	s_sub_co_i32 s18, s20, s18
	s_wait_alu 0xfffe
	s_sub_co_i32 s23, s18, s16
	s_cmp_ge_u32 s18, s16
	s_cselect_b32 s14, s19, s14
	s_cselect_b32 s18, s23, s18
	s_add_co_i32 s19, s14, 1
	s_wait_alu 0xfffe
	s_cmp_ge_u32 s18, s16
	s_cselect_b32 s14, s19, s14
	s_add_co_i32 s8, s8, -1
	s_mul_i32 s16, s14, s16
	s_delay_alu instid0(SALU_CYCLE_1) | instskip(NEXT) | instid1(SALU_CYCLE_1)
	s_sub_co_i32 s16, s20, s16
	s_mul_i32 s16, s17, s16
	s_delay_alu instid0(SALU_CYCLE_1)
	s_add_co_i32 s9, s16, s9
	s_cmp_gt_u32 s8, 2
	s_cbranch_scc1 .LBB167_3
.LBB167_4:
	s_mul_u64 s[6:7], s[2:3], s[6:7]
	s_clause 0x1
	s_load_b64 s[12:13], s[0:1], 0x0
	s_load_b64 s[28:29], s[0:1], 0x1c0
	s_mul_i32 s3, s7, s15
	s_add_nc_u64 s[36:37], s[0:1], 0x1c8
	s_wait_alu 0xfffe
	s_sub_co_i32 s0, s2, s3
	s_add_co_i32 s1, s7, 1
	s_sub_co_i32 s3, s0, s15
	s_cmp_ge_u32 s0, s15
	s_cselect_b32 s1, s1, s7
	s_wait_alu 0xfffe
	s_cselect_b32 s0, s3, s0
	s_add_co_i32 s3, s1, 1
	s_cmp_ge_u32 s0, s15
	s_wait_alu 0xfffe
	s_cselect_b32 s0, s3, s1
	s_mov_b32 s3, 0
	s_mul_i32 s1, s0, s15
	s_mul_i32 s0, s0, s4
	s_sub_co_i32 s1, s2, s1
	s_delay_alu instid0(SALU_CYCLE_1) | instskip(NEXT) | instid1(SALU_CYCLE_1)
	s_mul_i32 s1, s1, s5
	s_add_co_i32 s2, s0, s1
	s_wait_kmcnt 0x0
	s_bitcmp1_b32 s29, 0
	s_mov_b32 s0, 0x8000
	s_cselect_b32 s8, -1, 0
	s_delay_alu instid0(SALU_CYCLE_1)
	s_and_b32 s1, s8, exec_lo
	s_cselect_b32 s1, s0, 0x7fff
	s_wait_alu 0xfffe
	s_lshl_b64 s[2:3], s[2:3], 1
	s_pack_ll_b32_b16 s4, s1, s1
	s_wait_alu 0xfffe
	s_add_nc_u64 s[30:31], s[12:13], s[2:3]
	s_mov_b32 s5, s4
	s_mov_b32 s6, s4
	;; [unrolled: 1-line block ×3, first 2 shown]
	v_dual_mov_b32 v1, s4 :: v_dual_and_b32 v46, 0x3ff, v0
	v_dual_mov_b32 v2, s5 :: v_dual_mov_b32 v3, s6
	v_dual_mov_b32 v4, s7 :: v_dual_mov_b32 v5, s1
	s_delay_alu instid0(VALU_DEP_3)
	v_mul_lo_u32 v44, s22, v46
	v_cmp_gt_u32_e64 s0, s21, v46
	s_and_saveexec_b32 s1, s0
	s_cbranch_execz .LBB167_6
; %bb.5:
	v_mov_b32_e32 v45, 0
	v_dual_mov_b32 v3, s4 :: v_dual_mov_b32 v4, s4
	s_delay_alu instid0(VALU_DEP_2) | instskip(NEXT) | instid1(VALU_DEP_1)
	v_lshlrev_b64_e32 v[1:2], 1, v[44:45]
	v_add_co_u32 v1, vcc_lo, s30, v1
	s_delay_alu instid0(VALU_DEP_1)
	v_add_co_ci_u32_e64 v2, null, s31, v2, vcc_lo
	global_load_u16 v5, v[1:2], off
	v_mov_b32_e32 v2, s4
	s_wait_loadcnt 0x0
	v_bfi_b32 v1, 0xffff, v5, s4
.LBB167_6:
	s_wait_alu 0xfffe
	s_or_b32 exec_lo, exec_lo, s1
	v_add_nc_u32_e32 v15, 0x80, v46
	s_delay_alu instid0(VALU_DEP_1)
	v_cmp_gt_u32_e64 s1, s21, v15
	s_and_saveexec_b32 s2, s1
	s_cbranch_execz .LBB167_8
; %bb.7:
	v_mul_lo_u32 v6, s22, v15
	v_mov_b32_e32 v7, 0
	s_delay_alu instid0(VALU_DEP_1) | instskip(NEXT) | instid1(VALU_DEP_1)
	v_lshlrev_b64_e32 v[6:7], 1, v[6:7]
	v_add_co_u32 v6, vcc_lo, s30, v6
	s_wait_alu 0xfffd
	s_delay_alu instid0(VALU_DEP_2)
	v_add_co_ci_u32_e64 v7, null, s31, v7, vcc_lo
	global_load_d16_hi_b16 v1, v[6:7], off
.LBB167_8:
	s_wait_alu 0xfffe
	s_or_b32 exec_lo, exec_lo, s2
	v_add_nc_u32_e32 v16, 0x100, v46
	s_delay_alu instid0(VALU_DEP_1)
	v_cmp_gt_u32_e64 s2, s21, v16
	s_and_saveexec_b32 s3, s2
	s_cbranch_execz .LBB167_10
; %bb.9:
	v_mul_lo_u32 v6, s22, v16
	v_mov_b32_e32 v7, 0
	s_delay_alu instid0(VALU_DEP_1) | instskip(NEXT) | instid1(VALU_DEP_1)
	v_lshlrev_b64_e32 v[6:7], 1, v[6:7]
	v_add_co_u32 v6, vcc_lo, s30, v6
	s_wait_alu 0xfffd
	s_delay_alu instid0(VALU_DEP_2)
	v_add_co_ci_u32_e64 v7, null, s31, v7, vcc_lo
	global_load_d16_b16 v2, v[6:7], off
.LBB167_10:
	s_wait_alu 0xfffe
	s_or_b32 exec_lo, exec_lo, s3
	v_add_nc_u32_e32 v17, 0x180, v46
	s_delay_alu instid0(VALU_DEP_1)
	v_cmp_gt_u32_e64 s3, s21, v17
	s_and_saveexec_b32 s4, s3
	s_cbranch_execz .LBB167_12
; %bb.11:
	v_mul_lo_u32 v6, s22, v17
	v_mov_b32_e32 v7, 0
	s_delay_alu instid0(VALU_DEP_1) | instskip(NEXT) | instid1(VALU_DEP_1)
	v_lshlrev_b64_e32 v[6:7], 1, v[6:7]
	v_add_co_u32 v6, vcc_lo, s30, v6
	s_wait_alu 0xfffd
	s_delay_alu instid0(VALU_DEP_2)
	v_add_co_ci_u32_e64 v7, null, s31, v7, vcc_lo
	s_wait_loadcnt 0x0
	global_load_d16_hi_b16 v2, v[6:7], off
.LBB167_12:
	s_wait_alu 0xfffe
	s_or_b32 exec_lo, exec_lo, s4
	v_add_nc_u32_e32 v18, 0x200, v46
	s_delay_alu instid0(VALU_DEP_1)
	v_cmp_gt_u32_e64 s4, s21, v18
	s_and_saveexec_b32 s5, s4
	s_cbranch_execz .LBB167_14
; %bb.13:
	v_mul_lo_u32 v6, s22, v18
	v_mov_b32_e32 v7, 0
	s_delay_alu instid0(VALU_DEP_1) | instskip(NEXT) | instid1(VALU_DEP_1)
	v_lshlrev_b64_e32 v[6:7], 1, v[6:7]
	v_add_co_u32 v6, vcc_lo, s30, v6
	s_wait_alu 0xfffd
	s_delay_alu instid0(VALU_DEP_2)
	v_add_co_ci_u32_e64 v7, null, s31, v7, vcc_lo
	global_load_d16_b16 v3, v[6:7], off
.LBB167_14:
	s_wait_alu 0xfffe
	s_or_b32 exec_lo, exec_lo, s5
	v_add_nc_u32_e32 v19, 0x280, v46
	s_delay_alu instid0(VALU_DEP_1)
	v_cmp_gt_u32_e64 s5, s21, v19
	s_and_saveexec_b32 s6, s5
	s_cbranch_execz .LBB167_16
; %bb.15:
	v_mul_lo_u32 v6, s22, v19
	v_mov_b32_e32 v7, 0
	s_delay_alu instid0(VALU_DEP_1) | instskip(NEXT) | instid1(VALU_DEP_1)
	v_lshlrev_b64_e32 v[6:7], 1, v[6:7]
	v_add_co_u32 v6, vcc_lo, s30, v6
	s_wait_alu 0xfffd
	s_delay_alu instid0(VALU_DEP_2)
	v_add_co_ci_u32_e64 v7, null, s31, v7, vcc_lo
	s_wait_loadcnt 0x0
	global_load_d16_hi_b16 v3, v[6:7], off
.LBB167_16:
	s_wait_alu 0xfffe
	s_or_b32 exec_lo, exec_lo, s6
	v_add_nc_u32_e32 v20, 0x300, v46
	s_delay_alu instid0(VALU_DEP_1)
	v_cmp_gt_u32_e64 s6, s21, v20
	s_and_saveexec_b32 s7, s6
	s_cbranch_execz .LBB167_18
; %bb.17:
	v_mul_lo_u32 v6, s22, v20
	v_mov_b32_e32 v7, 0
	s_delay_alu instid0(VALU_DEP_1) | instskip(NEXT) | instid1(VALU_DEP_1)
	v_lshlrev_b64_e32 v[6:7], 1, v[6:7]
	v_add_co_u32 v6, vcc_lo, s30, v6
	s_wait_alu 0xfffd
	s_delay_alu instid0(VALU_DEP_2)
	v_add_co_ci_u32_e64 v7, null, s31, v7, vcc_lo
	global_load_d16_b16 v4, v[6:7], off
.LBB167_18:
	s_wait_alu 0xfffe
	s_or_b32 exec_lo, exec_lo, s7
	s_clause 0x1
	s_load_b32 s12, s[10:11], 0x6c
	s_load_b64 s[10:11], s[10:11], 0x0
	v_add_nc_u32_e32 v21, 0x380, v46
	s_delay_alu instid0(VALU_DEP_1)
	v_cmp_gt_u32_e64 s7, s21, v21
	s_and_saveexec_b32 s13, s7
	s_cbranch_execz .LBB167_20
; %bb.19:
	v_mul_lo_u32 v6, s22, v21
	v_mov_b32_e32 v7, 0
	s_delay_alu instid0(VALU_DEP_1) | instskip(NEXT) | instid1(VALU_DEP_1)
	v_lshlrev_b64_e32 v[6:7], 1, v[6:7]
	v_add_co_u32 v6, vcc_lo, s30, v6
	s_wait_alu 0xfffd
	s_delay_alu instid0(VALU_DEP_2)
	v_add_co_ci_u32_e64 v7, null, s31, v7, vcc_lo
	s_wait_loadcnt 0x0
	global_load_d16_hi_b16 v4, v[6:7], off
.LBB167_20:
	s_or_b32 exec_lo, exec_lo, s13
	v_lshrrev_b32_e32 v6, 4, v46
	v_lshrrev_b32_e32 v7, 4, v15
	;; [unrolled: 1-line block ×3, first 2 shown]
	v_dual_mov_b32 v42, 0 :: v_dual_lshlrev_b32 v9, 1, v46
	s_delay_alu instid0(VALU_DEP_4) | instskip(NEXT) | instid1(VALU_DEP_4)
	v_and_b32_e32 v6, 60, v6
	v_and_b32_e32 v7, 0x7c, v7
	s_delay_alu instid0(VALU_DEP_4)
	v_and_b32_e32 v8, 0x7c, v8
	v_lshrrev_b32_e32 v10, 4, v17
	v_lshrrev_b32_e32 v11, 4, v21
	v_mov_b32_e32 v43, v42
	v_add_nc_u32_e32 v51, v6, v9
	v_dual_mov_b32 v12, v42 :: v_dual_add_nc_u32 v45, v7, v9
	v_add_nc_u32_e32 v52, v8, v9
	v_and_b32_e32 v6, 0x7c, v10
	v_lshrrev_b32_e32 v7, 4, v18
	v_lshrrev_b32_e32 v8, 4, v19
	;; [unrolled: 1-line block ×3, first 2 shown]
	s_wait_kmcnt 0x0
	s_mul_i32 s12, s12, s14
	v_add_nc_u32_e32 v53, v6, v9
	v_and_b32_e32 v6, 0x7c, v7
	v_and_b32_e32 v7, 0x7c, v8
	;; [unrolled: 1-line block ×4, first 2 shown]
	v_lshrrev_b32_e32 v11, 1, v46
	v_dual_mov_b32 v13, 0 :: v_dual_add_nc_u32 v54, v6, v9
	v_add_nc_u32_e32 v55, v7, v9
	v_add_nc_u32_e32 v56, v8, v9
	s_delay_alu instid0(VALU_DEP_4) | instskip(SKIP_2) | instid1(VALU_DEP_3)
	v_dual_mov_b32 v11, v42 :: v_dual_and_b32 v6, 0x1fc, v11
	v_mov_b32_e32 v7, v42
	v_dual_mov_b32 v14, 0 :: v_dual_add_nc_u32 v57, v10, v9
	v_lshl_add_u32 v58, v46, 4, v6
	ds_store_b16 v51, v5
	s_wait_loadcnt 0x0
	ds_store_b16_d16_hi v45, v1 offset:256
	ds_store_b16 v52, v2 offset:512
	ds_store_b16_d16_hi v53, v2 offset:768
	ds_store_b16 v54, v3 offset:1024
	;; [unrolled: 2-line block ×3, first 2 shown]
	ds_store_b16_d16_hi v57, v4 offset:1792
	s_wait_dscnt 0x0
	s_barrier_signal -1
	s_barrier_wait -1
	global_inv scope:SCOPE_SE
	ds_load_2addr_b32 v[49:50], v58 offset1:1
	ds_load_2addr_b32 v[47:48], v58 offset0:2 offset1:3
	v_mul_lo_u32 v41, s28, v46
	s_add_co_i32 s12, s12, s9
	s_mov_b32 s13, 0
	v_dual_mov_b32 v9, v42 :: v_dual_mov_b32 v10, v42
	v_dual_mov_b32 v1, v42 :: v_dual_mov_b32 v2, v42
	;; [unrolled: 1-line block ×4, first 2 shown]
	v_mov_b32_e32 v8, v42
	s_lshl_b64 s[12:13], s[12:13], 3
	s_wait_loadcnt_dscnt 0x0
	s_add_nc_u64 s[34:35], s[10:11], s[12:13]
	s_barrier_signal -1
	s_barrier_wait -1
	global_inv scope:SCOPE_SE
	s_and_saveexec_b32 s9, s0
	s_cbranch_execnz .LBB167_76
; %bb.21:
	s_or_b32 exec_lo, exec_lo, s9
	s_and_saveexec_b32 s9, s1
	s_cbranch_execnz .LBB167_77
.LBB167_22:
	s_or_b32 exec_lo, exec_lo, s9
	s_and_saveexec_b32 s9, s2
	s_cbranch_execnz .LBB167_78
.LBB167_23:
	s_or_b32 exec_lo, exec_lo, s9
	s_and_saveexec_b32 s9, s3
	s_cbranch_execnz .LBB167_79
.LBB167_24:
	s_or_b32 exec_lo, exec_lo, s9
	s_and_saveexec_b32 s9, s4
	s_cbranch_execnz .LBB167_80
.LBB167_25:
	s_or_b32 exec_lo, exec_lo, s9
	s_and_saveexec_b32 s9, s5
	s_cbranch_execnz .LBB167_81
.LBB167_26:
	s_or_b32 exec_lo, exec_lo, s9
	s_and_saveexec_b32 s9, s6
	s_cbranch_execz .LBB167_28
.LBB167_27:
	v_mul_lo_u32 v5, s28, v20
	v_mov_b32_e32 v6, 0
	s_delay_alu instid0(VALU_DEP_1) | instskip(NEXT) | instid1(VALU_DEP_1)
	v_lshlrev_b64_e32 v[5:6], 3, v[5:6]
	v_add_co_u32 v5, vcc_lo, s34, v5
	s_wait_alu 0xfffd
	s_delay_alu instid0(VALU_DEP_2)
	v_add_co_ci_u32_e64 v6, null, s35, v6, vcc_lo
	global_load_b64 v[5:6], v[5:6], off
.LBB167_28:
	s_or_b32 exec_lo, exec_lo, s9
	v_lshrrev_b32_e32 v69, 5, v46
	v_lshrrev_b32_e32 v25, 5, v15
	;; [unrolled: 1-line block ×8, first 2 shown]
	v_lshlrev_b32_e32 v66, 3, v46
	v_lshrrev_b32_e32 v15, 2, v46
	s_xor_b32 s8, s8, -1
	s_and_saveexec_b32 s9, s7
	s_cbranch_execz .LBB167_30
; %bb.29:
	v_mul_lo_u32 v7, s28, v21
	v_mov_b32_e32 v8, 0
	s_delay_alu instid0(VALU_DEP_1) | instskip(NEXT) | instid1(VALU_DEP_1)
	v_lshlrev_b64_e32 v[7:8], 3, v[7:8]
	v_add_co_u32 v7, vcc_lo, s34, v7
	s_wait_alu 0xfffd
	s_delay_alu instid0(VALU_DEP_2)
	v_add_co_ci_u32_e64 v8, null, s35, v8, vcc_lo
	global_load_b64 v[7:8], v[7:8], off
.LBB167_30:
	s_or_b32 exec_lo, exec_lo, s9
	v_lshl_add_u32 v59, v69, 3, v66
	v_lshl_add_u32 v60, v25, 3, v66
	;; [unrolled: 1-line block ×5, first 2 shown]
	s_wait_loadcnt 0x0
	ds_store_b64 v59, v[13:14]
	ds_store_b64 v60, v[42:43] offset:1024
	ds_store_b64 v61, v[9:10] offset:2048
	ds_store_b64 v62, v[11:12] offset:3072
	v_lshlrev_b32_e32 v9, 3, v66
	v_lshl_add_u32 v42, v22, 3, v66
	v_lshl_add_u32 v43, v18, 3, v66
	;; [unrolled: 1-line block ×3, first 2 shown]
	ds_store_b64 v42, v[1:2] offset:4096
	ds_store_b64 v43, v[3:4] offset:5120
	;; [unrolled: 1-line block ×4, first 2 shown]
	v_lshl_add_u32 v65, v15, 3, v9
	s_wait_dscnt 0x0
	s_barrier_signal -1
	s_barrier_wait -1
	global_inv scope:SCOPE_SE
	ds_load_2addr_b64 v[5:8], v65 offset1:1
	ds_load_2addr_b64 v[1:4], v65 offset0:2 offset1:3
	v_mbcnt_lo_u32_b32 v70, -1, 0
	v_and_b32_e32 v17, 0x1f00, v66
	ds_load_2addr_b64 v[13:16], v65 offset0:4 offset1:5
	ds_load_2addr_b64 v[9:12], v65 offset0:6 offset1:7
	v_and_b32_e32 v72, 0x3e0, v46
	v_bfe_u32 v73, v0, 10, 10
	v_bfe_u32 v74, v0, 20, 10
	v_or_b32_e32 v71, v70, v17
	v_lshlrev_b32_e32 v67, 2, v66
	v_or_b32_e32 v18, v70, v72
	s_mov_b32 s12, 0
	s_and_b32 vcc_lo, exec_lo, s8
	v_lshlrev_b32_e32 v68, 1, v71
	s_mov_b32 s8, -1
	v_lshlrev_b32_e32 v76, 3, v18
	v_lshlrev_b32_e32 v77, 4, v18
	s_wait_loadcnt_dscnt 0x0
	v_mad_u32_u24 v75, v71, 6, v68
	s_barrier_signal -1
	s_barrier_wait -1
	global_inv scope:SCOPE_SE
	s_wait_alu 0xfffe
	s_cbranch_vccz .LBB167_82
; %bb.31:
	v_xor_b32_e32 v17, 0x80008000, v49
	v_xor_b32_e32 v18, 0x80008000, v50
	;; [unrolled: 1-line block ×4, first 2 shown]
	s_getpc_b64 s[8:9]
	s_sext_i32_i16 s9, s9
	s_add_co_u32 s8, s8, _ZN7rocprim17ROCPRIM_400000_NS16block_radix_sortIsLj128ELj8ElLj1ELj1ELj0ELNS0_26block_radix_rank_algorithmE1ELNS0_18block_padding_hintE2ELNS0_4arch9wavefront6targetE0EE19radix_bits_per_passE@rel32@lo+8
	s_add_co_ci_u32 s9, s9, _ZN7rocprim17ROCPRIM_400000_NS16block_radix_sortIsLj128ELj8ElLj1ELj1ELj0ELNS0_26block_radix_rank_algorithmE1ELNS0_18block_padding_hintE2ELNS0_4arch9wavefront6targetE0EE19radix_bits_per_passE@rel32@hi+16
	s_mov_b32 s13, s12
	s_load_b32 s19, s[8:9], 0x0
	s_mov_b32 s14, s12
	ds_store_b128 v77, v[17:20]
	; wave barrier
	ds_load_u16 v78, v68
	s_mov_b32 s15, s12
	v_lshlrev_b32_e32 v0, 3, v76
	ds_load_u16 v79, v68 offset:64
	ds_load_u16 v80, v68 offset:128
	;; [unrolled: 1-line block ×7, first 2 shown]
	s_wait_loadcnt_dscnt 0x0
	s_barrier_signal -1
	s_barrier_wait -1
	global_inv scope:SCOPE_SE
	ds_store_b128 v0, v[5:8]
	ds_store_b128 v0, v[1:4] offset:16
	ds_store_b128 v0, v[13:16] offset:32
	;; [unrolled: 1-line block ×3, first 2 shown]
	; wave barrier
	s_wait_kmcnt 0x0
	s_min_u32 s8, s19, 16
	s_delay_alu instid0(SALU_CYCLE_1) | instskip(NEXT) | instid1(SALU_CYCLE_1)
	s_lshl_b32 s8, -1, s8
	s_not_b32 s9, s8
	v_and_b32_e32 v17, 0xffff, v78
	s_delay_alu instid0(VALU_DEP_1)
	v_and_b32_e32 v40, s9, v17
	ds_load_2addr_b64 v[21:24], v75 offset1:32
	ds_load_2addr_b64 v[17:20], v75 offset0:64 offset1:96
	ds_load_2addr_b64 v[29:32], v75 offset0:128 offset1:160
	;; [unrolled: 1-line block ×3, first 2 shown]
	s_wait_loadcnt_dscnt 0x0
	s_barrier_signal -1
	v_and_b32_e32 v0, 1, v40
	v_lshlrev_b32_e32 v33, 30, v40
	v_lshlrev_b32_e32 v36, 28, v40
	;; [unrolled: 1-line block ×3, first 2 shown]
	s_barrier_wait -1
	v_add_co_u32 v0, s8, v0, -1
	s_wait_alu 0xf1ff
	v_cndmask_b32_e64 v34, 0, 1, s8
	v_not_b32_e32 v35, v33
	v_cmp_gt_i32_e64 s8, 0, v33
	global_inv scope:SCOPE_SE
	v_cmp_ne_u32_e32 vcc_lo, 0, v34
	v_lshlrev_b32_e32 v34, 29, v40
	v_ashrrev_i32_e32 v33, 31, v35
	s_wait_alu 0xfffd
	v_xor_b32_e32 v0, vcc_lo, v0
	s_delay_alu instid0(VALU_DEP_3)
	v_not_b32_e32 v35, v34
	v_cmp_gt_i32_e32 vcc_lo, 0, v34
	s_wait_alu 0xf1ff
	v_xor_b32_e32 v33, s8, v33
	s_load_b32 s8, s[36:37], 0xc
	v_and_b32_e32 v0, exec_lo, v0
	v_ashrrev_i32_e32 v34, 31, v35
	v_not_b32_e32 v35, v36
	s_delay_alu instid0(VALU_DEP_3) | instskip(NEXT) | instid1(VALU_DEP_3)
	v_and_b32_e32 v0, v0, v33
	v_xor_b32_e32 v33, vcc_lo, v34
	v_cmp_gt_i32_e32 vcc_lo, 0, v36
	s_delay_alu instid0(VALU_DEP_4) | instskip(SKIP_1) | instid1(VALU_DEP_4)
	v_ashrrev_i32_e32 v34, 31, v35
	v_not_b32_e32 v35, v37
	v_and_b32_e32 v0, v0, v33
	v_lshlrev_b32_e32 v33, 26, v40
	s_wait_alu 0xfffd
	v_xor_b32_e32 v34, vcc_lo, v34
	v_cmp_gt_i32_e32 vcc_lo, 0, v37
	v_ashrrev_i32_e32 v35, 31, v35
	v_not_b32_e32 v36, v33
	s_delay_alu instid0(VALU_DEP_4)
	v_and_b32_e32 v0, v0, v34
	v_lshlrev_b32_e32 v34, 25, v40
	s_wait_alu 0xfffd
	v_xor_b32_e32 v35, vcc_lo, v35
	v_cmp_gt_i32_e32 vcc_lo, 0, v33
	v_ashrrev_i32_e32 v33, 31, v36
	s_wait_kmcnt 0x0
	s_lshr_b32 s10, s8, 16
	v_not_b32_e32 v36, v34
	v_and_b32_e32 v0, v0, v35
	v_lshlrev_b32_e32 v35, 24, v40
	s_wait_alu 0xfffd
	v_xor_b32_e32 v33, vcc_lo, v33
	v_cmp_gt_i32_e32 vcc_lo, 0, v34
	v_ashrrev_i32_e32 v34, 31, v36
	v_mad_u32_u24 v37, v74, s10, v73
	v_not_b32_e32 v36, v35
	v_and_b32_e32 v0, v0, v33
	s_and_b32 s8, s8, 0xffff
	s_wait_alu 0xfffd
	v_xor_b32_e32 v33, vcc_lo, v34
	v_cmp_gt_i32_e32 vcc_lo, 0, v35
	v_ashrrev_i32_e32 v34, 31, v36
	s_wait_alu 0xfffe
	v_mad_co_u64_u32 v[38:39], null, v37, s8, v[46:47]
	v_and_b32_e32 v0, v0, v33
	s_wait_alu 0xfffd
	v_xor_b32_e32 v33, vcc_lo, v34
	v_dual_mov_b32 v37, s15 :: v_dual_mov_b32 v36, s14
	v_dual_mov_b32 v35, s13 :: v_dual_mov_b32 v34, s12
	s_delay_alu instid0(VALU_DEP_3)
	v_and_b32_e32 v33, v0, v33
	v_lshrrev_b32_e32 v0, 5, v38
	ds_store_b128 v67, v[34:37] offset:16
	ds_store_b128 v67, v[34:37] offset:32
	v_mbcnt_lo_u32_b32 v90, v33, 0
	v_lshlrev_b32_e32 v0, 2, v0
	v_lshlrev_b32_e32 v34, 4, v40
	v_cmp_ne_u32_e64 s8, 0, v33
	s_wait_loadcnt_dscnt 0x0
	v_cmp_eq_u32_e32 vcc_lo, 0, v90
	s_barrier_signal -1
	v_add_nc_u32_e32 v91, v0, v34
	s_barrier_wait -1
	global_inv scope:SCOPE_SE
	s_and_b32 s10, s8, vcc_lo
	; wave barrier
	s_wait_alu 0xfffe
	s_and_saveexec_b32 s8, s10
; %bb.32:
	v_bcnt_u32_b32 v33, v33, 0
	ds_store_b32 v91, v33 offset:16
; %bb.33:
	s_wait_alu 0xfffe
	s_or_b32 exec_lo, exec_lo, s8
	v_and_b32_e32 v33, 0xffff, v79
	; wave barrier
	s_delay_alu instid0(VALU_DEP_1) | instskip(NEXT) | instid1(VALU_DEP_1)
	v_and_b32_e32 v33, s9, v33
	v_and_b32_e32 v34, 1, v33
	v_lshlrev_b32_e32 v35, 30, v33
	v_lshlrev_b32_e32 v36, 29, v33
	;; [unrolled: 1-line block ×4, first 2 shown]
	v_add_co_u32 v34, s8, v34, -1
	s_wait_alu 0xf1ff
	v_cndmask_b32_e64 v38, 0, 1, s8
	v_not_b32_e32 v87, v35
	v_cmp_gt_i32_e64 s8, 0, v35
	v_not_b32_e32 v35, v36
	v_lshlrev_b32_e32 v40, 26, v33
	v_cmp_ne_u32_e32 vcc_lo, 0, v38
	v_ashrrev_i32_e32 v87, 31, v87
	v_lshlrev_b32_e32 v86, 25, v33
	v_ashrrev_i32_e32 v35, 31, v35
	v_lshlrev_b32_e32 v38, 24, v33
	s_wait_alu 0xfffd
	v_xor_b32_e32 v34, vcc_lo, v34
	v_cmp_gt_i32_e32 vcc_lo, 0, v36
	v_not_b32_e32 v36, v37
	s_wait_alu 0xf1ff
	v_xor_b32_e32 v87, s8, v87
	v_cmp_gt_i32_e64 s8, 0, v37
	v_and_b32_e32 v34, exec_lo, v34
	v_not_b32_e32 v37, v39
	v_ashrrev_i32_e32 v36, 31, v36
	s_wait_alu 0xfffd
	v_xor_b32_e32 v35, vcc_lo, v35
	v_cmp_gt_i32_e32 vcc_lo, 0, v39
	v_and_b32_e32 v34, v34, v87
	v_not_b32_e32 v39, v40
	v_ashrrev_i32_e32 v37, 31, v37
	s_wait_alu 0xf1ff
	v_xor_b32_e32 v36, s8, v36
	v_cmp_gt_i32_e64 s8, 0, v40
	v_and_b32_e32 v34, v34, v35
	v_not_b32_e32 v35, v86
	v_ashrrev_i32_e32 v39, 31, v39
	s_wait_alu 0xfffd
	v_xor_b32_e32 v37, vcc_lo, v37
	v_cmp_gt_i32_e32 vcc_lo, 0, v86
	v_and_b32_e32 v34, v34, v36
	v_not_b32_e32 v36, v38
	v_ashrrev_i32_e32 v35, 31, v35
	s_wait_alu 0xf1ff
	v_xor_b32_e32 v39, s8, v39
	v_lshlrev_b32_e32 v33, 4, v33
	v_and_b32_e32 v34, v34, v37
	v_cmp_gt_i32_e64 s8, 0, v38
	v_ashrrev_i32_e32 v36, 31, v36
	s_wait_alu 0xfffd
	v_xor_b32_e32 v35, vcc_lo, v35
	v_add_nc_u32_e32 v94, v0, v33
	v_and_b32_e32 v34, v34, v39
	s_wait_alu 0xf1ff
	v_xor_b32_e32 v33, s8, v36
	ds_load_b32 v92, v94 offset:16
	v_and_b32_e32 v34, v34, v35
	; wave barrier
	s_delay_alu instid0(VALU_DEP_1) | instskip(NEXT) | instid1(VALU_DEP_1)
	v_and_b32_e32 v33, v34, v33
	v_mbcnt_lo_u32_b32 v93, v33, 0
	v_cmp_ne_u32_e64 s8, 0, v33
	s_delay_alu instid0(VALU_DEP_2)
	v_cmp_eq_u32_e32 vcc_lo, 0, v93
	s_and_b32 s10, s8, vcc_lo
	s_wait_alu 0xfffe
	s_and_saveexec_b32 s8, s10
	s_cbranch_execz .LBB167_35
; %bb.34:
	s_wait_dscnt 0x0
	v_bcnt_u32_b32 v33, v33, v92
	ds_store_b32 v94, v33 offset:16
.LBB167_35:
	s_wait_alu 0xfffe
	s_or_b32 exec_lo, exec_lo, s8
	v_and_b32_e32 v33, 0xffff, v80
	; wave barrier
	s_delay_alu instid0(VALU_DEP_1) | instskip(NEXT) | instid1(VALU_DEP_1)
	v_and_b32_e32 v33, s9, v33
	v_and_b32_e32 v34, 1, v33
	v_lshlrev_b32_e32 v35, 30, v33
	v_lshlrev_b32_e32 v36, 29, v33
	;; [unrolled: 1-line block ×4, first 2 shown]
	v_add_co_u32 v34, s8, v34, -1
	s_wait_alu 0xf1ff
	v_cndmask_b32_e64 v38, 0, 1, s8
	v_not_b32_e32 v87, v35
	v_cmp_gt_i32_e64 s8, 0, v35
	v_not_b32_e32 v35, v36
	v_lshlrev_b32_e32 v40, 26, v33
	v_cmp_ne_u32_e32 vcc_lo, 0, v38
	v_ashrrev_i32_e32 v87, 31, v87
	v_lshlrev_b32_e32 v86, 25, v33
	v_ashrrev_i32_e32 v35, 31, v35
	v_lshlrev_b32_e32 v38, 24, v33
	s_wait_alu 0xfffd
	v_xor_b32_e32 v34, vcc_lo, v34
	v_cmp_gt_i32_e32 vcc_lo, 0, v36
	v_not_b32_e32 v36, v37
	s_wait_alu 0xf1ff
	v_xor_b32_e32 v87, s8, v87
	v_cmp_gt_i32_e64 s8, 0, v37
	v_and_b32_e32 v34, exec_lo, v34
	v_not_b32_e32 v37, v39
	v_ashrrev_i32_e32 v36, 31, v36
	s_wait_alu 0xfffd
	v_xor_b32_e32 v35, vcc_lo, v35
	v_cmp_gt_i32_e32 vcc_lo, 0, v39
	v_and_b32_e32 v34, v34, v87
	v_not_b32_e32 v39, v40
	v_ashrrev_i32_e32 v37, 31, v37
	s_wait_alu 0xf1ff
	v_xor_b32_e32 v36, s8, v36
	v_cmp_gt_i32_e64 s8, 0, v40
	v_and_b32_e32 v34, v34, v35
	v_not_b32_e32 v35, v86
	v_ashrrev_i32_e32 v39, 31, v39
	s_wait_alu 0xfffd
	v_xor_b32_e32 v37, vcc_lo, v37
	v_cmp_gt_i32_e32 vcc_lo, 0, v86
	v_and_b32_e32 v34, v34, v36
	v_not_b32_e32 v36, v38
	v_ashrrev_i32_e32 v35, 31, v35
	s_wait_alu 0xf1ff
	v_xor_b32_e32 v39, s8, v39
	v_lshlrev_b32_e32 v33, 4, v33
	v_and_b32_e32 v34, v34, v37
	v_cmp_gt_i32_e64 s8, 0, v38
	v_ashrrev_i32_e32 v36, 31, v36
	s_wait_alu 0xfffd
	v_xor_b32_e32 v35, vcc_lo, v35
	v_add_nc_u32_e32 v97, v0, v33
	v_and_b32_e32 v34, v34, v39
	s_wait_alu 0xf1ff
	v_xor_b32_e32 v33, s8, v36
	ds_load_b32 v95, v97 offset:16
	v_and_b32_e32 v34, v34, v35
	; wave barrier
	s_delay_alu instid0(VALU_DEP_1) | instskip(NEXT) | instid1(VALU_DEP_1)
	v_and_b32_e32 v33, v34, v33
	v_mbcnt_lo_u32_b32 v96, v33, 0
	v_cmp_ne_u32_e64 s8, 0, v33
	s_delay_alu instid0(VALU_DEP_2)
	v_cmp_eq_u32_e32 vcc_lo, 0, v96
	s_and_b32 s10, s8, vcc_lo
	s_wait_alu 0xfffe
	s_and_saveexec_b32 s8, s10
	s_cbranch_execz .LBB167_37
; %bb.36:
	s_wait_dscnt 0x0
	v_bcnt_u32_b32 v33, v33, v95
	ds_store_b32 v97, v33 offset:16
.LBB167_37:
	s_wait_alu 0xfffe
	s_or_b32 exec_lo, exec_lo, s8
	v_and_b32_e32 v33, 0xffff, v81
	; wave barrier
	s_delay_alu instid0(VALU_DEP_1) | instskip(NEXT) | instid1(VALU_DEP_1)
	v_and_b32_e32 v33, s9, v33
	v_and_b32_e32 v34, 1, v33
	v_lshlrev_b32_e32 v35, 30, v33
	v_lshlrev_b32_e32 v36, 29, v33
	;; [unrolled: 1-line block ×4, first 2 shown]
	v_add_co_u32 v34, s8, v34, -1
	s_wait_alu 0xf1ff
	v_cndmask_b32_e64 v38, 0, 1, s8
	v_not_b32_e32 v87, v35
	v_cmp_gt_i32_e64 s8, 0, v35
	v_not_b32_e32 v35, v36
	v_lshlrev_b32_e32 v40, 26, v33
	v_cmp_ne_u32_e32 vcc_lo, 0, v38
	v_ashrrev_i32_e32 v87, 31, v87
	v_lshlrev_b32_e32 v86, 25, v33
	v_ashrrev_i32_e32 v35, 31, v35
	v_lshlrev_b32_e32 v38, 24, v33
	s_wait_alu 0xfffd
	v_xor_b32_e32 v34, vcc_lo, v34
	v_cmp_gt_i32_e32 vcc_lo, 0, v36
	v_not_b32_e32 v36, v37
	s_wait_alu 0xf1ff
	v_xor_b32_e32 v87, s8, v87
	v_cmp_gt_i32_e64 s8, 0, v37
	v_and_b32_e32 v34, exec_lo, v34
	v_not_b32_e32 v37, v39
	v_ashrrev_i32_e32 v36, 31, v36
	s_wait_alu 0xfffd
	v_xor_b32_e32 v35, vcc_lo, v35
	v_cmp_gt_i32_e32 vcc_lo, 0, v39
	v_and_b32_e32 v34, v34, v87
	v_not_b32_e32 v39, v40
	v_ashrrev_i32_e32 v37, 31, v37
	s_wait_alu 0xf1ff
	v_xor_b32_e32 v36, s8, v36
	v_cmp_gt_i32_e64 s8, 0, v40
	v_and_b32_e32 v34, v34, v35
	v_not_b32_e32 v35, v86
	v_ashrrev_i32_e32 v39, 31, v39
	s_wait_alu 0xfffd
	v_xor_b32_e32 v37, vcc_lo, v37
	v_cmp_gt_i32_e32 vcc_lo, 0, v86
	v_and_b32_e32 v34, v34, v36
	v_not_b32_e32 v36, v38
	v_ashrrev_i32_e32 v35, 31, v35
	s_wait_alu 0xf1ff
	v_xor_b32_e32 v39, s8, v39
	v_lshlrev_b32_e32 v33, 4, v33
	v_and_b32_e32 v34, v34, v37
	v_cmp_gt_i32_e64 s8, 0, v38
	v_ashrrev_i32_e32 v36, 31, v36
	s_wait_alu 0xfffd
	v_xor_b32_e32 v35, vcc_lo, v35
	v_add_nc_u32_e32 v100, v0, v33
	v_and_b32_e32 v34, v34, v39
	s_wait_alu 0xf1ff
	v_xor_b32_e32 v33, s8, v36
	ds_load_b32 v98, v100 offset:16
	v_and_b32_e32 v34, v34, v35
	; wave barrier
	s_delay_alu instid0(VALU_DEP_1) | instskip(NEXT) | instid1(VALU_DEP_1)
	v_and_b32_e32 v33, v34, v33
	v_mbcnt_lo_u32_b32 v99, v33, 0
	v_cmp_ne_u32_e64 s8, 0, v33
	s_delay_alu instid0(VALU_DEP_2)
	v_cmp_eq_u32_e32 vcc_lo, 0, v99
	s_and_b32 s10, s8, vcc_lo
	s_wait_alu 0xfffe
	s_and_saveexec_b32 s8, s10
	s_cbranch_execz .LBB167_39
; %bb.38:
	s_wait_dscnt 0x0
	v_bcnt_u32_b32 v33, v33, v98
	ds_store_b32 v100, v33 offset:16
.LBB167_39:
	s_wait_alu 0xfffe
	s_or_b32 exec_lo, exec_lo, s8
	v_and_b32_e32 v33, 0xffff, v82
	; wave barrier
	s_delay_alu instid0(VALU_DEP_1) | instskip(NEXT) | instid1(VALU_DEP_1)
	v_and_b32_e32 v33, s9, v33
	v_and_b32_e32 v34, 1, v33
	v_lshlrev_b32_e32 v35, 30, v33
	v_lshlrev_b32_e32 v36, 29, v33
	;; [unrolled: 1-line block ×4, first 2 shown]
	v_add_co_u32 v34, s8, v34, -1
	s_wait_alu 0xf1ff
	v_cndmask_b32_e64 v38, 0, 1, s8
	v_not_b32_e32 v87, v35
	v_cmp_gt_i32_e64 s8, 0, v35
	v_not_b32_e32 v35, v36
	v_lshlrev_b32_e32 v40, 26, v33
	v_cmp_ne_u32_e32 vcc_lo, 0, v38
	v_ashrrev_i32_e32 v87, 31, v87
	v_lshlrev_b32_e32 v86, 25, v33
	v_ashrrev_i32_e32 v35, 31, v35
	v_lshlrev_b32_e32 v38, 24, v33
	s_wait_alu 0xfffd
	v_xor_b32_e32 v34, vcc_lo, v34
	v_cmp_gt_i32_e32 vcc_lo, 0, v36
	v_not_b32_e32 v36, v37
	s_wait_alu 0xf1ff
	v_xor_b32_e32 v87, s8, v87
	v_cmp_gt_i32_e64 s8, 0, v37
	v_and_b32_e32 v34, exec_lo, v34
	v_not_b32_e32 v37, v39
	v_ashrrev_i32_e32 v36, 31, v36
	s_wait_alu 0xfffd
	v_xor_b32_e32 v35, vcc_lo, v35
	v_cmp_gt_i32_e32 vcc_lo, 0, v39
	v_and_b32_e32 v34, v34, v87
	v_not_b32_e32 v39, v40
	v_ashrrev_i32_e32 v37, 31, v37
	s_wait_alu 0xf1ff
	v_xor_b32_e32 v36, s8, v36
	v_cmp_gt_i32_e64 s8, 0, v40
	v_and_b32_e32 v34, v34, v35
	v_not_b32_e32 v35, v86
	v_ashrrev_i32_e32 v39, 31, v39
	s_wait_alu 0xfffd
	v_xor_b32_e32 v37, vcc_lo, v37
	v_cmp_gt_i32_e32 vcc_lo, 0, v86
	v_and_b32_e32 v34, v34, v36
	v_not_b32_e32 v36, v38
	v_ashrrev_i32_e32 v35, 31, v35
	s_wait_alu 0xf1ff
	v_xor_b32_e32 v39, s8, v39
	v_lshlrev_b32_e32 v33, 4, v33
	v_and_b32_e32 v34, v34, v37
	v_cmp_gt_i32_e64 s8, 0, v38
	v_ashrrev_i32_e32 v36, 31, v36
	s_wait_alu 0xfffd
	v_xor_b32_e32 v35, vcc_lo, v35
	v_add_nc_u32_e32 v103, v0, v33
	v_and_b32_e32 v34, v34, v39
	s_wait_alu 0xf1ff
	v_xor_b32_e32 v33, s8, v36
	ds_load_b32 v101, v103 offset:16
	v_and_b32_e32 v34, v34, v35
	; wave barrier
	s_delay_alu instid0(VALU_DEP_1) | instskip(NEXT) | instid1(VALU_DEP_1)
	v_and_b32_e32 v33, v34, v33
	v_mbcnt_lo_u32_b32 v102, v33, 0
	v_cmp_ne_u32_e64 s8, 0, v33
	s_delay_alu instid0(VALU_DEP_2)
	v_cmp_eq_u32_e32 vcc_lo, 0, v102
	s_and_b32 s10, s8, vcc_lo
	s_wait_alu 0xfffe
	s_and_saveexec_b32 s8, s10
	s_cbranch_execz .LBB167_41
; %bb.40:
	s_wait_dscnt 0x0
	v_bcnt_u32_b32 v33, v33, v101
	ds_store_b32 v103, v33 offset:16
.LBB167_41:
	s_wait_alu 0xfffe
	s_or_b32 exec_lo, exec_lo, s8
	v_and_b32_e32 v33, 0xffff, v83
	; wave barrier
	s_delay_alu instid0(VALU_DEP_1) | instskip(NEXT) | instid1(VALU_DEP_1)
	v_and_b32_e32 v33, s9, v33
	v_and_b32_e32 v34, 1, v33
	v_lshlrev_b32_e32 v35, 30, v33
	v_lshlrev_b32_e32 v36, 29, v33
	v_lshlrev_b32_e32 v37, 28, v33
	v_lshlrev_b32_e32 v39, 27, v33
	v_add_co_u32 v34, s8, v34, -1
	s_wait_alu 0xf1ff
	v_cndmask_b32_e64 v38, 0, 1, s8
	v_not_b32_e32 v87, v35
	v_cmp_gt_i32_e64 s8, 0, v35
	v_not_b32_e32 v35, v36
	v_lshlrev_b32_e32 v40, 26, v33
	v_cmp_ne_u32_e32 vcc_lo, 0, v38
	v_ashrrev_i32_e32 v87, 31, v87
	v_lshlrev_b32_e32 v86, 25, v33
	v_ashrrev_i32_e32 v35, 31, v35
	v_lshlrev_b32_e32 v38, 24, v33
	s_wait_alu 0xfffd
	v_xor_b32_e32 v34, vcc_lo, v34
	v_cmp_gt_i32_e32 vcc_lo, 0, v36
	v_not_b32_e32 v36, v37
	s_wait_alu 0xf1ff
	v_xor_b32_e32 v87, s8, v87
	v_cmp_gt_i32_e64 s8, 0, v37
	v_and_b32_e32 v34, exec_lo, v34
	v_not_b32_e32 v37, v39
	v_ashrrev_i32_e32 v36, 31, v36
	s_wait_alu 0xfffd
	v_xor_b32_e32 v35, vcc_lo, v35
	v_cmp_gt_i32_e32 vcc_lo, 0, v39
	v_and_b32_e32 v34, v34, v87
	v_not_b32_e32 v39, v40
	v_ashrrev_i32_e32 v37, 31, v37
	s_wait_alu 0xf1ff
	v_xor_b32_e32 v36, s8, v36
	v_cmp_gt_i32_e64 s8, 0, v40
	v_and_b32_e32 v34, v34, v35
	v_not_b32_e32 v35, v86
	v_ashrrev_i32_e32 v39, 31, v39
	s_wait_alu 0xfffd
	v_xor_b32_e32 v37, vcc_lo, v37
	v_cmp_gt_i32_e32 vcc_lo, 0, v86
	v_and_b32_e32 v34, v34, v36
	v_not_b32_e32 v36, v38
	v_ashrrev_i32_e32 v35, 31, v35
	s_wait_alu 0xf1ff
	v_xor_b32_e32 v39, s8, v39
	v_lshlrev_b32_e32 v33, 4, v33
	v_and_b32_e32 v34, v34, v37
	v_cmp_gt_i32_e64 s8, 0, v38
	v_ashrrev_i32_e32 v36, 31, v36
	s_wait_alu 0xfffd
	v_xor_b32_e32 v35, vcc_lo, v35
	v_add_nc_u32_e32 v106, v0, v33
	v_and_b32_e32 v34, v34, v39
	s_wait_alu 0xf1ff
	v_xor_b32_e32 v33, s8, v36
	ds_load_b32 v104, v106 offset:16
	v_and_b32_e32 v34, v34, v35
	; wave barrier
	s_delay_alu instid0(VALU_DEP_1) | instskip(NEXT) | instid1(VALU_DEP_1)
	v_and_b32_e32 v33, v34, v33
	v_mbcnt_lo_u32_b32 v105, v33, 0
	v_cmp_ne_u32_e64 s8, 0, v33
	s_delay_alu instid0(VALU_DEP_2)
	v_cmp_eq_u32_e32 vcc_lo, 0, v105
	s_and_b32 s10, s8, vcc_lo
	s_wait_alu 0xfffe
	s_and_saveexec_b32 s8, s10
	s_cbranch_execz .LBB167_43
; %bb.42:
	s_wait_dscnt 0x0
	v_bcnt_u32_b32 v33, v33, v104
	ds_store_b32 v106, v33 offset:16
.LBB167_43:
	s_wait_alu 0xfffe
	s_or_b32 exec_lo, exec_lo, s8
	v_and_b32_e32 v33, 0xffff, v84
	; wave barrier
	s_delay_alu instid0(VALU_DEP_1) | instskip(NEXT) | instid1(VALU_DEP_1)
	v_and_b32_e32 v33, s9, v33
	v_and_b32_e32 v34, 1, v33
	v_lshlrev_b32_e32 v35, 30, v33
	v_lshlrev_b32_e32 v36, 29, v33
	;; [unrolled: 1-line block ×4, first 2 shown]
	v_add_co_u32 v34, s8, v34, -1
	s_wait_alu 0xf1ff
	v_cndmask_b32_e64 v38, 0, 1, s8
	v_not_b32_e32 v87, v35
	v_cmp_gt_i32_e64 s8, 0, v35
	v_not_b32_e32 v35, v36
	v_lshlrev_b32_e32 v40, 26, v33
	v_cmp_ne_u32_e32 vcc_lo, 0, v38
	v_ashrrev_i32_e32 v87, 31, v87
	v_lshlrev_b32_e32 v86, 25, v33
	v_ashrrev_i32_e32 v35, 31, v35
	v_lshlrev_b32_e32 v38, 24, v33
	s_wait_alu 0xfffd
	v_xor_b32_e32 v34, vcc_lo, v34
	v_cmp_gt_i32_e32 vcc_lo, 0, v36
	v_not_b32_e32 v36, v37
	s_wait_alu 0xf1ff
	v_xor_b32_e32 v87, s8, v87
	v_cmp_gt_i32_e64 s8, 0, v37
	v_and_b32_e32 v34, exec_lo, v34
	v_not_b32_e32 v37, v39
	v_ashrrev_i32_e32 v36, 31, v36
	s_wait_alu 0xfffd
	v_xor_b32_e32 v35, vcc_lo, v35
	v_cmp_gt_i32_e32 vcc_lo, 0, v39
	v_and_b32_e32 v34, v34, v87
	v_not_b32_e32 v39, v40
	v_ashrrev_i32_e32 v37, 31, v37
	s_wait_alu 0xf1ff
	v_xor_b32_e32 v36, s8, v36
	v_cmp_gt_i32_e64 s8, 0, v40
	v_and_b32_e32 v34, v34, v35
	v_not_b32_e32 v35, v86
	v_ashrrev_i32_e32 v39, 31, v39
	s_wait_alu 0xfffd
	v_xor_b32_e32 v37, vcc_lo, v37
	v_cmp_gt_i32_e32 vcc_lo, 0, v86
	v_and_b32_e32 v34, v34, v36
	v_not_b32_e32 v36, v38
	v_ashrrev_i32_e32 v35, 31, v35
	s_wait_alu 0xf1ff
	v_xor_b32_e32 v39, s8, v39
	v_lshlrev_b32_e32 v33, 4, v33
	v_and_b32_e32 v34, v34, v37
	v_cmp_gt_i32_e64 s8, 0, v38
	v_ashrrev_i32_e32 v36, 31, v36
	s_wait_alu 0xfffd
	v_xor_b32_e32 v35, vcc_lo, v35
	v_add_nc_u32_e32 v109, v0, v33
	v_and_b32_e32 v34, v34, v39
	s_wait_alu 0xf1ff
	v_xor_b32_e32 v33, s8, v36
	ds_load_b32 v107, v109 offset:16
	v_and_b32_e32 v34, v34, v35
	; wave barrier
	s_delay_alu instid0(VALU_DEP_1) | instskip(NEXT) | instid1(VALU_DEP_1)
	v_and_b32_e32 v33, v34, v33
	v_mbcnt_lo_u32_b32 v108, v33, 0
	v_cmp_ne_u32_e64 s8, 0, v33
	s_delay_alu instid0(VALU_DEP_2)
	v_cmp_eq_u32_e32 vcc_lo, 0, v108
	s_and_b32 s10, s8, vcc_lo
	s_wait_alu 0xfffe
	s_and_saveexec_b32 s8, s10
	s_cbranch_execz .LBB167_45
; %bb.44:
	s_wait_dscnt 0x0
	v_bcnt_u32_b32 v33, v33, v107
	ds_store_b32 v109, v33 offset:16
.LBB167_45:
	s_wait_alu 0xfffe
	s_or_b32 exec_lo, exec_lo, s8
	v_and_b32_e32 v33, 0xffff, v85
	; wave barrier
	s_delay_alu instid0(VALU_DEP_1) | instskip(NEXT) | instid1(VALU_DEP_1)
	v_and_b32_e32 v33, s9, v33
	v_and_b32_e32 v34, 1, v33
	v_lshlrev_b32_e32 v35, 30, v33
	v_lshlrev_b32_e32 v36, 29, v33
	;; [unrolled: 1-line block ×4, first 2 shown]
	v_add_co_u32 v34, s8, v34, -1
	s_wait_alu 0xf1ff
	v_cndmask_b32_e64 v38, 0, 1, s8
	v_not_b32_e32 v87, v35
	v_cmp_gt_i32_e64 s8, 0, v35
	v_not_b32_e32 v35, v36
	v_lshlrev_b32_e32 v40, 26, v33
	v_cmp_ne_u32_e32 vcc_lo, 0, v38
	v_ashrrev_i32_e32 v87, 31, v87
	v_lshlrev_b32_e32 v86, 25, v33
	v_ashrrev_i32_e32 v35, 31, v35
	v_lshlrev_b32_e32 v38, 24, v33
	s_wait_alu 0xfffd
	v_xor_b32_e32 v34, vcc_lo, v34
	v_cmp_gt_i32_e32 vcc_lo, 0, v36
	v_not_b32_e32 v36, v37
	s_wait_alu 0xf1ff
	v_xor_b32_e32 v87, s8, v87
	v_cmp_gt_i32_e64 s8, 0, v37
	v_and_b32_e32 v34, exec_lo, v34
	v_not_b32_e32 v37, v39
	v_ashrrev_i32_e32 v36, 31, v36
	s_wait_alu 0xfffd
	v_xor_b32_e32 v35, vcc_lo, v35
	v_cmp_gt_i32_e32 vcc_lo, 0, v39
	v_and_b32_e32 v34, v34, v87
	v_not_b32_e32 v39, v40
	v_ashrrev_i32_e32 v37, 31, v37
	s_wait_alu 0xf1ff
	v_xor_b32_e32 v36, s8, v36
	v_cmp_gt_i32_e64 s8, 0, v40
	v_and_b32_e32 v34, v34, v35
	v_not_b32_e32 v35, v86
	v_ashrrev_i32_e32 v39, 31, v39
	s_wait_alu 0xfffd
	v_xor_b32_e32 v37, vcc_lo, v37
	v_cmp_gt_i32_e32 vcc_lo, 0, v86
	v_and_b32_e32 v34, v34, v36
	v_not_b32_e32 v36, v38
	v_ashrrev_i32_e32 v35, 31, v35
	s_wait_alu 0xf1ff
	v_xor_b32_e32 v39, s8, v39
	v_lshlrev_b32_e32 v33, 4, v33
	v_and_b32_e32 v34, v34, v37
	v_cmp_gt_i32_e64 s8, 0, v38
	v_ashrrev_i32_e32 v36, 31, v36
	s_wait_alu 0xfffd
	v_xor_b32_e32 v35, vcc_lo, v35
	v_add_nc_u32_e32 v112, v0, v33
	v_and_b32_e32 v34, v34, v39
	v_min_u32_e32 v86, 0x60, v72
	s_wait_alu 0xf1ff
	v_xor_b32_e32 v33, s8, v36
	ds_load_b32 v110, v112 offset:16
	v_and_b32_e32 v34, v34, v35
	; wave barrier
	s_delay_alu instid0(VALU_DEP_1) | instskip(NEXT) | instid1(VALU_DEP_1)
	v_and_b32_e32 v33, v34, v33
	v_mbcnt_lo_u32_b32 v111, v33, 0
	v_cmp_ne_u32_e64 s8, 0, v33
	s_delay_alu instid0(VALU_DEP_2)
	v_cmp_eq_u32_e32 vcc_lo, 0, v111
	s_and_b32 s9, s8, vcc_lo
	s_wait_alu 0xfffe
	s_and_saveexec_b32 s8, s9
	s_cbranch_execz .LBB167_47
; %bb.46:
	s_wait_dscnt 0x0
	v_bcnt_u32_b32 v33, v33, v110
	ds_store_b32 v112, v33 offset:16
.LBB167_47:
	s_wait_alu 0xfffe
	s_or_b32 exec_lo, exec_lo, s8
	; wave barrier
	s_wait_loadcnt_dscnt 0x0
	s_barrier_signal -1
	s_barrier_wait -1
	global_inv scope:SCOPE_SE
	ds_load_b128 v[37:40], v67 offset:16
	ds_load_b128 v[33:36], v67 offset:32
	v_and_b32_e32 v89, 16, v70
	v_or_b32_e32 v86, 31, v86
	s_delay_alu instid0(VALU_DEP_2) | instskip(NEXT) | instid1(VALU_DEP_2)
	v_cmp_eq_u32_e64 s16, 0, v89
	v_cmp_eq_u32_e64 s14, v46, v86
	v_lshlrev_b32_e32 v86, 2, v69
	s_wait_dscnt 0x1
	v_add_nc_u32_e32 v87, v38, v37
	s_delay_alu instid0(VALU_DEP_1) | instskip(SKIP_1) | instid1(VALU_DEP_1)
	v_add3_u32 v87, v87, v39, v40
	s_wait_dscnt 0x0
	v_add3_u32 v87, v87, v33, v34
	s_delay_alu instid0(VALU_DEP_1) | instskip(SKIP_1) | instid1(VALU_DEP_2)
	v_add3_u32 v36, v87, v35, v36
	v_and_b32_e32 v87, 15, v70
	v_mov_b32_dpp v88, v36 row_shr:1 row_mask:0xf bank_mask:0xf
	s_delay_alu instid0(VALU_DEP_2)
	v_cmp_eq_u32_e64 s8, 0, v87
	v_cmp_lt_u32_e64 s10, 1, v87
	v_cmp_lt_u32_e64 s11, 3, v87
	v_cmp_lt_u32_e64 s13, 7, v87
	s_wait_alu 0xf1ff
	v_cndmask_b32_e64 v88, v88, 0, s8
	s_delay_alu instid0(VALU_DEP_1) | instskip(NEXT) | instid1(VALU_DEP_1)
	v_add_nc_u32_e32 v36, v88, v36
	v_mov_b32_dpp v88, v36 row_shr:2 row_mask:0xf bank_mask:0xf
	s_delay_alu instid0(VALU_DEP_1) | instskip(NEXT) | instid1(VALU_DEP_1)
	v_cndmask_b32_e64 v88, 0, v88, s10
	v_add_nc_u32_e32 v36, v36, v88
	s_delay_alu instid0(VALU_DEP_1) | instskip(NEXT) | instid1(VALU_DEP_1)
	v_mov_b32_dpp v88, v36 row_shr:4 row_mask:0xf bank_mask:0xf
	v_cndmask_b32_e64 v88, 0, v88, s11
	s_delay_alu instid0(VALU_DEP_1) | instskip(NEXT) | instid1(VALU_DEP_1)
	v_add_nc_u32_e32 v36, v36, v88
	v_mov_b32_dpp v88, v36 row_shr:8 row_mask:0xf bank_mask:0xf
	s_delay_alu instid0(VALU_DEP_1) | instskip(SKIP_1) | instid1(VALU_DEP_2)
	v_cndmask_b32_e64 v87, 0, v88, s13
	v_bfe_i32 v88, v70, 4, 1
	v_add_nc_u32_e32 v87, v36, v87
	ds_swizzle_b32 v36, v87 offset:swizzle(BROADCAST,32,15)
	s_wait_dscnt 0x0
	v_and_b32_e32 v88, v88, v36
	v_mul_i32_i24_e32 v36, 0xffffffe4, v46
	s_delay_alu instid0(VALU_DEP_2)
	v_add_nc_u32_e32 v89, v87, v88
	s_and_saveexec_b32 s9, s14
; %bb.48:
	ds_store_b32 v86, v89
; %bb.49:
	s_wait_alu 0xfffe
	s_or_b32 exec_lo, exec_lo, s9
	v_and_b32_e32 v87, 3, v70
	v_cmp_gt_u32_e64 s15, 4, v46
	s_wait_loadcnt_dscnt 0x0
	s_barrier_signal -1
	s_barrier_wait -1
	v_cmp_eq_u32_e64 s12, 0, v87
	v_cmp_lt_u32_e64 s9, 1, v87
	v_add_nc_u32_e32 v87, v67, v36
	global_inv scope:SCOPE_SE
	s_and_saveexec_b32 s17, s15
	s_cbranch_execz .LBB167_51
; %bb.50:
	ds_load_b32 v36, v87
	s_wait_dscnt 0x0
	v_mov_b32_dpp v88, v36 row_shr:1 row_mask:0xf bank_mask:0xf
	s_delay_alu instid0(VALU_DEP_1) | instskip(NEXT) | instid1(VALU_DEP_1)
	v_cndmask_b32_e64 v88, v88, 0, s12
	v_add_nc_u32_e32 v36, v88, v36
	s_delay_alu instid0(VALU_DEP_1) | instskip(NEXT) | instid1(VALU_DEP_1)
	v_mov_b32_dpp v88, v36 row_shr:2 row_mask:0xf bank_mask:0xf
	v_cndmask_b32_e64 v88, 0, v88, s9
	s_delay_alu instid0(VALU_DEP_1)
	v_add_nc_u32_e32 v36, v36, v88
	ds_store_b32 v87, v36
.LBB167_51:
	s_or_b32 exec_lo, exec_lo, s17
	v_sub_co_u32 v113, vcc_lo, v70, 1
	v_mul_u32_u24_e32 v36, 6, v71
	v_cmp_lt_u32_e64 s17, 31, v46
	v_add_nc_u32_e32 v88, -4, v86
	v_mov_b32_e32 v114, 0
	s_wait_loadcnt_dscnt 0x0
	s_barrier_signal -1
	s_barrier_wait -1
	global_inv scope:SCOPE_SE
	s_and_saveexec_b32 s18, s17
; %bb.52:
	ds_load_b32 v114, v88
; %bb.53:
	s_wait_alu 0xfffe
	s_or_b32 exec_lo, exec_lo, s18
	v_cmp_gt_i32_e64 s18, 0, v113
	s_mov_b32 s24, 0
	s_min_u32 s19, s19, 8
	s_mov_b32 s25, s24
	s_mov_b32 s26, s24
	v_cndmask_b32_e64 v113, v113, v70, s18
	s_mov_b32 s27, s24
	s_wait_dscnt 0x0
	v_add_nc_u32_e32 v115, v114, v89
	v_cmp_eq_u32_e64 s18, 0, v46
	s_wait_alu 0xfffe
	s_lshl_b32 s19, -1, s19
	v_lshlrev_b32_e32 v89, 2, v113
	s_wait_alu 0xfffe
	s_not_b32 s21, s19
	ds_bpermute_b32 v113, v89, v115
	s_wait_dscnt 0x0
	s_wait_alu 0xfffd
	v_cndmask_b32_e32 v113, v113, v114, vcc_lo
	s_delay_alu instid0(VALU_DEP_1) | instskip(NEXT) | instid1(VALU_DEP_1)
	v_cndmask_b32_e64 v113, v113, 0, s18
	v_add_nc_u32_e32 v114, v113, v37
	s_delay_alu instid0(VALU_DEP_1) | instskip(NEXT) | instid1(VALU_DEP_1)
	v_add_nc_u32_e32 v115, v114, v38
	v_add_nc_u32_e32 v116, v115, v39
	s_delay_alu instid0(VALU_DEP_1) | instskip(NEXT) | instid1(VALU_DEP_1)
	v_add_nc_u32_e32 v37, v116, v40
	;; [unrolled: 3-line block ×3, first 2 shown]
	v_add_nc_u32_e32 v40, v39, v35
	ds_store_b128 v67, v[113:116] offset:16
	ds_store_b128 v67, v[37:40] offset:32
	s_wait_loadcnt_dscnt 0x0
	s_barrier_signal -1
	s_barrier_wait -1
	global_inv scope:SCOPE_SE
	ds_load_b32 v33, v91 offset:16
	ds_load_b32 v34, v94 offset:16
	;; [unrolled: 1-line block ×8, first 2 shown]
	v_add_nc_u32_e32 v94, v68, v36
	s_wait_loadcnt_dscnt 0x0
	s_barrier_signal -1
	s_barrier_wait -1
	global_inv scope:SCOPE_SE
	v_add_nc_u32_e32 v90, v33, v90
	v_add3_u32 v92, v93, v92, v34
	v_add3_u32 v93, v96, v95, v35
	;; [unrolled: 1-line block ×7, first 2 shown]
	v_lshlrev_b32_e32 v33, 1, v90
	v_lshlrev_b32_e32 v34, 1, v92
	;; [unrolled: 1-line block ×8, first 2 shown]
	ds_store_b16 v33, v78
	ds_store_b16 v34, v79
	;; [unrolled: 1-line block ×8, first 2 shown]
	s_wait_loadcnt_dscnt 0x0
	s_barrier_signal -1
	s_barrier_wait -1
	global_inv scope:SCOPE_SE
	ds_load_u16 v78, v68
	ds_load_u16 v79, v68 offset:64
	ds_load_u16 v80, v68 offset:128
	;; [unrolled: 1-line block ×7, first 2 shown]
	v_mad_co_u64_u32 v[90:91], null, v90, 6, v[33:34]
	v_mad_co_u64_u32 v[33:34], null, v92, 6, v[34:35]
	;; [unrolled: 1-line block ×3, first 2 shown]
	s_wait_loadcnt_dscnt 0x0
	s_barrier_signal -1
	s_barrier_wait -1
	global_inv scope:SCOPE_SE
	v_mad_co_u64_u32 v[35:36], null, v95, 6, v[36:37]
	v_lshrrev_b16 v91, 8, v78
	ds_store_b64 v90, v[21:22]
	v_mad_co_u64_u32 v[36:37], null, v96, 6, v[37:38]
	v_mad_co_u64_u32 v[37:38], null, v97, 6, v[38:39]
	v_and_b32_e32 v21, 0xffff, v91
	v_mad_co_u64_u32 v[38:39], null, v98, 6, v[39:40]
	v_mad_co_u64_u32 v[39:40], null, v99, 6, v[40:41]
	s_wait_alu 0xfffe
	s_delay_alu instid0(VALU_DEP_3)
	v_and_b32_e32 v40, s21, v21
	ds_store_b64 v33, v[23:24]
	ds_store_b64 v34, v[17:18]
	;; [unrolled: 1-line block ×7, first 2 shown]
	v_and_b32_e32 v17, 1, v40
	v_lshlrev_b32_e32 v18, 30, v40
	v_lshlrev_b32_e32 v19, 29, v40
	;; [unrolled: 1-line block ×4, first 2 shown]
	v_add_co_u32 v17, s19, v17, -1
	s_wait_alu 0xf1ff
	v_cndmask_b32_e64 v21, 0, 1, s19
	v_not_b32_e32 v25, v18
	v_cmp_gt_i32_e64 s20, 0, v18
	v_not_b32_e32 v18, v19
	v_lshlrev_b32_e32 v23, 26, v40
	v_cmp_ne_u32_e64 s19, 0, v21
	v_ashrrev_i32_e32 v25, 31, v25
	v_lshlrev_b32_e32 v24, 25, v40
	v_ashrrev_i32_e32 v18, 31, v18
	v_lshlrev_b32_e32 v21, 24, v40
	s_wait_alu 0xf1ff
	v_xor_b32_e32 v17, s19, v17
	v_cmp_gt_i32_e64 s19, 0, v19
	v_not_b32_e32 v19, v20
	v_xor_b32_e32 v25, s20, v25
	v_cmp_gt_i32_e64 s20, 0, v20
	v_and_b32_e32 v17, exec_lo, v17
	v_not_b32_e32 v20, v22
	v_ashrrev_i32_e32 v19, 31, v19
	s_wait_alu 0xf1ff
	v_xor_b32_e32 v18, s19, v18
	v_cmp_gt_i32_e64 s19, 0, v22
	v_and_b32_e32 v17, v17, v25
	v_not_b32_e32 v22, v23
	v_ashrrev_i32_e32 v20, 31, v20
	v_xor_b32_e32 v19, s20, v19
	v_cmp_gt_i32_e64 s20, 0, v23
	v_and_b32_e32 v17, v17, v18
	v_not_b32_e32 v18, v24
	v_ashrrev_i32_e32 v22, 31, v22
	s_wait_alu 0xf1ff
	v_xor_b32_e32 v20, s19, v20
	v_cmp_gt_i32_e64 s19, 0, v24
	v_and_b32_e32 v17, v17, v19
	v_not_b32_e32 v19, v21
	v_ashrrev_i32_e32 v18, 31, v18
	v_xor_b32_e32 v22, s20, v22
	v_cmp_gt_i32_e64 s20, 0, v21
	v_and_b32_e32 v17, v17, v20
	v_ashrrev_i32_e32 v19, 31, v19
	s_wait_alu 0xf1ff
	v_xor_b32_e32 v18, s19, v18
	s_wait_loadcnt_dscnt 0x0
	s_barrier_signal -1
	v_and_b32_e32 v17, v17, v22
	v_xor_b32_e32 v33, s20, v19
	s_barrier_wait -1
	global_inv scope:SCOPE_SE
	ds_load_2addr_b64 v[21:24], v94 offset1:32
	v_and_b32_e32 v38, v17, v18
	ds_load_2addr_b64 v[29:32], v94 offset0:64 offset1:96
	ds_load_2addr_b64 v[25:28], v94 offset0:128 offset1:160
	;; [unrolled: 1-line block ×3, first 2 shown]
	v_dual_mov_b32 v37, s27 :: v_dual_mov_b32 v36, s26
	v_mov_b32_e32 v35, s25
	v_dual_mov_b32 v34, s24 :: v_dual_and_b32 v33, v38, v33
	v_lshl_add_u32 v91, v40, 4, v0
	s_wait_loadcnt_dscnt 0x0
	s_barrier_signal -1
	s_delay_alu instid0(VALU_DEP_2)
	v_mbcnt_lo_u32_b32 v90, v33, 0
	v_cmp_ne_u32_e64 s20, 0, v33
	s_barrier_wait -1
	global_inv scope:SCOPE_SE
	ds_store_b128 v67, v[34:37] offset:16
	ds_store_b128 v67, v[34:37] offset:32
	v_cmp_eq_u32_e64 s19, 0, v90
	s_wait_loadcnt_dscnt 0x0
	s_barrier_signal -1
	s_barrier_wait -1
	global_inv scope:SCOPE_SE
	s_and_b32 s20, s20, s19
	; wave barrier
	s_wait_alu 0xfffe
	s_and_saveexec_b32 s19, s20
; %bb.54:
	v_bcnt_u32_b32 v33, v33, 0
	ds_store_b32 v91, v33 offset:16
; %bb.55:
	s_wait_alu 0xfffe
	s_or_b32 exec_lo, exec_lo, s19
	v_lshrrev_b16 v33, 8, v79
	; wave barrier
	s_delay_alu instid0(VALU_DEP_1) | instskip(NEXT) | instid1(VALU_DEP_1)
	v_and_b32_e32 v33, s21, v33
	v_and_b32_e32 v34, 1, v33
	v_lshlrev_b32_e32 v35, 30, v33
	v_lshlrev_b32_e32 v36, 29, v33
	;; [unrolled: 1-line block ×4, first 2 shown]
	v_add_co_u32 v34, s19, v34, -1
	s_wait_alu 0xf1ff
	v_cndmask_b32_e64 v38, 0, 1, s19
	v_not_b32_e32 v93, v35
	v_cmp_gt_i32_e64 s20, 0, v35
	v_not_b32_e32 v35, v36
	v_lshlrev_b32_e32 v40, 26, v33
	v_cmp_ne_u32_e64 s19, 0, v38
	v_ashrrev_i32_e32 v93, 31, v93
	v_lshlrev_b32_e32 v92, 25, v33
	v_ashrrev_i32_e32 v35, 31, v35
	v_lshlrev_b32_e32 v38, 24, v33
	s_wait_alu 0xf1ff
	v_xor_b32_e32 v34, s19, v34
	v_cmp_gt_i32_e64 s19, 0, v36
	v_not_b32_e32 v36, v37
	v_xor_b32_e32 v93, s20, v93
	v_cmp_gt_i32_e64 s20, 0, v37
	v_and_b32_e32 v34, exec_lo, v34
	v_not_b32_e32 v37, v39
	v_ashrrev_i32_e32 v36, 31, v36
	s_wait_alu 0xf1ff
	v_xor_b32_e32 v35, s19, v35
	v_cmp_gt_i32_e64 s19, 0, v39
	v_and_b32_e32 v34, v34, v93
	v_not_b32_e32 v39, v40
	v_ashrrev_i32_e32 v37, 31, v37
	v_xor_b32_e32 v36, s20, v36
	v_cmp_gt_i32_e64 s20, 0, v40
	v_and_b32_e32 v34, v34, v35
	v_not_b32_e32 v35, v92
	v_ashrrev_i32_e32 v39, 31, v39
	s_wait_alu 0xf1ff
	v_xor_b32_e32 v37, s19, v37
	v_cmp_gt_i32_e64 s19, 0, v92
	v_and_b32_e32 v34, v34, v36
	v_not_b32_e32 v36, v38
	v_ashrrev_i32_e32 v35, 31, v35
	v_xor_b32_e32 v39, s20, v39
	v_cmp_gt_i32_e64 s20, 0, v38
	v_and_b32_e32 v34, v34, v37
	v_ashrrev_i32_e32 v36, 31, v36
	s_wait_alu 0xf1ff
	v_xor_b32_e32 v35, s19, v35
	v_lshl_add_u32 v94, v33, 4, v0
	v_and_b32_e32 v34, v34, v39
	v_xor_b32_e32 v33, s20, v36
	ds_load_b32 v92, v94 offset:16
	v_and_b32_e32 v34, v34, v35
	; wave barrier
	s_delay_alu instid0(VALU_DEP_1) | instskip(NEXT) | instid1(VALU_DEP_1)
	v_and_b32_e32 v33, v34, v33
	v_mbcnt_lo_u32_b32 v93, v33, 0
	v_cmp_ne_u32_e64 s20, 0, v33
	s_delay_alu instid0(VALU_DEP_2)
	v_cmp_eq_u32_e64 s19, 0, v93
	s_and_b32 s20, s20, s19
	s_wait_alu 0xfffe
	s_and_saveexec_b32 s19, s20
	s_cbranch_execz .LBB167_57
; %bb.56:
	s_wait_dscnt 0x0
	v_bcnt_u32_b32 v33, v33, v92
	ds_store_b32 v94, v33 offset:16
.LBB167_57:
	s_wait_alu 0xfffe
	s_or_b32 exec_lo, exec_lo, s19
	v_lshrrev_b16 v33, 8, v80
	; wave barrier
	s_delay_alu instid0(VALU_DEP_1) | instskip(NEXT) | instid1(VALU_DEP_1)
	v_and_b32_e32 v33, s21, v33
	v_and_b32_e32 v34, 1, v33
	v_lshlrev_b32_e32 v35, 30, v33
	v_lshlrev_b32_e32 v36, 29, v33
	;; [unrolled: 1-line block ×4, first 2 shown]
	v_add_co_u32 v34, s19, v34, -1
	s_wait_alu 0xf1ff
	v_cndmask_b32_e64 v38, 0, 1, s19
	v_not_b32_e32 v96, v35
	v_cmp_gt_i32_e64 s20, 0, v35
	v_not_b32_e32 v35, v36
	v_lshlrev_b32_e32 v40, 26, v33
	v_cmp_ne_u32_e64 s19, 0, v38
	v_ashrrev_i32_e32 v96, 31, v96
	v_lshlrev_b32_e32 v95, 25, v33
	v_ashrrev_i32_e32 v35, 31, v35
	v_lshlrev_b32_e32 v38, 24, v33
	s_wait_alu 0xf1ff
	v_xor_b32_e32 v34, s19, v34
	v_cmp_gt_i32_e64 s19, 0, v36
	v_not_b32_e32 v36, v37
	v_xor_b32_e32 v96, s20, v96
	v_cmp_gt_i32_e64 s20, 0, v37
	v_and_b32_e32 v34, exec_lo, v34
	v_not_b32_e32 v37, v39
	v_ashrrev_i32_e32 v36, 31, v36
	s_wait_alu 0xf1ff
	v_xor_b32_e32 v35, s19, v35
	v_cmp_gt_i32_e64 s19, 0, v39
	v_and_b32_e32 v34, v34, v96
	v_not_b32_e32 v39, v40
	v_ashrrev_i32_e32 v37, 31, v37
	v_xor_b32_e32 v36, s20, v36
	v_cmp_gt_i32_e64 s20, 0, v40
	v_and_b32_e32 v34, v34, v35
	v_not_b32_e32 v35, v95
	v_ashrrev_i32_e32 v39, 31, v39
	s_wait_alu 0xf1ff
	v_xor_b32_e32 v37, s19, v37
	v_cmp_gt_i32_e64 s19, 0, v95
	v_and_b32_e32 v34, v34, v36
	v_not_b32_e32 v36, v38
	v_ashrrev_i32_e32 v35, 31, v35
	v_xor_b32_e32 v39, s20, v39
	v_cmp_gt_i32_e64 s20, 0, v38
	v_and_b32_e32 v34, v34, v37
	v_ashrrev_i32_e32 v36, 31, v36
	s_wait_alu 0xf1ff
	v_xor_b32_e32 v35, s19, v35
	v_lshl_add_u32 v97, v33, 4, v0
	v_and_b32_e32 v34, v34, v39
	v_xor_b32_e32 v33, s20, v36
	ds_load_b32 v95, v97 offset:16
	v_and_b32_e32 v34, v34, v35
	; wave barrier
	s_delay_alu instid0(VALU_DEP_1) | instskip(NEXT) | instid1(VALU_DEP_1)
	v_and_b32_e32 v33, v34, v33
	v_mbcnt_lo_u32_b32 v96, v33, 0
	v_cmp_ne_u32_e64 s20, 0, v33
	s_delay_alu instid0(VALU_DEP_2)
	v_cmp_eq_u32_e64 s19, 0, v96
	s_and_b32 s20, s20, s19
	s_wait_alu 0xfffe
	s_and_saveexec_b32 s19, s20
	s_cbranch_execz .LBB167_59
; %bb.58:
	s_wait_dscnt 0x0
	v_bcnt_u32_b32 v33, v33, v95
	ds_store_b32 v97, v33 offset:16
.LBB167_59:
	s_wait_alu 0xfffe
	s_or_b32 exec_lo, exec_lo, s19
	v_lshrrev_b16 v33, 8, v81
	; wave barrier
	s_delay_alu instid0(VALU_DEP_1) | instskip(NEXT) | instid1(VALU_DEP_1)
	v_and_b32_e32 v33, s21, v33
	v_and_b32_e32 v34, 1, v33
	v_lshlrev_b32_e32 v35, 30, v33
	v_lshlrev_b32_e32 v36, 29, v33
	;; [unrolled: 1-line block ×4, first 2 shown]
	v_add_co_u32 v34, s19, v34, -1
	s_wait_alu 0xf1ff
	v_cndmask_b32_e64 v38, 0, 1, s19
	v_not_b32_e32 v99, v35
	v_cmp_gt_i32_e64 s20, 0, v35
	v_not_b32_e32 v35, v36
	v_lshlrev_b32_e32 v40, 26, v33
	v_cmp_ne_u32_e64 s19, 0, v38
	v_ashrrev_i32_e32 v99, 31, v99
	v_lshlrev_b32_e32 v98, 25, v33
	v_ashrrev_i32_e32 v35, 31, v35
	v_lshlrev_b32_e32 v38, 24, v33
	s_wait_alu 0xf1ff
	v_xor_b32_e32 v34, s19, v34
	v_cmp_gt_i32_e64 s19, 0, v36
	v_not_b32_e32 v36, v37
	v_xor_b32_e32 v99, s20, v99
	v_cmp_gt_i32_e64 s20, 0, v37
	v_and_b32_e32 v34, exec_lo, v34
	v_not_b32_e32 v37, v39
	v_ashrrev_i32_e32 v36, 31, v36
	s_wait_alu 0xf1ff
	v_xor_b32_e32 v35, s19, v35
	v_cmp_gt_i32_e64 s19, 0, v39
	v_and_b32_e32 v34, v34, v99
	v_not_b32_e32 v39, v40
	v_ashrrev_i32_e32 v37, 31, v37
	v_xor_b32_e32 v36, s20, v36
	v_cmp_gt_i32_e64 s20, 0, v40
	v_and_b32_e32 v34, v34, v35
	v_not_b32_e32 v35, v98
	v_ashrrev_i32_e32 v39, 31, v39
	s_wait_alu 0xf1ff
	v_xor_b32_e32 v37, s19, v37
	v_cmp_gt_i32_e64 s19, 0, v98
	v_and_b32_e32 v34, v34, v36
	v_not_b32_e32 v36, v38
	v_ashrrev_i32_e32 v35, 31, v35
	v_xor_b32_e32 v39, s20, v39
	v_cmp_gt_i32_e64 s20, 0, v38
	v_and_b32_e32 v34, v34, v37
	v_ashrrev_i32_e32 v36, 31, v36
	s_wait_alu 0xf1ff
	v_xor_b32_e32 v35, s19, v35
	v_lshl_add_u32 v100, v33, 4, v0
	v_and_b32_e32 v34, v34, v39
	v_xor_b32_e32 v33, s20, v36
	ds_load_b32 v98, v100 offset:16
	v_and_b32_e32 v34, v34, v35
	; wave barrier
	s_delay_alu instid0(VALU_DEP_1) | instskip(NEXT) | instid1(VALU_DEP_1)
	v_and_b32_e32 v33, v34, v33
	v_mbcnt_lo_u32_b32 v99, v33, 0
	v_cmp_ne_u32_e64 s20, 0, v33
	s_delay_alu instid0(VALU_DEP_2)
	v_cmp_eq_u32_e64 s19, 0, v99
	s_and_b32 s20, s20, s19
	s_wait_alu 0xfffe
	s_and_saveexec_b32 s19, s20
	s_cbranch_execz .LBB167_61
; %bb.60:
	s_wait_dscnt 0x0
	v_bcnt_u32_b32 v33, v33, v98
	ds_store_b32 v100, v33 offset:16
.LBB167_61:
	s_wait_alu 0xfffe
	s_or_b32 exec_lo, exec_lo, s19
	v_lshrrev_b16 v33, 8, v82
	; wave barrier
	s_delay_alu instid0(VALU_DEP_1) | instskip(NEXT) | instid1(VALU_DEP_1)
	v_and_b32_e32 v33, s21, v33
	v_and_b32_e32 v34, 1, v33
	v_lshlrev_b32_e32 v35, 30, v33
	v_lshlrev_b32_e32 v36, 29, v33
	;; [unrolled: 1-line block ×4, first 2 shown]
	v_add_co_u32 v34, s19, v34, -1
	s_wait_alu 0xf1ff
	v_cndmask_b32_e64 v38, 0, 1, s19
	v_not_b32_e32 v102, v35
	v_cmp_gt_i32_e64 s20, 0, v35
	v_not_b32_e32 v35, v36
	v_lshlrev_b32_e32 v40, 26, v33
	v_cmp_ne_u32_e64 s19, 0, v38
	v_ashrrev_i32_e32 v102, 31, v102
	v_lshlrev_b32_e32 v101, 25, v33
	v_ashrrev_i32_e32 v35, 31, v35
	v_lshlrev_b32_e32 v38, 24, v33
	s_wait_alu 0xf1ff
	v_xor_b32_e32 v34, s19, v34
	v_cmp_gt_i32_e64 s19, 0, v36
	v_not_b32_e32 v36, v37
	v_xor_b32_e32 v102, s20, v102
	v_cmp_gt_i32_e64 s20, 0, v37
	v_and_b32_e32 v34, exec_lo, v34
	v_not_b32_e32 v37, v39
	v_ashrrev_i32_e32 v36, 31, v36
	s_wait_alu 0xf1ff
	v_xor_b32_e32 v35, s19, v35
	v_cmp_gt_i32_e64 s19, 0, v39
	v_and_b32_e32 v34, v34, v102
	v_not_b32_e32 v39, v40
	v_ashrrev_i32_e32 v37, 31, v37
	v_xor_b32_e32 v36, s20, v36
	v_cmp_gt_i32_e64 s20, 0, v40
	v_and_b32_e32 v34, v34, v35
	v_not_b32_e32 v35, v101
	v_ashrrev_i32_e32 v39, 31, v39
	s_wait_alu 0xf1ff
	v_xor_b32_e32 v37, s19, v37
	v_cmp_gt_i32_e64 s19, 0, v101
	v_and_b32_e32 v34, v34, v36
	v_not_b32_e32 v36, v38
	v_ashrrev_i32_e32 v35, 31, v35
	v_xor_b32_e32 v39, s20, v39
	v_cmp_gt_i32_e64 s20, 0, v38
	v_and_b32_e32 v34, v34, v37
	v_ashrrev_i32_e32 v36, 31, v36
	s_wait_alu 0xf1ff
	v_xor_b32_e32 v35, s19, v35
	v_lshl_add_u32 v103, v33, 4, v0
	v_and_b32_e32 v34, v34, v39
	v_xor_b32_e32 v33, s20, v36
	ds_load_b32 v101, v103 offset:16
	v_and_b32_e32 v34, v34, v35
	; wave barrier
	s_delay_alu instid0(VALU_DEP_1) | instskip(NEXT) | instid1(VALU_DEP_1)
	v_and_b32_e32 v33, v34, v33
	v_mbcnt_lo_u32_b32 v102, v33, 0
	v_cmp_ne_u32_e64 s20, 0, v33
	s_delay_alu instid0(VALU_DEP_2)
	v_cmp_eq_u32_e64 s19, 0, v102
	s_and_b32 s20, s20, s19
	s_wait_alu 0xfffe
	s_and_saveexec_b32 s19, s20
	s_cbranch_execz .LBB167_63
; %bb.62:
	s_wait_dscnt 0x0
	v_bcnt_u32_b32 v33, v33, v101
	ds_store_b32 v103, v33 offset:16
.LBB167_63:
	s_wait_alu 0xfffe
	s_or_b32 exec_lo, exec_lo, s19
	v_lshrrev_b16 v33, 8, v83
	; wave barrier
	s_delay_alu instid0(VALU_DEP_1) | instskip(NEXT) | instid1(VALU_DEP_1)
	v_and_b32_e32 v33, s21, v33
	v_and_b32_e32 v34, 1, v33
	v_lshlrev_b32_e32 v35, 30, v33
	v_lshlrev_b32_e32 v36, 29, v33
	;; [unrolled: 1-line block ×4, first 2 shown]
	v_add_co_u32 v34, s19, v34, -1
	s_wait_alu 0xf1ff
	v_cndmask_b32_e64 v38, 0, 1, s19
	v_not_b32_e32 v105, v35
	v_cmp_gt_i32_e64 s20, 0, v35
	v_not_b32_e32 v35, v36
	v_lshlrev_b32_e32 v40, 26, v33
	v_cmp_ne_u32_e64 s19, 0, v38
	v_ashrrev_i32_e32 v105, 31, v105
	v_lshlrev_b32_e32 v104, 25, v33
	v_ashrrev_i32_e32 v35, 31, v35
	v_lshlrev_b32_e32 v38, 24, v33
	s_wait_alu 0xf1ff
	v_xor_b32_e32 v34, s19, v34
	v_cmp_gt_i32_e64 s19, 0, v36
	v_not_b32_e32 v36, v37
	v_xor_b32_e32 v105, s20, v105
	v_cmp_gt_i32_e64 s20, 0, v37
	v_and_b32_e32 v34, exec_lo, v34
	v_not_b32_e32 v37, v39
	v_ashrrev_i32_e32 v36, 31, v36
	s_wait_alu 0xf1ff
	v_xor_b32_e32 v35, s19, v35
	v_cmp_gt_i32_e64 s19, 0, v39
	v_and_b32_e32 v34, v34, v105
	v_not_b32_e32 v39, v40
	v_ashrrev_i32_e32 v37, 31, v37
	v_xor_b32_e32 v36, s20, v36
	v_cmp_gt_i32_e64 s20, 0, v40
	v_and_b32_e32 v34, v34, v35
	v_not_b32_e32 v35, v104
	v_ashrrev_i32_e32 v39, 31, v39
	s_wait_alu 0xf1ff
	v_xor_b32_e32 v37, s19, v37
	v_cmp_gt_i32_e64 s19, 0, v104
	v_and_b32_e32 v34, v34, v36
	v_not_b32_e32 v36, v38
	v_ashrrev_i32_e32 v35, 31, v35
	v_xor_b32_e32 v39, s20, v39
	v_cmp_gt_i32_e64 s20, 0, v38
	v_and_b32_e32 v34, v34, v37
	v_ashrrev_i32_e32 v36, 31, v36
	s_wait_alu 0xf1ff
	v_xor_b32_e32 v35, s19, v35
	v_lshl_add_u32 v106, v33, 4, v0
	v_and_b32_e32 v34, v34, v39
	v_xor_b32_e32 v33, s20, v36
	ds_load_b32 v104, v106 offset:16
	v_and_b32_e32 v34, v34, v35
	; wave barrier
	s_delay_alu instid0(VALU_DEP_1) | instskip(NEXT) | instid1(VALU_DEP_1)
	v_and_b32_e32 v33, v34, v33
	v_mbcnt_lo_u32_b32 v105, v33, 0
	v_cmp_ne_u32_e64 s20, 0, v33
	s_delay_alu instid0(VALU_DEP_2)
	v_cmp_eq_u32_e64 s19, 0, v105
	s_and_b32 s20, s20, s19
	s_wait_alu 0xfffe
	s_and_saveexec_b32 s19, s20
	s_cbranch_execz .LBB167_65
; %bb.64:
	s_wait_dscnt 0x0
	v_bcnt_u32_b32 v33, v33, v104
	ds_store_b32 v106, v33 offset:16
.LBB167_65:
	s_wait_alu 0xfffe
	s_or_b32 exec_lo, exec_lo, s19
	v_lshrrev_b16 v33, 8, v84
	; wave barrier
	s_delay_alu instid0(VALU_DEP_1) | instskip(NEXT) | instid1(VALU_DEP_1)
	v_and_b32_e32 v33, s21, v33
	v_and_b32_e32 v34, 1, v33
	v_lshlrev_b32_e32 v35, 30, v33
	v_lshlrev_b32_e32 v36, 29, v33
	;; [unrolled: 1-line block ×4, first 2 shown]
	v_add_co_u32 v34, s19, v34, -1
	s_wait_alu 0xf1ff
	v_cndmask_b32_e64 v38, 0, 1, s19
	v_not_b32_e32 v108, v35
	v_cmp_gt_i32_e64 s20, 0, v35
	v_not_b32_e32 v35, v36
	v_lshlrev_b32_e32 v40, 26, v33
	v_cmp_ne_u32_e64 s19, 0, v38
	v_ashrrev_i32_e32 v108, 31, v108
	v_lshlrev_b32_e32 v107, 25, v33
	v_ashrrev_i32_e32 v35, 31, v35
	v_lshlrev_b32_e32 v38, 24, v33
	s_wait_alu 0xf1ff
	v_xor_b32_e32 v34, s19, v34
	v_cmp_gt_i32_e64 s19, 0, v36
	v_not_b32_e32 v36, v37
	v_xor_b32_e32 v108, s20, v108
	v_cmp_gt_i32_e64 s20, 0, v37
	v_and_b32_e32 v34, exec_lo, v34
	v_not_b32_e32 v37, v39
	v_ashrrev_i32_e32 v36, 31, v36
	s_wait_alu 0xf1ff
	v_xor_b32_e32 v35, s19, v35
	v_cmp_gt_i32_e64 s19, 0, v39
	v_and_b32_e32 v34, v34, v108
	v_not_b32_e32 v39, v40
	v_ashrrev_i32_e32 v37, 31, v37
	v_xor_b32_e32 v36, s20, v36
	v_cmp_gt_i32_e64 s20, 0, v40
	v_and_b32_e32 v34, v34, v35
	v_not_b32_e32 v35, v107
	v_ashrrev_i32_e32 v39, 31, v39
	s_wait_alu 0xf1ff
	v_xor_b32_e32 v37, s19, v37
	v_cmp_gt_i32_e64 s19, 0, v107
	v_and_b32_e32 v34, v34, v36
	v_not_b32_e32 v36, v38
	v_ashrrev_i32_e32 v35, 31, v35
	v_xor_b32_e32 v39, s20, v39
	v_cmp_gt_i32_e64 s20, 0, v38
	v_and_b32_e32 v34, v34, v37
	v_ashrrev_i32_e32 v36, 31, v36
	s_wait_alu 0xf1ff
	v_xor_b32_e32 v35, s19, v35
	v_lshl_add_u32 v109, v33, 4, v0
	v_and_b32_e32 v34, v34, v39
	v_xor_b32_e32 v33, s20, v36
	ds_load_b32 v107, v109 offset:16
	v_and_b32_e32 v34, v34, v35
	; wave barrier
	s_delay_alu instid0(VALU_DEP_1) | instskip(NEXT) | instid1(VALU_DEP_1)
	v_and_b32_e32 v33, v34, v33
	v_mbcnt_lo_u32_b32 v108, v33, 0
	v_cmp_ne_u32_e64 s20, 0, v33
	s_delay_alu instid0(VALU_DEP_2)
	v_cmp_eq_u32_e64 s19, 0, v108
	s_and_b32 s20, s20, s19
	s_wait_alu 0xfffe
	s_and_saveexec_b32 s19, s20
	s_cbranch_execz .LBB167_67
; %bb.66:
	s_wait_dscnt 0x0
	v_bcnt_u32_b32 v33, v33, v107
	ds_store_b32 v109, v33 offset:16
.LBB167_67:
	s_wait_alu 0xfffe
	s_or_b32 exec_lo, exec_lo, s19
	v_lshrrev_b16 v33, 8, v85
	; wave barrier
	s_delay_alu instid0(VALU_DEP_1) | instskip(NEXT) | instid1(VALU_DEP_1)
	v_and_b32_e32 v33, s21, v33
	v_and_b32_e32 v34, 1, v33
	v_lshlrev_b32_e32 v35, 30, v33
	v_lshlrev_b32_e32 v36, 29, v33
	;; [unrolled: 1-line block ×4, first 2 shown]
	v_add_co_u32 v34, s19, v34, -1
	s_wait_alu 0xf1ff
	v_cndmask_b32_e64 v38, 0, 1, s19
	v_not_b32_e32 v111, v35
	v_cmp_gt_i32_e64 s20, 0, v35
	v_not_b32_e32 v35, v36
	v_lshlrev_b32_e32 v40, 26, v33
	v_cmp_ne_u32_e64 s19, 0, v38
	v_ashrrev_i32_e32 v111, 31, v111
	v_lshlrev_b32_e32 v110, 25, v33
	v_ashrrev_i32_e32 v35, 31, v35
	v_lshlrev_b32_e32 v38, 24, v33
	s_wait_alu 0xf1ff
	v_xor_b32_e32 v34, s19, v34
	v_cmp_gt_i32_e64 s19, 0, v36
	v_not_b32_e32 v36, v37
	v_xor_b32_e32 v111, s20, v111
	v_cmp_gt_i32_e64 s20, 0, v37
	v_and_b32_e32 v34, exec_lo, v34
	v_not_b32_e32 v37, v39
	v_ashrrev_i32_e32 v36, 31, v36
	s_wait_alu 0xf1ff
	v_xor_b32_e32 v35, s19, v35
	v_cmp_gt_i32_e64 s19, 0, v39
	v_and_b32_e32 v34, v34, v111
	v_not_b32_e32 v39, v40
	v_ashrrev_i32_e32 v37, 31, v37
	v_xor_b32_e32 v36, s20, v36
	v_cmp_gt_i32_e64 s20, 0, v40
	v_and_b32_e32 v34, v34, v35
	v_not_b32_e32 v35, v110
	v_ashrrev_i32_e32 v39, 31, v39
	s_wait_alu 0xf1ff
	v_xor_b32_e32 v37, s19, v37
	v_cmp_gt_i32_e64 s19, 0, v110
	v_and_b32_e32 v34, v34, v36
	v_not_b32_e32 v36, v38
	v_ashrrev_i32_e32 v35, 31, v35
	v_xor_b32_e32 v39, s20, v39
	v_cmp_gt_i32_e64 s20, 0, v38
	v_and_b32_e32 v34, v34, v37
	v_ashrrev_i32_e32 v36, 31, v36
	s_wait_alu 0xf1ff
	v_xor_b32_e32 v35, s19, v35
	v_lshl_add_u32 v111, v33, 4, v0
	v_and_b32_e32 v34, v34, v39
	v_xor_b32_e32 v33, s20, v36
	ds_load_b32 v0, v111 offset:16
	v_and_b32_e32 v34, v34, v35
	; wave barrier
	s_delay_alu instid0(VALU_DEP_1) | instskip(NEXT) | instid1(VALU_DEP_1)
	v_and_b32_e32 v33, v34, v33
	v_mbcnt_lo_u32_b32 v110, v33, 0
	v_cmp_ne_u32_e64 s20, 0, v33
	s_delay_alu instid0(VALU_DEP_2)
	v_cmp_eq_u32_e64 s19, 0, v110
	s_and_b32 s20, s20, s19
	s_wait_alu 0xfffe
	s_and_saveexec_b32 s19, s20
	s_cbranch_execz .LBB167_69
; %bb.68:
	s_wait_dscnt 0x0
	v_bcnt_u32_b32 v33, v33, v0
	ds_store_b32 v111, v33 offset:16
.LBB167_69:
	s_wait_alu 0xfffe
	s_or_b32 exec_lo, exec_lo, s19
	; wave barrier
	s_wait_loadcnt_dscnt 0x0
	s_barrier_signal -1
	s_barrier_wait -1
	global_inv scope:SCOPE_SE
	ds_load_b128 v[37:40], v67 offset:16
	ds_load_b128 v[33:36], v67 offset:32
	s_wait_dscnt 0x1
	v_add_nc_u32_e32 v112, v38, v37
	s_delay_alu instid0(VALU_DEP_1) | instskip(SKIP_1) | instid1(VALU_DEP_1)
	v_add3_u32 v112, v112, v39, v40
	s_wait_dscnt 0x0
	v_add3_u32 v112, v112, v33, v34
	s_delay_alu instid0(VALU_DEP_1) | instskip(NEXT) | instid1(VALU_DEP_1)
	v_add3_u32 v36, v112, v35, v36
	v_mov_b32_dpp v112, v36 row_shr:1 row_mask:0xf bank_mask:0xf
	s_delay_alu instid0(VALU_DEP_1) | instskip(NEXT) | instid1(VALU_DEP_1)
	v_cndmask_b32_e64 v112, v112, 0, s8
	v_add_nc_u32_e32 v36, v112, v36
	s_delay_alu instid0(VALU_DEP_1) | instskip(NEXT) | instid1(VALU_DEP_1)
	v_mov_b32_dpp v112, v36 row_shr:2 row_mask:0xf bank_mask:0xf
	v_cndmask_b32_e64 v112, 0, v112, s10
	s_delay_alu instid0(VALU_DEP_1) | instskip(NEXT) | instid1(VALU_DEP_1)
	v_add_nc_u32_e32 v36, v36, v112
	v_mov_b32_dpp v112, v36 row_shr:4 row_mask:0xf bank_mask:0xf
	s_delay_alu instid0(VALU_DEP_1) | instskip(NEXT) | instid1(VALU_DEP_1)
	v_cndmask_b32_e64 v112, 0, v112, s11
	v_add_nc_u32_e32 v36, v36, v112
	s_delay_alu instid0(VALU_DEP_1) | instskip(NEXT) | instid1(VALU_DEP_1)
	v_mov_b32_dpp v112, v36 row_shr:8 row_mask:0xf bank_mask:0xf
	v_cndmask_b32_e64 v112, 0, v112, s13
	s_delay_alu instid0(VALU_DEP_1) | instskip(SKIP_3) | instid1(VALU_DEP_1)
	v_add_nc_u32_e32 v36, v36, v112
	ds_swizzle_b32 v112, v36 offset:swizzle(BROADCAST,32,15)
	s_wait_dscnt 0x0
	v_cndmask_b32_e64 v112, v112, 0, s16
	v_add_nc_u32_e32 v36, v36, v112
	s_and_saveexec_b32 s8, s14
; %bb.70:
	ds_store_b32 v86, v36
; %bb.71:
	s_wait_alu 0xfffe
	s_or_b32 exec_lo, exec_lo, s8
	s_wait_loadcnt_dscnt 0x0
	s_barrier_signal -1
	s_barrier_wait -1
	global_inv scope:SCOPE_SE
	s_and_saveexec_b32 s8, s15
	s_cbranch_execz .LBB167_73
; %bb.72:
	ds_load_b32 v86, v87
	s_wait_dscnt 0x0
	v_mov_b32_dpp v112, v86 row_shr:1 row_mask:0xf bank_mask:0xf
	s_delay_alu instid0(VALU_DEP_1) | instskip(NEXT) | instid1(VALU_DEP_1)
	v_cndmask_b32_e64 v112, v112, 0, s12
	v_add_nc_u32_e32 v86, v112, v86
	s_delay_alu instid0(VALU_DEP_1) | instskip(NEXT) | instid1(VALU_DEP_1)
	v_mov_b32_dpp v112, v86 row_shr:2 row_mask:0xf bank_mask:0xf
	v_cndmask_b32_e64 v112, 0, v112, s9
	s_delay_alu instid0(VALU_DEP_1)
	v_add_nc_u32_e32 v86, v86, v112
	ds_store_b32 v87, v86
.LBB167_73:
	s_wait_alu 0xfffe
	s_or_b32 exec_lo, exec_lo, s8
	v_mov_b32_e32 v86, 0
	s_wait_loadcnt_dscnt 0x0
	s_barrier_signal -1
	s_barrier_wait -1
	global_inv scope:SCOPE_SE
	s_and_saveexec_b32 s8, s17
; %bb.74:
	ds_load_b32 v86, v88
; %bb.75:
	s_wait_alu 0xfffe
	s_or_b32 exec_lo, exec_lo, s8
	s_wait_dscnt 0x0
	v_add_nc_u32_e32 v36, v86, v36
	ds_bpermute_b32 v36, v89, v36
	s_wait_dscnt 0x0
	v_cndmask_b32_e32 v36, v36, v86, vcc_lo
	s_delay_alu instid0(VALU_DEP_1) | instskip(NEXT) | instid1(VALU_DEP_1)
	v_cndmask_b32_e64 v36, v36, 0, s18
	v_add_nc_u32_e32 v37, v36, v37
	s_delay_alu instid0(VALU_DEP_1) | instskip(NEXT) | instid1(VALU_DEP_1)
	v_add_nc_u32_e32 v38, v37, v38
	v_add_nc_u32_e32 v39, v38, v39
	s_delay_alu instid0(VALU_DEP_1) | instskip(NEXT) | instid1(VALU_DEP_1)
	v_add_nc_u32_e32 v86, v39, v40
	;; [unrolled: 3-line block ×3, first 2 shown]
	v_add_nc_u32_e32 v89, v88, v35
	ds_store_b128 v67, v[36:39] offset:16
	ds_store_b128 v67, v[86:89] offset:32
	s_wait_loadcnt_dscnt 0x0
	s_barrier_signal -1
	s_barrier_wait -1
	global_inv scope:SCOPE_SE
	ds_load_b32 v33, v111 offset:16
	ds_load_b32 v34, v109 offset:16
	;; [unrolled: 1-line block ×8, first 2 shown]
	v_lshlrev_b32_e32 v86, 1, v66
	s_wait_loadcnt_dscnt 0x0
	s_barrier_signal -1
	s_barrier_wait -1
	global_inv scope:SCOPE_SE
	v_mad_u32_u24 v87, v46, 48, v86
	v_add3_u32 v88, v110, v0, v33
	v_add3_u32 v89, v108, v107, v34
	;; [unrolled: 1-line block ×3, first 2 shown]
	v_add_nc_u32_e32 v90, v36, v90
	v_add3_u32 v92, v93, v92, v37
	v_add3_u32 v93, v96, v95, v38
	;; [unrolled: 1-line block ×4, first 2 shown]
	v_lshlrev_b32_e32 v0, 1, v90
	v_lshlrev_b32_e32 v33, 1, v92
	;; [unrolled: 1-line block ×8, first 2 shown]
	ds_store_b16 v0, v78
	ds_store_b16 v33, v79
	;; [unrolled: 1-line block ×8, first 2 shown]
	v_mad_co_u64_u32 v[78:79], null, v90, 6, v[0:1]
	v_mad_co_u64_u32 v[79:80], null, v92, 6, v[33:34]
	;; [unrolled: 1-line block ×5, first 2 shown]
	s_wait_loadcnt_dscnt 0x0
	s_barrier_signal -1
	s_barrier_wait -1
	global_inv scope:SCOPE_SE
	v_mad_co_u64_u32 v[83:84], null, v91, 6, v[37:38]
	ds_load_b128 v[33:36], v86
	v_mad_co_u64_u32 v[37:38], null, v89, 6, v[38:39]
	v_mad_co_u64_u32 v[38:39], null, v88, 6, v[39:40]
	s_wait_loadcnt_dscnt 0x0
	s_barrier_signal -1
	s_barrier_wait -1
	global_inv scope:SCOPE_SE
	ds_store_b64 v78, v[21:22]
	ds_store_b64 v79, v[23:24]
	;; [unrolled: 1-line block ×8, first 2 shown]
	s_wait_loadcnt_dscnt 0x0
	s_barrier_signal -1
	s_barrier_wait -1
	global_inv scope:SCOPE_SE
	ds_load_b128 v[29:32], v87
	ds_load_b128 v[25:28], v87 offset:16
	ds_load_b128 v[21:24], v87 offset:32
	;; [unrolled: 1-line block ×3, first 2 shown]
	v_xor_b32_e32 v0, 0x80008000, v33
	v_xor_b32_e32 v34, 0x80008000, v34
	;; [unrolled: 1-line block ×4, first 2 shown]
	s_branch .LBB167_128
.LBB167_76:
	v_lshlrev_b64_e32 v[1:2], 3, v[41:42]
	v_dual_mov_b32 v43, v42 :: v_dual_mov_b32 v10, v42
	v_dual_mov_b32 v9, v42 :: v_dual_mov_b32 v12, v42
	v_mov_b32_e32 v11, v42
	s_delay_alu instid0(VALU_DEP_4)
	v_add_co_u32 v1, vcc_lo, s34, v1
	s_wait_alu 0xfffd
	v_add_co_ci_u32_e64 v2, null, s35, v2, vcc_lo
	v_dual_mov_b32 v3, v42 :: v_dual_mov_b32 v6, v42
	v_dual_mov_b32 v5, v42 :: v_dual_mov_b32 v8, v42
	global_load_b64 v[13:14], v[1:2], off
	v_dual_mov_b32 v1, v42 :: v_dual_mov_b32 v4, v42
	v_dual_mov_b32 v2, v42 :: v_dual_mov_b32 v7, v42
	s_or_b32 exec_lo, exec_lo, s9
	s_and_saveexec_b32 s9, s1
	s_cbranch_execz .LBB167_22
.LBB167_77:
	v_mul_lo_u32 v22, s28, v15
	v_mov_b32_e32 v23, 0
	s_delay_alu instid0(VALU_DEP_1) | instskip(NEXT) | instid1(VALU_DEP_1)
	v_lshlrev_b64_e32 v[22:23], 3, v[22:23]
	v_add_co_u32 v22, vcc_lo, s34, v22
	s_wait_alu 0xfffd
	s_delay_alu instid0(VALU_DEP_2)
	v_add_co_ci_u32_e64 v23, null, s35, v23, vcc_lo
	global_load_b64 v[42:43], v[22:23], off
	s_or_b32 exec_lo, exec_lo, s9
	s_and_saveexec_b32 s9, s2
	s_cbranch_execz .LBB167_23
.LBB167_78:
	v_mul_lo_u32 v9, s28, v16
	v_mov_b32_e32 v10, 0
	s_delay_alu instid0(VALU_DEP_1) | instskip(NEXT) | instid1(VALU_DEP_1)
	v_lshlrev_b64_e32 v[9:10], 3, v[9:10]
	v_add_co_u32 v9, vcc_lo, s34, v9
	s_wait_alu 0xfffd
	s_delay_alu instid0(VALU_DEP_2)
	v_add_co_ci_u32_e64 v10, null, s35, v10, vcc_lo
	global_load_b64 v[9:10], v[9:10], off
	s_or_b32 exec_lo, exec_lo, s9
	s_and_saveexec_b32 s9, s3
	s_cbranch_execz .LBB167_24
.LBB167_79:
	v_mul_lo_u32 v11, s28, v17
	v_mov_b32_e32 v12, 0
	s_delay_alu instid0(VALU_DEP_1) | instskip(NEXT) | instid1(VALU_DEP_1)
	v_lshlrev_b64_e32 v[11:12], 3, v[11:12]
	v_add_co_u32 v11, vcc_lo, s34, v11
	s_wait_alu 0xfffd
	s_delay_alu instid0(VALU_DEP_2)
	v_add_co_ci_u32_e64 v12, null, s35, v12, vcc_lo
	global_load_b64 v[11:12], v[11:12], off
	s_or_b32 exec_lo, exec_lo, s9
	s_and_saveexec_b32 s9, s4
	s_cbranch_execz .LBB167_25
.LBB167_80:
	v_mul_lo_u32 v1, s28, v18
	v_mov_b32_e32 v2, 0
	s_delay_alu instid0(VALU_DEP_1) | instskip(NEXT) | instid1(VALU_DEP_1)
	v_lshlrev_b64_e32 v[1:2], 3, v[1:2]
	v_add_co_u32 v1, vcc_lo, s34, v1
	s_wait_alu 0xfffd
	s_delay_alu instid0(VALU_DEP_2)
	v_add_co_ci_u32_e64 v2, null, s35, v2, vcc_lo
	global_load_b64 v[1:2], v[1:2], off
	s_or_b32 exec_lo, exec_lo, s9
	s_and_saveexec_b32 s9, s5
	s_cbranch_execz .LBB167_26
.LBB167_81:
	v_mul_lo_u32 v3, s28, v19
	v_mov_b32_e32 v4, 0
	s_delay_alu instid0(VALU_DEP_1) | instskip(NEXT) | instid1(VALU_DEP_1)
	v_lshlrev_b64_e32 v[3:4], 3, v[3:4]
	v_add_co_u32 v3, vcc_lo, s34, v3
	s_wait_alu 0xfffd
	s_delay_alu instid0(VALU_DEP_2)
	v_add_co_ci_u32_e64 v4, null, s35, v4, vcc_lo
	global_load_b64 v[3:4], v[3:4], off
	s_or_b32 exec_lo, exec_lo, s9
	s_and_saveexec_b32 s9, s6
	s_cbranch_execnz .LBB167_27
	s_branch .LBB167_28
.LBB167_82:
                                        ; implicit-def: $vgpr33
                                        ; implicit-def: $vgpr34
                                        ; implicit-def: $vgpr0
                                        ; implicit-def: $vgpr19_vgpr20
                                        ; implicit-def: $vgpr23_vgpr24
                                        ; implicit-def: $vgpr27_vgpr28
                                        ; implicit-def: $vgpr31_vgpr32
                                        ; implicit-def: $vgpr35
	s_and_b32 vcc_lo, exec_lo, s8
	s_wait_alu 0xfffe
	s_cbranch_vccz .LBB167_128
; %bb.83:
	s_wait_dscnt 0x0
	v_xor_b32_e32 v17, 0x7fff7fff, v49
	v_xor_b32_e32 v18, 0x7fff7fff, v50
	;; [unrolled: 1-line block ×4, first 2 shown]
	s_getpc_b64 s[8:9]
	s_sext_i32_i16 s9, s9
	s_add_co_u32 s8, s8, _ZN7rocprim17ROCPRIM_400000_NS16block_radix_sortIsLj128ELj8ElLj1ELj1ELj0ELNS0_26block_radix_rank_algorithmE1ELNS0_18block_padding_hintE2ELNS0_4arch9wavefront6targetE0EE19radix_bits_per_passE@rel32@lo+8
	s_add_co_ci_u32 s9, s9, _ZN7rocprim17ROCPRIM_400000_NS16block_radix_sortIsLj128ELj8ElLj1ELj1ELj0ELNS0_26block_radix_rank_algorithmE1ELNS0_18block_padding_hintE2ELNS0_4arch9wavefront6targetE0EE19radix_bits_per_passE@rel32@hi+16
	s_mov_b32 s12, 0
	s_load_b32 s19, s[8:9], 0x0
	s_mov_b32 s13, s12
	ds_store_b128 v77, v[17:20]
	; wave barrier
	ds_load_u16 v25, v68
	s_mov_b32 s14, s12
	s_mov_b32 s15, s12
	v_mad_u32_u24 v0, v76, 6, v77
	ds_load_u16 v26, v68 offset:64
	ds_load_u16 v27, v68 offset:128
	;; [unrolled: 1-line block ×7, first 2 shown]
	s_wait_loadcnt_dscnt 0x0
	s_barrier_signal -1
	s_barrier_wait -1
	global_inv scope:SCOPE_SE
	ds_store_b128 v0, v[5:8]
	ds_store_b128 v0, v[1:4] offset:16
	ds_store_b128 v0, v[13:16] offset:32
	;; [unrolled: 1-line block ×3, first 2 shown]
	; wave barrier
	ds_load_2addr_b64 v[4:7], v75 offset1:32
	ds_load_2addr_b64 v[0:3], v75 offset0:64 offset1:96
	ds_load_2addr_b64 v[12:15], v75 offset0:128 offset1:160
	;; [unrolled: 1-line block ×3, first 2 shown]
	s_wait_kmcnt 0x0
	s_min_u32 s8, s19, 16
	s_wait_loadcnt_dscnt 0x0
	s_lshl_b32 s8, -1, s8
	s_barrier_signal -1
	s_not_b32 s9, s8
	v_and_b32_e32 v17, 0xffff, v25
	s_barrier_wait -1
	global_inv scope:SCOPE_SE
	s_load_b32 s10, s[36:37], 0xc
	v_and_b32_e32 v23, s9, v17
	s_delay_alu instid0(VALU_DEP_1) | instskip(SKIP_3) | instid1(VALU_DEP_4)
	v_and_b32_e32 v16, 1, v23
	v_lshlrev_b32_e32 v17, 30, v23
	v_lshlrev_b32_e32 v20, 28, v23
	;; [unrolled: 1-line block ×3, first 2 shown]
	v_add_co_u32 v16, s8, v16, -1
	s_wait_alu 0xf1ff
	v_cndmask_b32_e64 v18, 0, 1, s8
	v_not_b32_e32 v19, v17
	v_cmp_gt_i32_e64 s8, 0, v17
	s_delay_alu instid0(VALU_DEP_3) | instskip(SKIP_1) | instid1(VALU_DEP_4)
	v_cmp_ne_u32_e32 vcc_lo, 0, v18
	v_lshlrev_b32_e32 v18, 29, v23
	v_ashrrev_i32_e32 v17, 31, v19
	s_wait_alu 0xfffd
	v_xor_b32_e32 v16, vcc_lo, v16
	s_delay_alu instid0(VALU_DEP_3)
	v_not_b32_e32 v19, v18
	s_wait_alu 0xf1ff
	v_xor_b32_e32 v17, s8, v17
	v_cmp_gt_i32_e32 vcc_lo, 0, v18
	s_wait_kmcnt 0x0
	s_lshr_b32 s8, s10, 16
	v_and_b32_e32 v16, exec_lo, v16
	v_ashrrev_i32_e32 v18, 31, v19
	v_not_b32_e32 v19, v20
	s_and_b32 s10, s10, 0xffff
	s_delay_alu instid0(VALU_DEP_3)
	v_and_b32_e32 v16, v16, v17
	s_wait_alu 0xfffd
	v_xor_b32_e32 v17, vcc_lo, v18
	v_cmp_gt_i32_e32 vcc_lo, 0, v20
	v_ashrrev_i32_e32 v18, 31, v19
	v_not_b32_e32 v19, v21
	s_delay_alu instid0(VALU_DEP_4)
	v_and_b32_e32 v16, v16, v17
	v_lshlrev_b32_e32 v17, 26, v23
	s_wait_alu 0xfffd
	v_xor_b32_e32 v18, vcc_lo, v18
	v_cmp_gt_i32_e32 vcc_lo, 0, v21
	v_ashrrev_i32_e32 v19, 31, v19
	v_not_b32_e32 v20, v17
	s_delay_alu instid0(VALU_DEP_4)
	v_and_b32_e32 v16, v16, v18
	v_lshlrev_b32_e32 v18, 25, v23
	;; [unrolled: 8-line block ×3, first 2 shown]
	s_wait_alu 0xfffd
	v_xor_b32_e32 v17, vcc_lo, v17
	v_cmp_gt_i32_e32 vcc_lo, 0, v18
	v_ashrrev_i32_e32 v18, 31, v20
	s_wait_alu 0xfffe
	v_mad_u32_u24 v20, v74, s8, v73
	v_not_b32_e32 v21, v19
	v_and_b32_e32 v16, v16, v17
	s_wait_alu 0xfffd
	v_xor_b32_e32 v17, vcc_lo, v18
	v_cmp_gt_i32_e32 vcc_lo, 0, v19
	v_ashrrev_i32_e32 v18, 31, v21
	v_mad_co_u64_u32 v[21:22], null, v20, s10, v[46:47]
	s_delay_alu instid0(VALU_DEP_4) | instskip(SKIP_1) | instid1(VALU_DEP_3)
	v_and_b32_e32 v16, v16, v17
	s_wait_alu 0xfffd
	v_xor_b32_e32 v22, vcc_lo, v18
	v_dual_mov_b32 v20, s15 :: v_dual_mov_b32 v19, s14
	v_dual_mov_b32 v18, s13 :: v_dual_mov_b32 v17, s12
	s_delay_alu instid0(VALU_DEP_3)
	v_and_b32_e32 v16, v16, v22
	v_lshrrev_b32_e32 v21, 5, v21
	ds_store_b128 v67, v[17:20] offset:16
	ds_store_b128 v67, v[17:20] offset:32
	v_mbcnt_lo_u32_b32 v37, v16, 0
	v_lshlrev_b32_e32 v24, 2, v21
	v_lshlrev_b32_e32 v17, 4, v23
	v_cmp_ne_u32_e64 s8, 0, v16
	s_wait_loadcnt_dscnt 0x0
	v_cmp_eq_u32_e32 vcc_lo, 0, v37
	s_barrier_signal -1
	v_add_nc_u32_e32 v38, v24, v17
	s_barrier_wait -1
	global_inv scope:SCOPE_SE
	s_and_b32 s10, s8, vcc_lo
	; wave barrier
	s_wait_alu 0xfffe
	s_and_saveexec_b32 s8, s10
; %bb.84:
	v_bcnt_u32_b32 v16, v16, 0
	ds_store_b32 v38, v16 offset:16
; %bb.85:
	s_wait_alu 0xfffe
	s_or_b32 exec_lo, exec_lo, s8
	v_and_b32_e32 v16, 0xffff, v26
	; wave barrier
	s_delay_alu instid0(VALU_DEP_1) | instskip(NEXT) | instid1(VALU_DEP_1)
	v_and_b32_e32 v16, s9, v16
	v_and_b32_e32 v17, 1, v16
	v_lshlrev_b32_e32 v18, 30, v16
	v_lshlrev_b32_e32 v19, 29, v16
	;; [unrolled: 1-line block ×4, first 2 shown]
	v_add_co_u32 v17, s8, v17, -1
	s_wait_alu 0xf1ff
	v_cndmask_b32_e64 v21, 0, 1, s8
	v_not_b32_e32 v34, v18
	v_cmp_gt_i32_e64 s8, 0, v18
	v_not_b32_e32 v18, v19
	v_lshlrev_b32_e32 v23, 26, v16
	v_cmp_ne_u32_e32 vcc_lo, 0, v21
	v_ashrrev_i32_e32 v34, 31, v34
	v_lshlrev_b32_e32 v33, 25, v16
	v_ashrrev_i32_e32 v18, 31, v18
	v_lshlrev_b32_e32 v21, 24, v16
	s_wait_alu 0xfffd
	v_xor_b32_e32 v17, vcc_lo, v17
	v_cmp_gt_i32_e32 vcc_lo, 0, v19
	v_not_b32_e32 v19, v20
	s_wait_alu 0xf1ff
	v_xor_b32_e32 v34, s8, v34
	v_cmp_gt_i32_e64 s8, 0, v20
	v_and_b32_e32 v17, exec_lo, v17
	v_not_b32_e32 v20, v22
	v_ashrrev_i32_e32 v19, 31, v19
	s_wait_alu 0xfffd
	v_xor_b32_e32 v18, vcc_lo, v18
	v_cmp_gt_i32_e32 vcc_lo, 0, v22
	v_and_b32_e32 v17, v17, v34
	v_not_b32_e32 v22, v23
	v_ashrrev_i32_e32 v20, 31, v20
	s_wait_alu 0xf1ff
	v_xor_b32_e32 v19, s8, v19
	v_cmp_gt_i32_e64 s8, 0, v23
	v_and_b32_e32 v17, v17, v18
	v_not_b32_e32 v18, v33
	v_ashrrev_i32_e32 v22, 31, v22
	s_wait_alu 0xfffd
	v_xor_b32_e32 v20, vcc_lo, v20
	v_cmp_gt_i32_e32 vcc_lo, 0, v33
	v_and_b32_e32 v17, v17, v19
	v_not_b32_e32 v19, v21
	v_ashrrev_i32_e32 v18, 31, v18
	s_wait_alu 0xf1ff
	v_xor_b32_e32 v22, s8, v22
	v_lshlrev_b32_e32 v16, 4, v16
	v_and_b32_e32 v17, v17, v20
	v_cmp_gt_i32_e64 s8, 0, v21
	v_ashrrev_i32_e32 v19, 31, v19
	s_wait_alu 0xfffd
	v_xor_b32_e32 v18, vcc_lo, v18
	v_add_nc_u32_e32 v47, v24, v16
	v_and_b32_e32 v17, v17, v22
	s_wait_alu 0xf1ff
	v_xor_b32_e32 v16, s8, v19
	ds_load_b32 v39, v47 offset:16
	v_and_b32_e32 v17, v17, v18
	; wave barrier
	s_delay_alu instid0(VALU_DEP_1) | instskip(NEXT) | instid1(VALU_DEP_1)
	v_and_b32_e32 v16, v17, v16
	v_mbcnt_lo_u32_b32 v40, v16, 0
	v_cmp_ne_u32_e64 s8, 0, v16
	s_delay_alu instid0(VALU_DEP_2)
	v_cmp_eq_u32_e32 vcc_lo, 0, v40
	s_and_b32 s10, s8, vcc_lo
	s_wait_alu 0xfffe
	s_and_saveexec_b32 s8, s10
	s_cbranch_execz .LBB167_87
; %bb.86:
	s_wait_dscnt 0x0
	v_bcnt_u32_b32 v16, v16, v39
	ds_store_b32 v47, v16 offset:16
.LBB167_87:
	s_wait_alu 0xfffe
	s_or_b32 exec_lo, exec_lo, s8
	v_and_b32_e32 v16, 0xffff, v27
	; wave barrier
	s_delay_alu instid0(VALU_DEP_1) | instskip(NEXT) | instid1(VALU_DEP_1)
	v_and_b32_e32 v16, s9, v16
	v_and_b32_e32 v17, 1, v16
	v_lshlrev_b32_e32 v18, 30, v16
	v_lshlrev_b32_e32 v19, 29, v16
	;; [unrolled: 1-line block ×4, first 2 shown]
	v_add_co_u32 v17, s8, v17, -1
	s_wait_alu 0xf1ff
	v_cndmask_b32_e64 v21, 0, 1, s8
	v_not_b32_e32 v34, v18
	v_cmp_gt_i32_e64 s8, 0, v18
	v_not_b32_e32 v18, v19
	v_lshlrev_b32_e32 v23, 26, v16
	v_cmp_ne_u32_e32 vcc_lo, 0, v21
	v_ashrrev_i32_e32 v34, 31, v34
	v_lshlrev_b32_e32 v33, 25, v16
	v_ashrrev_i32_e32 v18, 31, v18
	v_lshlrev_b32_e32 v21, 24, v16
	s_wait_alu 0xfffd
	v_xor_b32_e32 v17, vcc_lo, v17
	v_cmp_gt_i32_e32 vcc_lo, 0, v19
	v_not_b32_e32 v19, v20
	s_wait_alu 0xf1ff
	v_xor_b32_e32 v34, s8, v34
	v_cmp_gt_i32_e64 s8, 0, v20
	v_and_b32_e32 v17, exec_lo, v17
	v_not_b32_e32 v20, v22
	v_ashrrev_i32_e32 v19, 31, v19
	s_wait_alu 0xfffd
	v_xor_b32_e32 v18, vcc_lo, v18
	v_cmp_gt_i32_e32 vcc_lo, 0, v22
	v_and_b32_e32 v17, v17, v34
	v_not_b32_e32 v22, v23
	v_ashrrev_i32_e32 v20, 31, v20
	s_wait_alu 0xf1ff
	v_xor_b32_e32 v19, s8, v19
	v_cmp_gt_i32_e64 s8, 0, v23
	v_and_b32_e32 v17, v17, v18
	v_not_b32_e32 v18, v33
	v_ashrrev_i32_e32 v22, 31, v22
	s_wait_alu 0xfffd
	v_xor_b32_e32 v20, vcc_lo, v20
	v_cmp_gt_i32_e32 vcc_lo, 0, v33
	v_and_b32_e32 v17, v17, v19
	v_not_b32_e32 v19, v21
	v_ashrrev_i32_e32 v18, 31, v18
	s_wait_alu 0xf1ff
	v_xor_b32_e32 v22, s8, v22
	v_lshlrev_b32_e32 v16, 4, v16
	v_and_b32_e32 v17, v17, v20
	v_cmp_gt_i32_e64 s8, 0, v21
	v_ashrrev_i32_e32 v19, 31, v19
	s_wait_alu 0xfffd
	v_xor_b32_e32 v18, vcc_lo, v18
	v_add_nc_u32_e32 v50, v24, v16
	v_and_b32_e32 v17, v17, v22
	s_wait_alu 0xf1ff
	v_xor_b32_e32 v16, s8, v19
	ds_load_b32 v48, v50 offset:16
	v_and_b32_e32 v17, v17, v18
	; wave barrier
	s_delay_alu instid0(VALU_DEP_1) | instskip(NEXT) | instid1(VALU_DEP_1)
	v_and_b32_e32 v16, v17, v16
	v_mbcnt_lo_u32_b32 v49, v16, 0
	v_cmp_ne_u32_e64 s8, 0, v16
	s_delay_alu instid0(VALU_DEP_2)
	v_cmp_eq_u32_e32 vcc_lo, 0, v49
	s_and_b32 s10, s8, vcc_lo
	s_wait_alu 0xfffe
	s_and_saveexec_b32 s8, s10
	s_cbranch_execz .LBB167_89
; %bb.88:
	s_wait_dscnt 0x0
	v_bcnt_u32_b32 v16, v16, v48
	ds_store_b32 v50, v16 offset:16
.LBB167_89:
	s_wait_alu 0xfffe
	s_or_b32 exec_lo, exec_lo, s8
	v_and_b32_e32 v16, 0xffff, v28
	; wave barrier
	s_delay_alu instid0(VALU_DEP_1) | instskip(NEXT) | instid1(VALU_DEP_1)
	v_and_b32_e32 v16, s9, v16
	v_and_b32_e32 v17, 1, v16
	v_lshlrev_b32_e32 v18, 30, v16
	v_lshlrev_b32_e32 v19, 29, v16
	;; [unrolled: 1-line block ×4, first 2 shown]
	v_add_co_u32 v17, s8, v17, -1
	s_wait_alu 0xf1ff
	v_cndmask_b32_e64 v21, 0, 1, s8
	v_not_b32_e32 v34, v18
	v_cmp_gt_i32_e64 s8, 0, v18
	v_not_b32_e32 v18, v19
	v_lshlrev_b32_e32 v23, 26, v16
	v_cmp_ne_u32_e32 vcc_lo, 0, v21
	v_ashrrev_i32_e32 v34, 31, v34
	v_lshlrev_b32_e32 v33, 25, v16
	v_ashrrev_i32_e32 v18, 31, v18
	v_lshlrev_b32_e32 v21, 24, v16
	s_wait_alu 0xfffd
	v_xor_b32_e32 v17, vcc_lo, v17
	v_cmp_gt_i32_e32 vcc_lo, 0, v19
	v_not_b32_e32 v19, v20
	s_wait_alu 0xf1ff
	v_xor_b32_e32 v34, s8, v34
	v_cmp_gt_i32_e64 s8, 0, v20
	v_and_b32_e32 v17, exec_lo, v17
	v_not_b32_e32 v20, v22
	v_ashrrev_i32_e32 v19, 31, v19
	s_wait_alu 0xfffd
	v_xor_b32_e32 v18, vcc_lo, v18
	v_cmp_gt_i32_e32 vcc_lo, 0, v22
	v_and_b32_e32 v17, v17, v34
	v_not_b32_e32 v22, v23
	v_ashrrev_i32_e32 v20, 31, v20
	s_wait_alu 0xf1ff
	v_xor_b32_e32 v19, s8, v19
	v_cmp_gt_i32_e64 s8, 0, v23
	v_and_b32_e32 v17, v17, v18
	v_not_b32_e32 v18, v33
	v_ashrrev_i32_e32 v22, 31, v22
	s_wait_alu 0xfffd
	v_xor_b32_e32 v20, vcc_lo, v20
	v_cmp_gt_i32_e32 vcc_lo, 0, v33
	v_and_b32_e32 v17, v17, v19
	v_not_b32_e32 v19, v21
	v_ashrrev_i32_e32 v18, 31, v18
	s_wait_alu 0xf1ff
	v_xor_b32_e32 v22, s8, v22
	v_lshlrev_b32_e32 v16, 4, v16
	v_and_b32_e32 v17, v17, v20
	v_cmp_gt_i32_e64 s8, 0, v21
	v_ashrrev_i32_e32 v19, 31, v19
	s_wait_alu 0xfffd
	v_xor_b32_e32 v18, vcc_lo, v18
	v_add_nc_u32_e32 v75, v24, v16
	v_and_b32_e32 v17, v17, v22
	s_wait_alu 0xf1ff
	v_xor_b32_e32 v16, s8, v19
	ds_load_b32 v73, v75 offset:16
	v_and_b32_e32 v17, v17, v18
	; wave barrier
	s_delay_alu instid0(VALU_DEP_1) | instskip(NEXT) | instid1(VALU_DEP_1)
	v_and_b32_e32 v16, v17, v16
	v_mbcnt_lo_u32_b32 v74, v16, 0
	v_cmp_ne_u32_e64 s8, 0, v16
	s_delay_alu instid0(VALU_DEP_2)
	v_cmp_eq_u32_e32 vcc_lo, 0, v74
	s_and_b32 s10, s8, vcc_lo
	s_wait_alu 0xfffe
	s_and_saveexec_b32 s8, s10
	s_cbranch_execz .LBB167_91
; %bb.90:
	s_wait_dscnt 0x0
	v_bcnt_u32_b32 v16, v16, v73
	ds_store_b32 v75, v16 offset:16
.LBB167_91:
	s_wait_alu 0xfffe
	s_or_b32 exec_lo, exec_lo, s8
	v_and_b32_e32 v16, 0xffff, v29
	; wave barrier
	s_delay_alu instid0(VALU_DEP_1) | instskip(NEXT) | instid1(VALU_DEP_1)
	v_and_b32_e32 v16, s9, v16
	v_and_b32_e32 v17, 1, v16
	v_lshlrev_b32_e32 v18, 30, v16
	v_lshlrev_b32_e32 v19, 29, v16
	;; [unrolled: 1-line block ×4, first 2 shown]
	v_add_co_u32 v17, s8, v17, -1
	s_wait_alu 0xf1ff
	v_cndmask_b32_e64 v21, 0, 1, s8
	v_not_b32_e32 v34, v18
	v_cmp_gt_i32_e64 s8, 0, v18
	v_not_b32_e32 v18, v19
	v_lshlrev_b32_e32 v23, 26, v16
	v_cmp_ne_u32_e32 vcc_lo, 0, v21
	v_ashrrev_i32_e32 v34, 31, v34
	v_lshlrev_b32_e32 v33, 25, v16
	v_ashrrev_i32_e32 v18, 31, v18
	v_lshlrev_b32_e32 v21, 24, v16
	s_wait_alu 0xfffd
	v_xor_b32_e32 v17, vcc_lo, v17
	v_cmp_gt_i32_e32 vcc_lo, 0, v19
	v_not_b32_e32 v19, v20
	s_wait_alu 0xf1ff
	v_xor_b32_e32 v34, s8, v34
	v_cmp_gt_i32_e64 s8, 0, v20
	v_and_b32_e32 v17, exec_lo, v17
	v_not_b32_e32 v20, v22
	v_ashrrev_i32_e32 v19, 31, v19
	s_wait_alu 0xfffd
	v_xor_b32_e32 v18, vcc_lo, v18
	v_cmp_gt_i32_e32 vcc_lo, 0, v22
	v_and_b32_e32 v17, v17, v34
	v_not_b32_e32 v22, v23
	v_ashrrev_i32_e32 v20, 31, v20
	s_wait_alu 0xf1ff
	v_xor_b32_e32 v19, s8, v19
	v_cmp_gt_i32_e64 s8, 0, v23
	v_and_b32_e32 v17, v17, v18
	v_not_b32_e32 v18, v33
	v_ashrrev_i32_e32 v22, 31, v22
	s_wait_alu 0xfffd
	v_xor_b32_e32 v20, vcc_lo, v20
	v_cmp_gt_i32_e32 vcc_lo, 0, v33
	v_and_b32_e32 v17, v17, v19
	v_not_b32_e32 v19, v21
	v_ashrrev_i32_e32 v18, 31, v18
	s_wait_alu 0xf1ff
	v_xor_b32_e32 v22, s8, v22
	v_lshlrev_b32_e32 v16, 4, v16
	v_and_b32_e32 v17, v17, v20
	v_cmp_gt_i32_e64 s8, 0, v21
	v_ashrrev_i32_e32 v19, 31, v19
	s_wait_alu 0xfffd
	v_xor_b32_e32 v18, vcc_lo, v18
	v_add_nc_u32_e32 v78, v24, v16
	v_and_b32_e32 v17, v17, v22
	s_wait_alu 0xf1ff
	v_xor_b32_e32 v16, s8, v19
	ds_load_b32 v76, v78 offset:16
	v_and_b32_e32 v17, v17, v18
	; wave barrier
	s_delay_alu instid0(VALU_DEP_1) | instskip(NEXT) | instid1(VALU_DEP_1)
	v_and_b32_e32 v16, v17, v16
	v_mbcnt_lo_u32_b32 v77, v16, 0
	v_cmp_ne_u32_e64 s8, 0, v16
	s_delay_alu instid0(VALU_DEP_2)
	v_cmp_eq_u32_e32 vcc_lo, 0, v77
	s_and_b32 s10, s8, vcc_lo
	s_wait_alu 0xfffe
	s_and_saveexec_b32 s8, s10
	s_cbranch_execz .LBB167_93
; %bb.92:
	s_wait_dscnt 0x0
	v_bcnt_u32_b32 v16, v16, v76
	ds_store_b32 v78, v16 offset:16
.LBB167_93:
	s_wait_alu 0xfffe
	s_or_b32 exec_lo, exec_lo, s8
	v_and_b32_e32 v16, 0xffff, v30
	; wave barrier
	s_delay_alu instid0(VALU_DEP_1) | instskip(NEXT) | instid1(VALU_DEP_1)
	v_and_b32_e32 v16, s9, v16
	v_and_b32_e32 v17, 1, v16
	v_lshlrev_b32_e32 v18, 30, v16
	v_lshlrev_b32_e32 v19, 29, v16
	;; [unrolled: 1-line block ×4, first 2 shown]
	v_add_co_u32 v17, s8, v17, -1
	s_wait_alu 0xf1ff
	v_cndmask_b32_e64 v21, 0, 1, s8
	v_not_b32_e32 v34, v18
	v_cmp_gt_i32_e64 s8, 0, v18
	v_not_b32_e32 v18, v19
	v_lshlrev_b32_e32 v23, 26, v16
	v_cmp_ne_u32_e32 vcc_lo, 0, v21
	v_ashrrev_i32_e32 v34, 31, v34
	v_lshlrev_b32_e32 v33, 25, v16
	v_ashrrev_i32_e32 v18, 31, v18
	v_lshlrev_b32_e32 v21, 24, v16
	s_wait_alu 0xfffd
	v_xor_b32_e32 v17, vcc_lo, v17
	v_cmp_gt_i32_e32 vcc_lo, 0, v19
	v_not_b32_e32 v19, v20
	s_wait_alu 0xf1ff
	v_xor_b32_e32 v34, s8, v34
	v_cmp_gt_i32_e64 s8, 0, v20
	v_and_b32_e32 v17, exec_lo, v17
	v_not_b32_e32 v20, v22
	v_ashrrev_i32_e32 v19, 31, v19
	s_wait_alu 0xfffd
	v_xor_b32_e32 v18, vcc_lo, v18
	v_cmp_gt_i32_e32 vcc_lo, 0, v22
	v_and_b32_e32 v17, v17, v34
	v_not_b32_e32 v22, v23
	v_ashrrev_i32_e32 v20, 31, v20
	s_wait_alu 0xf1ff
	v_xor_b32_e32 v19, s8, v19
	v_cmp_gt_i32_e64 s8, 0, v23
	v_and_b32_e32 v17, v17, v18
	v_not_b32_e32 v18, v33
	v_ashrrev_i32_e32 v22, 31, v22
	s_wait_alu 0xfffd
	v_xor_b32_e32 v20, vcc_lo, v20
	v_cmp_gt_i32_e32 vcc_lo, 0, v33
	v_and_b32_e32 v17, v17, v19
	v_not_b32_e32 v19, v21
	v_ashrrev_i32_e32 v18, 31, v18
	s_wait_alu 0xf1ff
	v_xor_b32_e32 v22, s8, v22
	v_lshlrev_b32_e32 v16, 4, v16
	v_and_b32_e32 v17, v17, v20
	v_cmp_gt_i32_e64 s8, 0, v21
	v_ashrrev_i32_e32 v19, 31, v19
	s_wait_alu 0xfffd
	v_xor_b32_e32 v18, vcc_lo, v18
	v_add_nc_u32_e32 v81, v24, v16
	v_and_b32_e32 v17, v17, v22
	s_wait_alu 0xf1ff
	v_xor_b32_e32 v16, s8, v19
	ds_load_b32 v79, v81 offset:16
	v_and_b32_e32 v17, v17, v18
	; wave barrier
	s_delay_alu instid0(VALU_DEP_1) | instskip(NEXT) | instid1(VALU_DEP_1)
	v_and_b32_e32 v16, v17, v16
	v_mbcnt_lo_u32_b32 v80, v16, 0
	v_cmp_ne_u32_e64 s8, 0, v16
	s_delay_alu instid0(VALU_DEP_2)
	v_cmp_eq_u32_e32 vcc_lo, 0, v80
	s_and_b32 s10, s8, vcc_lo
	s_wait_alu 0xfffe
	s_and_saveexec_b32 s8, s10
	s_cbranch_execz .LBB167_95
; %bb.94:
	s_wait_dscnt 0x0
	v_bcnt_u32_b32 v16, v16, v79
	ds_store_b32 v81, v16 offset:16
.LBB167_95:
	s_wait_alu 0xfffe
	s_or_b32 exec_lo, exec_lo, s8
	v_and_b32_e32 v16, 0xffff, v31
	; wave barrier
	s_delay_alu instid0(VALU_DEP_1) | instskip(NEXT) | instid1(VALU_DEP_1)
	v_and_b32_e32 v16, s9, v16
	v_and_b32_e32 v17, 1, v16
	v_lshlrev_b32_e32 v18, 30, v16
	v_lshlrev_b32_e32 v19, 29, v16
	;; [unrolled: 1-line block ×4, first 2 shown]
	v_add_co_u32 v17, s8, v17, -1
	s_wait_alu 0xf1ff
	v_cndmask_b32_e64 v21, 0, 1, s8
	v_not_b32_e32 v34, v18
	v_cmp_gt_i32_e64 s8, 0, v18
	v_not_b32_e32 v18, v19
	v_lshlrev_b32_e32 v23, 26, v16
	v_cmp_ne_u32_e32 vcc_lo, 0, v21
	v_ashrrev_i32_e32 v34, 31, v34
	v_lshlrev_b32_e32 v33, 25, v16
	v_ashrrev_i32_e32 v18, 31, v18
	v_lshlrev_b32_e32 v21, 24, v16
	s_wait_alu 0xfffd
	v_xor_b32_e32 v17, vcc_lo, v17
	v_cmp_gt_i32_e32 vcc_lo, 0, v19
	v_not_b32_e32 v19, v20
	s_wait_alu 0xf1ff
	v_xor_b32_e32 v34, s8, v34
	v_cmp_gt_i32_e64 s8, 0, v20
	v_and_b32_e32 v17, exec_lo, v17
	v_not_b32_e32 v20, v22
	v_ashrrev_i32_e32 v19, 31, v19
	s_wait_alu 0xfffd
	v_xor_b32_e32 v18, vcc_lo, v18
	v_cmp_gt_i32_e32 vcc_lo, 0, v22
	v_and_b32_e32 v17, v17, v34
	v_not_b32_e32 v22, v23
	v_ashrrev_i32_e32 v20, 31, v20
	s_wait_alu 0xf1ff
	v_xor_b32_e32 v19, s8, v19
	v_cmp_gt_i32_e64 s8, 0, v23
	v_and_b32_e32 v17, v17, v18
	v_not_b32_e32 v18, v33
	v_ashrrev_i32_e32 v22, 31, v22
	s_wait_alu 0xfffd
	v_xor_b32_e32 v20, vcc_lo, v20
	v_cmp_gt_i32_e32 vcc_lo, 0, v33
	v_and_b32_e32 v17, v17, v19
	v_not_b32_e32 v19, v21
	v_ashrrev_i32_e32 v18, 31, v18
	s_wait_alu 0xf1ff
	v_xor_b32_e32 v22, s8, v22
	v_lshlrev_b32_e32 v16, 4, v16
	v_and_b32_e32 v17, v17, v20
	v_cmp_gt_i32_e64 s8, 0, v21
	v_ashrrev_i32_e32 v19, 31, v19
	s_wait_alu 0xfffd
	v_xor_b32_e32 v18, vcc_lo, v18
	v_add_nc_u32_e32 v84, v24, v16
	v_and_b32_e32 v17, v17, v22
	s_wait_alu 0xf1ff
	v_xor_b32_e32 v16, s8, v19
	ds_load_b32 v82, v84 offset:16
	v_and_b32_e32 v17, v17, v18
	; wave barrier
	s_delay_alu instid0(VALU_DEP_1) | instskip(NEXT) | instid1(VALU_DEP_1)
	v_and_b32_e32 v16, v17, v16
	v_mbcnt_lo_u32_b32 v83, v16, 0
	v_cmp_ne_u32_e64 s8, 0, v16
	s_delay_alu instid0(VALU_DEP_2)
	v_cmp_eq_u32_e32 vcc_lo, 0, v83
	s_and_b32 s10, s8, vcc_lo
	s_wait_alu 0xfffe
	s_and_saveexec_b32 s8, s10
	s_cbranch_execz .LBB167_97
; %bb.96:
	s_wait_dscnt 0x0
	v_bcnt_u32_b32 v16, v16, v82
	ds_store_b32 v84, v16 offset:16
.LBB167_97:
	s_wait_alu 0xfffe
	s_or_b32 exec_lo, exec_lo, s8
	v_and_b32_e32 v16, 0xffff, v32
	; wave barrier
	s_delay_alu instid0(VALU_DEP_1) | instskip(NEXT) | instid1(VALU_DEP_1)
	v_and_b32_e32 v16, s9, v16
	v_and_b32_e32 v17, 1, v16
	v_lshlrev_b32_e32 v18, 30, v16
	v_lshlrev_b32_e32 v19, 29, v16
	;; [unrolled: 1-line block ×4, first 2 shown]
	v_add_co_u32 v17, s8, v17, -1
	s_wait_alu 0xf1ff
	v_cndmask_b32_e64 v21, 0, 1, s8
	v_not_b32_e32 v34, v18
	v_cmp_gt_i32_e64 s8, 0, v18
	v_not_b32_e32 v18, v19
	v_lshlrev_b32_e32 v23, 26, v16
	v_cmp_ne_u32_e32 vcc_lo, 0, v21
	v_ashrrev_i32_e32 v34, 31, v34
	v_lshlrev_b32_e32 v33, 25, v16
	v_ashrrev_i32_e32 v18, 31, v18
	v_lshlrev_b32_e32 v21, 24, v16
	s_wait_alu 0xfffd
	v_xor_b32_e32 v17, vcc_lo, v17
	v_cmp_gt_i32_e32 vcc_lo, 0, v19
	v_not_b32_e32 v19, v20
	s_wait_alu 0xf1ff
	v_xor_b32_e32 v34, s8, v34
	v_cmp_gt_i32_e64 s8, 0, v20
	v_and_b32_e32 v17, exec_lo, v17
	v_not_b32_e32 v20, v22
	v_ashrrev_i32_e32 v19, 31, v19
	s_wait_alu 0xfffd
	v_xor_b32_e32 v18, vcc_lo, v18
	v_cmp_gt_i32_e32 vcc_lo, 0, v22
	v_and_b32_e32 v17, v17, v34
	v_not_b32_e32 v22, v23
	v_ashrrev_i32_e32 v20, 31, v20
	s_wait_alu 0xf1ff
	v_xor_b32_e32 v19, s8, v19
	v_cmp_gt_i32_e64 s8, 0, v23
	v_and_b32_e32 v17, v17, v18
	v_not_b32_e32 v18, v33
	v_ashrrev_i32_e32 v22, 31, v22
	s_wait_alu 0xfffd
	v_xor_b32_e32 v20, vcc_lo, v20
	v_cmp_gt_i32_e32 vcc_lo, 0, v33
	v_and_b32_e32 v17, v17, v19
	v_not_b32_e32 v19, v21
	v_ashrrev_i32_e32 v18, 31, v18
	s_wait_alu 0xf1ff
	v_xor_b32_e32 v22, s8, v22
	v_lshlrev_b32_e32 v16, 4, v16
	v_and_b32_e32 v17, v17, v20
	v_cmp_gt_i32_e64 s8, 0, v21
	v_ashrrev_i32_e32 v19, 31, v19
	s_wait_alu 0xfffd
	v_xor_b32_e32 v18, vcc_lo, v18
	v_add_nc_u32_e32 v87, v24, v16
	v_and_b32_e32 v17, v17, v22
	v_min_u32_e32 v33, 0x60, v72
	s_wait_alu 0xf1ff
	v_xor_b32_e32 v16, s8, v19
	ds_load_b32 v85, v87 offset:16
	v_and_b32_e32 v17, v17, v18
	; wave barrier
	s_delay_alu instid0(VALU_DEP_1) | instskip(NEXT) | instid1(VALU_DEP_1)
	v_and_b32_e32 v16, v17, v16
	v_mbcnt_lo_u32_b32 v86, v16, 0
	v_cmp_ne_u32_e64 s8, 0, v16
	s_delay_alu instid0(VALU_DEP_2)
	v_cmp_eq_u32_e32 vcc_lo, 0, v86
	s_and_b32 s9, s8, vcc_lo
	s_wait_alu 0xfffe
	s_and_saveexec_b32 s8, s9
	s_cbranch_execz .LBB167_99
; %bb.98:
	s_wait_dscnt 0x0
	v_bcnt_u32_b32 v16, v16, v85
	ds_store_b32 v87, v16 offset:16
.LBB167_99:
	s_wait_alu 0xfffe
	s_or_b32 exec_lo, exec_lo, s8
	; wave barrier
	s_wait_loadcnt_dscnt 0x0
	s_barrier_signal -1
	s_barrier_wait -1
	global_inv scope:SCOPE_SE
	ds_load_b128 v[20:23], v67 offset:16
	ds_load_b128 v[16:19], v67 offset:32
	v_and_b32_e32 v36, 16, v70
	v_or_b32_e32 v33, 31, v33
	s_delay_alu instid0(VALU_DEP_2) | instskip(NEXT) | instid1(VALU_DEP_2)
	v_cmp_eq_u32_e64 s16, 0, v36
	v_cmp_eq_u32_e64 s14, v46, v33
	v_lshlrev_b32_e32 v33, 2, v69
	s_wait_dscnt 0x1
	v_add_nc_u32_e32 v34, v21, v20
	s_delay_alu instid0(VALU_DEP_1) | instskip(SKIP_1) | instid1(VALU_DEP_1)
	v_add3_u32 v34, v34, v22, v23
	s_wait_dscnt 0x0
	v_add3_u32 v34, v34, v16, v17
	s_delay_alu instid0(VALU_DEP_1) | instskip(SKIP_1) | instid1(VALU_DEP_2)
	v_add3_u32 v19, v34, v18, v19
	v_and_b32_e32 v34, 15, v70
	v_mov_b32_dpp v35, v19 row_shr:1 row_mask:0xf bank_mask:0xf
	s_delay_alu instid0(VALU_DEP_2)
	v_cmp_eq_u32_e64 s8, 0, v34
	v_cmp_lt_u32_e64 s10, 1, v34
	v_cmp_lt_u32_e64 s11, 3, v34
	;; [unrolled: 1-line block ×3, first 2 shown]
	s_wait_alu 0xf1ff
	v_cndmask_b32_e64 v35, v35, 0, s8
	s_delay_alu instid0(VALU_DEP_1) | instskip(NEXT) | instid1(VALU_DEP_1)
	v_add_nc_u32_e32 v19, v35, v19
	v_mov_b32_dpp v35, v19 row_shr:2 row_mask:0xf bank_mask:0xf
	s_delay_alu instid0(VALU_DEP_1) | instskip(NEXT) | instid1(VALU_DEP_1)
	v_cndmask_b32_e64 v35, 0, v35, s10
	v_add_nc_u32_e32 v19, v19, v35
	s_delay_alu instid0(VALU_DEP_1) | instskip(NEXT) | instid1(VALU_DEP_1)
	v_mov_b32_dpp v35, v19 row_shr:4 row_mask:0xf bank_mask:0xf
	v_cndmask_b32_e64 v35, 0, v35, s11
	s_delay_alu instid0(VALU_DEP_1) | instskip(NEXT) | instid1(VALU_DEP_1)
	v_add_nc_u32_e32 v19, v19, v35
	v_mov_b32_dpp v35, v19 row_shr:8 row_mask:0xf bank_mask:0xf
	s_delay_alu instid0(VALU_DEP_1) | instskip(SKIP_1) | instid1(VALU_DEP_2)
	v_cndmask_b32_e64 v34, 0, v35, s13
	v_bfe_i32 v35, v70, 4, 1
	v_add_nc_u32_e32 v34, v19, v34
	ds_swizzle_b32 v19, v34 offset:swizzle(BROADCAST,32,15)
	s_wait_dscnt 0x0
	v_and_b32_e32 v35, v35, v19
	v_mul_i32_i24_e32 v19, 0xffffffe4, v46
	s_delay_alu instid0(VALU_DEP_2)
	v_add_nc_u32_e32 v36, v34, v35
	s_and_saveexec_b32 s9, s14
; %bb.100:
	ds_store_b32 v33, v36
; %bb.101:
	s_wait_alu 0xfffe
	s_or_b32 exec_lo, exec_lo, s9
	v_and_b32_e32 v34, 3, v70
	v_cmp_gt_u32_e64 s15, 4, v46
	s_wait_loadcnt_dscnt 0x0
	s_barrier_signal -1
	s_barrier_wait -1
	v_cmp_eq_u32_e64 s12, 0, v34
	v_cmp_lt_u32_e64 s9, 1, v34
	v_add_nc_u32_e32 v34, v67, v19
	global_inv scope:SCOPE_SE
	s_and_saveexec_b32 s17, s15
	s_cbranch_execz .LBB167_103
; %bb.102:
	ds_load_b32 v19, v34
	s_wait_dscnt 0x0
	v_mov_b32_dpp v35, v19 row_shr:1 row_mask:0xf bank_mask:0xf
	s_delay_alu instid0(VALU_DEP_1) | instskip(NEXT) | instid1(VALU_DEP_1)
	v_cndmask_b32_e64 v35, v35, 0, s12
	v_add_nc_u32_e32 v19, v35, v19
	s_delay_alu instid0(VALU_DEP_1) | instskip(NEXT) | instid1(VALU_DEP_1)
	v_mov_b32_dpp v35, v19 row_shr:2 row_mask:0xf bank_mask:0xf
	v_cndmask_b32_e64 v35, 0, v35, s9
	s_delay_alu instid0(VALU_DEP_1)
	v_add_nc_u32_e32 v19, v19, v35
	ds_store_b32 v34, v19
.LBB167_103:
	s_or_b32 exec_lo, exec_lo, s17
	v_sub_co_u32 v69, vcc_lo, v70, 1
	v_mul_u32_u24_e32 v19, 6, v71
	v_cmp_lt_u32_e64 s17, 31, v46
	v_add_nc_u32_e32 v35, -4, v33
	v_mov_b32_e32 v71, 0
	s_wait_loadcnt_dscnt 0x0
	s_barrier_signal -1
	s_barrier_wait -1
	global_inv scope:SCOPE_SE
	s_and_saveexec_b32 s18, s17
; %bb.104:
	ds_load_b32 v71, v35
; %bb.105:
	s_wait_alu 0xfffe
	s_or_b32 exec_lo, exec_lo, s18
	v_cmp_gt_i32_e64 s18, 0, v69
	s_mov_b32 s24, 0
	s_min_u32 s19, s19, 8
	s_mov_b32 s25, s24
	s_mov_b32 s26, s24
	v_cndmask_b32_e64 v69, v69, v70, s18
	s_wait_dscnt 0x0
	v_add_nc_u32_e32 v70, v71, v36
	s_mov_b32 s27, s24
	v_cmp_eq_u32_e64 s18, 0, v46
	s_wait_alu 0xfffe
	s_lshl_b32 s19, -1, s19
	v_lshlrev_b32_e32 v36, 2, v69
	s_wait_alu 0xfffe
	s_not_b32 s21, s19
	ds_bpermute_b32 v69, v36, v70
	s_wait_dscnt 0x0
	s_wait_alu 0xfffd
	v_cndmask_b32_e32 v69, v69, v71, vcc_lo
	s_delay_alu instid0(VALU_DEP_1) | instskip(NEXT) | instid1(VALU_DEP_1)
	v_cndmask_b32_e64 v69, v69, 0, s18
	v_add_nc_u32_e32 v70, v69, v20
	s_delay_alu instid0(VALU_DEP_1) | instskip(NEXT) | instid1(VALU_DEP_1)
	v_add_nc_u32_e32 v71, v70, v21
	v_add_nc_u32_e32 v72, v71, v22
	s_delay_alu instid0(VALU_DEP_1) | instskip(NEXT) | instid1(VALU_DEP_1)
	v_add_nc_u32_e32 v20, v72, v23
	;; [unrolled: 3-line block ×3, first 2 shown]
	v_add_nc_u32_e32 v23, v22, v18
	ds_store_b128 v67, v[69:72] offset:16
	ds_store_b128 v67, v[20:23] offset:32
	s_wait_loadcnt_dscnt 0x0
	s_barrier_signal -1
	s_barrier_wait -1
	global_inv scope:SCOPE_SE
	ds_load_b32 v16, v38 offset:16
	ds_load_b32 v17, v47 offset:16
	;; [unrolled: 1-line block ×8, first 2 shown]
	v_add_nc_u32_e32 v47, v68, v19
	s_wait_loadcnt_dscnt 0x0
	s_barrier_signal -1
	s_barrier_wait -1
	global_inv scope:SCOPE_SE
	v_add_nc_u32_e32 v37, v16, v37
	v_add3_u32 v39, v40, v39, v17
	v_add3_u32 v40, v49, v48, v18
	v_add3_u32 v48, v74, v73, v20
	v_add3_u32 v49, v77, v76, v21
	v_add3_u32 v50, v80, v79, v22
	v_add3_u32 v69, v83, v82, v23
	v_add3_u32 v70, v86, v85, v38
	v_lshlrev_b32_e32 v16, 1, v37
	v_lshlrev_b32_e32 v17, 1, v39
	;; [unrolled: 1-line block ×8, first 2 shown]
	ds_store_b16 v16, v25
	ds_store_b16 v17, v26
	;; [unrolled: 1-line block ×8, first 2 shown]
	s_wait_loadcnt_dscnt 0x0
	s_barrier_signal -1
	s_barrier_wait -1
	global_inv scope:SCOPE_SE
	ds_load_u16 v25, v68
	ds_load_u16 v26, v68 offset:64
	ds_load_u16 v27, v68 offset:128
	;; [unrolled: 1-line block ×7, first 2 shown]
	v_mad_co_u64_u32 v[37:38], null, v37, 6, v[16:17]
	v_mad_co_u64_u32 v[16:17], null, v39, 6, v[17:18]
	;; [unrolled: 1-line block ×3, first 2 shown]
	s_wait_loadcnt_dscnt 0x0
	s_barrier_signal -1
	s_barrier_wait -1
	global_inv scope:SCOPE_SE
	v_mad_co_u64_u32 v[18:19], null, v48, 6, v[19:20]
	v_lshrrev_b16 v38, 8, v25
	ds_store_b64 v37, v[4:5]
	v_mad_co_u64_u32 v[19:20], null, v49, 6, v[20:21]
	v_mad_co_u64_u32 v[20:21], null, v50, 6, v[21:22]
	v_and_b32_e32 v4, 0xffff, v38
	v_mad_co_u64_u32 v[21:22], null, v69, 6, v[22:23]
	v_mad_co_u64_u32 v[22:23], null, v70, 6, v[23:24]
	s_wait_alu 0xfffe
	s_delay_alu instid0(VALU_DEP_3)
	v_and_b32_e32 v23, s21, v4
	ds_store_b64 v16, v[6:7]
	ds_store_b64 v17, v[0:1]
	;; [unrolled: 1-line block ×7, first 2 shown]
	v_and_b32_e32 v0, 1, v23
	v_lshlrev_b32_e32 v1, 30, v23
	v_lshlrev_b32_e32 v2, 29, v23
	v_lshlrev_b32_e32 v3, 28, v23
	v_lshlrev_b32_e32 v5, 27, v23
	v_add_co_u32 v0, s19, v0, -1
	s_wait_alu 0xf1ff
	v_cndmask_b32_e64 v4, 0, 1, s19
	v_not_b32_e32 v8, v1
	v_cmp_gt_i32_e64 s20, 0, v1
	v_not_b32_e32 v1, v2
	v_lshlrev_b32_e32 v6, 26, v23
	v_cmp_ne_u32_e64 s19, 0, v4
	v_ashrrev_i32_e32 v8, 31, v8
	v_lshlrev_b32_e32 v7, 25, v23
	v_ashrrev_i32_e32 v1, 31, v1
	v_lshlrev_b32_e32 v4, 24, v23
	s_wait_alu 0xf1ff
	v_xor_b32_e32 v0, s19, v0
	v_cmp_gt_i32_e64 s19, 0, v2
	v_not_b32_e32 v2, v3
	v_xor_b32_e32 v8, s20, v8
	v_cmp_gt_i32_e64 s20, 0, v3
	v_and_b32_e32 v0, exec_lo, v0
	v_not_b32_e32 v3, v5
	v_ashrrev_i32_e32 v2, 31, v2
	s_wait_alu 0xf1ff
	v_xor_b32_e32 v1, s19, v1
	v_cmp_gt_i32_e64 s19, 0, v5
	v_and_b32_e32 v0, v0, v8
	v_not_b32_e32 v5, v6
	v_ashrrev_i32_e32 v3, 31, v3
	v_xor_b32_e32 v2, s20, v2
	v_cmp_gt_i32_e64 s20, 0, v6
	v_and_b32_e32 v0, v0, v1
	v_not_b32_e32 v1, v7
	v_ashrrev_i32_e32 v5, 31, v5
	s_wait_alu 0xf1ff
	v_xor_b32_e32 v3, s19, v3
	v_cmp_gt_i32_e64 s19, 0, v7
	v_and_b32_e32 v0, v0, v2
	v_not_b32_e32 v2, v4
	v_ashrrev_i32_e32 v1, 31, v1
	v_xor_b32_e32 v5, s20, v5
	v_cmp_gt_i32_e64 s20, 0, v4
	v_and_b32_e32 v0, v0, v3
	v_ashrrev_i32_e32 v2, 31, v2
	s_wait_alu 0xf1ff
	v_xor_b32_e32 v1, s19, v1
	s_wait_loadcnt_dscnt 0x0
	s_barrier_signal -1
	v_and_b32_e32 v0, v0, v5
	v_xor_b32_e32 v16, s20, v2
	s_barrier_wait -1
	global_inv scope:SCOPE_SE
	ds_load_2addr_b64 v[4:7], v47 offset1:32
	v_and_b32_e32 v21, v0, v1
	ds_load_2addr_b64 v[12:15], v47 offset0:64 offset1:96
	ds_load_2addr_b64 v[8:11], v47 offset0:128 offset1:160
	;; [unrolled: 1-line block ×3, first 2 shown]
	v_dual_mov_b32 v17, s24 :: v_dual_mov_b32 v18, s25
	v_dual_mov_b32 v19, s26 :: v_dual_and_b32 v16, v21, v16
	v_mov_b32_e32 v20, s27
	v_lshl_add_u32 v38, v23, 4, v24
	s_wait_loadcnt_dscnt 0x0
	s_barrier_signal -1
	v_mbcnt_lo_u32_b32 v37, v16, 0
	v_cmp_ne_u32_e64 s20, 0, v16
	s_barrier_wait -1
	global_inv scope:SCOPE_SE
	ds_store_b128 v67, v[17:20] offset:16
	ds_store_b128 v67, v[17:20] offset:32
	v_cmp_eq_u32_e64 s19, 0, v37
	s_wait_loadcnt_dscnt 0x0
	s_barrier_signal -1
	s_barrier_wait -1
	global_inv scope:SCOPE_SE
	s_and_b32 s20, s20, s19
	; wave barrier
	s_wait_alu 0xfffe
	s_and_saveexec_b32 s19, s20
; %bb.106:
	v_bcnt_u32_b32 v16, v16, 0
	ds_store_b32 v38, v16 offset:16
; %bb.107:
	s_wait_alu 0xfffe
	s_or_b32 exec_lo, exec_lo, s19
	v_lshrrev_b16 v16, 8, v26
	; wave barrier
	s_delay_alu instid0(VALU_DEP_1) | instskip(NEXT) | instid1(VALU_DEP_1)
	v_and_b32_e32 v16, s21, v16
	v_and_b32_e32 v17, 1, v16
	v_lshlrev_b32_e32 v18, 30, v16
	v_lshlrev_b32_e32 v19, 29, v16
	;; [unrolled: 1-line block ×4, first 2 shown]
	v_add_co_u32 v17, s19, v17, -1
	s_wait_alu 0xf1ff
	v_cndmask_b32_e64 v21, 0, 1, s19
	v_not_b32_e32 v40, v18
	v_cmp_gt_i32_e64 s20, 0, v18
	v_not_b32_e32 v18, v19
	v_lshlrev_b32_e32 v23, 26, v16
	v_cmp_ne_u32_e64 s19, 0, v21
	v_ashrrev_i32_e32 v40, 31, v40
	v_lshlrev_b32_e32 v39, 25, v16
	v_ashrrev_i32_e32 v18, 31, v18
	v_lshlrev_b32_e32 v21, 24, v16
	s_wait_alu 0xf1ff
	v_xor_b32_e32 v17, s19, v17
	v_cmp_gt_i32_e64 s19, 0, v19
	v_not_b32_e32 v19, v20
	v_xor_b32_e32 v40, s20, v40
	v_cmp_gt_i32_e64 s20, 0, v20
	v_and_b32_e32 v17, exec_lo, v17
	v_not_b32_e32 v20, v22
	v_ashrrev_i32_e32 v19, 31, v19
	s_wait_alu 0xf1ff
	v_xor_b32_e32 v18, s19, v18
	v_cmp_gt_i32_e64 s19, 0, v22
	v_and_b32_e32 v17, v17, v40
	v_not_b32_e32 v22, v23
	v_ashrrev_i32_e32 v20, 31, v20
	v_xor_b32_e32 v19, s20, v19
	v_cmp_gt_i32_e64 s20, 0, v23
	v_and_b32_e32 v17, v17, v18
	v_not_b32_e32 v18, v39
	v_ashrrev_i32_e32 v22, 31, v22
	s_wait_alu 0xf1ff
	v_xor_b32_e32 v20, s19, v20
	v_cmp_gt_i32_e64 s19, 0, v39
	v_and_b32_e32 v17, v17, v19
	v_not_b32_e32 v19, v21
	v_ashrrev_i32_e32 v18, 31, v18
	v_xor_b32_e32 v22, s20, v22
	v_cmp_gt_i32_e64 s20, 0, v21
	v_and_b32_e32 v17, v17, v20
	v_ashrrev_i32_e32 v19, 31, v19
	s_wait_alu 0xf1ff
	v_xor_b32_e32 v18, s19, v18
	v_lshl_add_u32 v47, v16, 4, v24
	v_and_b32_e32 v17, v17, v22
	v_xor_b32_e32 v16, s20, v19
	ds_load_b32 v39, v47 offset:16
	v_and_b32_e32 v17, v17, v18
	; wave barrier
	s_delay_alu instid0(VALU_DEP_1) | instskip(NEXT) | instid1(VALU_DEP_1)
	v_and_b32_e32 v16, v17, v16
	v_mbcnt_lo_u32_b32 v40, v16, 0
	v_cmp_ne_u32_e64 s20, 0, v16
	s_delay_alu instid0(VALU_DEP_2)
	v_cmp_eq_u32_e64 s19, 0, v40
	s_and_b32 s20, s20, s19
	s_wait_alu 0xfffe
	s_and_saveexec_b32 s19, s20
	s_cbranch_execz .LBB167_109
; %bb.108:
	s_wait_dscnt 0x0
	v_bcnt_u32_b32 v16, v16, v39
	ds_store_b32 v47, v16 offset:16
.LBB167_109:
	s_wait_alu 0xfffe
	s_or_b32 exec_lo, exec_lo, s19
	v_lshrrev_b16 v16, 8, v27
	; wave barrier
	s_delay_alu instid0(VALU_DEP_1) | instskip(NEXT) | instid1(VALU_DEP_1)
	v_and_b32_e32 v16, s21, v16
	v_and_b32_e32 v17, 1, v16
	v_lshlrev_b32_e32 v18, 30, v16
	v_lshlrev_b32_e32 v19, 29, v16
	v_lshlrev_b32_e32 v20, 28, v16
	v_lshlrev_b32_e32 v22, 27, v16
	v_add_co_u32 v17, s19, v17, -1
	s_wait_alu 0xf1ff
	v_cndmask_b32_e64 v21, 0, 1, s19
	v_not_b32_e32 v49, v18
	v_cmp_gt_i32_e64 s20, 0, v18
	v_not_b32_e32 v18, v19
	v_lshlrev_b32_e32 v23, 26, v16
	v_cmp_ne_u32_e64 s19, 0, v21
	v_ashrrev_i32_e32 v49, 31, v49
	v_lshlrev_b32_e32 v48, 25, v16
	v_ashrrev_i32_e32 v18, 31, v18
	v_lshlrev_b32_e32 v21, 24, v16
	s_wait_alu 0xf1ff
	v_xor_b32_e32 v17, s19, v17
	v_cmp_gt_i32_e64 s19, 0, v19
	v_not_b32_e32 v19, v20
	v_xor_b32_e32 v49, s20, v49
	v_cmp_gt_i32_e64 s20, 0, v20
	v_and_b32_e32 v17, exec_lo, v17
	v_not_b32_e32 v20, v22
	v_ashrrev_i32_e32 v19, 31, v19
	s_wait_alu 0xf1ff
	v_xor_b32_e32 v18, s19, v18
	v_cmp_gt_i32_e64 s19, 0, v22
	v_and_b32_e32 v17, v17, v49
	v_not_b32_e32 v22, v23
	v_ashrrev_i32_e32 v20, 31, v20
	v_xor_b32_e32 v19, s20, v19
	v_cmp_gt_i32_e64 s20, 0, v23
	v_and_b32_e32 v17, v17, v18
	v_not_b32_e32 v18, v48
	v_ashrrev_i32_e32 v22, 31, v22
	s_wait_alu 0xf1ff
	v_xor_b32_e32 v20, s19, v20
	v_cmp_gt_i32_e64 s19, 0, v48
	v_and_b32_e32 v17, v17, v19
	v_not_b32_e32 v19, v21
	v_ashrrev_i32_e32 v18, 31, v18
	v_xor_b32_e32 v22, s20, v22
	v_cmp_gt_i32_e64 s20, 0, v21
	v_and_b32_e32 v17, v17, v20
	v_ashrrev_i32_e32 v19, 31, v19
	s_wait_alu 0xf1ff
	v_xor_b32_e32 v18, s19, v18
	v_lshl_add_u32 v50, v16, 4, v24
	v_and_b32_e32 v17, v17, v22
	v_xor_b32_e32 v16, s20, v19
	ds_load_b32 v48, v50 offset:16
	v_and_b32_e32 v17, v17, v18
	; wave barrier
	s_delay_alu instid0(VALU_DEP_1) | instskip(NEXT) | instid1(VALU_DEP_1)
	v_and_b32_e32 v16, v17, v16
	v_mbcnt_lo_u32_b32 v49, v16, 0
	v_cmp_ne_u32_e64 s20, 0, v16
	s_delay_alu instid0(VALU_DEP_2)
	v_cmp_eq_u32_e64 s19, 0, v49
	s_and_b32 s20, s20, s19
	s_wait_alu 0xfffe
	s_and_saveexec_b32 s19, s20
	s_cbranch_execz .LBB167_111
; %bb.110:
	s_wait_dscnt 0x0
	v_bcnt_u32_b32 v16, v16, v48
	ds_store_b32 v50, v16 offset:16
.LBB167_111:
	s_wait_alu 0xfffe
	s_or_b32 exec_lo, exec_lo, s19
	v_lshrrev_b16 v16, 8, v28
	; wave barrier
	s_delay_alu instid0(VALU_DEP_1) | instskip(NEXT) | instid1(VALU_DEP_1)
	v_and_b32_e32 v16, s21, v16
	v_and_b32_e32 v17, 1, v16
	v_lshlrev_b32_e32 v18, 30, v16
	v_lshlrev_b32_e32 v19, 29, v16
	;; [unrolled: 1-line block ×4, first 2 shown]
	v_add_co_u32 v17, s19, v17, -1
	s_wait_alu 0xf1ff
	v_cndmask_b32_e64 v21, 0, 1, s19
	v_not_b32_e32 v69, v18
	v_cmp_gt_i32_e64 s20, 0, v18
	v_not_b32_e32 v18, v19
	v_lshlrev_b32_e32 v23, 26, v16
	v_cmp_ne_u32_e64 s19, 0, v21
	v_ashrrev_i32_e32 v69, 31, v69
	v_lshlrev_b32_e32 v68, 25, v16
	v_ashrrev_i32_e32 v18, 31, v18
	v_lshlrev_b32_e32 v21, 24, v16
	s_wait_alu 0xf1ff
	v_xor_b32_e32 v17, s19, v17
	v_cmp_gt_i32_e64 s19, 0, v19
	v_not_b32_e32 v19, v20
	v_xor_b32_e32 v69, s20, v69
	v_cmp_gt_i32_e64 s20, 0, v20
	v_and_b32_e32 v17, exec_lo, v17
	v_not_b32_e32 v20, v22
	v_ashrrev_i32_e32 v19, 31, v19
	s_wait_alu 0xf1ff
	v_xor_b32_e32 v18, s19, v18
	v_cmp_gt_i32_e64 s19, 0, v22
	v_and_b32_e32 v17, v17, v69
	v_not_b32_e32 v22, v23
	v_ashrrev_i32_e32 v20, 31, v20
	v_xor_b32_e32 v19, s20, v19
	v_cmp_gt_i32_e64 s20, 0, v23
	v_and_b32_e32 v17, v17, v18
	v_not_b32_e32 v18, v68
	v_ashrrev_i32_e32 v22, 31, v22
	s_wait_alu 0xf1ff
	v_xor_b32_e32 v20, s19, v20
	v_cmp_gt_i32_e64 s19, 0, v68
	v_and_b32_e32 v17, v17, v19
	v_not_b32_e32 v19, v21
	v_ashrrev_i32_e32 v18, 31, v18
	v_xor_b32_e32 v22, s20, v22
	v_cmp_gt_i32_e64 s20, 0, v21
	v_and_b32_e32 v17, v17, v20
	v_ashrrev_i32_e32 v19, 31, v19
	s_wait_alu 0xf1ff
	v_xor_b32_e32 v18, s19, v18
	v_lshl_add_u32 v70, v16, 4, v24
	v_and_b32_e32 v17, v17, v22
	v_xor_b32_e32 v16, s20, v19
	ds_load_b32 v68, v70 offset:16
	v_and_b32_e32 v17, v17, v18
	; wave barrier
	s_delay_alu instid0(VALU_DEP_1) | instskip(NEXT) | instid1(VALU_DEP_1)
	v_and_b32_e32 v16, v17, v16
	v_mbcnt_lo_u32_b32 v69, v16, 0
	v_cmp_ne_u32_e64 s20, 0, v16
	s_delay_alu instid0(VALU_DEP_2)
	v_cmp_eq_u32_e64 s19, 0, v69
	s_and_b32 s20, s20, s19
	s_wait_alu 0xfffe
	s_and_saveexec_b32 s19, s20
	s_cbranch_execz .LBB167_113
; %bb.112:
	s_wait_dscnt 0x0
	v_bcnt_u32_b32 v16, v16, v68
	ds_store_b32 v70, v16 offset:16
.LBB167_113:
	s_wait_alu 0xfffe
	s_or_b32 exec_lo, exec_lo, s19
	v_lshrrev_b16 v16, 8, v29
	; wave barrier
	s_delay_alu instid0(VALU_DEP_1) | instskip(NEXT) | instid1(VALU_DEP_1)
	v_and_b32_e32 v16, s21, v16
	v_and_b32_e32 v17, 1, v16
	v_lshlrev_b32_e32 v18, 30, v16
	v_lshlrev_b32_e32 v19, 29, v16
	;; [unrolled: 1-line block ×4, first 2 shown]
	v_add_co_u32 v17, s19, v17, -1
	s_wait_alu 0xf1ff
	v_cndmask_b32_e64 v21, 0, 1, s19
	v_not_b32_e32 v72, v18
	v_cmp_gt_i32_e64 s20, 0, v18
	v_not_b32_e32 v18, v19
	v_lshlrev_b32_e32 v23, 26, v16
	v_cmp_ne_u32_e64 s19, 0, v21
	v_ashrrev_i32_e32 v72, 31, v72
	v_lshlrev_b32_e32 v71, 25, v16
	v_ashrrev_i32_e32 v18, 31, v18
	v_lshlrev_b32_e32 v21, 24, v16
	s_wait_alu 0xf1ff
	v_xor_b32_e32 v17, s19, v17
	v_cmp_gt_i32_e64 s19, 0, v19
	v_not_b32_e32 v19, v20
	v_xor_b32_e32 v72, s20, v72
	v_cmp_gt_i32_e64 s20, 0, v20
	v_and_b32_e32 v17, exec_lo, v17
	v_not_b32_e32 v20, v22
	v_ashrrev_i32_e32 v19, 31, v19
	s_wait_alu 0xf1ff
	v_xor_b32_e32 v18, s19, v18
	v_cmp_gt_i32_e64 s19, 0, v22
	v_and_b32_e32 v17, v17, v72
	v_not_b32_e32 v22, v23
	v_ashrrev_i32_e32 v20, 31, v20
	v_xor_b32_e32 v19, s20, v19
	v_cmp_gt_i32_e64 s20, 0, v23
	v_and_b32_e32 v17, v17, v18
	v_not_b32_e32 v18, v71
	v_ashrrev_i32_e32 v22, 31, v22
	s_wait_alu 0xf1ff
	v_xor_b32_e32 v20, s19, v20
	v_cmp_gt_i32_e64 s19, 0, v71
	v_and_b32_e32 v17, v17, v19
	v_not_b32_e32 v19, v21
	v_ashrrev_i32_e32 v18, 31, v18
	v_xor_b32_e32 v22, s20, v22
	v_cmp_gt_i32_e64 s20, 0, v21
	v_and_b32_e32 v17, v17, v20
	v_ashrrev_i32_e32 v19, 31, v19
	s_wait_alu 0xf1ff
	v_xor_b32_e32 v18, s19, v18
	v_lshl_add_u32 v73, v16, 4, v24
	v_and_b32_e32 v17, v17, v22
	v_xor_b32_e32 v16, s20, v19
	ds_load_b32 v71, v73 offset:16
	v_and_b32_e32 v17, v17, v18
	; wave barrier
	s_delay_alu instid0(VALU_DEP_1) | instskip(NEXT) | instid1(VALU_DEP_1)
	v_and_b32_e32 v16, v17, v16
	v_mbcnt_lo_u32_b32 v72, v16, 0
	v_cmp_ne_u32_e64 s20, 0, v16
	s_delay_alu instid0(VALU_DEP_2)
	v_cmp_eq_u32_e64 s19, 0, v72
	s_and_b32 s20, s20, s19
	s_wait_alu 0xfffe
	s_and_saveexec_b32 s19, s20
	s_cbranch_execz .LBB167_115
; %bb.114:
	s_wait_dscnt 0x0
	v_bcnt_u32_b32 v16, v16, v71
	ds_store_b32 v73, v16 offset:16
.LBB167_115:
	s_wait_alu 0xfffe
	s_or_b32 exec_lo, exec_lo, s19
	v_lshrrev_b16 v16, 8, v30
	; wave barrier
	s_delay_alu instid0(VALU_DEP_1) | instskip(NEXT) | instid1(VALU_DEP_1)
	v_and_b32_e32 v16, s21, v16
	v_and_b32_e32 v17, 1, v16
	v_lshlrev_b32_e32 v18, 30, v16
	v_lshlrev_b32_e32 v19, 29, v16
	;; [unrolled: 1-line block ×4, first 2 shown]
	v_add_co_u32 v17, s19, v17, -1
	s_wait_alu 0xf1ff
	v_cndmask_b32_e64 v21, 0, 1, s19
	v_not_b32_e32 v75, v18
	v_cmp_gt_i32_e64 s20, 0, v18
	v_not_b32_e32 v18, v19
	v_lshlrev_b32_e32 v23, 26, v16
	v_cmp_ne_u32_e64 s19, 0, v21
	v_ashrrev_i32_e32 v75, 31, v75
	v_lshlrev_b32_e32 v74, 25, v16
	v_ashrrev_i32_e32 v18, 31, v18
	v_lshlrev_b32_e32 v21, 24, v16
	s_wait_alu 0xf1ff
	v_xor_b32_e32 v17, s19, v17
	v_cmp_gt_i32_e64 s19, 0, v19
	v_not_b32_e32 v19, v20
	v_xor_b32_e32 v75, s20, v75
	v_cmp_gt_i32_e64 s20, 0, v20
	v_and_b32_e32 v17, exec_lo, v17
	v_not_b32_e32 v20, v22
	v_ashrrev_i32_e32 v19, 31, v19
	s_wait_alu 0xf1ff
	v_xor_b32_e32 v18, s19, v18
	v_cmp_gt_i32_e64 s19, 0, v22
	v_and_b32_e32 v17, v17, v75
	v_not_b32_e32 v22, v23
	v_ashrrev_i32_e32 v20, 31, v20
	v_xor_b32_e32 v19, s20, v19
	v_cmp_gt_i32_e64 s20, 0, v23
	v_and_b32_e32 v17, v17, v18
	v_not_b32_e32 v18, v74
	v_ashrrev_i32_e32 v22, 31, v22
	s_wait_alu 0xf1ff
	v_xor_b32_e32 v20, s19, v20
	v_cmp_gt_i32_e64 s19, 0, v74
	v_and_b32_e32 v17, v17, v19
	v_not_b32_e32 v19, v21
	v_ashrrev_i32_e32 v18, 31, v18
	v_xor_b32_e32 v22, s20, v22
	v_cmp_gt_i32_e64 s20, 0, v21
	v_and_b32_e32 v17, v17, v20
	v_ashrrev_i32_e32 v19, 31, v19
	s_wait_alu 0xf1ff
	v_xor_b32_e32 v18, s19, v18
	v_lshl_add_u32 v76, v16, 4, v24
	v_and_b32_e32 v17, v17, v22
	v_xor_b32_e32 v16, s20, v19
	ds_load_b32 v74, v76 offset:16
	v_and_b32_e32 v17, v17, v18
	; wave barrier
	s_delay_alu instid0(VALU_DEP_1) | instskip(NEXT) | instid1(VALU_DEP_1)
	v_and_b32_e32 v16, v17, v16
	v_mbcnt_lo_u32_b32 v75, v16, 0
	v_cmp_ne_u32_e64 s20, 0, v16
	s_delay_alu instid0(VALU_DEP_2)
	v_cmp_eq_u32_e64 s19, 0, v75
	s_and_b32 s20, s20, s19
	s_wait_alu 0xfffe
	s_and_saveexec_b32 s19, s20
	s_cbranch_execz .LBB167_117
; %bb.116:
	s_wait_dscnt 0x0
	v_bcnt_u32_b32 v16, v16, v74
	ds_store_b32 v76, v16 offset:16
.LBB167_117:
	s_wait_alu 0xfffe
	s_or_b32 exec_lo, exec_lo, s19
	v_lshrrev_b16 v16, 8, v31
	; wave barrier
	s_delay_alu instid0(VALU_DEP_1) | instskip(NEXT) | instid1(VALU_DEP_1)
	v_and_b32_e32 v16, s21, v16
	v_and_b32_e32 v17, 1, v16
	v_lshlrev_b32_e32 v18, 30, v16
	v_lshlrev_b32_e32 v19, 29, v16
	;; [unrolled: 1-line block ×4, first 2 shown]
	v_add_co_u32 v17, s19, v17, -1
	s_wait_alu 0xf1ff
	v_cndmask_b32_e64 v21, 0, 1, s19
	v_not_b32_e32 v78, v18
	v_cmp_gt_i32_e64 s20, 0, v18
	v_not_b32_e32 v18, v19
	v_lshlrev_b32_e32 v23, 26, v16
	v_cmp_ne_u32_e64 s19, 0, v21
	v_ashrrev_i32_e32 v78, 31, v78
	v_lshlrev_b32_e32 v77, 25, v16
	v_ashrrev_i32_e32 v18, 31, v18
	v_lshlrev_b32_e32 v21, 24, v16
	s_wait_alu 0xf1ff
	v_xor_b32_e32 v17, s19, v17
	v_cmp_gt_i32_e64 s19, 0, v19
	v_not_b32_e32 v19, v20
	v_xor_b32_e32 v78, s20, v78
	v_cmp_gt_i32_e64 s20, 0, v20
	v_and_b32_e32 v17, exec_lo, v17
	v_not_b32_e32 v20, v22
	v_ashrrev_i32_e32 v19, 31, v19
	s_wait_alu 0xf1ff
	v_xor_b32_e32 v18, s19, v18
	v_cmp_gt_i32_e64 s19, 0, v22
	v_and_b32_e32 v17, v17, v78
	v_not_b32_e32 v22, v23
	v_ashrrev_i32_e32 v20, 31, v20
	v_xor_b32_e32 v19, s20, v19
	v_cmp_gt_i32_e64 s20, 0, v23
	v_and_b32_e32 v17, v17, v18
	v_not_b32_e32 v18, v77
	v_ashrrev_i32_e32 v22, 31, v22
	s_wait_alu 0xf1ff
	v_xor_b32_e32 v20, s19, v20
	v_cmp_gt_i32_e64 s19, 0, v77
	v_and_b32_e32 v17, v17, v19
	v_not_b32_e32 v19, v21
	v_ashrrev_i32_e32 v18, 31, v18
	v_xor_b32_e32 v22, s20, v22
	v_cmp_gt_i32_e64 s20, 0, v21
	v_and_b32_e32 v17, v17, v20
	v_ashrrev_i32_e32 v19, 31, v19
	s_wait_alu 0xf1ff
	v_xor_b32_e32 v18, s19, v18
	v_lshl_add_u32 v79, v16, 4, v24
	v_and_b32_e32 v17, v17, v22
	v_xor_b32_e32 v16, s20, v19
	ds_load_b32 v77, v79 offset:16
	v_and_b32_e32 v17, v17, v18
	; wave barrier
	s_delay_alu instid0(VALU_DEP_1) | instskip(NEXT) | instid1(VALU_DEP_1)
	v_and_b32_e32 v16, v17, v16
	v_mbcnt_lo_u32_b32 v78, v16, 0
	v_cmp_ne_u32_e64 s20, 0, v16
	s_delay_alu instid0(VALU_DEP_2)
	v_cmp_eq_u32_e64 s19, 0, v78
	s_and_b32 s20, s20, s19
	s_wait_alu 0xfffe
	s_and_saveexec_b32 s19, s20
	s_cbranch_execz .LBB167_119
; %bb.118:
	s_wait_dscnt 0x0
	v_bcnt_u32_b32 v16, v16, v77
	ds_store_b32 v79, v16 offset:16
.LBB167_119:
	s_wait_alu 0xfffe
	s_or_b32 exec_lo, exec_lo, s19
	v_lshrrev_b16 v16, 8, v32
	; wave barrier
	s_delay_alu instid0(VALU_DEP_1) | instskip(NEXT) | instid1(VALU_DEP_1)
	v_and_b32_e32 v16, s21, v16
	v_and_b32_e32 v17, 1, v16
	v_lshlrev_b32_e32 v18, 30, v16
	v_lshlrev_b32_e32 v19, 29, v16
	;; [unrolled: 1-line block ×4, first 2 shown]
	v_add_co_u32 v17, s19, v17, -1
	s_wait_alu 0xf1ff
	v_cndmask_b32_e64 v21, 0, 1, s19
	v_not_b32_e32 v81, v18
	v_cmp_gt_i32_e64 s20, 0, v18
	v_not_b32_e32 v18, v19
	v_lshlrev_b32_e32 v23, 26, v16
	v_cmp_ne_u32_e64 s19, 0, v21
	v_ashrrev_i32_e32 v81, 31, v81
	v_lshlrev_b32_e32 v80, 25, v16
	v_ashrrev_i32_e32 v18, 31, v18
	v_lshlrev_b32_e32 v21, 24, v16
	s_wait_alu 0xf1ff
	v_xor_b32_e32 v17, s19, v17
	v_cmp_gt_i32_e64 s19, 0, v19
	v_not_b32_e32 v19, v20
	v_xor_b32_e32 v81, s20, v81
	v_cmp_gt_i32_e64 s20, 0, v20
	v_and_b32_e32 v17, exec_lo, v17
	v_not_b32_e32 v20, v22
	v_ashrrev_i32_e32 v19, 31, v19
	s_wait_alu 0xf1ff
	v_xor_b32_e32 v18, s19, v18
	v_cmp_gt_i32_e64 s19, 0, v22
	v_and_b32_e32 v17, v17, v81
	v_not_b32_e32 v22, v23
	v_ashrrev_i32_e32 v20, 31, v20
	v_xor_b32_e32 v19, s20, v19
	v_cmp_gt_i32_e64 s20, 0, v23
	v_and_b32_e32 v17, v17, v18
	v_not_b32_e32 v18, v80
	v_ashrrev_i32_e32 v22, 31, v22
	s_wait_alu 0xf1ff
	v_xor_b32_e32 v20, s19, v20
	v_cmp_gt_i32_e64 s19, 0, v80
	v_and_b32_e32 v17, v17, v19
	v_not_b32_e32 v19, v21
	v_ashrrev_i32_e32 v18, 31, v18
	v_xor_b32_e32 v22, s20, v22
	v_cmp_gt_i32_e64 s20, 0, v21
	v_and_b32_e32 v17, v17, v20
	v_ashrrev_i32_e32 v19, 31, v19
	s_wait_alu 0xf1ff
	v_xor_b32_e32 v18, s19, v18
	v_lshl_add_u32 v81, v16, 4, v24
	v_and_b32_e32 v17, v17, v22
	v_xor_b32_e32 v16, s20, v19
	ds_load_b32 v24, v81 offset:16
	v_and_b32_e32 v17, v17, v18
	; wave barrier
	s_delay_alu instid0(VALU_DEP_1) | instskip(NEXT) | instid1(VALU_DEP_1)
	v_and_b32_e32 v16, v17, v16
	v_mbcnt_lo_u32_b32 v80, v16, 0
	v_cmp_ne_u32_e64 s20, 0, v16
	s_delay_alu instid0(VALU_DEP_2)
	v_cmp_eq_u32_e64 s19, 0, v80
	s_and_b32 s20, s20, s19
	s_wait_alu 0xfffe
	s_and_saveexec_b32 s19, s20
	s_cbranch_execz .LBB167_121
; %bb.120:
	s_wait_dscnt 0x0
	v_bcnt_u32_b32 v16, v16, v24
	ds_store_b32 v81, v16 offset:16
.LBB167_121:
	s_wait_alu 0xfffe
	s_or_b32 exec_lo, exec_lo, s19
	; wave barrier
	s_wait_loadcnt_dscnt 0x0
	s_barrier_signal -1
	s_barrier_wait -1
	global_inv scope:SCOPE_SE
	ds_load_b128 v[20:23], v67 offset:16
	ds_load_b128 v[16:19], v67 offset:32
	s_wait_dscnt 0x1
	v_add_nc_u32_e32 v82, v21, v20
	s_delay_alu instid0(VALU_DEP_1) | instskip(SKIP_1) | instid1(VALU_DEP_1)
	v_add3_u32 v82, v82, v22, v23
	s_wait_dscnt 0x0
	v_add3_u32 v82, v82, v16, v17
	s_delay_alu instid0(VALU_DEP_1) | instskip(NEXT) | instid1(VALU_DEP_1)
	v_add3_u32 v19, v82, v18, v19
	v_mov_b32_dpp v82, v19 row_shr:1 row_mask:0xf bank_mask:0xf
	s_delay_alu instid0(VALU_DEP_1) | instskip(NEXT) | instid1(VALU_DEP_1)
	v_cndmask_b32_e64 v82, v82, 0, s8
	v_add_nc_u32_e32 v19, v82, v19
	s_delay_alu instid0(VALU_DEP_1) | instskip(NEXT) | instid1(VALU_DEP_1)
	v_mov_b32_dpp v82, v19 row_shr:2 row_mask:0xf bank_mask:0xf
	v_cndmask_b32_e64 v82, 0, v82, s10
	s_delay_alu instid0(VALU_DEP_1) | instskip(NEXT) | instid1(VALU_DEP_1)
	v_add_nc_u32_e32 v19, v19, v82
	v_mov_b32_dpp v82, v19 row_shr:4 row_mask:0xf bank_mask:0xf
	s_delay_alu instid0(VALU_DEP_1) | instskip(NEXT) | instid1(VALU_DEP_1)
	v_cndmask_b32_e64 v82, 0, v82, s11
	v_add_nc_u32_e32 v19, v19, v82
	s_delay_alu instid0(VALU_DEP_1) | instskip(NEXT) | instid1(VALU_DEP_1)
	v_mov_b32_dpp v82, v19 row_shr:8 row_mask:0xf bank_mask:0xf
	v_cndmask_b32_e64 v82, 0, v82, s13
	s_delay_alu instid0(VALU_DEP_1) | instskip(SKIP_3) | instid1(VALU_DEP_1)
	v_add_nc_u32_e32 v19, v19, v82
	ds_swizzle_b32 v82, v19 offset:swizzle(BROADCAST,32,15)
	s_wait_dscnt 0x0
	v_cndmask_b32_e64 v82, v82, 0, s16
	v_add_nc_u32_e32 v19, v19, v82
	s_and_saveexec_b32 s8, s14
; %bb.122:
	ds_store_b32 v33, v19
; %bb.123:
	s_wait_alu 0xfffe
	s_or_b32 exec_lo, exec_lo, s8
	s_wait_loadcnt_dscnt 0x0
	s_barrier_signal -1
	s_barrier_wait -1
	global_inv scope:SCOPE_SE
	s_and_saveexec_b32 s8, s15
	s_cbranch_execz .LBB167_125
; %bb.124:
	ds_load_b32 v33, v34
	s_wait_dscnt 0x0
	v_mov_b32_dpp v82, v33 row_shr:1 row_mask:0xf bank_mask:0xf
	s_delay_alu instid0(VALU_DEP_1) | instskip(NEXT) | instid1(VALU_DEP_1)
	v_cndmask_b32_e64 v82, v82, 0, s12
	v_add_nc_u32_e32 v33, v82, v33
	s_delay_alu instid0(VALU_DEP_1) | instskip(NEXT) | instid1(VALU_DEP_1)
	v_mov_b32_dpp v82, v33 row_shr:2 row_mask:0xf bank_mask:0xf
	v_cndmask_b32_e64 v82, 0, v82, s9
	s_delay_alu instid0(VALU_DEP_1)
	v_add_nc_u32_e32 v33, v33, v82
	ds_store_b32 v34, v33
.LBB167_125:
	s_wait_alu 0xfffe
	s_or_b32 exec_lo, exec_lo, s8
	v_mov_b32_e32 v33, 0
	s_wait_loadcnt_dscnt 0x0
	s_barrier_signal -1
	s_barrier_wait -1
	global_inv scope:SCOPE_SE
	s_and_saveexec_b32 s8, s17
; %bb.126:
	ds_load_b32 v33, v35
; %bb.127:
	s_wait_alu 0xfffe
	s_or_b32 exec_lo, exec_lo, s8
	s_wait_dscnt 0x0
	v_add_nc_u32_e32 v19, v33, v19
	ds_bpermute_b32 v19, v36, v19
	s_wait_dscnt 0x0
	v_cndmask_b32_e32 v19, v19, v33, vcc_lo
	s_delay_alu instid0(VALU_DEP_1) | instskip(NEXT) | instid1(VALU_DEP_1)
	v_cndmask_b32_e64 v19, v19, 0, s18
	v_add_nc_u32_e32 v20, v19, v20
	s_delay_alu instid0(VALU_DEP_1) | instskip(NEXT) | instid1(VALU_DEP_1)
	v_add_nc_u32_e32 v21, v20, v21
	v_add_nc_u32_e32 v22, v21, v22
	s_delay_alu instid0(VALU_DEP_1) | instskip(NEXT) | instid1(VALU_DEP_1)
	v_add_nc_u32_e32 v33, v22, v23
	;; [unrolled: 3-line block ×3, first 2 shown]
	v_add_nc_u32_e32 v36, v35, v18
	ds_store_b128 v67, v[19:22] offset:16
	ds_store_b128 v67, v[33:36] offset:32
	s_wait_loadcnt_dscnt 0x0
	s_barrier_signal -1
	s_barrier_wait -1
	global_inv scope:SCOPE_SE
	ds_load_b32 v16, v81 offset:16
	ds_load_b32 v17, v79 offset:16
	;; [unrolled: 1-line block ×8, first 2 shown]
	v_lshlrev_b32_e32 v33, 1, v66
	s_wait_loadcnt_dscnt 0x0
	s_barrier_signal -1
	s_barrier_wait -1
	global_inv scope:SCOPE_SE
	v_mad_u32_u24 v38, v46, 48, v33
	v_add3_u32 v34, v80, v24, v16
	v_add3_u32 v35, v78, v77, v17
	v_add3_u32 v36, v75, v74, v18
	v_add_nc_u32_e32 v24, v19, v37
	v_add3_u32 v37, v40, v39, v20
	v_add3_u32 v39, v49, v48, v21
	;; [unrolled: 1-line block ×4, first 2 shown]
	v_lshlrev_b32_e32 v16, 1, v24
	v_lshlrev_b32_e32 v17, 1, v37
	;; [unrolled: 1-line block ×8, first 2 shown]
	ds_store_b16 v16, v25
	ds_store_b16 v17, v26
	;; [unrolled: 1-line block ×8, first 2 shown]
	v_mad_co_u64_u32 v[24:25], null, v24, 6, v[16:17]
	v_mad_co_u64_u32 v[16:17], null, v37, 6, v[17:18]
	v_mad_co_u64_u32 v[17:18], null, v39, 6, v[18:19]
	v_mad_co_u64_u32 v[18:19], null, v40, 6, v[19:20]
	v_mad_co_u64_u32 v[19:20], null, v46, 6, v[20:21]
	v_mad_co_u64_u32 v[20:21], null, v36, 6, v[21:22]
	v_mad_co_u64_u32 v[21:22], null, v35, 6, v[22:23]
	v_mad_co_u64_u32 v[22:23], null, v34, 6, v[23:24]
	s_wait_loadcnt_dscnt 0x0
	s_barrier_signal -1
	s_barrier_wait -1
	global_inv scope:SCOPE_SE
	ds_load_b128 v[33:36], v33
	s_wait_loadcnt_dscnt 0x0
	s_barrier_signal -1
	s_barrier_wait -1
	global_inv scope:SCOPE_SE
	ds_store_b64 v24, v[4:5]
	ds_store_b64 v16, v[6:7]
	;; [unrolled: 1-line block ×8, first 2 shown]
	s_wait_loadcnt_dscnt 0x0
	s_barrier_signal -1
	s_barrier_wait -1
	global_inv scope:SCOPE_SE
	ds_load_b128 v[29:32], v38
	ds_load_b128 v[25:28], v38 offset:16
	ds_load_b128 v[21:24], v38 offset:32
	;; [unrolled: 1-line block ×3, first 2 shown]
	v_xor_b32_e32 v0, 0x7fff7fff, v33
	v_xor_b32_e32 v34, 0x7fff7fff, v34
	;; [unrolled: 1-line block ×4, first 2 shown]
.LBB167_128:
	s_wait_loadcnt_dscnt 0x0
	s_barrier_signal -1
	s_barrier_wait -1
	global_inv scope:SCOPE_SE
	ds_store_2addr_b32 v58, v0, v34 offset1:1
	ds_store_2addr_b32 v58, v33, v35 offset0:2 offset1:3
	s_wait_loadcnt_dscnt 0x0
	s_barrier_signal -1
	s_barrier_wait -1
	global_inv scope:SCOPE_SE
	ds_load_u16 v8, v45 offset:256
	ds_load_u16 v7, v52 offset:512
	ds_load_u16 v6, v53 offset:768
	ds_load_u16 v5, v54 offset:1024
	ds_load_u16 v4, v55 offset:1280
	ds_load_u16 v3, v56 offset:1536
	ds_load_u16 v2, v57 offset:1792
	v_mov_b32_e32 v45, 0
	s_delay_alu instid0(VALU_DEP_1) | instskip(NEXT) | instid1(VALU_DEP_1)
	v_lshlrev_b64_e32 v[0:1], 1, v[44:45]
	v_add_co_u32 v0, vcc_lo, s30, v0
	s_wait_alu 0xfffd
	s_delay_alu instid0(VALU_DEP_2)
	v_add_co_ci_u32_e64 v1, null, s31, v1, vcc_lo
	s_and_saveexec_b32 s8, s0
	s_cbranch_execnz .LBB167_147
; %bb.129:
	s_wait_alu 0xfffe
	s_or_b32 exec_lo, exec_lo, s8
	s_and_saveexec_b32 s8, s1
	s_cbranch_execnz .LBB167_148
.LBB167_130:
	s_wait_alu 0xfffe
	s_or_b32 exec_lo, exec_lo, s8
	s_and_saveexec_b32 s8, s2
	s_cbranch_execnz .LBB167_149
.LBB167_131:
	s_wait_alu 0xfffe
	s_or_b32 exec_lo, exec_lo, s8
	s_and_saveexec_b32 s8, s3
	s_cbranch_execnz .LBB167_150
.LBB167_132:
	s_wait_alu 0xfffe
	s_or_b32 exec_lo, exec_lo, s8
	s_and_saveexec_b32 s8, s4
	s_cbranch_execnz .LBB167_151
.LBB167_133:
	s_wait_alu 0xfffe
	s_or_b32 exec_lo, exec_lo, s8
	s_and_saveexec_b32 s8, s5
	s_cbranch_execnz .LBB167_152
.LBB167_134:
	s_wait_alu 0xfffe
	s_or_b32 exec_lo, exec_lo, s8
	s_and_saveexec_b32 s8, s6
	s_cbranch_execnz .LBB167_153
.LBB167_135:
	s_wait_alu 0xfffe
	s_or_b32 exec_lo, exec_lo, s8
	s_and_saveexec_b32 s8, s7
	s_cbranch_execz .LBB167_137
.LBB167_136:
	s_mul_i32 s10, s22, 0x380
	s_mov_b32 s11, 0
	s_wait_alu 0xfffe
	s_lshl_b64 s[10:11], s[10:11], 1
	s_wait_alu 0xfffe
	v_add_co_u32 v0, vcc_lo, v0, s10
	s_wait_alu 0xfffd
	v_add_co_ci_u32_e64 v1, null, s11, v1, vcc_lo
	s_wait_dscnt 0x0
	global_store_b16 v[0:1], v2, off
.LBB167_137:
	s_wait_alu 0xfffe
	s_or_b32 exec_lo, exec_lo, s8
	s_wait_storecnt 0x0
	s_wait_loadcnt_dscnt 0x0
	s_barrier_signal -1
	s_barrier_wait -1
	global_inv scope:SCOPE_SE
	ds_store_2addr_b64 v65, v[29:30], v[31:32] offset1:1
	ds_store_2addr_b64 v65, v[25:26], v[27:28] offset0:2 offset1:3
	ds_store_2addr_b64 v65, v[21:22], v[23:24] offset0:4 offset1:5
	;; [unrolled: 1-line block ×3, first 2 shown]
	s_wait_loadcnt_dscnt 0x0
	s_barrier_signal -1
	s_barrier_wait -1
	global_inv scope:SCOPE_SE
	ds_load_b64 v[14:15], v60 offset:1024
	ds_load_b64 v[12:13], v61 offset:2048
	;; [unrolled: 1-line block ×7, first 2 shown]
	v_mov_b32_e32 v42, 0
	s_delay_alu instid0(VALU_DEP_1) | instskip(NEXT) | instid1(VALU_DEP_1)
	v_lshlrev_b64_e32 v[2:3], 3, v[41:42]
	v_add_co_u32 v2, vcc_lo, s34, v2
	s_wait_alu 0xfffd
	s_delay_alu instid0(VALU_DEP_2)
	v_add_co_ci_u32_e64 v3, null, s35, v3, vcc_lo
	s_and_saveexec_b32 s8, s0
	s_cbranch_execnz .LBB167_154
; %bb.138:
	s_wait_alu 0xfffe
	s_or_b32 exec_lo, exec_lo, s8
	s_and_saveexec_b32 s0, s1
	s_cbranch_execnz .LBB167_155
.LBB167_139:
	s_wait_alu 0xfffe
	s_or_b32 exec_lo, exec_lo, s0
	s_and_saveexec_b32 s0, s2
	s_cbranch_execnz .LBB167_156
.LBB167_140:
	s_wait_alu 0xfffe
	s_or_b32 exec_lo, exec_lo, s0
	s_and_saveexec_b32 s0, s3
	s_cbranch_execnz .LBB167_157
.LBB167_141:
	s_wait_alu 0xfffe
	s_or_b32 exec_lo, exec_lo, s0
	s_and_saveexec_b32 s0, s4
	s_cbranch_execnz .LBB167_158
.LBB167_142:
	s_wait_alu 0xfffe
	s_or_b32 exec_lo, exec_lo, s0
	s_and_saveexec_b32 s0, s5
	s_cbranch_execnz .LBB167_159
.LBB167_143:
	s_wait_alu 0xfffe
	s_or_b32 exec_lo, exec_lo, s0
	s_and_saveexec_b32 s0, s6
	s_cbranch_execnz .LBB167_160
.LBB167_144:
	s_wait_alu 0xfffe
	s_or_b32 exec_lo, exec_lo, s0
	s_and_saveexec_b32 s0, s7
	s_cbranch_execz .LBB167_146
.LBB167_145:
	s_mul_i32 s0, s28, 0x380
	s_mov_b32 s1, 0
	s_wait_alu 0xfffe
	s_lshl_b64 s[0:1], s[0:1], 3
	s_wait_alu 0xfffe
	v_add_co_u32 v2, vcc_lo, v2, s0
	s_wait_alu 0xfffd
	v_add_co_ci_u32_e64 v3, null, s1, v3, vcc_lo
	s_wait_dscnt 0x0
	global_store_b64 v[2:3], v[0:1], off
.LBB167_146:
	s_nop 0
	s_sendmsg sendmsg(MSG_DEALLOC_VGPRS)
	s_endpgm
.LBB167_147:
	ds_load_u16 v9, v51
	s_wait_dscnt 0x0
	global_store_b16 v[0:1], v9, off
	s_wait_alu 0xfffe
	s_or_b32 exec_lo, exec_lo, s8
	s_and_saveexec_b32 s8, s1
	s_cbranch_execz .LBB167_130
.LBB167_148:
	s_lshl_b32 s10, s22, 7
	s_mov_b32 s11, 0
	s_wait_alu 0xfffe
	s_lshl_b64 s[10:11], s[10:11], 1
	s_wait_alu 0xfffe
	v_add_co_u32 v9, vcc_lo, v0, s10
	s_wait_alu 0xfffd
	v_add_co_ci_u32_e64 v10, null, s11, v1, vcc_lo
	s_wait_dscnt 0x6
	global_store_b16 v[9:10], v8, off
	s_or_b32 exec_lo, exec_lo, s8
	s_and_saveexec_b32 s8, s2
	s_cbranch_execz .LBB167_131
.LBB167_149:
	s_lshl_b32 s10, s22, 8
	s_mov_b32 s11, 0
	s_wait_alu 0xfffe
	s_lshl_b64 s[10:11], s[10:11], 1
	s_wait_dscnt 0x6
	s_wait_alu 0xfffe
	v_add_co_u32 v8, vcc_lo, v0, s10
	s_wait_alu 0xfffd
	v_add_co_ci_u32_e64 v9, null, s11, v1, vcc_lo
	s_wait_dscnt 0x5
	global_store_b16 v[8:9], v7, off
	s_or_b32 exec_lo, exec_lo, s8
	s_and_saveexec_b32 s8, s3
	s_cbranch_execz .LBB167_132
.LBB167_150:
	s_mul_i32 s10, s22, 0x180
	s_mov_b32 s11, 0
	s_wait_alu 0xfffe
	s_lshl_b64 s[10:11], s[10:11], 1
	s_wait_dscnt 0x5
	s_wait_alu 0xfffe
	v_add_co_u32 v7, vcc_lo, v0, s10
	s_wait_alu 0xfffd
	v_add_co_ci_u32_e64 v8, null, s11, v1, vcc_lo
	s_wait_dscnt 0x4
	global_store_b16 v[7:8], v6, off
	s_or_b32 exec_lo, exec_lo, s8
	s_and_saveexec_b32 s8, s4
	s_cbranch_execz .LBB167_133
.LBB167_151:
	s_lshl_b32 s10, s22, 9
	s_mov_b32 s11, 0
	s_wait_alu 0xfffe
	s_lshl_b64 s[10:11], s[10:11], 1
	s_wait_dscnt 0x4
	s_wait_alu 0xfffe
	v_add_co_u32 v6, vcc_lo, v0, s10
	s_wait_alu 0xfffd
	v_add_co_ci_u32_e64 v7, null, s11, v1, vcc_lo
	s_wait_dscnt 0x3
	global_store_b16 v[6:7], v5, off
	s_or_b32 exec_lo, exec_lo, s8
	s_and_saveexec_b32 s8, s5
	s_cbranch_execz .LBB167_134
.LBB167_152:
	s_mul_i32 s10, s22, 0x280
	s_mov_b32 s11, 0
	s_wait_alu 0xfffe
	s_lshl_b64 s[10:11], s[10:11], 1
	s_wait_dscnt 0x3
	s_wait_alu 0xfffe
	v_add_co_u32 v5, vcc_lo, v0, s10
	s_wait_alu 0xfffd
	v_add_co_ci_u32_e64 v6, null, s11, v1, vcc_lo
	s_wait_dscnt 0x2
	global_store_b16 v[5:6], v4, off
	s_or_b32 exec_lo, exec_lo, s8
	s_and_saveexec_b32 s8, s6
	s_cbranch_execz .LBB167_135
.LBB167_153:
	s_mul_i32 s10, s22, 0x300
	s_mov_b32 s11, 0
	s_wait_alu 0xfffe
	s_lshl_b64 s[10:11], s[10:11], 1
	s_wait_dscnt 0x2
	s_wait_alu 0xfffe
	v_add_co_u32 v4, vcc_lo, v0, s10
	s_wait_alu 0xfffd
	v_add_co_ci_u32_e64 v5, null, s11, v1, vcc_lo
	s_wait_dscnt 0x1
	global_store_b16 v[4:5], v3, off
	s_or_b32 exec_lo, exec_lo, s8
	s_and_saveexec_b32 s8, s7
	s_cbranch_execnz .LBB167_136
	s_branch .LBB167_137
.LBB167_154:
	ds_load_b64 v[16:17], v59
	s_wait_dscnt 0x0
	global_store_b64 v[2:3], v[16:17], off
	s_wait_alu 0xfffe
	s_or_b32 exec_lo, exec_lo, s8
	s_and_saveexec_b32 s0, s1
	s_cbranch_execz .LBB167_139
.LBB167_155:
	s_lshl_b32 s8, s28, 7
	s_mov_b32 s9, 0
	s_wait_alu 0xfffe
	s_lshl_b64 s[8:9], s[8:9], 3
	s_wait_alu 0xfffe
	v_add_co_u32 v16, vcc_lo, v2, s8
	s_wait_alu 0xfffd
	v_add_co_ci_u32_e64 v17, null, s9, v3, vcc_lo
	s_wait_dscnt 0x6
	global_store_b64 v[16:17], v[14:15], off
	s_or_b32 exec_lo, exec_lo, s0
	s_and_saveexec_b32 s0, s2
	s_cbranch_execz .LBB167_140
.LBB167_156:
	s_lshl_b32 s8, s28, 8
	s_mov_b32 s9, 0
	s_wait_alu 0xfffe
	s_lshl_b64 s[8:9], s[8:9], 3
	s_wait_dscnt 0x6
	s_wait_alu 0xfffe
	v_add_co_u32 v14, vcc_lo, v2, s8
	s_wait_alu 0xfffd
	v_add_co_ci_u32_e64 v15, null, s9, v3, vcc_lo
	s_wait_dscnt 0x5
	global_store_b64 v[14:15], v[12:13], off
	s_or_b32 exec_lo, exec_lo, s0
	s_and_saveexec_b32 s0, s3
	s_cbranch_execz .LBB167_141
.LBB167_157:
	s_mul_i32 s2, s28, 0x180
	s_mov_b32 s3, 0
	s_wait_alu 0xfffe
	s_lshl_b64 s[2:3], s[2:3], 3
	s_wait_dscnt 0x5
	s_wait_alu 0xfffe
	v_add_co_u32 v12, vcc_lo, v2, s2
	s_wait_alu 0xfffd
	v_add_co_ci_u32_e64 v13, null, s3, v3, vcc_lo
	s_wait_dscnt 0x4
	global_store_b64 v[12:13], v[10:11], off
	s_or_b32 exec_lo, exec_lo, s0
	s_and_saveexec_b32 s0, s4
	s_cbranch_execz .LBB167_142
.LBB167_158:
	s_lshl_b32 s2, s28, 9
	s_mov_b32 s3, 0
	s_wait_alu 0xfffe
	s_lshl_b64 s[2:3], s[2:3], 3
	s_wait_dscnt 0x4
	s_wait_alu 0xfffe
	v_add_co_u32 v10, vcc_lo, v2, s2
	s_wait_alu 0xfffd
	v_add_co_ci_u32_e64 v11, null, s3, v3, vcc_lo
	s_wait_dscnt 0x3
	global_store_b64 v[10:11], v[8:9], off
	s_or_b32 exec_lo, exec_lo, s0
	s_and_saveexec_b32 s0, s5
	s_cbranch_execz .LBB167_143
.LBB167_159:
	s_mul_i32 s2, s28, 0x280
	s_mov_b32 s3, 0
	s_wait_alu 0xfffe
	s_lshl_b64 s[2:3], s[2:3], 3
	s_wait_dscnt 0x3
	s_wait_alu 0xfffe
	v_add_co_u32 v8, vcc_lo, v2, s2
	s_wait_alu 0xfffd
	v_add_co_ci_u32_e64 v9, null, s3, v3, vcc_lo
	s_wait_dscnt 0x2
	global_store_b64 v[8:9], v[6:7], off
	s_or_b32 exec_lo, exec_lo, s0
	s_and_saveexec_b32 s0, s6
	s_cbranch_execz .LBB167_144
.LBB167_160:
	s_mul_i32 s2, s28, 0x300
	s_mov_b32 s3, 0
	s_wait_alu 0xfffe
	s_lshl_b64 s[2:3], s[2:3], 3
	s_wait_dscnt 0x2
	s_wait_alu 0xfffe
	v_add_co_u32 v6, vcc_lo, v2, s2
	s_wait_alu 0xfffd
	v_add_co_ci_u32_e64 v7, null, s3, v3, vcc_lo
	s_wait_dscnt 0x1
	global_store_b64 v[6:7], v[4:5], off
	s_or_b32 exec_lo, exec_lo, s0
	s_and_saveexec_b32 s0, s7
	s_cbranch_execnz .LBB167_145
	s_branch .LBB167_146
	.section	.rodata,"a",@progbits
	.p2align	6, 0x0
	.amdhsa_kernel _ZN2at6native18radixSortKVInPlaceILi2ELin1ELi128ELi8EsljEEvNS_4cuda6detail10TensorInfoIT3_T5_EES6_S6_S6_NS4_IT4_S6_EES6_b
		.amdhsa_group_segment_fixed_size 8448
		.amdhsa_private_segment_fixed_size 0
		.amdhsa_kernarg_size 712
		.amdhsa_user_sgpr_count 2
		.amdhsa_user_sgpr_dispatch_ptr 0
		.amdhsa_user_sgpr_queue_ptr 0
		.amdhsa_user_sgpr_kernarg_segment_ptr 1
		.amdhsa_user_sgpr_dispatch_id 0
		.amdhsa_user_sgpr_private_segment_size 0
		.amdhsa_wavefront_size32 1
		.amdhsa_uses_dynamic_stack 0
		.amdhsa_enable_private_segment 0
		.amdhsa_system_sgpr_workgroup_id_x 1
		.amdhsa_system_sgpr_workgroup_id_y 1
		.amdhsa_system_sgpr_workgroup_id_z 1
		.amdhsa_system_sgpr_workgroup_info 0
		.amdhsa_system_vgpr_workitem_id 2
		.amdhsa_next_free_vgpr 117
		.amdhsa_next_free_sgpr 38
		.amdhsa_reserve_vcc 1
		.amdhsa_float_round_mode_32 0
		.amdhsa_float_round_mode_16_64 0
		.amdhsa_float_denorm_mode_32 3
		.amdhsa_float_denorm_mode_16_64 3
		.amdhsa_fp16_overflow 0
		.amdhsa_workgroup_processor_mode 1
		.amdhsa_memory_ordered 1
		.amdhsa_forward_progress 1
		.amdhsa_inst_pref_size 168
		.amdhsa_round_robin_scheduling 0
		.amdhsa_exception_fp_ieee_invalid_op 0
		.amdhsa_exception_fp_denorm_src 0
		.amdhsa_exception_fp_ieee_div_zero 0
		.amdhsa_exception_fp_ieee_overflow 0
		.amdhsa_exception_fp_ieee_underflow 0
		.amdhsa_exception_fp_ieee_inexact 0
		.amdhsa_exception_int_div_zero 0
	.end_amdhsa_kernel
	.section	.text._ZN2at6native18radixSortKVInPlaceILi2ELin1ELi128ELi8EsljEEvNS_4cuda6detail10TensorInfoIT3_T5_EES6_S6_S6_NS4_IT4_S6_EES6_b,"axG",@progbits,_ZN2at6native18radixSortKVInPlaceILi2ELin1ELi128ELi8EsljEEvNS_4cuda6detail10TensorInfoIT3_T5_EES6_S6_S6_NS4_IT4_S6_EES6_b,comdat
.Lfunc_end167:
	.size	_ZN2at6native18radixSortKVInPlaceILi2ELin1ELi128ELi8EsljEEvNS_4cuda6detail10TensorInfoIT3_T5_EES6_S6_S6_NS4_IT4_S6_EES6_b, .Lfunc_end167-_ZN2at6native18radixSortKVInPlaceILi2ELin1ELi128ELi8EsljEEvNS_4cuda6detail10TensorInfoIT3_T5_EES6_S6_S6_NS4_IT4_S6_EES6_b
                                        ; -- End function
	.set _ZN2at6native18radixSortKVInPlaceILi2ELin1ELi128ELi8EsljEEvNS_4cuda6detail10TensorInfoIT3_T5_EES6_S6_S6_NS4_IT4_S6_EES6_b.num_vgpr, 117
	.set _ZN2at6native18radixSortKVInPlaceILi2ELin1ELi128ELi8EsljEEvNS_4cuda6detail10TensorInfoIT3_T5_EES6_S6_S6_NS4_IT4_S6_EES6_b.num_agpr, 0
	.set _ZN2at6native18radixSortKVInPlaceILi2ELin1ELi128ELi8EsljEEvNS_4cuda6detail10TensorInfoIT3_T5_EES6_S6_S6_NS4_IT4_S6_EES6_b.numbered_sgpr, 38
	.set _ZN2at6native18radixSortKVInPlaceILi2ELin1ELi128ELi8EsljEEvNS_4cuda6detail10TensorInfoIT3_T5_EES6_S6_S6_NS4_IT4_S6_EES6_b.num_named_barrier, 0
	.set _ZN2at6native18radixSortKVInPlaceILi2ELin1ELi128ELi8EsljEEvNS_4cuda6detail10TensorInfoIT3_T5_EES6_S6_S6_NS4_IT4_S6_EES6_b.private_seg_size, 0
	.set _ZN2at6native18radixSortKVInPlaceILi2ELin1ELi128ELi8EsljEEvNS_4cuda6detail10TensorInfoIT3_T5_EES6_S6_S6_NS4_IT4_S6_EES6_b.uses_vcc, 1
	.set _ZN2at6native18radixSortKVInPlaceILi2ELin1ELi128ELi8EsljEEvNS_4cuda6detail10TensorInfoIT3_T5_EES6_S6_S6_NS4_IT4_S6_EES6_b.uses_flat_scratch, 0
	.set _ZN2at6native18radixSortKVInPlaceILi2ELin1ELi128ELi8EsljEEvNS_4cuda6detail10TensorInfoIT3_T5_EES6_S6_S6_NS4_IT4_S6_EES6_b.has_dyn_sized_stack, 0
	.set _ZN2at6native18radixSortKVInPlaceILi2ELin1ELi128ELi8EsljEEvNS_4cuda6detail10TensorInfoIT3_T5_EES6_S6_S6_NS4_IT4_S6_EES6_b.has_recursion, 0
	.set _ZN2at6native18radixSortKVInPlaceILi2ELin1ELi128ELi8EsljEEvNS_4cuda6detail10TensorInfoIT3_T5_EES6_S6_S6_NS4_IT4_S6_EES6_b.has_indirect_call, 0
	.section	.AMDGPU.csdata,"",@progbits
; Kernel info:
; codeLenInByte = 21484
; TotalNumSgprs: 40
; NumVgprs: 117
; ScratchSize: 0
; MemoryBound: 0
; FloatMode: 240
; IeeeMode: 1
; LDSByteSize: 8448 bytes/workgroup (compile time only)
; SGPRBlocks: 0
; VGPRBlocks: 14
; NumSGPRsForWavesPerEU: 40
; NumVGPRsForWavesPerEU: 117
; Occupancy: 12
; WaveLimiterHint : 1
; COMPUTE_PGM_RSRC2:SCRATCH_EN: 0
; COMPUTE_PGM_RSRC2:USER_SGPR: 2
; COMPUTE_PGM_RSRC2:TRAP_HANDLER: 0
; COMPUTE_PGM_RSRC2:TGID_X_EN: 1
; COMPUTE_PGM_RSRC2:TGID_Y_EN: 1
; COMPUTE_PGM_RSRC2:TGID_Z_EN: 1
; COMPUTE_PGM_RSRC2:TIDIG_COMP_CNT: 2
	.section	.text._ZN2at6native18radixSortKVInPlaceILi2ELin1ELi32ELi4EsljEEvNS_4cuda6detail10TensorInfoIT3_T5_EES6_S6_S6_NS4_IT4_S6_EES6_b,"axG",@progbits,_ZN2at6native18radixSortKVInPlaceILi2ELin1ELi32ELi4EsljEEvNS_4cuda6detail10TensorInfoIT3_T5_EES6_S6_S6_NS4_IT4_S6_EES6_b,comdat
	.protected	_ZN2at6native18radixSortKVInPlaceILi2ELin1ELi32ELi4EsljEEvNS_4cuda6detail10TensorInfoIT3_T5_EES6_S6_S6_NS4_IT4_S6_EES6_b ; -- Begin function _ZN2at6native18radixSortKVInPlaceILi2ELin1ELi32ELi4EsljEEvNS_4cuda6detail10TensorInfoIT3_T5_EES6_S6_S6_NS4_IT4_S6_EES6_b
	.globl	_ZN2at6native18radixSortKVInPlaceILi2ELin1ELi32ELi4EsljEEvNS_4cuda6detail10TensorInfoIT3_T5_EES6_S6_S6_NS4_IT4_S6_EES6_b
	.p2align	8
	.type	_ZN2at6native18radixSortKVInPlaceILi2ELin1ELi32ELi4EsljEEvNS_4cuda6detail10TensorInfoIT3_T5_EES6_S6_S6_NS4_IT4_S6_EES6_b,@function
_ZN2at6native18radixSortKVInPlaceILi2ELin1ELi32ELi4EsljEEvNS_4cuda6detail10TensorInfoIT3_T5_EES6_S6_S6_NS4_IT4_S6_EES6_b: ; @_ZN2at6native18radixSortKVInPlaceILi2ELin1ELi32ELi4EsljEEvNS_4cuda6detail10TensorInfoIT3_T5_EES6_S6_S6_NS4_IT4_S6_EES6_b
; %bb.0:
	s_clause 0x1
	s_load_b64 s[2:3], s[0:1], 0x1c8
	s_load_b96 s[12:14], s[0:1], 0xd8
	s_lshr_b32 s4, ttmp7, 16
	s_wait_kmcnt 0x0
	s_mul_i32 s3, s3, s4
	s_and_b32 s4, ttmp7, 0xffff
	s_delay_alu instid0(SALU_CYCLE_1) | instskip(NEXT) | instid1(SALU_CYCLE_1)
	s_add_co_i32 s3, s3, s4
	s_mul_i32 s2, s3, s2
	s_delay_alu instid0(SALU_CYCLE_1) | instskip(NEXT) | instid1(SALU_CYCLE_1)
	s_add_co_i32 s2, s2, ttmp9
	s_cmp_ge_u32 s2, s12
	s_cbranch_scc1 .LBB168_74
; %bb.1:
	s_clause 0x2
	s_load_b32 s12, s[0:1], 0xc
	s_load_b64 s[8:9], s[0:1], 0x6c
	s_load_b32 s15, s[0:1], 0x1b8
	s_add_nc_u64 s[6:7], s[0:1], 0xe8
	s_wait_kmcnt 0x0
	s_cvt_f32_u32 s3, s12
	s_delay_alu instid0(SALU_CYCLE_3) | instskip(NEXT) | instid1(TRANS32_DEP_1)
	v_rcp_iflag_f32_e32 v1, s3
	v_readfirstlane_b32 s3, v1
	s_mul_f32 s3, s3, 0x4f7ffffe
	s_wait_alu 0xfffe
	s_delay_alu instid0(SALU_CYCLE_2) | instskip(SKIP_2) | instid1(SALU_CYCLE_1)
	s_cvt_u32_f32 s4, s3
	s_sub_co_i32 s3, 0, s12
	s_wait_alu 0xfffe
	s_mul_i32 s5, s3, s4
	s_mov_b32 s3, 0
	s_mul_hi_u32 s5, s4, s5
	s_wait_alu 0xfffe
	s_mov_b32 s11, s3
	s_add_co_i32 s10, s4, s5
	s_cmp_lt_i32 s15, 2
	s_mov_b32 s4, s2
	s_mov_b32 s5, s3
	s_cbranch_scc1 .LBB168_4
; %bb.2:
	s_add_co_i32 s4, s15, -1
	s_mov_b32 s5, 0
	s_add_co_i32 s15, s15, 1
	s_lshl_b64 s[16:17], s[4:5], 2
	s_mov_b32 s4, s2
	s_add_nc_u64 s[16:17], s[6:7], s[16:17]
	s_delay_alu instid0(SALU_CYCLE_1)
	s_add_nc_u64 s[16:17], s[16:17], 8
.LBB168_3:                              ; =>This Inner Loop Header: Depth=1
	s_clause 0x1
	s_load_b32 s18, s[16:17], 0x0
	s_load_b32 s19, s[16:17], 0x64
	s_mov_b32 s22, s4
	s_add_nc_u64 s[16:17], s[16:17], -4
	s_wait_kmcnt 0x0
	s_cvt_f32_u32 s20, s18
	s_sub_co_i32 s21, 0, s18
	s_wait_alu 0xfffe
	s_delay_alu instid0(SALU_CYCLE_1) | instskip(NEXT) | instid1(TRANS32_DEP_1)
	v_rcp_iflag_f32_e32 v1, s20
	v_readfirstlane_b32 s20, v1
	s_mul_f32 s20, s20, 0x4f7ffffe
	s_wait_alu 0xfffe
	s_delay_alu instid0(SALU_CYCLE_2) | instskip(SKIP_1) | instid1(SALU_CYCLE_2)
	s_cvt_u32_f32 s20, s20
	s_wait_alu 0xfffe
	s_mul_i32 s21, s21, s20
	s_wait_alu 0xfffe
	s_mul_hi_u32 s21, s20, s21
	s_wait_alu 0xfffe
	s_add_co_i32 s20, s20, s21
	s_wait_alu 0xfffe
	s_mul_hi_u32 s4, s4, s20
	s_delay_alu instid0(SALU_CYCLE_1)
	s_mul_i32 s20, s4, s18
	s_add_co_i32 s21, s4, 1
	s_wait_alu 0xfffe
	s_sub_co_i32 s20, s22, s20
	s_wait_alu 0xfffe
	s_sub_co_i32 s23, s20, s18
	s_cmp_ge_u32 s20, s18
	s_cselect_b32 s4, s21, s4
	s_cselect_b32 s20, s23, s20
	s_add_co_i32 s21, s4, 1
	s_wait_alu 0xfffe
	s_cmp_ge_u32 s20, s18
	s_cselect_b32 s4, s21, s4
	s_add_co_i32 s15, s15, -1
	s_mul_i32 s18, s4, s18
	s_delay_alu instid0(SALU_CYCLE_1) | instskip(NEXT) | instid1(SALU_CYCLE_1)
	s_sub_co_i32 s18, s22, s18
	s_mul_i32 s18, s19, s18
	s_delay_alu instid0(SALU_CYCLE_1)
	s_add_co_i32 s5, s18, s5
	s_cmp_gt_u32 s15, 2
	s_cbranch_scc1 .LBB168_3
.LBB168_4:
	s_mul_u64 s[10:11], s[2:3], s[10:11]
	s_clause 0x1
	s_load_b64 s[18:19], s[0:1], 0x0
	s_load_b64 s[16:17], s[0:1], 0x1c0
	s_mul_i32 s3, s11, s12
	s_add_nc_u64 s[22:23], s[0:1], 0x1c8
	s_wait_alu 0xfffe
	s_sub_co_i32 s0, s2, s3
	s_add_co_i32 s1, s11, 1
	s_sub_co_i32 s3, s0, s12
	s_cmp_ge_u32 s0, s12
	s_cselect_b32 s1, s1, s11
	s_wait_alu 0xfffe
	s_cselect_b32 s0, s3, s0
	s_add_co_i32 s3, s1, 1
	s_cmp_ge_u32 s0, s12
	s_mov_b32 s11, 0
	s_wait_alu 0xfffe
	s_cselect_b32 s0, s3, s1
	s_delay_alu instid0(SALU_CYCLE_1) | instskip(SKIP_2) | instid1(SALU_CYCLE_1)
	s_mul_i32 s1, s0, s12
	s_mul_i32 s0, s0, s8
	s_sub_co_i32 s1, s2, s1
	s_mul_i32 s1, s1, s9
	s_delay_alu instid0(SALU_CYCLE_1) | instskip(SKIP_4) | instid1(SALU_CYCLE_1)
	s_add_co_i32 s10, s0, s1
	s_wait_kmcnt 0x0
	s_bitcmp1_b32 s17, 0
	s_mov_b32 s0, 0x8000
	s_cselect_b32 s8, -1, 0
	s_and_b32 s1, s8, exec_lo
	s_cselect_b32 s1, s0, 0x7fff
	s_lshl_b64 s[10:11], s[10:11], 1
	s_pack_ll_b32_b16 s2, s1, s1
	v_mov_b32_e32 v3, s1
	s_wait_alu 0xfffe
	s_mov_b32 s3, s2
	v_and_b32_e32 v21, 0x3ff, v0
	s_wait_alu 0xfffe
	v_dual_mov_b32 v1, s2 :: v_dual_mov_b32 v2, s3
	s_add_nc_u64 s[18:19], s[18:19], s[10:11]
	s_delay_alu instid0(VALU_DEP_2)
	v_mul_lo_u32 v17, s14, v21
	v_cmp_gt_u32_e64 s0, s13, v21
	s_and_saveexec_b32 s1, s0
	s_cbranch_execz .LBB168_6
; %bb.5:
	v_mov_b32_e32 v18, 0
	s_delay_alu instid0(VALU_DEP_1) | instskip(NEXT) | instid1(VALU_DEP_1)
	v_lshlrev_b64_e32 v[1:2], 1, v[17:18]
	v_add_co_u32 v1, vcc_lo, s18, v1
	s_delay_alu instid0(VALU_DEP_1)
	v_add_co_ci_u32_e64 v2, null, s19, v2, vcc_lo
	global_load_u16 v3, v[1:2], off
	v_mov_b32_e32 v2, s2
	s_wait_loadcnt 0x0
	v_bfi_b32 v1, 0xffff, v3, s2
.LBB168_6:
	s_wait_alu 0xfffe
	s_or_b32 exec_lo, exec_lo, s1
	v_add_nc_u32_e32 v9, 32, v21
	s_delay_alu instid0(VALU_DEP_1)
	v_cmp_gt_u32_e64 s1, s13, v9
	s_and_saveexec_b32 s2, s1
	s_cbranch_execz .LBB168_8
; %bb.7:
	v_mul_lo_u32 v4, s14, v9
	v_mov_b32_e32 v5, 0
	s_delay_alu instid0(VALU_DEP_1) | instskip(NEXT) | instid1(VALU_DEP_1)
	v_lshlrev_b64_e32 v[4:5], 1, v[4:5]
	v_add_co_u32 v4, vcc_lo, s18, v4
	s_wait_alu 0xfffd
	s_delay_alu instid0(VALU_DEP_2)
	v_add_co_ci_u32_e64 v5, null, s19, v5, vcc_lo
	global_load_d16_hi_b16 v1, v[4:5], off
.LBB168_8:
	s_wait_alu 0xfffe
	s_or_b32 exec_lo, exec_lo, s2
	v_add_nc_u32_e32 v10, 64, v21
	s_delay_alu instid0(VALU_DEP_1)
	v_cmp_gt_u32_e64 s2, s13, v10
	s_and_saveexec_b32 s3, s2
	s_cbranch_execz .LBB168_10
; %bb.9:
	v_mul_lo_u32 v4, s14, v10
	v_mov_b32_e32 v5, 0
	s_delay_alu instid0(VALU_DEP_1) | instskip(NEXT) | instid1(VALU_DEP_1)
	v_lshlrev_b64_e32 v[4:5], 1, v[4:5]
	v_add_co_u32 v4, vcc_lo, s18, v4
	s_wait_alu 0xfffd
	s_delay_alu instid0(VALU_DEP_2)
	v_add_co_ci_u32_e64 v5, null, s19, v5, vcc_lo
	global_load_d16_b16 v2, v[4:5], off
.LBB168_10:
	s_wait_alu 0xfffe
	s_or_b32 exec_lo, exec_lo, s3
	s_clause 0x1
	s_load_b32 s9, s[6:7], 0x6c
	s_load_b64 s[6:7], s[6:7], 0x0
	v_add_nc_u32_e32 v11, 0x60, v21
	s_delay_alu instid0(VALU_DEP_1)
	v_cmp_gt_u32_e64 s3, s13, v11
	s_and_saveexec_b32 s10, s3
	s_cbranch_execz .LBB168_12
; %bb.11:
	v_mul_lo_u32 v4, s14, v11
	v_mov_b32_e32 v5, 0
	s_delay_alu instid0(VALU_DEP_1) | instskip(NEXT) | instid1(VALU_DEP_1)
	v_lshlrev_b64_e32 v[4:5], 1, v[4:5]
	v_add_co_u32 v4, vcc_lo, s18, v4
	s_wait_alu 0xfffd
	s_delay_alu instid0(VALU_DEP_2)
	v_add_co_ci_u32_e64 v5, null, s19, v5, vcc_lo
	s_wait_loadcnt 0x0
	global_load_d16_hi_b16 v2, v[4:5], off
.LBB168_12:
	s_or_b32 exec_lo, exec_lo, s10
	v_lshrrev_b32_e32 v4, 4, v21
	v_lshrrev_b32_e32 v5, 4, v9
	v_lshlrev_b32_e32 v6, 1, v21
	v_lshrrev_b32_e32 v12, 2, v21
	v_lshrrev_b32_e32 v7, 4, v10
	v_and_b32_e32 v4, 60, v4
	v_and_b32_e32 v5, 0x7c, v5
	v_lshrrev_b32_e32 v8, 4, v11
	s_wait_kmcnt 0x0
	s_mul_i32 s4, s9, s4
	v_and_b32_e32 v7, 0x7c, v7
	v_add_nc_u32_e32 v32, v4, v6
	v_and_b32_e32 v4, 0xfc, v12
	v_add_nc_u32_e32 v18, v5, v6
	v_and_b32_e32 v8, 0x7c, v8
	v_mul_lo_u32 v19, s16, v21
	ds_store_b16 v32, v3
	s_wait_loadcnt 0x0
	ds_store_b16_d16_hi v18, v1 offset:64
	v_lshl_add_u32 v35, v21, 3, v4
	v_mov_b32_e32 v3, 0
	v_dual_mov_b32 v4, 0 :: v_dual_add_nc_u32 v33, v7, v6
	v_add_nc_u32_e32 v34, v8, v6
	ds_store_b16 v33, v2 offset:128
	ds_store_b16_d16_hi v34, v2 offset:192
	s_wait_dscnt 0x0
	; wave barrier
	global_inv scope:SCOPE_SE
	ds_load_2addr_b32 v[22:23], v35 offset1:1
	s_add_co_i32 s4, s4, s5
	s_mov_b32 s5, 0
	v_mov_b32_e32 v1, 0
	v_mov_b32_e32 v2, 0
	s_lshl_b64 s[4:5], s[4:5], 3
	s_wait_loadcnt_dscnt 0x0
	s_add_nc_u64 s[20:21], s[6:7], s[4:5]
	; wave barrier
	global_inv scope:SCOPE_SE
	s_and_saveexec_b32 s4, s0
	s_cbranch_execz .LBB168_14
; %bb.13:
	v_mov_b32_e32 v20, 0
	s_delay_alu instid0(VALU_DEP_1) | instskip(SKIP_1) | instid1(VALU_DEP_1)
	v_lshlrev_b64_e32 v[3:4], 3, v[19:20]
	s_wait_alu 0xfffe
	v_add_co_u32 v3, vcc_lo, s20, v3
	s_wait_alu 0xfffd
	s_delay_alu instid0(VALU_DEP_2)
	v_add_co_ci_u32_e64 v4, null, s21, v4, vcc_lo
	global_load_b64 v[3:4], v[3:4], off
.LBB168_14:
	s_or_b32 exec_lo, exec_lo, s4
	s_and_saveexec_b32 s4, s1
	s_cbranch_execz .LBB168_16
; %bb.15:
	v_mul_lo_u32 v1, s16, v9
	v_mov_b32_e32 v2, 0
	s_delay_alu instid0(VALU_DEP_1) | instskip(SKIP_1) | instid1(VALU_DEP_1)
	v_lshlrev_b64_e32 v[1:2], 3, v[1:2]
	s_wait_alu 0xfffe
	v_add_co_u32 v1, vcc_lo, s20, v1
	s_wait_alu 0xfffd
	s_delay_alu instid0(VALU_DEP_2)
	v_add_co_ci_u32_e64 v2, null, s21, v2, vcc_lo
	global_load_b64 v[1:2], v[1:2], off
.LBB168_16:
	s_or_b32 exec_lo, exec_lo, s4
	v_mov_b32_e32 v5, 0
	v_dual_mov_b32 v6, 0 :: v_dual_mov_b32 v7, 0
	v_mov_b32_e32 v8, 0
	s_and_saveexec_b32 s4, s2
	s_cbranch_execz .LBB168_18
; %bb.17:
	v_mul_lo_u32 v7, s16, v10
	v_mov_b32_e32 v8, 0
	s_delay_alu instid0(VALU_DEP_1) | instskip(SKIP_1) | instid1(VALU_DEP_1)
	v_lshlrev_b64_e32 v[7:8], 3, v[7:8]
	s_wait_alu 0xfffe
	v_add_co_u32 v7, vcc_lo, s20, v7
	s_wait_alu 0xfffd
	s_delay_alu instid0(VALU_DEP_2)
	v_add_co_ci_u32_e64 v8, null, s21, v8, vcc_lo
	global_load_b64 v[7:8], v[7:8], off
.LBB168_18:
	s_or_b32 exec_lo, exec_lo, s4
	v_lshrrev_b32_e32 v12, 5, v21
	v_lshrrev_b32_e32 v9, 5, v9
	;; [unrolled: 1-line block ×4, first 2 shown]
	v_lshlrev_b32_e32 v41, 2, v21
	v_lshrrev_b32_e32 v14, 3, v21
	s_xor_b32 s7, s8, -1
	s_and_saveexec_b32 s4, s3
	s_cbranch_execz .LBB168_20
; %bb.19:
	v_mul_lo_u32 v5, s16, v11
	v_mov_b32_e32 v6, 0
	s_delay_alu instid0(VALU_DEP_1) | instskip(SKIP_1) | instid1(VALU_DEP_1)
	v_lshlrev_b64_e32 v[5:6], 3, v[5:6]
	s_wait_alu 0xfffe
	v_add_co_u32 v5, vcc_lo, s20, v5
	s_wait_alu 0xfffd
	s_delay_alu instid0(VALU_DEP_2)
	v_add_co_ci_u32_e64 v6, null, s21, v6, vcc_lo
	global_load_b64 v[5:6], v[5:6], off
.LBB168_20:
	s_or_b32 exec_lo, exec_lo, s4
	v_lshlrev_b32_e32 v11, 3, v21
	v_lshlrev_b32_e32 v40, 3, v41
	v_mbcnt_lo_u32_b32 v43, -1, 0
	v_lshrrev_b32_e32 v48, 16, v22
	v_lshrrev_b32_e32 v47, 16, v23
	v_lshl_add_u32 v36, v12, 3, v11
	v_lshl_add_u32 v39, v14, 3, v40
	;; [unrolled: 1-line block ×5, first 2 shown]
	s_wait_loadcnt 0x0
	ds_store_b64 v36, v[3:4]
	ds_store_b64 v20, v[1:2] offset:256
	ds_store_b64 v37, v[7:8] offset:512
	;; [unrolled: 1-line block ×3, first 2 shown]
	s_wait_dscnt 0x0
	; wave barrier
	global_inv scope:SCOPE_SE
	ds_load_2addr_b64 v[5:8], v39 offset1:1
	ds_load_2addr_b64 v[1:4], v39 offset0:2 offset1:3
	v_and_b32_e32 v46, 3, v43
	v_and_b32_e32 v44, 28, v43
	s_and_b32 vcc_lo, exec_lo, s7
	v_bfe_u32 v45, v0, 10, 10
	v_bfe_u32 v0, v0, 20, 10
	v_cmp_eq_u32_e64 s6, 0, v46
	v_cmp_eq_u32_e64 s5, 1, v46
	;; [unrolled: 1-line block ×4, first 2 shown]
	v_lshlrev_b32_e32 v42, 5, v21
	s_mov_b32 s8, -1
	; wave barrier
	s_wait_loadcnt_dscnt 0x0
	global_inv scope:SCOPE_SE
                                        ; implicit-def: $vgpr14
                                        ; implicit-def: $vgpr13
	s_wait_alu 0xfffe
	s_cbranch_vccz .LBB168_42
; %bb.21:
	v_xor_b32_e32 v9, 0xffff8000, v22
	v_xor_b32_e32 v10, 0xffff8000, v48
	;; [unrolled: 1-line block ×4, first 2 shown]
	s_getpc_b64 s[8:9]
	s_sext_i32_i16 s9, s9
	s_add_co_u32 s8, s8, _ZN7rocprim17ROCPRIM_400000_NS16block_radix_sortIsLj32ELj4ElLj1ELj1ELj0ELNS0_26block_radix_rank_algorithmE1ELNS0_18block_padding_hintE2ELNS0_4arch9wavefront6targetE0EE19radix_bits_per_passE@rel32@lo+8
	s_add_co_ci_u32 s9, s9, _ZN7rocprim17ROCPRIM_400000_NS16block_radix_sortIsLj32ELj4ElLj1ELj1ELj0ELNS0_26block_radix_rank_algorithmE1ELNS0_18block_padding_hintE2ELNS0_4arch9wavefront6targetE0EE19radix_bits_per_passE@rel32@hi+16
	v_and_b32_e32 v9, 0xffff, v9
	v_and_b32_e32 v10, 0xffff, v10
	;; [unrolled: 1-line block ×4, first 2 shown]
	s_load_b32 s15, s[8:9], 0x0
	ds_bpermute_b32 v12, v44, v9
	ds_bpermute_b32 v14, v44, v10
	;; [unrolled: 1-line block ×4, first 2 shown]
	ds_bpermute_b32 v24, v44, v9 offset:64
	ds_bpermute_b32 v52, v44, v9 offset:32
	;; [unrolled: 1-line block ×6, first 2 shown]
	; wave barrier
	s_wait_loadcnt_dscnt 0x0
	global_inv scope:SCOPE_SE
	s_load_b32 s8, s[22:23], 0xc
	ds_bpermute_b32 v65, v44, v5
	ds_bpermute_b32 v66, v44, v6
	;; [unrolled: 1-line block ×6, first 2 shown]
	s_wait_kmcnt 0x0
	s_min_u32 s9, s15, 16
	v_and_b32_e32 v12, 0xffff, v12
	v_and_b32_e32 v14, 0xffff, v14
	;; [unrolled: 1-line block ×5, first 2 shown]
	v_cndmask_b32_e64 v12, 0, v12, s6
	s_lshl_b32 s9, -1, s9
	ds_bpermute_b32 v25, v44, v3
	s_not_b32 s9, s9
	v_cndmask_b32_e64 v24, 0, v24, s6
	v_cndmask_b32_e64 v12, v12, v14, s5
	ds_bpermute_b32 v14, v44, v10 offset:32
	s_lshr_b32 s10, s8, 16
	s_and_b32 s11, s8, 0xffff
	v_bfi_b32 v57, 0xffff, v53, v24
	v_cndmask_b32_e64 v12, v12, v15, s4
	ds_bpermute_b32 v15, v44, v11 offset:64
	ds_bpermute_b32 v10, v44, v10 offset:96
	ds_bpermute_b32 v26, v44, v4
	v_cndmask_b32_e64 v24, v24, v57, s5
	v_cndmask_b32_e64 v12, v12, v16, s7
	ds_bpermute_b32 v16, v44, v11 offset:32
	ds_bpermute_b32 v68, v44, v5 offset:32
	;; [unrolled: 1-line block ×4, first 2 shown]
	v_perm_b32 v56, v52, v12, 0x5040100
	ds_bpermute_b32 v55, v44, v8 offset:32
	ds_bpermute_b32 v30, v44, v1 offset:32
	;; [unrolled: 1-line block ×4, first 2 shown]
	v_cndmask_b32_e64 v12, v12, v56, s6
	ds_bpermute_b32 v31, v44, v4 offset:32
	ds_bpermute_b32 v67, v44, v5 offset:64
	ds_bpermute_b32 v70, v44, v6 offset:64
	ds_bpermute_b32 v58, v44, v7 offset:64
	s_wait_dscnt 0xf
	v_perm_b32 v14, v14, v12, 0x5040100
	s_wait_dscnt 0xe
	v_bfi_b32 v15, 0xffff, v15, v24
	ds_bpermute_b32 v59, v44, v8 offset:64
	ds_bpermute_b32 v52, v44, v1 offset:64
	;; [unrolled: 1-line block ×3, first 2 shown]
	v_cndmask_b32_e64 v12, v12, v14, s5
	v_cndmask_b32_e64 v14, v24, v15, s4
	ds_bpermute_b32 v56, v44, v3 offset:64
	ds_bpermute_b32 v57, v44, v4 offset:64
	ds_bpermute_b32 v72, v44, v5 offset:96
	s_wait_dscnt 0x11
	v_perm_b32 v15, v16, v12, 0x5040100
	v_bfi_b32 v16, 0xffff, v60, v14
	ds_bpermute_b32 v69, v44, v6 offset:96
	ds_bpermute_b32 v61, v44, v7 offset:96
	;; [unrolled: 1-line block ×3, first 2 shown]
	v_cndmask_b32_e64 v12, v12, v15, s4
	v_cndmask_b32_e64 v14, v14, v16, s7
	ds_bpermute_b32 v16, v44, v11 offset:96
	v_mad_u32_u24 v11, v0, s10, v45
	ds_bpermute_b32 v60, v44, v1 offset:96
	v_perm_b32 v15, v64, v12, 0x5040100
	v_perm_b32 v9, v9, v14, 0x5040100
	s_delay_alu instid0(VALU_DEP_2) | instskip(SKIP_3) | instid1(VALU_DEP_2)
	v_cndmask_b32_e64 v64, v12, v15, s7
	ds_bpermute_b32 v12, v44, v13 offset:96
	v_cndmask_b32_e64 v9, v14, v9, s6
	v_and_b32_e32 v13, s9, v64
	v_perm_b32 v10, v10, v9, 0x5040100
	s_delay_alu instid0(VALU_DEP_2)
	v_and_b32_e32 v14, 1, v13
	v_lshlrev_b32_e32 v15, 30, v13
	v_lshlrev_b32_e32 v24, 29, v13
	;; [unrolled: 1-line block ×4, first 2 shown]
	v_add_co_u32 v14, s8, v14, -1
	s_wait_alu 0xf1ff
	v_cndmask_b32_e64 v73, 0, 1, s8
	v_not_b32_e32 v77, v15
	v_cmp_gt_i32_e64 s8, 0, v15
	v_not_b32_e32 v15, v24
	v_lshlrev_b32_e32 v75, 26, v13
	v_cmp_ne_u32_e32 vcc_lo, 0, v73
	v_ashrrev_i32_e32 v77, 31, v77
	v_lshlrev_b32_e32 v76, 25, v13
	v_ashrrev_i32_e32 v15, 31, v15
	v_lshlrev_b32_e32 v73, 24, v13
	s_wait_alu 0xfffd
	v_xor_b32_e32 v14, vcc_lo, v14
	v_cmp_gt_i32_e32 vcc_lo, 0, v24
	v_not_b32_e32 v24, v71
	s_wait_alu 0xf1ff
	v_xor_b32_e32 v77, s8, v77
	v_cmp_gt_i32_e64 s8, 0, v71
	v_and_b32_e32 v14, exec_lo, v14
	v_not_b32_e32 v71, v74
	v_ashrrev_i32_e32 v24, 31, v24
	s_wait_alu 0xfffd
	v_xor_b32_e32 v15, vcc_lo, v15
	v_cmp_gt_i32_e32 vcc_lo, 0, v74
	v_and_b32_e32 v14, v14, v77
	v_not_b32_e32 v74, v75
	v_ashrrev_i32_e32 v71, 31, v71
	s_wait_alu 0xf1ff
	v_xor_b32_e32 v24, s8, v24
	v_cmp_gt_i32_e64 s8, 0, v75
	v_and_b32_e32 v14, v14, v15
	v_not_b32_e32 v15, v76
	v_ashrrev_i32_e32 v74, 31, v74
	s_wait_alu 0xfffd
	v_xor_b32_e32 v71, vcc_lo, v71
	v_cmp_gt_i32_e32 vcc_lo, 0, v76
	v_and_b32_e32 v14, v14, v24
	v_not_b32_e32 v24, v73
	v_ashrrev_i32_e32 v15, 31, v15
	s_wait_alu 0xf1ff
	v_xor_b32_e32 v74, s8, v74
	v_cndmask_b32_e64 v9, v9, v10, s5
	v_and_b32_e32 v14, v14, v71
	v_cmp_gt_i32_e64 s8, 0, v73
	v_ashrrev_i32_e32 v24, 31, v24
	s_wait_alu 0xfffd
	v_xor_b32_e32 v15, vcc_lo, v15
	v_mad_co_u64_u32 v[10:11], null, v11, s11, v[21:22]
	v_and_b32_e32 v14, v14, v74
	s_wait_dscnt 0x2
	v_perm_b32 v11, v16, v9, 0x5040100
	s_wait_alu 0xf1ff
	v_xor_b32_e32 v16, s8, v24
	ds_bpermute_b32 v75, v44, v2 offset:96
	ds_bpermute_b32 v73, v44, v3 offset:96
	v_and_b32_e32 v14, v14, v15
	ds_bpermute_b32 v74, v44, v4 offset:96
	v_cndmask_b32_e64 v11, v9, v11, s4
	v_lshrrev_b32_e32 v10, 5, v10
	v_dual_mov_b32 v14, 0 :: v_dual_and_b32 v9, v14, v16
	s_wait_dscnt 0x3
	s_delay_alu instid0(VALU_DEP_3) | instskip(NEXT) | instid1(VALU_DEP_3)
	v_perm_b32 v12, v12, v11, 0x5040100
	v_lshlrev_b32_e32 v24, 2, v10
	v_and_b32_e32 v10, 0xffff, v13
	v_mbcnt_lo_u32_b32 v77, v9, 0
	v_cmp_ne_u32_e64 s8, 0, v9
	v_cndmask_b32_e64 v76, v11, v12, s7
	ds_store_2addr_b32 v42, v14, v14 offset0:1 offset1:2
	ds_store_2addr_b32 v42, v14, v14 offset0:3 offset1:4
	;; [unrolled: 1-line block ×4, first 2 shown]
	v_lshl_add_u32 v79, v10, 2, v24
	v_cmp_eq_u32_e32 vcc_lo, 0, v77
	; wave barrier
	s_wait_loadcnt_dscnt 0x0
	global_inv scope:SCOPE_SE
	; wave barrier
	s_and_b32 s10, s8, vcc_lo
	s_wait_alu 0xfffe
	s_and_saveexec_b32 s8, s10
; %bb.22:
	v_bcnt_u32_b32 v9, v9, 0
	ds_store_b32 v79, v9 offset:4
; %bb.23:
	s_wait_alu 0xfffe
	s_or_b32 exec_lo, exec_lo, s8
	v_lshrrev_b32_e32 v78, 16, v64
	; wave barrier
	s_delay_alu instid0(VALU_DEP_1) | instskip(NEXT) | instid1(VALU_DEP_1)
	v_and_b32_e32 v9, s9, v78
	v_and_b32_e32 v10, 1, v9
	v_lshlrev_b32_e32 v11, 30, v9
	v_lshlrev_b32_e32 v12, 29, v9
	;; [unrolled: 1-line block ×4, first 2 shown]
	v_add_co_u32 v10, s8, v10, -1
	s_wait_alu 0xf1ff
	v_cndmask_b32_e64 v14, 0, 1, s8
	v_not_b32_e32 v80, v11
	v_cmp_gt_i32_e64 s8, 0, v11
	v_not_b32_e32 v11, v12
	v_lshlrev_b32_e32 v16, 26, v9
	v_cmp_ne_u32_e32 vcc_lo, 0, v14
	v_ashrrev_i32_e32 v80, 31, v80
	v_lshlrev_b32_e32 v71, 25, v9
	v_ashrrev_i32_e32 v11, 31, v11
	v_lshlrev_b32_e32 v14, 24, v9
	s_wait_alu 0xfffd
	v_xor_b32_e32 v10, vcc_lo, v10
	v_cmp_gt_i32_e32 vcc_lo, 0, v12
	v_not_b32_e32 v12, v13
	s_wait_alu 0xf1ff
	v_xor_b32_e32 v80, s8, v80
	v_cmp_gt_i32_e64 s8, 0, v13
	v_and_b32_e32 v10, exec_lo, v10
	v_not_b32_e32 v13, v15
	v_ashrrev_i32_e32 v12, 31, v12
	s_wait_alu 0xfffd
	v_xor_b32_e32 v11, vcc_lo, v11
	v_cmp_gt_i32_e32 vcc_lo, 0, v15
	v_and_b32_e32 v10, v10, v80
	v_not_b32_e32 v15, v16
	v_ashrrev_i32_e32 v13, 31, v13
	s_wait_alu 0xf1ff
	v_xor_b32_e32 v12, s8, v12
	v_cmp_gt_i32_e64 s8, 0, v16
	v_and_b32_e32 v10, v10, v11
	v_not_b32_e32 v11, v71
	v_ashrrev_i32_e32 v15, 31, v15
	s_wait_alu 0xfffd
	v_xor_b32_e32 v13, vcc_lo, v13
	v_cmp_gt_i32_e32 vcc_lo, 0, v71
	v_and_b32_e32 v10, v10, v12
	v_not_b32_e32 v12, v14
	v_ashrrev_i32_e32 v11, 31, v11
	s_wait_alu 0xf1ff
	v_xor_b32_e32 v15, s8, v15
	v_cmp_gt_i32_e64 s8, 0, v14
	v_and_b32_e32 v10, v10, v13
	v_ashrrev_i32_e32 v12, 31, v12
	s_wait_alu 0xfffd
	v_xor_b32_e32 v11, vcc_lo, v11
	v_lshl_add_u32 v82, v9, 2, v24
	v_and_b32_e32 v10, v10, v15
	s_wait_alu 0xf1ff
	v_xor_b32_e32 v9, s8, v12
	ds_load_b32 v80, v82 offset:4
	v_and_b32_e32 v10, v10, v11
	; wave barrier
	s_delay_alu instid0(VALU_DEP_1) | instskip(NEXT) | instid1(VALU_DEP_1)
	v_and_b32_e32 v9, v10, v9
	v_mbcnt_lo_u32_b32 v81, v9, 0
	v_cmp_ne_u32_e64 s8, 0, v9
	s_delay_alu instid0(VALU_DEP_2)
	v_cmp_eq_u32_e32 vcc_lo, 0, v81
	s_and_b32 s10, s8, vcc_lo
	s_wait_alu 0xfffe
	s_and_saveexec_b32 s8, s10
	s_cbranch_execz .LBB168_25
; %bb.24:
	s_wait_dscnt 0x0
	v_bcnt_u32_b32 v9, v9, v80
	ds_store_b32 v82, v9 offset:4
.LBB168_25:
	s_wait_alu 0xfffe
	s_or_b32 exec_lo, exec_lo, s8
	v_and_b32_e32 v9, s9, v76
	; wave barrier
	s_delay_alu instid0(VALU_DEP_1)
	v_and_b32_e32 v10, 1, v9
	v_lshlrev_b32_e32 v11, 30, v9
	v_lshlrev_b32_e32 v12, 29, v9
	;; [unrolled: 1-line block ×4, first 2 shown]
	v_add_co_u32 v10, s8, v10, -1
	s_wait_alu 0xf1ff
	v_cndmask_b32_e64 v14, 0, 1, s8
	v_not_b32_e32 v83, v11
	v_cmp_gt_i32_e64 s8, 0, v11
	v_not_b32_e32 v11, v12
	v_lshlrev_b32_e32 v16, 26, v9
	v_cmp_ne_u32_e32 vcc_lo, 0, v14
	v_ashrrev_i32_e32 v83, 31, v83
	v_lshlrev_b32_e32 v71, 25, v9
	v_ashrrev_i32_e32 v11, 31, v11
	v_lshlrev_b32_e32 v14, 24, v9
	s_wait_alu 0xfffd
	v_xor_b32_e32 v10, vcc_lo, v10
	v_cmp_gt_i32_e32 vcc_lo, 0, v12
	v_not_b32_e32 v12, v13
	s_wait_alu 0xf1ff
	v_xor_b32_e32 v83, s8, v83
	v_cmp_gt_i32_e64 s8, 0, v13
	v_and_b32_e32 v10, exec_lo, v10
	v_not_b32_e32 v13, v15
	v_ashrrev_i32_e32 v12, 31, v12
	s_wait_alu 0xfffd
	v_xor_b32_e32 v11, vcc_lo, v11
	v_cmp_gt_i32_e32 vcc_lo, 0, v15
	v_and_b32_e32 v10, v10, v83
	v_not_b32_e32 v15, v16
	v_ashrrev_i32_e32 v13, 31, v13
	s_wait_alu 0xf1ff
	v_xor_b32_e32 v12, s8, v12
	v_cmp_gt_i32_e64 s8, 0, v16
	v_and_b32_e32 v10, v10, v11
	v_not_b32_e32 v11, v71
	v_ashrrev_i32_e32 v15, 31, v15
	s_wait_alu 0xfffd
	v_xor_b32_e32 v13, vcc_lo, v13
	v_cmp_gt_i32_e32 vcc_lo, 0, v71
	v_and_b32_e32 v10, v10, v12
	v_not_b32_e32 v12, v14
	v_ashrrev_i32_e32 v11, 31, v11
	s_wait_alu 0xf1ff
	v_xor_b32_e32 v15, s8, v15
	v_and_b32_e32 v9, 0xffff, v9
	v_and_b32_e32 v10, v10, v13
	v_cmp_gt_i32_e64 s8, 0, v14
	v_ashrrev_i32_e32 v12, 31, v12
	s_wait_alu 0xfffd
	v_xor_b32_e32 v11, vcc_lo, v11
	v_lshl_add_u32 v86, v9, 2, v24
	v_and_b32_e32 v10, v10, v15
	s_wait_alu 0xf1ff
	v_xor_b32_e32 v9, s8, v12
	ds_load_b32 v83, v86 offset:4
	v_and_b32_e32 v10, v10, v11
	; wave barrier
	s_delay_alu instid0(VALU_DEP_1) | instskip(NEXT) | instid1(VALU_DEP_1)
	v_and_b32_e32 v9, v10, v9
	v_mbcnt_lo_u32_b32 v84, v9, 0
	v_cmp_ne_u32_e64 s8, 0, v9
	s_delay_alu instid0(VALU_DEP_2)
	v_cmp_eq_u32_e32 vcc_lo, 0, v84
	s_and_b32 s10, s8, vcc_lo
	s_wait_alu 0xfffe
	s_and_saveexec_b32 s8, s10
	s_cbranch_execz .LBB168_27
; %bb.26:
	s_wait_dscnt 0x0
	v_bcnt_u32_b32 v9, v9, v83
	ds_store_b32 v86, v9 offset:4
.LBB168_27:
	s_wait_alu 0xfffe
	s_or_b32 exec_lo, exec_lo, s8
	v_lshrrev_b32_e32 v85, 16, v76
	; wave barrier
	v_and_or_b32 v89, 0xf80, v41, v43
	s_delay_alu instid0(VALU_DEP_2) | instskip(NEXT) | instid1(VALU_DEP_1)
	v_and_b32_e32 v9, s9, v85
	v_and_b32_e32 v10, 1, v9
	v_lshlrev_b32_e32 v11, 30, v9
	v_lshlrev_b32_e32 v12, 29, v9
	;; [unrolled: 1-line block ×4, first 2 shown]
	v_add_co_u32 v10, s8, v10, -1
	s_wait_alu 0xf1ff
	v_cndmask_b32_e64 v14, 0, 1, s8
	v_not_b32_e32 v87, v11
	v_cmp_gt_i32_e64 s8, 0, v11
	v_not_b32_e32 v11, v12
	v_lshlrev_b32_e32 v16, 26, v9
	v_cmp_ne_u32_e32 vcc_lo, 0, v14
	v_ashrrev_i32_e32 v87, 31, v87
	v_lshlrev_b32_e32 v71, 25, v9
	v_ashrrev_i32_e32 v11, 31, v11
	v_lshlrev_b32_e32 v14, 24, v9
	s_wait_alu 0xfffd
	v_xor_b32_e32 v10, vcc_lo, v10
	v_cmp_gt_i32_e32 vcc_lo, 0, v12
	v_not_b32_e32 v12, v13
	s_wait_alu 0xf1ff
	v_xor_b32_e32 v87, s8, v87
	v_cmp_gt_i32_e64 s8, 0, v13
	v_and_b32_e32 v10, exec_lo, v10
	v_not_b32_e32 v13, v15
	v_ashrrev_i32_e32 v12, 31, v12
	s_wait_alu 0xfffd
	v_xor_b32_e32 v11, vcc_lo, v11
	v_cmp_gt_i32_e32 vcc_lo, 0, v15
	v_and_b32_e32 v10, v10, v87
	v_not_b32_e32 v15, v16
	v_ashrrev_i32_e32 v13, 31, v13
	s_wait_alu 0xf1ff
	v_xor_b32_e32 v12, s8, v12
	v_cmp_gt_i32_e64 s8, 0, v16
	v_and_b32_e32 v10, v10, v11
	v_not_b32_e32 v11, v71
	v_ashrrev_i32_e32 v15, 31, v15
	s_wait_alu 0xfffd
	v_xor_b32_e32 v13, vcc_lo, v13
	v_cmp_gt_i32_e32 vcc_lo, 0, v71
	v_and_b32_e32 v10, v10, v12
	v_not_b32_e32 v12, v14
	v_ashrrev_i32_e32 v11, 31, v11
	s_wait_alu 0xf1ff
	v_xor_b32_e32 v15, s8, v15
	v_cmp_gt_i32_e64 s8, 0, v14
	v_and_b32_e32 v10, v10, v13
	v_ashrrev_i32_e32 v12, 31, v12
	s_wait_alu 0xfffd
	v_xor_b32_e32 v11, vcc_lo, v11
	v_lshl_add_u32 v90, v9, 2, v24
	v_and_b32_e32 v10, v10, v15
	s_wait_alu 0xf1ff
	v_xor_b32_e32 v9, s8, v12
	ds_load_b32 v87, v90 offset:4
	v_and_b32_e32 v10, v10, v11
	; wave barrier
	s_delay_alu instid0(VALU_DEP_1) | instskip(NEXT) | instid1(VALU_DEP_1)
	v_and_b32_e32 v9, v10, v9
	v_mbcnt_lo_u32_b32 v88, v9, 0
	v_cmp_ne_u32_e64 s8, 0, v9
	s_delay_alu instid0(VALU_DEP_2)
	v_cmp_eq_u32_e32 vcc_lo, 0, v88
	s_and_b32 s9, s8, vcc_lo
	s_wait_alu 0xfffe
	s_and_saveexec_b32 s8, s9
	s_cbranch_execz .LBB168_29
; %bb.28:
	s_wait_dscnt 0x0
	v_bcnt_u32_b32 v9, v9, v87
	ds_store_b32 v90, v9 offset:4
.LBB168_29:
	s_wait_alu 0xfffe
	s_or_b32 exec_lo, exec_lo, s8
	; wave barrier
	; wave barrier
	s_wait_loadcnt_dscnt 0x0
	global_inv scope:SCOPE_SE
	ds_load_2addr_b32 v[15:16], v42 offset0:1 offset1:2
	ds_load_2addr_b32 v[13:14], v42 offset0:3 offset1:4
	;; [unrolled: 1-line block ×4, first 2 shown]
	v_and_b32_e32 v92, 16, v43
	v_cmp_eq_u32_e64 s11, 31, v21
	s_delay_alu instid0(VALU_DEP_2) | instskip(SKIP_3) | instid1(VALU_DEP_1)
	v_cmp_eq_u32_e64 s12, 0, v92
	s_wait_dscnt 0x3
	v_add_nc_u32_e32 v71, v16, v15
	s_wait_dscnt 0x2
	v_add3_u32 v71, v71, v13, v14
	s_wait_dscnt 0x1
	s_delay_alu instid0(VALU_DEP_1) | instskip(SKIP_1) | instid1(VALU_DEP_1)
	v_add3_u32 v71, v71, v11, v12
	s_wait_dscnt 0x0
	v_add3_u32 v10, v71, v9, v10
	v_and_b32_e32 v71, 15, v43
	s_delay_alu instid0(VALU_DEP_2) | instskip(NEXT) | instid1(VALU_DEP_2)
	v_mov_b32_dpp v91, v10 row_shr:1 row_mask:0xf bank_mask:0xf
	v_cmp_eq_u32_e32 vcc_lo, 0, v71
	v_cmp_lt_u32_e64 s8, 1, v71
	v_cmp_lt_u32_e64 s9, 3, v71
	;; [unrolled: 1-line block ×3, first 2 shown]
	s_wait_alu 0xfffd
	v_cndmask_b32_e64 v91, v91, 0, vcc_lo
	s_delay_alu instid0(VALU_DEP_1) | instskip(NEXT) | instid1(VALU_DEP_1)
	v_add_nc_u32_e32 v10, v91, v10
	v_mov_b32_dpp v91, v10 row_shr:2 row_mask:0xf bank_mask:0xf
	s_wait_alu 0xf1ff
	s_delay_alu instid0(VALU_DEP_1) | instskip(NEXT) | instid1(VALU_DEP_1)
	v_cndmask_b32_e64 v91, 0, v91, s8
	v_add_nc_u32_e32 v10, v10, v91
	s_delay_alu instid0(VALU_DEP_1) | instskip(NEXT) | instid1(VALU_DEP_1)
	v_mov_b32_dpp v91, v10 row_shr:4 row_mask:0xf bank_mask:0xf
	v_cndmask_b32_e64 v91, 0, v91, s9
	s_delay_alu instid0(VALU_DEP_1) | instskip(NEXT) | instid1(VALU_DEP_1)
	v_add_nc_u32_e32 v10, v10, v91
	v_mov_b32_dpp v91, v10 row_shr:8 row_mask:0xf bank_mask:0xf
	s_delay_alu instid0(VALU_DEP_1) | instskip(NEXT) | instid1(VALU_DEP_1)
	v_cndmask_b32_e64 v71, 0, v91, s10
	v_add_nc_u32_e32 v91, v10, v71
	v_bfe_i32 v71, v43, 4, 1
	ds_swizzle_b32 v10, v91 offset:swizzle(BROADCAST,32,15)
	s_wait_dscnt 0x0
	v_and_b32_e32 v93, v71, v10
	v_sub_co_u32 v71, s17, v43, 1
	v_mul_u32_u24_e32 v10, 6, v89
	s_delay_alu instid0(VALU_DEP_3)
	v_add_nc_u32_e32 v91, v91, v93
	s_and_saveexec_b32 s13, s11
; %bb.30:
	v_mov_b32_e32 v92, 0
	ds_store_b32 v92, v91
; %bb.31:
	s_wait_alu 0xfffe
	s_or_b32 exec_lo, exec_lo, s13
	v_cmp_gt_i32_e64 s13, 0, v71
	; wave barrier
	s_wait_loadcnt_dscnt 0x0
	global_inv scope:SCOPE_SE
	v_cndmask_b32_e64 v66, 0, v66, s6
	v_cndmask_b32_e64 v65, 0, v65, s6
	s_wait_alu 0xf1ff
	v_cndmask_b32_e64 v71, v71, v43, s13
	v_cmp_eq_u32_e64 s13, 0, v21
	v_cndmask_b32_e64 v68, 0, v68, s6
	v_cndmask_b32_e64 v51, v66, v51, s5
	;; [unrolled: 1-line block ×3, first 2 shown]
	v_lshlrev_b32_e32 v71, 2, v71
	s_or_b32 s17, s13, s17
	v_cndmask_b32_e64 v54, v68, v54, s5
	s_min_u32 s13, s15, 8
	s_wait_alu 0xfffe
	s_lshl_b32 s13, -1, s13
	ds_bpermute_b32 v91, v71, v91
	s_wait_alu 0xfffe
	s_not_b32 s15, s13
	s_wait_dscnt 0x0
	v_cndmask_b32_e64 v91, v91, 0, s17
	s_delay_alu instid0(VALU_DEP_1) | instskip(NEXT) | instid1(VALU_DEP_1)
	v_add_nc_u32_e32 v15, v91, v15
	v_add_nc_u32_e32 v16, v15, v16
	s_delay_alu instid0(VALU_DEP_1) | instskip(NEXT) | instid1(VALU_DEP_1)
	v_add_nc_u32_e32 v13, v16, v13
	v_add_nc_u32_e32 v14, v13, v14
	;; [unrolled: 3-line block ×3, first 2 shown]
	s_delay_alu instid0(VALU_DEP_1)
	v_add_nc_u32_e32 v9, v12, v9
	ds_store_2addr_b32 v42, v91, v15 offset0:1 offset1:2
	ds_store_2addr_b32 v42, v16, v13 offset0:3 offset1:4
	;; [unrolled: 1-line block ×4, first 2 shown]
	; wave barrier
	s_wait_loadcnt_dscnt 0x0
	global_inv scope:SCOPE_SE
	ds_load_b32 v9, v79 offset:4
	ds_load_b32 v11, v82 offset:4
	;; [unrolled: 1-line block ×4, first 2 shown]
	v_cndmask_b32_e64 v15, 0, v67, s6
	v_cndmask_b32_e64 v16, 0, v70, s6
	;; [unrolled: 1-line block ×4, first 2 shown]
	v_lshlrev_b32_e32 v69, 1, v89
	v_cndmask_b32_e64 v15, v15, v58, s5
	v_cndmask_b32_e64 v16, v16, v59, s5
	;; [unrolled: 1-line block ×4, first 2 shown]
	; wave barrier
	s_wait_loadcnt_dscnt 0x0
	global_inv scope:SCOPE_SE
	v_cndmask_b32_e64 v62, 0, v72, s6
	v_cndmask_b32_e64 v16, v16, v53, s4
	v_add_nc_u32_e32 v58, v9, v77
	v_add3_u32 v59, v81, v80, v11
	v_add3_u32 v63, v84, v83, v12
	;; [unrolled: 1-line block ×3, first 2 shown]
	v_cndmask_b32_e64 v61, v62, v61, s5
	v_lshlrev_b32_e32 v9, 1, v58
	v_lshlrev_b32_e32 v11, 1, v59
	;; [unrolled: 1-line block ×4, first 2 shown]
	ds_store_b16 v9, v64
	ds_store_b16 v11, v78
	;; [unrolled: 1-line block ×4, first 2 shown]
	; wave barrier
	s_wait_loadcnt_dscnt 0x0
	global_inv scope:SCOPE_SE
	ds_load_u16 v50, v69
	v_add_nc_u32_e32 v62, v69, v10
	v_cndmask_b32_e64 v10, v65, v27, s4
	v_cndmask_b32_e64 v27, v51, v28, s4
	;; [unrolled: 1-line block ×13, first 2 shown]
	ds_load_u16 v49, v69 offset:64
	ds_load_u16 v51, v69 offset:128
	ds_load_u16 v52, v69 offset:192
	; wave barrier
	s_wait_loadcnt_dscnt 0x0
	global_inv scope:SCOPE_SE
	v_cndmask_b32_e64 v30, v54, v74, s7
	v_cndmask_b32_e64 v29, v53, v73, s7
	v_lshrrev_b16 v10, 8, v50
	s_delay_alu instid0(VALU_DEP_1) | instskip(SKIP_3) | instid1(VALU_DEP_3)
	v_and_b32_e32 v16, 0xffff, v10
	v_mad_co_u64_u32 v[9:10], null, v58, 6, v[9:10]
	v_mad_co_u64_u32 v[10:11], null, v59, 6, v[11:12]
	s_wait_alu 0xfffe
	v_and_b32_e32 v31, s15, v16
	v_mad_co_u64_u32 v[11:12], null, v63, 6, v[12:13]
	v_mad_co_u64_u32 v[12:13], null, v66, 6, v[13:14]
	ds_store_b64 v9, v[14:15]
	v_and_b32_e32 v9, 1, v31
	v_lshlrev_b32_e32 v13, 30, v31
	v_lshlrev_b32_e32 v14, 29, v31
	;; [unrolled: 1-line block ×4, first 2 shown]
	v_add_co_u32 v9, s7, v9, -1
	s_wait_alu 0xf1ff
	v_cndmask_b32_e64 v16, 0, 1, s7
	v_not_b32_e32 v56, v13
	v_cmp_gt_i32_e64 s13, 0, v13
	v_not_b32_e32 v13, v14
	v_lshlrev_b32_e32 v54, 26, v31
	v_cmp_ne_u32_e64 s7, 0, v16
	v_ashrrev_i32_e32 v56, 31, v56
	v_lshlrev_b32_e32 v55, 25, v31
	v_ashrrev_i32_e32 v13, 31, v13
	v_lshlrev_b32_e32 v16, 24, v31
	s_wait_alu 0xf1ff
	v_xor_b32_e32 v9, s7, v9
	v_cmp_gt_i32_e64 s7, 0, v14
	v_not_b32_e32 v14, v15
	v_xor_b32_e32 v56, s13, v56
	v_cmp_gt_i32_e64 s13, 0, v15
	v_and_b32_e32 v9, exec_lo, v9
	v_not_b32_e32 v15, v53
	v_ashrrev_i32_e32 v14, 31, v14
	s_wait_alu 0xf1ff
	v_xor_b32_e32 v13, s7, v13
	v_cmp_gt_i32_e64 s7, 0, v53
	v_and_b32_e32 v9, v9, v56
	v_not_b32_e32 v53, v54
	v_ashrrev_i32_e32 v15, 31, v15
	v_xor_b32_e32 v14, s13, v14
	v_cmp_gt_i32_e64 s13, 0, v54
	v_and_b32_e32 v9, v9, v13
	v_not_b32_e32 v13, v55
	v_ashrrev_i32_e32 v53, 31, v53
	s_wait_alu 0xf1ff
	v_xor_b32_e32 v15, s7, v15
	v_cmp_gt_i32_e64 s7, 0, v55
	v_and_b32_e32 v9, v9, v14
	v_not_b32_e32 v14, v16
	v_ashrrev_i32_e32 v13, 31, v13
	v_xor_b32_e32 v53, s13, v53
	ds_store_b64 v10, v[25:26]
	v_and_b32_e32 v9, v9, v15
	v_cmp_gt_i32_e64 s13, 0, v16
	v_ashrrev_i32_e32 v10, 31, v14
	s_wait_alu 0xf1ff
	v_xor_b32_e32 v13, s7, v13
	ds_store_b64 v11, v[27:28]
	ds_store_b64 v12, v[29:30]
	v_and_b32_e32 v9, v9, v53
	s_wait_loadcnt_dscnt 0x0
	v_xor_b32_e32 v25, s13, v10
	; wave barrier
	global_inv scope:SCOPE_SE
	v_lshl_add_u32 v54, v31, 2, v24
	v_and_b32_e32 v26, v9, v13
	ds_load_2addr_b64 v[13:16], v62 offset1:32
	ds_load_2addr_b64 v[9:12], v62 offset0:64 offset1:96
	; wave barrier
	s_wait_loadcnt_dscnt 0x0
	global_inv scope:SCOPE_SE
	v_dual_mov_b32 v26, 0 :: v_dual_and_b32 v25, v26, v25
	ds_store_2addr_b32 v42, v26, v26 offset0:1 offset1:2
	ds_store_2addr_b32 v42, v26, v26 offset0:3 offset1:4
	;; [unrolled: 1-line block ×4, first 2 shown]
	v_mbcnt_lo_u32_b32 v53, v25, 0
	v_cmp_ne_u32_e64 s13, 0, v25
	; wave barrier
	s_wait_loadcnt_dscnt 0x0
	global_inv scope:SCOPE_SE
	v_cmp_eq_u32_e64 s7, 0, v53
	; wave barrier
	s_and_b32 s13, s13, s7
	s_wait_alu 0xfffe
	s_and_saveexec_b32 s7, s13
; %bb.32:
	v_bcnt_u32_b32 v25, v25, 0
	ds_store_b32 v54, v25 offset:4
; %bb.33:
	s_wait_alu 0xfffe
	s_or_b32 exec_lo, exec_lo, s7
	v_lshrrev_b16 v25, 8, v49
	; wave barrier
	s_delay_alu instid0(VALU_DEP_1) | instskip(NEXT) | instid1(VALU_DEP_1)
	v_and_b32_e32 v25, s15, v25
	v_and_b32_e32 v26, 1, v25
	v_lshlrev_b32_e32 v27, 30, v25
	v_lshlrev_b32_e32 v28, 29, v25
	;; [unrolled: 1-line block ×4, first 2 shown]
	v_add_co_u32 v26, s7, v26, -1
	s_wait_alu 0xf1ff
	v_cndmask_b32_e64 v30, 0, 1, s7
	v_not_b32_e32 v57, v27
	v_cmp_gt_i32_e64 s13, 0, v27
	v_not_b32_e32 v27, v28
	v_lshlrev_b32_e32 v55, 26, v25
	v_cmp_ne_u32_e64 s7, 0, v30
	v_ashrrev_i32_e32 v57, 31, v57
	v_lshlrev_b32_e32 v56, 25, v25
	v_ashrrev_i32_e32 v27, 31, v27
	v_lshlrev_b32_e32 v30, 24, v25
	s_wait_alu 0xf1ff
	v_xor_b32_e32 v26, s7, v26
	v_cmp_gt_i32_e64 s7, 0, v28
	v_not_b32_e32 v28, v29
	v_xor_b32_e32 v57, s13, v57
	v_cmp_gt_i32_e64 s13, 0, v29
	v_and_b32_e32 v26, exec_lo, v26
	v_not_b32_e32 v29, v31
	v_ashrrev_i32_e32 v28, 31, v28
	s_wait_alu 0xf1ff
	v_xor_b32_e32 v27, s7, v27
	v_cmp_gt_i32_e64 s7, 0, v31
	v_and_b32_e32 v26, v26, v57
	v_not_b32_e32 v31, v55
	v_ashrrev_i32_e32 v29, 31, v29
	v_xor_b32_e32 v28, s13, v28
	v_cmp_gt_i32_e64 s13, 0, v55
	v_and_b32_e32 v26, v26, v27
	v_not_b32_e32 v27, v56
	v_ashrrev_i32_e32 v31, 31, v31
	s_wait_alu 0xf1ff
	v_xor_b32_e32 v29, s7, v29
	v_cmp_gt_i32_e64 s7, 0, v56
	v_and_b32_e32 v26, v26, v28
	v_not_b32_e32 v28, v30
	v_ashrrev_i32_e32 v27, 31, v27
	v_xor_b32_e32 v31, s13, v31
	v_cmp_gt_i32_e64 s13, 0, v30
	v_and_b32_e32 v26, v26, v29
	v_ashrrev_i32_e32 v28, 31, v28
	s_wait_alu 0xf1ff
	v_xor_b32_e32 v27, s7, v27
	v_lshl_add_u32 v57, v25, 2, v24
	v_and_b32_e32 v26, v26, v31
	v_xor_b32_e32 v25, s13, v28
	ds_load_b32 v55, v57 offset:4
	v_and_b32_e32 v26, v26, v27
	; wave barrier
	s_delay_alu instid0(VALU_DEP_1) | instskip(NEXT) | instid1(VALU_DEP_1)
	v_and_b32_e32 v25, v26, v25
	v_mbcnt_lo_u32_b32 v56, v25, 0
	v_cmp_ne_u32_e64 s13, 0, v25
	s_delay_alu instid0(VALU_DEP_2)
	v_cmp_eq_u32_e64 s7, 0, v56
	s_and_b32 s13, s13, s7
	s_wait_alu 0xfffe
	s_and_saveexec_b32 s7, s13
	s_cbranch_execz .LBB168_35
; %bb.34:
	s_wait_dscnt 0x0
	v_bcnt_u32_b32 v25, v25, v55
	ds_store_b32 v57, v25 offset:4
.LBB168_35:
	s_wait_alu 0xfffe
	s_or_b32 exec_lo, exec_lo, s7
	v_lshrrev_b16 v25, 8, v51
	; wave barrier
	s_delay_alu instid0(VALU_DEP_1) | instskip(NEXT) | instid1(VALU_DEP_1)
	v_and_b32_e32 v25, s15, v25
	v_and_b32_e32 v26, 1, v25
	v_lshlrev_b32_e32 v27, 30, v25
	v_lshlrev_b32_e32 v28, 29, v25
	;; [unrolled: 1-line block ×4, first 2 shown]
	v_add_co_u32 v26, s7, v26, -1
	s_wait_alu 0xf1ff
	v_cndmask_b32_e64 v30, 0, 1, s7
	v_not_b32_e32 v60, v27
	v_cmp_gt_i32_e64 s13, 0, v27
	v_not_b32_e32 v27, v28
	v_lshlrev_b32_e32 v58, 26, v25
	v_cmp_ne_u32_e64 s7, 0, v30
	v_ashrrev_i32_e32 v60, 31, v60
	v_lshlrev_b32_e32 v59, 25, v25
	v_ashrrev_i32_e32 v27, 31, v27
	v_lshlrev_b32_e32 v30, 24, v25
	s_wait_alu 0xf1ff
	v_xor_b32_e32 v26, s7, v26
	v_cmp_gt_i32_e64 s7, 0, v28
	v_not_b32_e32 v28, v29
	v_xor_b32_e32 v60, s13, v60
	v_cmp_gt_i32_e64 s13, 0, v29
	v_and_b32_e32 v26, exec_lo, v26
	v_not_b32_e32 v29, v31
	v_ashrrev_i32_e32 v28, 31, v28
	s_wait_alu 0xf1ff
	v_xor_b32_e32 v27, s7, v27
	v_cmp_gt_i32_e64 s7, 0, v31
	v_and_b32_e32 v26, v26, v60
	v_not_b32_e32 v31, v58
	v_ashrrev_i32_e32 v29, 31, v29
	v_xor_b32_e32 v28, s13, v28
	v_cmp_gt_i32_e64 s13, 0, v58
	v_and_b32_e32 v26, v26, v27
	v_not_b32_e32 v27, v59
	v_ashrrev_i32_e32 v31, 31, v31
	s_wait_alu 0xf1ff
	v_xor_b32_e32 v29, s7, v29
	v_cmp_gt_i32_e64 s7, 0, v59
	v_and_b32_e32 v26, v26, v28
	v_not_b32_e32 v28, v30
	v_ashrrev_i32_e32 v27, 31, v27
	v_xor_b32_e32 v31, s13, v31
	v_cmp_gt_i32_e64 s13, 0, v30
	v_and_b32_e32 v26, v26, v29
	v_ashrrev_i32_e32 v28, 31, v28
	s_wait_alu 0xf1ff
	v_xor_b32_e32 v27, s7, v27
	v_lshl_add_u32 v60, v25, 2, v24
	v_and_b32_e32 v26, v26, v31
	v_xor_b32_e32 v25, s13, v28
	ds_load_b32 v58, v60 offset:4
	v_and_b32_e32 v26, v26, v27
	; wave barrier
	s_delay_alu instid0(VALU_DEP_1) | instskip(NEXT) | instid1(VALU_DEP_1)
	v_and_b32_e32 v25, v26, v25
	v_mbcnt_lo_u32_b32 v59, v25, 0
	v_cmp_ne_u32_e64 s13, 0, v25
	s_delay_alu instid0(VALU_DEP_2)
	v_cmp_eq_u32_e64 s7, 0, v59
	s_and_b32 s13, s13, s7
	s_wait_alu 0xfffe
	s_and_saveexec_b32 s7, s13
	s_cbranch_execz .LBB168_37
; %bb.36:
	s_wait_dscnt 0x0
	v_bcnt_u32_b32 v25, v25, v58
	ds_store_b32 v60, v25 offset:4
.LBB168_37:
	s_wait_alu 0xfffe
	s_or_b32 exec_lo, exec_lo, s7
	v_lshrrev_b16 v25, 8, v52
	; wave barrier
	s_delay_alu instid0(VALU_DEP_1) | instskip(NEXT) | instid1(VALU_DEP_1)
	v_and_b32_e32 v25, s15, v25
	v_and_b32_e32 v26, 1, v25
	v_lshlrev_b32_e32 v27, 30, v25
	v_lshlrev_b32_e32 v28, 29, v25
	;; [unrolled: 1-line block ×4, first 2 shown]
	v_add_co_u32 v26, s7, v26, -1
	s_wait_alu 0xf1ff
	v_cndmask_b32_e64 v30, 0, 1, s7
	v_not_b32_e32 v63, v27
	v_cmp_gt_i32_e64 s13, 0, v27
	v_not_b32_e32 v27, v28
	v_lshlrev_b32_e32 v61, 26, v25
	v_cmp_ne_u32_e64 s7, 0, v30
	v_ashrrev_i32_e32 v63, 31, v63
	v_lshlrev_b32_e32 v62, 25, v25
	v_ashrrev_i32_e32 v27, 31, v27
	v_lshlrev_b32_e32 v30, 24, v25
	s_wait_alu 0xf1ff
	v_xor_b32_e32 v26, s7, v26
	v_cmp_gt_i32_e64 s7, 0, v28
	v_not_b32_e32 v28, v29
	v_xor_b32_e32 v63, s13, v63
	v_cmp_gt_i32_e64 s13, 0, v29
	v_and_b32_e32 v26, exec_lo, v26
	v_not_b32_e32 v29, v31
	v_ashrrev_i32_e32 v28, 31, v28
	s_wait_alu 0xf1ff
	v_xor_b32_e32 v27, s7, v27
	v_cmp_gt_i32_e64 s7, 0, v31
	v_and_b32_e32 v26, v26, v63
	v_not_b32_e32 v31, v61
	v_ashrrev_i32_e32 v29, 31, v29
	v_xor_b32_e32 v28, s13, v28
	v_cmp_gt_i32_e64 s13, 0, v61
	v_and_b32_e32 v26, v26, v27
	v_not_b32_e32 v27, v62
	v_ashrrev_i32_e32 v31, 31, v31
	s_wait_alu 0xf1ff
	v_xor_b32_e32 v29, s7, v29
	v_cmp_gt_i32_e64 s7, 0, v62
	v_and_b32_e32 v26, v26, v28
	v_not_b32_e32 v28, v30
	v_ashrrev_i32_e32 v27, 31, v27
	v_xor_b32_e32 v31, s13, v31
	v_cmp_gt_i32_e64 s13, 0, v30
	v_and_b32_e32 v26, v26, v29
	v_ashrrev_i32_e32 v28, 31, v28
	s_wait_alu 0xf1ff
	v_xor_b32_e32 v27, s7, v27
	v_lshl_add_u32 v63, v25, 2, v24
	v_and_b32_e32 v26, v26, v31
	v_xor_b32_e32 v24, s13, v28
	ds_load_b32 v61, v63 offset:4
	v_and_b32_e32 v25, v26, v27
	; wave barrier
	s_delay_alu instid0(VALU_DEP_1) | instskip(NEXT) | instid1(VALU_DEP_1)
	v_and_b32_e32 v24, v25, v24
	v_mbcnt_lo_u32_b32 v62, v24, 0
	v_cmp_ne_u32_e64 s13, 0, v24
	s_delay_alu instid0(VALU_DEP_2)
	v_cmp_eq_u32_e64 s7, 0, v62
	s_and_b32 s13, s13, s7
	s_wait_alu 0xfffe
	s_and_saveexec_b32 s7, s13
	s_cbranch_execz .LBB168_39
; %bb.38:
	s_wait_dscnt 0x0
	v_bcnt_u32_b32 v24, v24, v61
	ds_store_b32 v63, v24 offset:4
.LBB168_39:
	s_wait_alu 0xfffe
	s_or_b32 exec_lo, exec_lo, s7
	; wave barrier
	; wave barrier
	s_wait_loadcnt_dscnt 0x0
	global_inv scope:SCOPE_SE
	ds_load_2addr_b32 v[30:31], v42 offset0:1 offset1:2
	ds_load_2addr_b32 v[28:29], v42 offset0:3 offset1:4
	;; [unrolled: 1-line block ×4, first 2 shown]
	s_wait_dscnt 0x3
	v_add_nc_u32_e32 v64, v31, v30
	s_wait_dscnt 0x2
	s_delay_alu instid0(VALU_DEP_1) | instskip(SKIP_1) | instid1(VALU_DEP_1)
	v_add3_u32 v64, v64, v28, v29
	s_wait_dscnt 0x1
	v_add3_u32 v64, v64, v26, v27
	s_wait_dscnt 0x0
	s_delay_alu instid0(VALU_DEP_1) | instskip(NEXT) | instid1(VALU_DEP_1)
	v_add3_u32 v25, v64, v24, v25
	v_mov_b32_dpp v64, v25 row_shr:1 row_mask:0xf bank_mask:0xf
	s_delay_alu instid0(VALU_DEP_1) | instskip(NEXT) | instid1(VALU_DEP_1)
	v_cndmask_b32_e64 v64, v64, 0, vcc_lo
	v_add_nc_u32_e32 v25, v64, v25
	s_delay_alu instid0(VALU_DEP_1) | instskip(NEXT) | instid1(VALU_DEP_1)
	v_mov_b32_dpp v64, v25 row_shr:2 row_mask:0xf bank_mask:0xf
	v_cndmask_b32_e64 v64, 0, v64, s8
	s_mov_b32 s8, 0
	s_delay_alu instid0(VALU_DEP_1) | instskip(NEXT) | instid1(VALU_DEP_1)
	v_add_nc_u32_e32 v25, v25, v64
	v_mov_b32_dpp v64, v25 row_shr:4 row_mask:0xf bank_mask:0xf
	s_delay_alu instid0(VALU_DEP_1) | instskip(NEXT) | instid1(VALU_DEP_1)
	v_cndmask_b32_e64 v64, 0, v64, s9
	v_add_nc_u32_e32 v25, v25, v64
	s_delay_alu instid0(VALU_DEP_1) | instskip(NEXT) | instid1(VALU_DEP_1)
	v_mov_b32_dpp v64, v25 row_shr:8 row_mask:0xf bank_mask:0xf
	v_cndmask_b32_e64 v64, 0, v64, s10
	s_delay_alu instid0(VALU_DEP_1) | instskip(SKIP_3) | instid1(VALU_DEP_1)
	v_add_nc_u32_e32 v25, v25, v64
	ds_swizzle_b32 v64, v25 offset:swizzle(BROADCAST,32,15)
	s_wait_dscnt 0x0
	v_cndmask_b32_e64 v64, v64, 0, s12
	v_add_nc_u32_e32 v25, v25, v64
	s_and_saveexec_b32 s7, s11
; %bb.40:
	v_mov_b32_e32 v64, 0
	ds_store_b32 v64, v25
; %bb.41:
	s_wait_alu 0xfffe
	s_or_b32 exec_lo, exec_lo, s7
	ds_bpermute_b32 v25, v71, v25
	; wave barrier
	s_wait_loadcnt_dscnt 0x0
	global_inv scope:SCOPE_SE
	v_cndmask_b32_e64 v25, v25, 0, s17
	s_delay_alu instid0(VALU_DEP_1) | instskip(NEXT) | instid1(VALU_DEP_1)
	v_add_nc_u32_e32 v30, v25, v30
	v_add_nc_u32_e32 v31, v30, v31
	s_delay_alu instid0(VALU_DEP_1) | instskip(NEXT) | instid1(VALU_DEP_1)
	v_add_nc_u32_e32 v28, v31, v28
	v_add_nc_u32_e32 v29, v28, v29
	;; [unrolled: 3-line block ×3, first 2 shown]
	s_delay_alu instid0(VALU_DEP_1)
	v_add_nc_u32_e32 v24, v27, v24
	ds_store_2addr_b32 v42, v25, v30 offset0:1 offset1:2
	ds_store_2addr_b32 v42, v31, v28 offset0:3 offset1:4
	ds_store_2addr_b32 v42, v29, v26 offset0:5 offset1:6
	ds_store_2addr_b32 v42, v27, v24 offset0:7 offset1:8
	; wave barrier
	s_wait_loadcnt_dscnt 0x0
	global_inv scope:SCOPE_SE
	ds_load_b32 v24, v54 offset:4
	ds_load_b32 v25, v57 offset:4
	;; [unrolled: 1-line block ×4, first 2 shown]
	v_lshlrev_b32_e32 v28, 1, v41
	; wave barrier
	s_wait_loadcnt_dscnt 0x0
	global_inv scope:SCOPE_SE
	v_add_nc_u32_e32 v30, v24, v53
	v_add3_u32 v53, v56, v55, v25
	v_add3_u32 v54, v59, v58, v26
	v_add3_u32 v55, v62, v61, v27
	s_delay_alu instid0(VALU_DEP_4) | instskip(NEXT) | instid1(VALU_DEP_4)
	v_lshlrev_b32_e32 v24, 1, v30
	v_lshlrev_b32_e32 v25, 1, v53
	s_delay_alu instid0(VALU_DEP_4) | instskip(NEXT) | instid1(VALU_DEP_4)
	v_lshlrev_b32_e32 v26, 1, v54
	v_lshlrev_b32_e32 v27, 1, v55
	ds_store_b16 v24, v50
	ds_store_b16 v25, v49
	;; [unrolled: 1-line block ×4, first 2 shown]
	; wave barrier
	s_wait_loadcnt_dscnt 0x0
	global_inv scope:SCOPE_SE
	ds_load_b64 v[28:29], v28
	v_mad_co_u64_u32 v[30:31], null, v30, 6, v[24:25]
	v_mad_co_u64_u32 v[24:25], null, v53, 6, v[25:26]
	;; [unrolled: 1-line block ×3, first 2 shown]
	; wave barrier
	s_wait_loadcnt_dscnt 0x0
	global_inv scope:SCOPE_SE
	ds_store_b64 v30, v[13:14]
	ds_store_b64 v24, v[15:16]
	v_mad_co_u64_u32 v[26:27], null, v55, 6, v[27:28]
	v_xor_b32_e32 v13, 0x80008000, v28
	v_xor_b32_e32 v14, 0x80008000, v29
	ds_store_b64 v25, v[9:10]
	ds_store_b64 v26, v[11:12]
	; wave barrier
	s_wait_loadcnt_dscnt 0x0
	global_inv scope:SCOPE_SE
.LBB168_42:
	s_and_b32 vcc_lo, exec_lo, s8
	s_wait_alu 0xfffe
	s_cbranch_vccz .LBB168_64
; %bb.43:
	v_xor_b32_e32 v10, 0x7fff, v48
	v_cmp_eq_u32_e32 vcc_lo, 3, v46
	v_xor_b32_e32 v9, 0x7fff, v22
	s_getpc_b64 s[8:9]
	s_wait_alu 0xfffe
	s_sext_i32_i16 s9, s9
	s_add_co_u32 s8, s8, _ZN7rocprim17ROCPRIM_400000_NS16block_radix_sortIsLj32ELj4ElLj1ELj1ELj0ELNS0_26block_radix_rank_algorithmE1ELNS0_18block_padding_hintE2ELNS0_4arch9wavefront6targetE0EE19radix_bits_per_passE@rel32@lo+12
	s_wait_alu 0xfffe
	s_add_co_ci_u32 s9, s9, _ZN7rocprim17ROCPRIM_400000_NS16block_radix_sortIsLj32ELj4ElLj1ELj1ELj0ELNS0_26block_radix_rank_algorithmE1ELNS0_18block_padding_hintE2ELNS0_4arch9wavefront6targetE0EE19radix_bits_per_passE@rel32@hi+24
	ds_bpermute_b32 v22, v44, v7
	v_and_b32_e32 v49, 0xffff, v10
	v_xor_b32_e32 v10, 0x7fff, v47
	s_load_b32 s15, s[8:9], 0x0
	ds_bpermute_b32 v25, v44, v7 offset:32
	s_wait_loadcnt_dscnt 0x0
	ds_bpermute_b32 v14, v44, v49
	v_and_b32_e32 v58, 0xffff, v10
	ds_bpermute_b32 v47, v44, v49 offset:64
	ds_bpermute_b32 v55, v44, v49 offset:32
	; wave barrier
	s_wait_dscnt 0x0
	global_inv scope:SCOPE_SE
	s_load_b32 s7, s[22:23], 0xc
	ds_bpermute_b32 v26, v44, v58
	ds_bpermute_b32 v60, v44, v58 offset:64
	ds_bpermute_b32 v61, v44, v58 offset:32
	ds_bpermute_b32 v52, v44, v6
	ds_bpermute_b32 v11, v44, v1
	ds_bpermute_b32 v48, v44, v6 offset:32
	ds_bpermute_b32 v15, v44, v1 offset:32
	;; [unrolled: 1-line block ×3, first 2 shown]
	ds_bpermute_b32 v51, v44, v5
	ds_bpermute_b32 v54, v44, v5 offset:32
	ds_bpermute_b32 v27, v44, v8 offset:32
	s_wait_kmcnt 0x0
	s_min_u32 s8, s15, 16
	ds_bpermute_b32 v53, v44, v5 offset:64
	s_wait_alu 0xfffe
	s_lshl_b32 s8, -1, s8
	v_and_b32_e32 v14, 0xffff, v14
	s_wait_alu 0xfffe
	s_not_b32 s9, s8
	ds_bpermute_b32 v12, v44, v2
	ds_bpermute_b32 v10, v44, v4
	ds_bpermute_b32 v16, v44, v2 offset:32
	s_lshr_b32 s8, s7, 16
	s_wait_dscnt 0xe
	v_and_b32_e32 v26, 0xffff, v26
	v_and_b32_e32 v29, 0xffff, v9
	v_xor_b32_e32 v9, 0x7fff, v23
	ds_bpermute_b32 v23, v44, v8
	s_and_b32 s10, s7, 0xffff
	s_wait_alu 0xfffe
	v_mad_u32_u24 v0, v0, s8, v45
	ds_bpermute_b32 v13, v44, v29
	v_and_b32_e32 v50, 0xffff, v9
	ds_bpermute_b32 v9, v44, v3
	ds_bpermute_b32 v24, v44, v50
	ds_bpermute_b32 v57, v44, v50 offset:64
	ds_bpermute_b32 v46, v44, v50 offset:32
	s_wait_dscnt 0x4
	v_and_b32_e32 v13, 0xffff, v13
	s_delay_alu instid0(VALU_DEP_1) | instskip(SKIP_2) | instid1(VALU_DEP_2)
	v_cndmask_b32_e64 v13, 0, v13, s6
	s_wait_dscnt 0x2
	v_and_b32_e32 v24, 0xffff, v24
	v_cndmask_b32_e64 v30, v13, v14, s5
	ds_bpermute_b32 v13, v44, v3 offset:32
	ds_bpermute_b32 v14, v44, v4 offset:32
	v_cndmask_b32_e64 v24, v30, v24, s4
	ds_bpermute_b32 v30, v44, v7 offset:64
	v_cndmask_b32_e32 v26, v24, v26, vcc_lo
	ds_bpermute_b32 v28, v44, v29 offset:64
	ds_bpermute_b32 v31, v44, v29 offset:32
	;; [unrolled: 1-line block ×5, first 2 shown]
	s_wait_dscnt 0x4
	v_and_b32_e32 v28, 0xffff, v28
	s_wait_dscnt 0x3
	v_perm_b32 v59, v31, v26, 0x5040100
	ds_bpermute_b32 v31, v44, v8 offset:64
	v_cndmask_b32_e64 v28, 0, v28, s6
	v_cndmask_b32_e64 v59, v26, v59, s6
	ds_bpermute_b32 v26, v44, v2 offset:64
	v_bfi_b32 v47, 0xffff, v47, v28
	v_perm_b32 v55, v55, v59, 0x5040100
	s_delay_alu instid0(VALU_DEP_2) | instskip(NEXT) | instid1(VALU_DEP_2)
	v_cndmask_b32_e64 v47, v28, v47, s5
	v_cndmask_b32_e64 v55, v59, v55, s5
	ds_bpermute_b32 v28, v44, v3 offset:64
	v_bfi_b32 v57, 0xffff, v57, v47
	v_perm_b32 v46, v46, v55, 0x5040100
	s_delay_alu instid0(VALU_DEP_2) | instskip(NEXT) | instid1(VALU_DEP_2)
	v_cndmask_b32_e64 v59, v47, v57, s4
	v_cndmask_b32_e64 v63, v55, v46, s4
	ds_bpermute_b32 v47, v44, v7 offset:96
	ds_bpermute_b32 v55, v44, v6 offset:96
	;; [unrolled: 1-line block ×3, first 2 shown]
	v_bfi_b32 v60, 0xffff, v60, v59
	v_perm_b32 v7, v61, v63, 0x5040100
	ds_bpermute_b32 v1, v44, v50 offset:96
	ds_bpermute_b32 v57, v44, v5 offset:96
	v_cndmask_b32_e32 v6, v59, v60, vcc_lo
	v_cndmask_b32_e32 v50, v63, v7, vcc_lo
	ds_bpermute_b32 v5, v44, v49 offset:96
	ds_bpermute_b32 v49, v44, v8 offset:96
	;; [unrolled: 1-line block ×3, first 2 shown]
	s_wait_dscnt 0xd
	v_perm_b32 v8, v62, v6, 0x5040100
	v_and_b32_e32 v59, s9, v50
	s_delay_alu instid0(VALU_DEP_2) | instskip(NEXT) | instid1(VALU_DEP_2)
	v_cndmask_b32_e64 v6, v6, v8, s6
	v_and_b32_e32 v8, 1, v59
	v_lshlrev_b32_e32 v45, 30, v59
	v_lshlrev_b32_e32 v58, 29, v59
	;; [unrolled: 1-line block ×4, first 2 shown]
	v_add_co_u32 v8, s7, v8, -1
	s_wait_alu 0xf1ff
	v_cndmask_b32_e64 v61, 0, 1, s7
	v_not_b32_e32 v65, v45
	v_cmp_gt_i32_e64 s8, 0, v45
	v_not_b32_e32 v45, v58
	v_lshlrev_b32_e32 v63, 26, v59
	v_cmp_ne_u32_e64 s7, 0, v61
	v_ashrrev_i32_e32 v65, 31, v65
	v_lshlrev_b32_e32 v64, 25, v59
	v_ashrrev_i32_e32 v45, 31, v45
	v_lshlrev_b32_e32 v61, 24, v59
	s_wait_alu 0xf1ff
	v_xor_b32_e32 v8, s7, v8
	v_cmp_gt_i32_e64 s7, 0, v58
	v_not_b32_e32 v58, v60
	v_xor_b32_e32 v65, s8, v65
	v_cmp_gt_i32_e64 s8, 0, v60
	v_and_b32_e32 v8, exec_lo, v8
	v_not_b32_e32 v60, v62
	v_ashrrev_i32_e32 v58, 31, v58
	s_wait_alu 0xf1ff
	v_xor_b32_e32 v45, s7, v45
	v_cmp_gt_i32_e64 s7, 0, v62
	v_and_b32_e32 v8, v8, v65
	v_not_b32_e32 v62, v63
	v_ashrrev_i32_e32 v60, 31, v60
	v_xor_b32_e32 v58, s8, v58
	v_cmp_gt_i32_e64 s8, 0, v63
	v_and_b32_e32 v8, v8, v45
	v_not_b32_e32 v45, v64
	v_ashrrev_i32_e32 v62, 31, v62
	s_wait_alu 0xf1ff
	v_xor_b32_e32 v60, s7, v60
	s_wait_dscnt 0x2
	v_perm_b32 v5, v5, v6, 0x5040100
	v_and_b32_e32 v8, v8, v58
	v_cmp_gt_i32_e64 s7, 0, v64
	v_not_b32_e32 v58, v61
	v_ashrrev_i32_e32 v45, 31, v45
	v_xor_b32_e32 v62, s8, v62
	v_and_b32_e32 v8, v8, v60
	v_cndmask_b32_e64 v60, v6, v5, s5
	v_cmp_gt_i32_e64 s8, 0, v61
	v_ashrrev_i32_e32 v58, 31, v58
	s_wait_alu 0xf1ff
	v_xor_b32_e32 v45, s7, v45
	v_and_b32_e32 v8, v8, v62
	v_mad_co_u64_u32 v[5:6], null, v0, s10, v[21:22]
	v_perm_b32 v0, v1, v60, 0x5040100
	v_xor_b32_e32 v1, s8, v58
	s_delay_alu instid0(VALU_DEP_4)
	v_and_b32_e32 v6, v8, v45
	ds_bpermute_b32 v58, v44, v2 offset:96
	ds_bpermute_b32 v45, v44, v3 offset:96
	;; [unrolled: 1-line block ×3, first 2 shown]
	v_cndmask_b32_e64 v2, v60, v0, s4
	v_dual_mov_b32 v1, 0 :: v_dual_and_b32 v0, v6, v1
	v_lshrrev_b32_e32 v3, 5, v5
	ds_store_2addr_b32 v42, v1, v1 offset0:1 offset1:2
	ds_store_2addr_b32 v42, v1, v1 offset0:3 offset1:4
	;; [unrolled: 1-line block ×4, first 2 shown]
	v_mbcnt_lo_u32_b32 v60, v0, 0
	s_wait_dscnt 0x7
	v_perm_b32 v4, v7, v2, 0x5040100
	v_lshlrev_b32_e32 v8, 2, v3
	v_and_b32_e32 v1, 0xffff, v59
	v_cmp_ne_u32_e64 s8, 0, v0
	v_cmp_eq_u32_e64 s7, 0, v60
	v_cndmask_b32_e32 v59, v2, v4, vcc_lo
	s_wait_loadcnt_dscnt 0x0
	v_lshl_add_u32 v62, v1, 2, v8
	; wave barrier
	global_inv scope:SCOPE_SE
	s_and_b32 s8, s8, s7
	; wave barrier
	s_wait_alu 0xfffe
	s_and_saveexec_b32 s7, s8
; %bb.44:
	v_bcnt_u32_b32 v0, v0, 0
	ds_store_b32 v62, v0 offset:4
; %bb.45:
	s_wait_alu 0xfffe
	s_or_b32 exec_lo, exec_lo, s7
	v_lshrrev_b32_e32 v61, 16, v50
	; wave barrier
	s_delay_alu instid0(VALU_DEP_1) | instskip(NEXT) | instid1(VALU_DEP_1)
	v_and_b32_e32 v0, s9, v61
	v_and_b32_e32 v1, 1, v0
	v_lshlrev_b32_e32 v2, 30, v0
	v_lshlrev_b32_e32 v3, 29, v0
	;; [unrolled: 1-line block ×4, first 2 shown]
	v_add_co_u32 v1, s7, v1, -1
	s_wait_alu 0xf1ff
	v_cndmask_b32_e64 v5, 0, 1, s7
	v_not_b32_e32 v64, v2
	v_cmp_gt_i32_e64 s8, 0, v2
	v_not_b32_e32 v2, v3
	v_lshlrev_b32_e32 v7, 26, v0
	v_cmp_ne_u32_e64 s7, 0, v5
	v_ashrrev_i32_e32 v64, 31, v64
	v_lshlrev_b32_e32 v63, 25, v0
	v_ashrrev_i32_e32 v2, 31, v2
	v_lshlrev_b32_e32 v5, 24, v0
	s_wait_alu 0xf1ff
	v_xor_b32_e32 v1, s7, v1
	v_cmp_gt_i32_e64 s7, 0, v3
	v_not_b32_e32 v3, v4
	v_xor_b32_e32 v64, s8, v64
	v_cmp_gt_i32_e64 s8, 0, v4
	v_and_b32_e32 v1, exec_lo, v1
	v_not_b32_e32 v4, v6
	v_ashrrev_i32_e32 v3, 31, v3
	s_wait_alu 0xf1ff
	v_xor_b32_e32 v2, s7, v2
	v_cmp_gt_i32_e64 s7, 0, v6
	v_and_b32_e32 v1, v1, v64
	v_not_b32_e32 v6, v7
	v_ashrrev_i32_e32 v4, 31, v4
	v_xor_b32_e32 v3, s8, v3
	v_cmp_gt_i32_e64 s8, 0, v7
	v_and_b32_e32 v1, v1, v2
	v_not_b32_e32 v2, v63
	v_ashrrev_i32_e32 v6, 31, v6
	s_wait_alu 0xf1ff
	v_xor_b32_e32 v4, s7, v4
	v_cmp_gt_i32_e64 s7, 0, v63
	v_and_b32_e32 v1, v1, v3
	v_not_b32_e32 v3, v5
	v_ashrrev_i32_e32 v2, 31, v2
	v_xor_b32_e32 v6, s8, v6
	v_cmp_gt_i32_e64 s8, 0, v5
	v_and_b32_e32 v1, v1, v4
	v_ashrrev_i32_e32 v3, 31, v3
	s_wait_alu 0xf1ff
	v_xor_b32_e32 v2, s7, v2
	v_lshl_add_u32 v65, v0, 2, v8
	v_and_b32_e32 v1, v1, v6
	v_xor_b32_e32 v0, s8, v3
	ds_load_b32 v63, v65 offset:4
	v_and_b32_e32 v1, v1, v2
	; wave barrier
	s_delay_alu instid0(VALU_DEP_1) | instskip(NEXT) | instid1(VALU_DEP_1)
	v_and_b32_e32 v0, v1, v0
	v_mbcnt_lo_u32_b32 v64, v0, 0
	v_cmp_ne_u32_e64 s8, 0, v0
	s_delay_alu instid0(VALU_DEP_2)
	v_cmp_eq_u32_e64 s7, 0, v64
	s_and_b32 s8, s8, s7
	s_wait_alu 0xfffe
	s_and_saveexec_b32 s7, s8
	s_cbranch_execz .LBB168_47
; %bb.46:
	s_wait_dscnt 0x0
	v_bcnt_u32_b32 v0, v0, v63
	ds_store_b32 v65, v0 offset:4
.LBB168_47:
	s_wait_alu 0xfffe
	s_or_b32 exec_lo, exec_lo, s7
	v_and_b32_e32 v0, s9, v59
	; wave barrier
	s_delay_alu instid0(VALU_DEP_1)
	v_and_b32_e32 v1, 1, v0
	v_lshlrev_b32_e32 v2, 30, v0
	v_lshlrev_b32_e32 v3, 29, v0
	;; [unrolled: 1-line block ×4, first 2 shown]
	v_add_co_u32 v1, s7, v1, -1
	s_wait_alu 0xf1ff
	v_cndmask_b32_e64 v5, 0, 1, s7
	v_not_b32_e32 v67, v2
	v_cmp_gt_i32_e64 s8, 0, v2
	v_not_b32_e32 v2, v3
	v_lshlrev_b32_e32 v7, 26, v0
	v_cmp_ne_u32_e64 s7, 0, v5
	v_ashrrev_i32_e32 v67, 31, v67
	v_lshlrev_b32_e32 v66, 25, v0
	v_ashrrev_i32_e32 v2, 31, v2
	v_lshlrev_b32_e32 v5, 24, v0
	s_wait_alu 0xf1ff
	v_xor_b32_e32 v1, s7, v1
	v_cmp_gt_i32_e64 s7, 0, v3
	v_not_b32_e32 v3, v4
	v_xor_b32_e32 v67, s8, v67
	v_cmp_gt_i32_e64 s8, 0, v4
	v_and_b32_e32 v1, exec_lo, v1
	v_not_b32_e32 v4, v6
	v_ashrrev_i32_e32 v3, 31, v3
	s_wait_alu 0xf1ff
	v_xor_b32_e32 v2, s7, v2
	v_cmp_gt_i32_e64 s7, 0, v6
	v_and_b32_e32 v1, v1, v67
	v_not_b32_e32 v6, v7
	v_ashrrev_i32_e32 v4, 31, v4
	v_xor_b32_e32 v3, s8, v3
	v_cmp_gt_i32_e64 s8, 0, v7
	v_and_b32_e32 v1, v1, v2
	v_not_b32_e32 v2, v66
	v_ashrrev_i32_e32 v6, 31, v6
	s_wait_alu 0xf1ff
	v_xor_b32_e32 v4, s7, v4
	v_cmp_gt_i32_e64 s7, 0, v66
	v_and_b32_e32 v1, v1, v3
	v_not_b32_e32 v3, v5
	v_ashrrev_i32_e32 v2, 31, v2
	v_xor_b32_e32 v6, s8, v6
	v_and_b32_e32 v0, 0xffff, v0
	v_and_b32_e32 v1, v1, v4
	v_cmp_gt_i32_e64 s8, 0, v5
	v_ashrrev_i32_e32 v3, 31, v3
	s_wait_alu 0xf1ff
	v_xor_b32_e32 v2, s7, v2
	v_lshl_add_u32 v69, v0, 2, v8
	v_and_b32_e32 v1, v1, v6
	v_xor_b32_e32 v0, s8, v3
	ds_load_b32 v66, v69 offset:4
	v_and_b32_e32 v1, v1, v2
	; wave barrier
	s_delay_alu instid0(VALU_DEP_1) | instskip(NEXT) | instid1(VALU_DEP_1)
	v_and_b32_e32 v0, v1, v0
	v_mbcnt_lo_u32_b32 v67, v0, 0
	v_cmp_ne_u32_e64 s8, 0, v0
	s_delay_alu instid0(VALU_DEP_2)
	v_cmp_eq_u32_e64 s7, 0, v67
	s_and_b32 s8, s8, s7
	s_wait_alu 0xfffe
	s_and_saveexec_b32 s7, s8
	s_cbranch_execz .LBB168_49
; %bb.48:
	s_wait_dscnt 0x0
	v_bcnt_u32_b32 v0, v0, v66
	ds_store_b32 v69, v0 offset:4
.LBB168_49:
	s_wait_alu 0xfffe
	s_or_b32 exec_lo, exec_lo, s7
	v_lshrrev_b32_e32 v68, 16, v59
	; wave barrier
	v_and_or_b32 v72, 0xf80, v41, v43
	s_delay_alu instid0(VALU_DEP_2) | instskip(NEXT) | instid1(VALU_DEP_1)
	v_and_b32_e32 v0, s9, v68
	v_and_b32_e32 v1, 1, v0
	v_lshlrev_b32_e32 v2, 30, v0
	v_lshlrev_b32_e32 v3, 29, v0
	;; [unrolled: 1-line block ×4, first 2 shown]
	v_add_co_u32 v1, s7, v1, -1
	s_wait_alu 0xf1ff
	v_cndmask_b32_e64 v5, 0, 1, s7
	v_not_b32_e32 v71, v2
	v_cmp_gt_i32_e64 s8, 0, v2
	v_not_b32_e32 v2, v3
	v_lshlrev_b32_e32 v7, 26, v0
	v_cmp_ne_u32_e64 s7, 0, v5
	v_ashrrev_i32_e32 v71, 31, v71
	v_lshlrev_b32_e32 v70, 25, v0
	v_ashrrev_i32_e32 v2, 31, v2
	v_lshlrev_b32_e32 v5, 24, v0
	s_wait_alu 0xf1ff
	v_xor_b32_e32 v1, s7, v1
	v_cmp_gt_i32_e64 s7, 0, v3
	v_not_b32_e32 v3, v4
	v_xor_b32_e32 v71, s8, v71
	v_cmp_gt_i32_e64 s8, 0, v4
	v_and_b32_e32 v1, exec_lo, v1
	v_not_b32_e32 v4, v6
	v_ashrrev_i32_e32 v3, 31, v3
	s_wait_alu 0xf1ff
	v_xor_b32_e32 v2, s7, v2
	v_cmp_gt_i32_e64 s7, 0, v6
	v_and_b32_e32 v1, v1, v71
	v_not_b32_e32 v6, v7
	v_ashrrev_i32_e32 v4, 31, v4
	v_xor_b32_e32 v3, s8, v3
	v_cmp_gt_i32_e64 s8, 0, v7
	v_and_b32_e32 v1, v1, v2
	v_not_b32_e32 v2, v70
	v_ashrrev_i32_e32 v6, 31, v6
	s_wait_alu 0xf1ff
	v_xor_b32_e32 v4, s7, v4
	v_cmp_gt_i32_e64 s7, 0, v70
	v_and_b32_e32 v1, v1, v3
	v_not_b32_e32 v3, v5
	v_ashrrev_i32_e32 v2, 31, v2
	v_xor_b32_e32 v6, s8, v6
	v_cmp_gt_i32_e64 s8, 0, v5
	v_and_b32_e32 v1, v1, v4
	v_ashrrev_i32_e32 v3, 31, v3
	s_wait_alu 0xf1ff
	v_xor_b32_e32 v2, s7, v2
	v_lshl_add_u32 v73, v0, 2, v8
	v_and_b32_e32 v1, v1, v6
	v_xor_b32_e32 v0, s8, v3
	ds_load_b32 v70, v73 offset:4
	v_and_b32_e32 v1, v1, v2
	; wave barrier
	s_delay_alu instid0(VALU_DEP_1) | instskip(NEXT) | instid1(VALU_DEP_1)
	v_and_b32_e32 v0, v1, v0
	v_mbcnt_lo_u32_b32 v71, v0, 0
	v_cmp_ne_u32_e64 s8, 0, v0
	s_delay_alu instid0(VALU_DEP_2)
	v_cmp_eq_u32_e64 s7, 0, v71
	s_and_b32 s8, s8, s7
	s_wait_alu 0xfffe
	s_and_saveexec_b32 s7, s8
	s_cbranch_execz .LBB168_51
; %bb.50:
	s_wait_dscnt 0x0
	v_bcnt_u32_b32 v0, v0, v70
	ds_store_b32 v73, v0 offset:4
.LBB168_51:
	s_wait_alu 0xfffe
	s_or_b32 exec_lo, exec_lo, s7
	; wave barrier
	; wave barrier
	s_wait_loadcnt_dscnt 0x0
	global_inv scope:SCOPE_SE
	ds_load_2addr_b32 v[6:7], v42 offset0:1 offset1:2
	ds_load_2addr_b32 v[4:5], v42 offset0:3 offset1:4
	;; [unrolled: 1-line block ×4, first 2 shown]
	v_and_b32_e32 v76, 16, v43
	v_cmp_eq_u32_e64 s11, 31, v21
	s_delay_alu instid0(VALU_DEP_2) | instskip(SKIP_3) | instid1(VALU_DEP_1)
	v_cmp_eq_u32_e64 s12, 0, v76
	s_wait_dscnt 0x3
	v_add_nc_u32_e32 v74, v7, v6
	s_wait_dscnt 0x2
	v_add3_u32 v74, v74, v4, v5
	s_wait_dscnt 0x1
	s_delay_alu instid0(VALU_DEP_1) | instskip(SKIP_1) | instid1(VALU_DEP_1)
	v_add3_u32 v74, v74, v2, v3
	s_wait_dscnt 0x0
	v_add3_u32 v1, v74, v0, v1
	v_and_b32_e32 v74, 15, v43
	s_delay_alu instid0(VALU_DEP_2) | instskip(NEXT) | instid1(VALU_DEP_2)
	v_mov_b32_dpp v75, v1 row_shr:1 row_mask:0xf bank_mask:0xf
	v_cmp_eq_u32_e64 s7, 0, v74
	v_cmp_lt_u32_e64 s8, 1, v74
	v_cmp_lt_u32_e64 s9, 3, v74
	;; [unrolled: 1-line block ×3, first 2 shown]
	s_wait_alu 0xf1ff
	v_cndmask_b32_e64 v75, v75, 0, s7
	s_delay_alu instid0(VALU_DEP_1) | instskip(NEXT) | instid1(VALU_DEP_1)
	v_add_nc_u32_e32 v1, v75, v1
	v_mov_b32_dpp v75, v1 row_shr:2 row_mask:0xf bank_mask:0xf
	s_delay_alu instid0(VALU_DEP_1) | instskip(NEXT) | instid1(VALU_DEP_1)
	v_cndmask_b32_e64 v75, 0, v75, s8
	v_add_nc_u32_e32 v1, v1, v75
	s_delay_alu instid0(VALU_DEP_1) | instskip(NEXT) | instid1(VALU_DEP_1)
	v_mov_b32_dpp v75, v1 row_shr:4 row_mask:0xf bank_mask:0xf
	v_cndmask_b32_e64 v75, 0, v75, s9
	s_delay_alu instid0(VALU_DEP_1) | instskip(NEXT) | instid1(VALU_DEP_1)
	v_add_nc_u32_e32 v1, v1, v75
	v_mov_b32_dpp v75, v1 row_shr:8 row_mask:0xf bank_mask:0xf
	s_delay_alu instid0(VALU_DEP_1) | instskip(SKIP_1) | instid1(VALU_DEP_2)
	v_cndmask_b32_e64 v74, 0, v75, s10
	v_bfe_i32 v75, v43, 4, 1
	v_add_nc_u32_e32 v74, v1, v74
	ds_swizzle_b32 v1, v74 offset:swizzle(BROADCAST,32,15)
	s_wait_dscnt 0x0
	v_and_b32_e32 v77, v75, v1
	v_sub_co_u32 v75, s17, v43, 1
	v_mul_u32_u24_e32 v1, 6, v72
	s_delay_alu instid0(VALU_DEP_3)
	v_add_nc_u32_e32 v74, v74, v77
	s_and_saveexec_b32 s13, s11
; %bb.52:
	v_mov_b32_e32 v76, 0
	ds_store_b32 v76, v74
; %bb.53:
	s_wait_alu 0xfffe
	s_or_b32 exec_lo, exec_lo, s13
	v_cmp_gt_i32_e64 s13, 0, v75
	; wave barrier
	s_wait_loadcnt_dscnt 0x0
	global_inv scope:SCOPE_SE
	v_cndmask_b32_e64 v51, 0, v51, s6
	v_cndmask_b32_e64 v52, 0, v52, s6
	s_wait_alu 0xf1ff
	v_cndmask_b32_e64 v43, v75, v43, s13
	v_cmp_eq_u32_e64 s13, 0, v21
	v_cndmask_b32_e64 v54, 0, v54, s6
	v_cndmask_b32_e64 v22, v51, v22, s5
	;; [unrolled: 1-line block ×3, first 2 shown]
	v_lshlrev_b32_e32 v43, 2, v43
	s_or_b32 s13, s13, s17
	v_cndmask_b32_e64 v25, v54, v25, s5
	s_min_u32 s15, s15, 8
	ds_bpermute_b32 v74, v43, v74
	s_wait_dscnt 0x0
	s_wait_alu 0xfffe
	v_cndmask_b32_e64 v21, v74, 0, s13
	s_delay_alu instid0(VALU_DEP_1) | instskip(NEXT) | instid1(VALU_DEP_1)
	v_add_nc_u32_e32 v6, v21, v6
	v_add_nc_u32_e32 v7, v6, v7
	s_delay_alu instid0(VALU_DEP_1) | instskip(NEXT) | instid1(VALU_DEP_1)
	v_add_nc_u32_e32 v4, v7, v4
	v_add_nc_u32_e32 v5, v4, v5
	s_delay_alu instid0(VALU_DEP_1) | instskip(NEXT) | instid1(VALU_DEP_1)
	v_add_nc_u32_e32 v2, v5, v2
	v_add_nc_u32_e32 v3, v2, v3
	s_delay_alu instid0(VALU_DEP_1)
	v_add_nc_u32_e32 v0, v3, v0
	ds_store_2addr_b32 v42, v21, v6 offset0:1 offset1:2
	ds_store_2addr_b32 v42, v7, v4 offset0:3 offset1:4
	;; [unrolled: 1-line block ×4, first 2 shown]
	; wave barrier
	s_wait_loadcnt_dscnt 0x0
	global_inv scope:SCOPE_SE
	ds_load_b32 v0, v62 offset:4
	ds_load_b32 v2, v65 offset:4
	;; [unrolled: 1-line block ×4, first 2 shown]
	v_cndmask_b32_e64 v6, 0, v53, s6
	v_cndmask_b32_e64 v7, 0, v56, s6
	;; [unrolled: 1-line block ×4, first 2 shown]
	v_lshlrev_b32_e32 v53, 1, v72
	v_cndmask_b32_e64 v6, v6, v30, s5
	v_cndmask_b32_e64 v7, v7, v31, s5
	;; [unrolled: 1-line block ×4, first 2 shown]
	; wave barrier
	s_wait_loadcnt_dscnt 0x0
	global_inv scope:SCOPE_SE
	v_cndmask_b32_e64 v48, 0, v57, s6
	v_cndmask_b32_e64 v7, v7, v26, s4
	s_lshl_b32 s6, -1, s15
	s_wait_alu 0xfffe
	s_not_b32 s6, s6
	v_add_nc_u32_e32 v30, v0, v60
	v_add3_u32 v31, v64, v63, v2
	v_add3_u32 v49, v67, v66, v3
	v_add3_u32 v51, v71, v70, v4
	v_cndmask_b32_e64 v47, v48, v47, s5
	v_lshlrev_b32_e32 v0, 1, v30
	v_lshlrev_b32_e32 v2, 1, v31
	;; [unrolled: 1-line block ×4, first 2 shown]
	ds_store_b16 v0, v50
	ds_store_b16 v2, v61
	;; [unrolled: 1-line block ×4, first 2 shown]
	; wave barrier
	s_wait_loadcnt_dscnt 0x0
	global_inv scope:SCOPE_SE
	ds_load_u16 v21, v53
	v_add_nc_u32_e32 v48, v53, v1
	v_cndmask_b32_e64 v1, v22, v11, s4
	v_cndmask_b32_e64 v11, v23, v12, s4
	;; [unrolled: 1-line block ×5, first 2 shown]
	s_delay_alu instid0(VALU_DEP_4) | instskip(NEXT) | instid1(VALU_DEP_4)
	v_dual_cndmask_b32 v5, v1, v9 :: v_dual_cndmask_b32 v6, v11, v10
	v_cndmask_b32_e32 v9, v12, v13, vcc_lo
	v_cndmask_b32_e32 v12, v7, v29, vcc_lo
	s_delay_alu instid0(VALU_DEP_4)
	v_dual_cndmask_b32 v10, v15, v14 :: v_dual_cndmask_b32 v11, v16, v28
	ds_load_u16 v16, v53 offset:64
	ds_load_u16 v22, v53 offset:128
	;; [unrolled: 1-line block ×3, first 2 shown]
	; wave barrier
	s_wait_loadcnt_dscnt 0x0
	global_inv scope:SCOPE_SE
	v_cndmask_b32_e64 v24, v47, v46, s4
	v_cndmask_b32_e64 v25, v27, v58, s4
	v_lshrrev_b16 v1, 8, v21
	s_delay_alu instid0(VALU_DEP_2) | instskip(NEXT) | instid1(VALU_DEP_2)
	v_dual_cndmask_b32 v13, v24, v45 :: v_dual_cndmask_b32 v14, v25, v44
	v_and_b32_e32 v7, 0xffff, v1
	v_mad_co_u64_u32 v[0:1], null, v30, 6, v[0:1]
	v_mad_co_u64_u32 v[1:2], null, v31, 6, v[2:3]
	s_wait_alu 0xfffe
	s_delay_alu instid0(VALU_DEP_3)
	v_and_b32_e32 v15, s6, v7
	v_mad_co_u64_u32 v[2:3], null, v49, 6, v[3:4]
	v_mad_co_u64_u32 v[3:4], null, v51, 6, v[4:5]
	ds_store_b64 v0, v[5:6]
	v_and_b32_e32 v0, 1, v15
	v_lshlrev_b32_e32 v4, 30, v15
	v_lshlrev_b32_e32 v5, 29, v15
	;; [unrolled: 1-line block ×4, first 2 shown]
	v_add_co_u32 v0, s4, v0, -1
	s_wait_alu 0xf1ff
	v_cndmask_b32_e64 v7, 0, 1, s4
	v_not_b32_e32 v27, v4
	v_cmp_gt_i32_e64 s4, 0, v4
	v_not_b32_e32 v4, v5
	v_lshlrev_b32_e32 v25, 26, v15
	v_cmp_ne_u32_e32 vcc_lo, 0, v7
	v_ashrrev_i32_e32 v27, 31, v27
	v_lshlrev_b32_e32 v26, 25, v15
	v_ashrrev_i32_e32 v4, 31, v4
	v_lshlrev_b32_e32 v7, 24, v15
	s_wait_alu 0xfffd
	v_xor_b32_e32 v0, vcc_lo, v0
	v_cmp_gt_i32_e32 vcc_lo, 0, v5
	v_not_b32_e32 v5, v6
	s_wait_alu 0xf1ff
	v_xor_b32_e32 v27, s4, v27
	v_cmp_gt_i32_e64 s4, 0, v6
	v_and_b32_e32 v0, exec_lo, v0
	v_not_b32_e32 v6, v24
	v_ashrrev_i32_e32 v5, 31, v5
	s_wait_alu 0xfffd
	v_xor_b32_e32 v4, vcc_lo, v4
	v_cmp_gt_i32_e32 vcc_lo, 0, v24
	v_and_b32_e32 v0, v0, v27
	v_not_b32_e32 v24, v25
	v_ashrrev_i32_e32 v6, 31, v6
	s_wait_alu 0xf1ff
	v_xor_b32_e32 v5, s4, v5
	v_cmp_gt_i32_e64 s4, 0, v25
	v_and_b32_e32 v0, v0, v4
	v_not_b32_e32 v4, v26
	v_ashrrev_i32_e32 v24, 31, v24
	s_wait_alu 0xfffd
	v_xor_b32_e32 v6, vcc_lo, v6
	v_cmp_gt_i32_e32 vcc_lo, 0, v26
	v_and_b32_e32 v0, v0, v5
	v_not_b32_e32 v5, v7
	v_ashrrev_i32_e32 v4, 31, v4
	s_wait_alu 0xf1ff
	v_xor_b32_e32 v24, s4, v24
	ds_store_b64 v1, v[9:10]
	v_and_b32_e32 v0, v0, v6
	v_cmp_gt_i32_e64 s4, 0, v7
	v_ashrrev_i32_e32 v1, 31, v5
	s_wait_alu 0xfffd
	v_xor_b32_e32 v4, vcc_lo, v4
	ds_store_b64 v2, v[11:12]
	ds_store_b64 v3, v[13:14]
	v_and_b32_e32 v0, v0, v24
	s_wait_loadcnt_dscnt 0x0
	s_wait_alu 0xf1ff
	v_xor_b32_e32 v9, s4, v1
	; wave barrier
	global_inv scope:SCOPE_SE
	v_lshl_add_u32 v25, v15, 2, v8
	v_and_b32_e32 v10, v0, v4
	ds_load_2addr_b64 v[4:7], v48 offset1:32
	ds_load_2addr_b64 v[0:3], v48 offset0:64 offset1:96
	; wave barrier
	s_wait_loadcnt_dscnt 0x0
	global_inv scope:SCOPE_SE
	v_dual_mov_b32 v10, 0 :: v_dual_and_b32 v9, v10, v9
	ds_store_2addr_b32 v42, v10, v10 offset0:1 offset1:2
	ds_store_2addr_b32 v42, v10, v10 offset0:3 offset1:4
	;; [unrolled: 1-line block ×4, first 2 shown]
	v_mbcnt_lo_u32_b32 v24, v9, 0
	v_cmp_ne_u32_e64 s4, 0, v9
	; wave barrier
	s_wait_loadcnt_dscnt 0x0
	global_inv scope:SCOPE_SE
	v_cmp_eq_u32_e32 vcc_lo, 0, v24
	; wave barrier
	s_and_b32 s5, s4, vcc_lo
	s_wait_alu 0xfffe
	s_and_saveexec_b32 s4, s5
; %bb.54:
	v_bcnt_u32_b32 v9, v9, 0
	ds_store_b32 v25, v9 offset:4
; %bb.55:
	s_wait_alu 0xfffe
	s_or_b32 exec_lo, exec_lo, s4
	v_lshrrev_b16 v9, 8, v16
	; wave barrier
	s_delay_alu instid0(VALU_DEP_1) | instskip(NEXT) | instid1(VALU_DEP_1)
	v_and_b32_e32 v9, s6, v9
	v_and_b32_e32 v10, 1, v9
	v_lshlrev_b32_e32 v11, 30, v9
	v_lshlrev_b32_e32 v12, 29, v9
	;; [unrolled: 1-line block ×4, first 2 shown]
	v_add_co_u32 v10, s4, v10, -1
	s_wait_alu 0xf1ff
	v_cndmask_b32_e64 v14, 0, 1, s4
	v_not_b32_e32 v28, v11
	v_cmp_gt_i32_e64 s4, 0, v11
	v_not_b32_e32 v11, v12
	v_lshlrev_b32_e32 v26, 26, v9
	v_cmp_ne_u32_e32 vcc_lo, 0, v14
	v_ashrrev_i32_e32 v28, 31, v28
	v_lshlrev_b32_e32 v27, 25, v9
	v_ashrrev_i32_e32 v11, 31, v11
	v_lshlrev_b32_e32 v14, 24, v9
	s_wait_alu 0xfffd
	v_xor_b32_e32 v10, vcc_lo, v10
	v_cmp_gt_i32_e32 vcc_lo, 0, v12
	v_not_b32_e32 v12, v13
	s_wait_alu 0xf1ff
	v_xor_b32_e32 v28, s4, v28
	v_cmp_gt_i32_e64 s4, 0, v13
	v_and_b32_e32 v10, exec_lo, v10
	v_not_b32_e32 v13, v15
	v_ashrrev_i32_e32 v12, 31, v12
	s_wait_alu 0xfffd
	v_xor_b32_e32 v11, vcc_lo, v11
	v_cmp_gt_i32_e32 vcc_lo, 0, v15
	v_and_b32_e32 v10, v10, v28
	v_not_b32_e32 v15, v26
	v_ashrrev_i32_e32 v13, 31, v13
	s_wait_alu 0xf1ff
	v_xor_b32_e32 v12, s4, v12
	v_cmp_gt_i32_e64 s4, 0, v26
	v_and_b32_e32 v10, v10, v11
	v_not_b32_e32 v11, v27
	v_ashrrev_i32_e32 v15, 31, v15
	s_wait_alu 0xfffd
	v_xor_b32_e32 v13, vcc_lo, v13
	v_cmp_gt_i32_e32 vcc_lo, 0, v27
	v_and_b32_e32 v10, v10, v12
	v_not_b32_e32 v12, v14
	v_ashrrev_i32_e32 v11, 31, v11
	s_wait_alu 0xf1ff
	v_xor_b32_e32 v15, s4, v15
	v_cmp_gt_i32_e64 s4, 0, v14
	v_and_b32_e32 v10, v10, v13
	v_ashrrev_i32_e32 v12, 31, v12
	s_wait_alu 0xfffd
	v_xor_b32_e32 v11, vcc_lo, v11
	v_lshl_add_u32 v28, v9, 2, v8
	v_and_b32_e32 v10, v10, v15
	s_wait_alu 0xf1ff
	v_xor_b32_e32 v9, s4, v12
	ds_load_b32 v26, v28 offset:4
	v_and_b32_e32 v10, v10, v11
	; wave barrier
	s_delay_alu instid0(VALU_DEP_1) | instskip(NEXT) | instid1(VALU_DEP_1)
	v_and_b32_e32 v9, v10, v9
	v_mbcnt_lo_u32_b32 v27, v9, 0
	v_cmp_ne_u32_e64 s4, 0, v9
	s_delay_alu instid0(VALU_DEP_2)
	v_cmp_eq_u32_e32 vcc_lo, 0, v27
	s_and_b32 s5, s4, vcc_lo
	s_wait_alu 0xfffe
	s_and_saveexec_b32 s4, s5
	s_cbranch_execz .LBB168_57
; %bb.56:
	s_wait_dscnt 0x0
	v_bcnt_u32_b32 v9, v9, v26
	ds_store_b32 v28, v9 offset:4
.LBB168_57:
	s_wait_alu 0xfffe
	s_or_b32 exec_lo, exec_lo, s4
	v_lshrrev_b16 v9, 8, v22
	; wave barrier
	s_delay_alu instid0(VALU_DEP_1) | instskip(NEXT) | instid1(VALU_DEP_1)
	v_and_b32_e32 v9, s6, v9
	v_and_b32_e32 v10, 1, v9
	v_lshlrev_b32_e32 v11, 30, v9
	v_lshlrev_b32_e32 v12, 29, v9
	;; [unrolled: 1-line block ×4, first 2 shown]
	v_add_co_u32 v10, s4, v10, -1
	s_wait_alu 0xf1ff
	v_cndmask_b32_e64 v14, 0, 1, s4
	v_not_b32_e32 v31, v11
	v_cmp_gt_i32_e64 s4, 0, v11
	v_not_b32_e32 v11, v12
	v_lshlrev_b32_e32 v29, 26, v9
	v_cmp_ne_u32_e32 vcc_lo, 0, v14
	v_ashrrev_i32_e32 v31, 31, v31
	v_lshlrev_b32_e32 v30, 25, v9
	v_ashrrev_i32_e32 v11, 31, v11
	v_lshlrev_b32_e32 v14, 24, v9
	s_wait_alu 0xfffd
	v_xor_b32_e32 v10, vcc_lo, v10
	v_cmp_gt_i32_e32 vcc_lo, 0, v12
	v_not_b32_e32 v12, v13
	s_wait_alu 0xf1ff
	v_xor_b32_e32 v31, s4, v31
	v_cmp_gt_i32_e64 s4, 0, v13
	v_and_b32_e32 v10, exec_lo, v10
	v_not_b32_e32 v13, v15
	v_ashrrev_i32_e32 v12, 31, v12
	s_wait_alu 0xfffd
	v_xor_b32_e32 v11, vcc_lo, v11
	v_cmp_gt_i32_e32 vcc_lo, 0, v15
	v_and_b32_e32 v10, v10, v31
	v_not_b32_e32 v15, v29
	v_ashrrev_i32_e32 v13, 31, v13
	s_wait_alu 0xf1ff
	v_xor_b32_e32 v12, s4, v12
	v_cmp_gt_i32_e64 s4, 0, v29
	v_and_b32_e32 v10, v10, v11
	v_not_b32_e32 v11, v30
	v_ashrrev_i32_e32 v15, 31, v15
	s_wait_alu 0xfffd
	v_xor_b32_e32 v13, vcc_lo, v13
	v_cmp_gt_i32_e32 vcc_lo, 0, v30
	v_and_b32_e32 v10, v10, v12
	v_not_b32_e32 v12, v14
	v_ashrrev_i32_e32 v11, 31, v11
	s_wait_alu 0xf1ff
	v_xor_b32_e32 v15, s4, v15
	v_cmp_gt_i32_e64 s4, 0, v14
	v_and_b32_e32 v10, v10, v13
	v_ashrrev_i32_e32 v12, 31, v12
	s_wait_alu 0xfffd
	v_xor_b32_e32 v11, vcc_lo, v11
	v_lshl_add_u32 v31, v9, 2, v8
	v_and_b32_e32 v10, v10, v15
	s_wait_alu 0xf1ff
	v_xor_b32_e32 v9, s4, v12
	ds_load_b32 v29, v31 offset:4
	v_and_b32_e32 v10, v10, v11
	; wave barrier
	s_delay_alu instid0(VALU_DEP_1) | instskip(NEXT) | instid1(VALU_DEP_1)
	v_and_b32_e32 v9, v10, v9
	v_mbcnt_lo_u32_b32 v30, v9, 0
	v_cmp_ne_u32_e64 s4, 0, v9
	s_delay_alu instid0(VALU_DEP_2)
	v_cmp_eq_u32_e32 vcc_lo, 0, v30
	s_and_b32 s5, s4, vcc_lo
	s_wait_alu 0xfffe
	s_and_saveexec_b32 s4, s5
	s_cbranch_execz .LBB168_59
; %bb.58:
	s_wait_dscnt 0x0
	v_bcnt_u32_b32 v9, v9, v29
	ds_store_b32 v31, v9 offset:4
.LBB168_59:
	s_wait_alu 0xfffe
	s_or_b32 exec_lo, exec_lo, s4
	v_lshrrev_b16 v9, 8, v23
	; wave barrier
	s_delay_alu instid0(VALU_DEP_1) | instskip(NEXT) | instid1(VALU_DEP_1)
	v_and_b32_e32 v9, s6, v9
	v_and_b32_e32 v10, 1, v9
	v_lshlrev_b32_e32 v11, 30, v9
	v_lshlrev_b32_e32 v12, 29, v9
	;; [unrolled: 1-line block ×4, first 2 shown]
	v_add_co_u32 v10, s4, v10, -1
	s_wait_alu 0xf1ff
	v_cndmask_b32_e64 v14, 0, 1, s4
	v_not_b32_e32 v46, v11
	v_cmp_gt_i32_e64 s4, 0, v11
	v_not_b32_e32 v11, v12
	v_lshlrev_b32_e32 v44, 26, v9
	v_cmp_ne_u32_e32 vcc_lo, 0, v14
	v_ashrrev_i32_e32 v46, 31, v46
	v_lshlrev_b32_e32 v45, 25, v9
	v_ashrrev_i32_e32 v11, 31, v11
	v_lshlrev_b32_e32 v14, 24, v9
	s_wait_alu 0xfffd
	v_xor_b32_e32 v10, vcc_lo, v10
	v_cmp_gt_i32_e32 vcc_lo, 0, v12
	v_not_b32_e32 v12, v13
	s_wait_alu 0xf1ff
	v_xor_b32_e32 v46, s4, v46
	v_cmp_gt_i32_e64 s4, 0, v13
	v_and_b32_e32 v10, exec_lo, v10
	v_not_b32_e32 v13, v15
	v_ashrrev_i32_e32 v12, 31, v12
	s_wait_alu 0xfffd
	v_xor_b32_e32 v11, vcc_lo, v11
	v_cmp_gt_i32_e32 vcc_lo, 0, v15
	v_and_b32_e32 v10, v10, v46
	v_not_b32_e32 v15, v44
	v_ashrrev_i32_e32 v13, 31, v13
	s_wait_alu 0xf1ff
	v_xor_b32_e32 v12, s4, v12
	v_cmp_gt_i32_e64 s4, 0, v44
	v_and_b32_e32 v10, v10, v11
	v_not_b32_e32 v11, v45
	v_ashrrev_i32_e32 v15, 31, v15
	s_wait_alu 0xfffd
	v_xor_b32_e32 v13, vcc_lo, v13
	v_cmp_gt_i32_e32 vcc_lo, 0, v45
	v_and_b32_e32 v10, v10, v12
	v_not_b32_e32 v12, v14
	v_ashrrev_i32_e32 v11, 31, v11
	s_wait_alu 0xf1ff
	v_xor_b32_e32 v15, s4, v15
	v_cmp_gt_i32_e64 s4, 0, v14
	v_and_b32_e32 v10, v10, v13
	v_ashrrev_i32_e32 v12, 31, v12
	s_wait_alu 0xfffd
	v_xor_b32_e32 v11, vcc_lo, v11
	v_lshl_add_u32 v46, v9, 2, v8
	v_and_b32_e32 v10, v10, v15
	s_wait_alu 0xf1ff
	v_xor_b32_e32 v8, s4, v12
	ds_load_b32 v44, v46 offset:4
	v_and_b32_e32 v9, v10, v11
	; wave barrier
	s_delay_alu instid0(VALU_DEP_1) | instskip(NEXT) | instid1(VALU_DEP_1)
	v_and_b32_e32 v8, v9, v8
	v_mbcnt_lo_u32_b32 v45, v8, 0
	v_cmp_ne_u32_e64 s4, 0, v8
	s_delay_alu instid0(VALU_DEP_2)
	v_cmp_eq_u32_e32 vcc_lo, 0, v45
	s_and_b32 s5, s4, vcc_lo
	s_wait_alu 0xfffe
	s_and_saveexec_b32 s4, s5
	s_cbranch_execz .LBB168_61
; %bb.60:
	s_wait_dscnt 0x0
	v_bcnt_u32_b32 v8, v8, v44
	ds_store_b32 v46, v8 offset:4
.LBB168_61:
	s_wait_alu 0xfffe
	s_or_b32 exec_lo, exec_lo, s4
	; wave barrier
	; wave barrier
	s_wait_loadcnt_dscnt 0x0
	global_inv scope:SCOPE_SE
	ds_load_2addr_b32 v[14:15], v42 offset0:1 offset1:2
	ds_load_2addr_b32 v[12:13], v42 offset0:3 offset1:4
	;; [unrolled: 1-line block ×4, first 2 shown]
	s_wait_dscnt 0x3
	v_add_nc_u32_e32 v47, v15, v14
	s_wait_dscnt 0x2
	s_delay_alu instid0(VALU_DEP_1) | instskip(SKIP_1) | instid1(VALU_DEP_1)
	v_add3_u32 v47, v47, v12, v13
	s_wait_dscnt 0x1
	v_add3_u32 v47, v47, v10, v11
	s_wait_dscnt 0x0
	s_delay_alu instid0(VALU_DEP_1) | instskip(NEXT) | instid1(VALU_DEP_1)
	v_add3_u32 v9, v47, v8, v9
	v_mov_b32_dpp v47, v9 row_shr:1 row_mask:0xf bank_mask:0xf
	s_delay_alu instid0(VALU_DEP_1) | instskip(NEXT) | instid1(VALU_DEP_1)
	v_cndmask_b32_e64 v47, v47, 0, s7
	v_add_nc_u32_e32 v9, v47, v9
	s_delay_alu instid0(VALU_DEP_1) | instskip(NEXT) | instid1(VALU_DEP_1)
	v_mov_b32_dpp v47, v9 row_shr:2 row_mask:0xf bank_mask:0xf
	v_cndmask_b32_e64 v47, 0, v47, s8
	s_delay_alu instid0(VALU_DEP_1) | instskip(NEXT) | instid1(VALU_DEP_1)
	v_add_nc_u32_e32 v9, v9, v47
	v_mov_b32_dpp v47, v9 row_shr:4 row_mask:0xf bank_mask:0xf
	s_delay_alu instid0(VALU_DEP_1) | instskip(NEXT) | instid1(VALU_DEP_1)
	v_cndmask_b32_e64 v47, 0, v47, s9
	v_add_nc_u32_e32 v9, v9, v47
	s_delay_alu instid0(VALU_DEP_1) | instskip(NEXT) | instid1(VALU_DEP_1)
	v_mov_b32_dpp v47, v9 row_shr:8 row_mask:0xf bank_mask:0xf
	v_cndmask_b32_e64 v47, 0, v47, s10
	s_delay_alu instid0(VALU_DEP_1) | instskip(SKIP_3) | instid1(VALU_DEP_1)
	v_add_nc_u32_e32 v9, v9, v47
	ds_swizzle_b32 v47, v9 offset:swizzle(BROADCAST,32,15)
	s_wait_dscnt 0x0
	v_cndmask_b32_e64 v47, v47, 0, s12
	v_add_nc_u32_e32 v9, v9, v47
	s_and_saveexec_b32 s4, s11
; %bb.62:
	v_mov_b32_e32 v47, 0
	ds_store_b32 v47, v9
; %bb.63:
	s_wait_alu 0xfffe
	s_or_b32 exec_lo, exec_lo, s4
	ds_bpermute_b32 v9, v43, v9
	; wave barrier
	s_wait_loadcnt_dscnt 0x0
	global_inv scope:SCOPE_SE
	v_cndmask_b32_e64 v9, v9, 0, s13
	s_delay_alu instid0(VALU_DEP_1) | instskip(NEXT) | instid1(VALU_DEP_1)
	v_add_nc_u32_e32 v14, v9, v14
	v_add_nc_u32_e32 v15, v14, v15
	s_delay_alu instid0(VALU_DEP_1) | instskip(NEXT) | instid1(VALU_DEP_1)
	v_add_nc_u32_e32 v12, v15, v12
	v_add_nc_u32_e32 v13, v12, v13
	s_delay_alu instid0(VALU_DEP_1) | instskip(NEXT) | instid1(VALU_DEP_1)
	v_add_nc_u32_e32 v10, v13, v10
	v_add_nc_u32_e32 v11, v10, v11
	s_delay_alu instid0(VALU_DEP_1)
	v_add_nc_u32_e32 v8, v11, v8
	ds_store_2addr_b32 v42, v9, v14 offset0:1 offset1:2
	ds_store_2addr_b32 v42, v15, v12 offset0:3 offset1:4
	;; [unrolled: 1-line block ×4, first 2 shown]
	; wave barrier
	s_wait_loadcnt_dscnt 0x0
	global_inv scope:SCOPE_SE
	ds_load_b32 v8, v25 offset:4
	ds_load_b32 v9, v28 offset:4
	;; [unrolled: 1-line block ×4, first 2 shown]
	v_lshlrev_b32_e32 v12, 1, v41
	; wave barrier
	s_wait_loadcnt_dscnt 0x0
	global_inv scope:SCOPE_SE
	v_add_nc_u32_e32 v15, v8, v24
	v_add3_u32 v24, v27, v26, v9
	v_add3_u32 v25, v30, v29, v10
	;; [unrolled: 1-line block ×3, first 2 shown]
	s_delay_alu instid0(VALU_DEP_4) | instskip(NEXT) | instid1(VALU_DEP_4)
	v_lshlrev_b32_e32 v8, 1, v15
	v_lshlrev_b32_e32 v9, 1, v24
	s_delay_alu instid0(VALU_DEP_4) | instskip(NEXT) | instid1(VALU_DEP_4)
	v_lshlrev_b32_e32 v10, 1, v25
	v_lshlrev_b32_e32 v11, 1, v26
	ds_store_b16 v8, v21
	ds_store_b16 v9, v16
	;; [unrolled: 1-line block ×4, first 2 shown]
	; wave barrier
	s_wait_loadcnt_dscnt 0x0
	global_inv scope:SCOPE_SE
	ds_load_b64 v[13:14], v12
	v_mad_co_u64_u32 v[15:16], null, v15, 6, v[8:9]
	v_mad_co_u64_u32 v[8:9], null, v24, 6, v[9:10]
	;; [unrolled: 1-line block ×4, first 2 shown]
	; wave barrier
	s_wait_loadcnt_dscnt 0x0
	global_inv scope:SCOPE_SE
	ds_store_b64 v15, v[4:5]
	ds_store_b64 v8, v[6:7]
	ds_store_b64 v9, v[0:1]
	ds_store_b64 v10, v[2:3]
	; wave barrier
	s_wait_loadcnt_dscnt 0x0
	global_inv scope:SCOPE_SE
	v_xor_b32_e32 v13, 0x7fff7fff, v13
	v_xor_b32_e32 v14, 0x7fff7fff, v14
.LBB168_64:
	ds_load_b128 v[0:3], v40
	ds_load_b128 v[4:7], v40 offset:16
	; wave barrier
	s_wait_loadcnt_dscnt 0x0
	global_inv scope:SCOPE_SE
	ds_store_2addr_b32 v35, v13, v14 offset1:1
	; wave barrier
	s_wait_loadcnt_dscnt 0x0
	global_inv scope:SCOPE_SE
	ds_load_u16 v12, v18 offset:64
	ds_load_u16 v11, v33 offset:128
	;; [unrolled: 1-line block ×3, first 2 shown]
	v_mov_b32_e32 v18, 0
	s_delay_alu instid0(VALU_DEP_1) | instskip(NEXT) | instid1(VALU_DEP_1)
	v_lshlrev_b64_e32 v[8:9], 1, v[17:18]
	v_add_co_u32 v8, vcc_lo, s18, v8
	s_wait_alu 0xfffd
	s_delay_alu instid0(VALU_DEP_2)
	v_add_co_ci_u32_e64 v9, null, s19, v9, vcc_lo
	s_and_saveexec_b32 s4, s0
	s_cbranch_execnz .LBB168_75
; %bb.65:
	s_wait_alu 0xfffe
	s_or_b32 exec_lo, exec_lo, s4
	s_and_saveexec_b32 s4, s1
	s_cbranch_execnz .LBB168_76
.LBB168_66:
	s_wait_alu 0xfffe
	s_or_b32 exec_lo, exec_lo, s4
	s_and_saveexec_b32 s4, s2
	s_cbranch_execnz .LBB168_77
.LBB168_67:
	s_wait_alu 0xfffe
	s_or_b32 exec_lo, exec_lo, s4
	s_and_saveexec_b32 s4, s3
	s_cbranch_execz .LBB168_69
.LBB168_68:
	s_mul_i32 s6, s14, 0x60
	s_mov_b32 s7, 0
	s_wait_alu 0xfffe
	s_lshl_b64 s[6:7], s[6:7], 1
	s_wait_alu 0xfffe
	v_add_co_u32 v8, vcc_lo, v8, s6
	s_wait_alu 0xfffd
	v_add_co_ci_u32_e64 v9, null, s7, v9, vcc_lo
	s_wait_dscnt 0x0
	global_store_b16 v[8:9], v10, off
.LBB168_69:
	s_wait_alu 0xfffe
	s_or_b32 exec_lo, exec_lo, s4
	s_wait_storecnt 0x0
	; wave barrier
	s_wait_loadcnt_dscnt 0x0
	global_inv scope:SCOPE_SE
	ds_store_2addr_b64 v39, v[0:1], v[2:3] offset1:1
	ds_store_2addr_b64 v39, v[4:5], v[6:7] offset0:2 offset1:3
	; wave barrier
	s_wait_loadcnt_dscnt 0x0
	global_inv scope:SCOPE_SE
	ds_load_b64 v[6:7], v20 offset:256
	ds_load_b64 v[4:5], v37 offset:512
	;; [unrolled: 1-line block ×3, first 2 shown]
	v_mov_b32_e32 v20, 0
	s_delay_alu instid0(VALU_DEP_1) | instskip(NEXT) | instid1(VALU_DEP_1)
	v_lshlrev_b64_e32 v[2:3], 3, v[19:20]
	v_add_co_u32 v2, vcc_lo, s20, v2
	s_wait_alu 0xfffd
	s_delay_alu instid0(VALU_DEP_2)
	v_add_co_ci_u32_e64 v3, null, s21, v3, vcc_lo
	s_and_saveexec_b32 s4, s0
	s_cbranch_execnz .LBB168_78
; %bb.70:
	s_wait_alu 0xfffe
	s_or_b32 exec_lo, exec_lo, s4
	s_and_saveexec_b32 s0, s1
	s_cbranch_execnz .LBB168_79
.LBB168_71:
	s_wait_alu 0xfffe
	s_or_b32 exec_lo, exec_lo, s0
	s_and_saveexec_b32 s0, s2
	s_cbranch_execnz .LBB168_80
.LBB168_72:
	s_wait_alu 0xfffe
	s_or_b32 exec_lo, exec_lo, s0
	s_and_saveexec_b32 s0, s3
	s_cbranch_execz .LBB168_74
.LBB168_73:
	s_mul_i32 s0, s16, 0x60
	s_mov_b32 s1, 0
	s_wait_alu 0xfffe
	s_lshl_b64 s[0:1], s[0:1], 3
	s_wait_alu 0xfffe
	v_add_co_u32 v2, vcc_lo, v2, s0
	s_wait_alu 0xfffd
	v_add_co_ci_u32_e64 v3, null, s1, v3, vcc_lo
	s_wait_dscnt 0x0
	global_store_b64 v[2:3], v[0:1], off
.LBB168_74:
	s_endpgm
.LBB168_75:
	ds_load_u16 v13, v32
	s_wait_dscnt 0x0
	global_store_b16 v[8:9], v13, off
	s_wait_alu 0xfffe
	s_or_b32 exec_lo, exec_lo, s4
	s_and_saveexec_b32 s4, s1
	s_cbranch_execz .LBB168_66
.LBB168_76:
	s_lshl_b32 s6, s14, 5
	s_mov_b32 s7, 0
	s_wait_alu 0xfffe
	s_lshl_b64 s[6:7], s[6:7], 1
	s_wait_alu 0xfffe
	v_add_co_u32 v13, vcc_lo, v8, s6
	s_wait_alu 0xfffd
	v_add_co_ci_u32_e64 v14, null, s7, v9, vcc_lo
	s_wait_dscnt 0x2
	global_store_b16 v[13:14], v12, off
	s_or_b32 exec_lo, exec_lo, s4
	s_and_saveexec_b32 s4, s2
	s_cbranch_execz .LBB168_67
.LBB168_77:
	s_lshl_b32 s6, s14, 6
	s_mov_b32 s7, 0
	s_wait_alu 0xfffe
	s_lshl_b64 s[6:7], s[6:7], 1
	s_wait_dscnt 0x2
	s_wait_alu 0xfffe
	v_add_co_u32 v12, vcc_lo, v8, s6
	s_wait_alu 0xfffd
	v_add_co_ci_u32_e64 v13, null, s7, v9, vcc_lo
	s_wait_dscnt 0x1
	global_store_b16 v[12:13], v11, off
	s_or_b32 exec_lo, exec_lo, s4
	s_and_saveexec_b32 s4, s3
	s_cbranch_execnz .LBB168_68
	s_branch .LBB168_69
.LBB168_78:
	ds_load_b64 v[8:9], v36
	s_wait_dscnt 0x0
	global_store_b64 v[2:3], v[8:9], off
	s_wait_alu 0xfffe
	s_or_b32 exec_lo, exec_lo, s4
	s_and_saveexec_b32 s0, s1
	s_cbranch_execz .LBB168_71
.LBB168_79:
	s_lshl_b32 s4, s16, 5
	s_mov_b32 s5, 0
	s_wait_alu 0xfffe
	s_lshl_b64 s[4:5], s[4:5], 3
	s_wait_alu 0xfffe
	v_add_co_u32 v8, vcc_lo, v2, s4
	s_wait_alu 0xfffd
	v_add_co_ci_u32_e64 v9, null, s5, v3, vcc_lo
	s_wait_dscnt 0x2
	global_store_b64 v[8:9], v[6:7], off
	s_or_b32 exec_lo, exec_lo, s0
	s_and_saveexec_b32 s0, s2
	s_cbranch_execz .LBB168_72
.LBB168_80:
	s_lshl_b32 s4, s16, 6
	s_mov_b32 s5, 0
	s_wait_alu 0xfffe
	s_lshl_b64 s[4:5], s[4:5], 3
	s_wait_dscnt 0x2
	s_wait_alu 0xfffe
	v_add_co_u32 v6, vcc_lo, v2, s4
	s_wait_alu 0xfffd
	v_add_co_ci_u32_e64 v7, null, s5, v3, vcc_lo
	s_wait_dscnt 0x1
	global_store_b64 v[6:7], v[4:5], off
	s_or_b32 exec_lo, exec_lo, s0
	s_and_saveexec_b32 s0, s3
	s_cbranch_execnz .LBB168_73
	s_branch .LBB168_74
	.section	.rodata,"a",@progbits
	.p2align	6, 0x0
	.amdhsa_kernel _ZN2at6native18radixSortKVInPlaceILi2ELin1ELi32ELi4EsljEEvNS_4cuda6detail10TensorInfoIT3_T5_EES6_S6_S6_NS4_IT4_S6_EES6_b
		.amdhsa_group_segment_fixed_size 1056
		.amdhsa_private_segment_fixed_size 0
		.amdhsa_kernarg_size 712
		.amdhsa_user_sgpr_count 2
		.amdhsa_user_sgpr_dispatch_ptr 0
		.amdhsa_user_sgpr_queue_ptr 0
		.amdhsa_user_sgpr_kernarg_segment_ptr 1
		.amdhsa_user_sgpr_dispatch_id 0
		.amdhsa_user_sgpr_private_segment_size 0
		.amdhsa_wavefront_size32 1
		.amdhsa_uses_dynamic_stack 0
		.amdhsa_enable_private_segment 0
		.amdhsa_system_sgpr_workgroup_id_x 1
		.amdhsa_system_sgpr_workgroup_id_y 1
		.amdhsa_system_sgpr_workgroup_id_z 1
		.amdhsa_system_sgpr_workgroup_info 0
		.amdhsa_system_vgpr_workitem_id 2
		.amdhsa_next_free_vgpr 94
		.amdhsa_next_free_sgpr 24
		.amdhsa_reserve_vcc 1
		.amdhsa_float_round_mode_32 0
		.amdhsa_float_round_mode_16_64 0
		.amdhsa_float_denorm_mode_32 3
		.amdhsa_float_denorm_mode_16_64 3
		.amdhsa_fp16_overflow 0
		.amdhsa_workgroup_processor_mode 1
		.amdhsa_memory_ordered 1
		.amdhsa_forward_progress 1
		.amdhsa_inst_pref_size 108
		.amdhsa_round_robin_scheduling 0
		.amdhsa_exception_fp_ieee_invalid_op 0
		.amdhsa_exception_fp_denorm_src 0
		.amdhsa_exception_fp_ieee_div_zero 0
		.amdhsa_exception_fp_ieee_overflow 0
		.amdhsa_exception_fp_ieee_underflow 0
		.amdhsa_exception_fp_ieee_inexact 0
		.amdhsa_exception_int_div_zero 0
	.end_amdhsa_kernel
	.section	.text._ZN2at6native18radixSortKVInPlaceILi2ELin1ELi32ELi4EsljEEvNS_4cuda6detail10TensorInfoIT3_T5_EES6_S6_S6_NS4_IT4_S6_EES6_b,"axG",@progbits,_ZN2at6native18radixSortKVInPlaceILi2ELin1ELi32ELi4EsljEEvNS_4cuda6detail10TensorInfoIT3_T5_EES6_S6_S6_NS4_IT4_S6_EES6_b,comdat
.Lfunc_end168:
	.size	_ZN2at6native18radixSortKVInPlaceILi2ELin1ELi32ELi4EsljEEvNS_4cuda6detail10TensorInfoIT3_T5_EES6_S6_S6_NS4_IT4_S6_EES6_b, .Lfunc_end168-_ZN2at6native18radixSortKVInPlaceILi2ELin1ELi32ELi4EsljEEvNS_4cuda6detail10TensorInfoIT3_T5_EES6_S6_S6_NS4_IT4_S6_EES6_b
                                        ; -- End function
	.set _ZN2at6native18radixSortKVInPlaceILi2ELin1ELi32ELi4EsljEEvNS_4cuda6detail10TensorInfoIT3_T5_EES6_S6_S6_NS4_IT4_S6_EES6_b.num_vgpr, 94
	.set _ZN2at6native18radixSortKVInPlaceILi2ELin1ELi32ELi4EsljEEvNS_4cuda6detail10TensorInfoIT3_T5_EES6_S6_S6_NS4_IT4_S6_EES6_b.num_agpr, 0
	.set _ZN2at6native18radixSortKVInPlaceILi2ELin1ELi32ELi4EsljEEvNS_4cuda6detail10TensorInfoIT3_T5_EES6_S6_S6_NS4_IT4_S6_EES6_b.numbered_sgpr, 24
	.set _ZN2at6native18radixSortKVInPlaceILi2ELin1ELi32ELi4EsljEEvNS_4cuda6detail10TensorInfoIT3_T5_EES6_S6_S6_NS4_IT4_S6_EES6_b.num_named_barrier, 0
	.set _ZN2at6native18radixSortKVInPlaceILi2ELin1ELi32ELi4EsljEEvNS_4cuda6detail10TensorInfoIT3_T5_EES6_S6_S6_NS4_IT4_S6_EES6_b.private_seg_size, 0
	.set _ZN2at6native18radixSortKVInPlaceILi2ELin1ELi32ELi4EsljEEvNS_4cuda6detail10TensorInfoIT3_T5_EES6_S6_S6_NS4_IT4_S6_EES6_b.uses_vcc, 1
	.set _ZN2at6native18radixSortKVInPlaceILi2ELin1ELi32ELi4EsljEEvNS_4cuda6detail10TensorInfoIT3_T5_EES6_S6_S6_NS4_IT4_S6_EES6_b.uses_flat_scratch, 0
	.set _ZN2at6native18radixSortKVInPlaceILi2ELin1ELi32ELi4EsljEEvNS_4cuda6detail10TensorInfoIT3_T5_EES6_S6_S6_NS4_IT4_S6_EES6_b.has_dyn_sized_stack, 0
	.set _ZN2at6native18radixSortKVInPlaceILi2ELin1ELi32ELi4EsljEEvNS_4cuda6detail10TensorInfoIT3_T5_EES6_S6_S6_NS4_IT4_S6_EES6_b.has_recursion, 0
	.set _ZN2at6native18radixSortKVInPlaceILi2ELin1ELi32ELi4EsljEEvNS_4cuda6detail10TensorInfoIT3_T5_EES6_S6_S6_NS4_IT4_S6_EES6_b.has_indirect_call, 0
	.section	.AMDGPU.csdata,"",@progbits
; Kernel info:
; codeLenInByte = 13724
; TotalNumSgprs: 26
; NumVgprs: 94
; ScratchSize: 0
; MemoryBound: 0
; FloatMode: 240
; IeeeMode: 1
; LDSByteSize: 1056 bytes/workgroup (compile time only)
; SGPRBlocks: 0
; VGPRBlocks: 11
; NumSGPRsForWavesPerEU: 26
; NumVGPRsForWavesPerEU: 94
; Occupancy: 16
; WaveLimiterHint : 1
; COMPUTE_PGM_RSRC2:SCRATCH_EN: 0
; COMPUTE_PGM_RSRC2:USER_SGPR: 2
; COMPUTE_PGM_RSRC2:TRAP_HANDLER: 0
; COMPUTE_PGM_RSRC2:TGID_X_EN: 1
; COMPUTE_PGM_RSRC2:TGID_Y_EN: 1
; COMPUTE_PGM_RSRC2:TGID_Z_EN: 1
; COMPUTE_PGM_RSRC2:TIDIG_COMP_CNT: 2
	.section	.text._ZN2at6native18radixSortKVInPlaceILi2ELin1ELi16ELi2EsljEEvNS_4cuda6detail10TensorInfoIT3_T5_EES6_S6_S6_NS4_IT4_S6_EES6_b,"axG",@progbits,_ZN2at6native18radixSortKVInPlaceILi2ELin1ELi16ELi2EsljEEvNS_4cuda6detail10TensorInfoIT3_T5_EES6_S6_S6_NS4_IT4_S6_EES6_b,comdat
	.protected	_ZN2at6native18radixSortKVInPlaceILi2ELin1ELi16ELi2EsljEEvNS_4cuda6detail10TensorInfoIT3_T5_EES6_S6_S6_NS4_IT4_S6_EES6_b ; -- Begin function _ZN2at6native18radixSortKVInPlaceILi2ELin1ELi16ELi2EsljEEvNS_4cuda6detail10TensorInfoIT3_T5_EES6_S6_S6_NS4_IT4_S6_EES6_b
	.globl	_ZN2at6native18radixSortKVInPlaceILi2ELin1ELi16ELi2EsljEEvNS_4cuda6detail10TensorInfoIT3_T5_EES6_S6_S6_NS4_IT4_S6_EES6_b
	.p2align	8
	.type	_ZN2at6native18radixSortKVInPlaceILi2ELin1ELi16ELi2EsljEEvNS_4cuda6detail10TensorInfoIT3_T5_EES6_S6_S6_NS4_IT4_S6_EES6_b,@function
_ZN2at6native18radixSortKVInPlaceILi2ELin1ELi16ELi2EsljEEvNS_4cuda6detail10TensorInfoIT3_T5_EES6_S6_S6_NS4_IT4_S6_EES6_b: ; @_ZN2at6native18radixSortKVInPlaceILi2ELin1ELi16ELi2EsljEEvNS_4cuda6detail10TensorInfoIT3_T5_EES6_S6_S6_NS4_IT4_S6_EES6_b
; %bb.0:
	s_clause 0x1
	s_load_b64 s[2:3], s[0:1], 0x1c8
	s_load_b96 s[8:10], s[0:1], 0xd8
	s_lshr_b32 s4, ttmp7, 16
	s_wait_kmcnt 0x0
	s_mul_i32 s3, s3, s4
	s_and_b32 s4, ttmp7, 0xffff
	s_delay_alu instid0(SALU_CYCLE_1) | instskip(NEXT) | instid1(SALU_CYCLE_1)
	s_add_co_i32 s3, s3, s4
	s_mul_i32 s2, s3, s2
	s_delay_alu instid0(SALU_CYCLE_1) | instskip(NEXT) | instid1(SALU_CYCLE_1)
	s_add_co_i32 s6, s2, ttmp9
	s_cmp_ge_u32 s6, s8
	s_cbranch_scc1 .LBB169_112
; %bb.1:
	s_clause 0x2
	s_load_b32 s8, s[0:1], 0xc
	s_load_b64 s[14:15], s[0:1], 0x6c
	s_load_b32 s11, s[0:1], 0x1b8
	s_mov_b32 s7, 0
	s_add_nc_u64 s[4:5], s[0:1], 0xe8
	s_mov_b32 s13, s7
	s_wait_kmcnt 0x0
	s_cvt_f32_u32 s2, s8
	s_sub_co_i32 s3, 0, s8
	s_delay_alu instid0(SALU_CYCLE_2) | instskip(NEXT) | instid1(TRANS32_DEP_1)
	v_rcp_iflag_f32_e32 v1, s2
	v_readfirstlane_b32 s2, v1
	s_mul_f32 s2, s2, 0x4f7ffffe
	s_wait_alu 0xfffe
	s_delay_alu instid0(SALU_CYCLE_2) | instskip(SKIP_1) | instid1(SALU_CYCLE_2)
	s_cvt_u32_f32 s2, s2
	s_wait_alu 0xfffe
	s_mul_i32 s3, s3, s2
	s_wait_alu 0xfffe
	s_mul_hi_u32 s3, s2, s3
	s_wait_alu 0xfffe
	s_add_co_i32 s12, s2, s3
	s_cmp_lt_i32 s11, 2
	s_mov_b32 s2, s6
	s_mov_b32 s3, s7
	s_cbranch_scc1 .LBB169_4
; %bb.2:
	s_add_co_i32 s2, s11, -1
	s_mov_b32 s3, 0
	s_add_co_i32 s11, s11, 1
	s_wait_alu 0xfffe
	s_lshl_b64 s[16:17], s[2:3], 2
	s_mov_b32 s2, s6
	s_add_nc_u64 s[16:17], s[4:5], s[16:17]
	s_delay_alu instid0(SALU_CYCLE_1)
	s_add_nc_u64 s[16:17], s[16:17], 8
.LBB169_3:                              ; =>This Inner Loop Header: Depth=1
	s_clause 0x1
	s_load_b32 s18, s[16:17], 0x0
	s_load_b32 s19, s[16:17], 0x64
	s_mov_b32 s22, s2
	s_add_nc_u64 s[16:17], s[16:17], -4
	s_wait_kmcnt 0x0
	s_cvt_f32_u32 s20, s18
	s_sub_co_i32 s21, 0, s18
	s_wait_alu 0xfffe
	s_delay_alu instid0(SALU_CYCLE_1) | instskip(NEXT) | instid1(TRANS32_DEP_1)
	v_rcp_iflag_f32_e32 v1, s20
	v_readfirstlane_b32 s20, v1
	s_mul_f32 s20, s20, 0x4f7ffffe
	s_wait_alu 0xfffe
	s_delay_alu instid0(SALU_CYCLE_2) | instskip(SKIP_1) | instid1(SALU_CYCLE_2)
	s_cvt_u32_f32 s20, s20
	s_wait_alu 0xfffe
	s_mul_i32 s21, s21, s20
	s_wait_alu 0xfffe
	s_mul_hi_u32 s21, s20, s21
	s_wait_alu 0xfffe
	s_add_co_i32 s20, s20, s21
	s_wait_alu 0xfffe
	s_mul_hi_u32 s2, s2, s20
	s_wait_alu 0xfffe
	s_mul_i32 s20, s2, s18
	s_add_co_i32 s21, s2, 1
	s_wait_alu 0xfffe
	s_sub_co_i32 s20, s22, s20
	s_wait_alu 0xfffe
	s_sub_co_i32 s23, s20, s18
	s_cmp_ge_u32 s20, s18
	s_cselect_b32 s2, s21, s2
	s_cselect_b32 s20, s23, s20
	s_wait_alu 0xfffe
	s_add_co_i32 s21, s2, 1
	s_cmp_ge_u32 s20, s18
	s_wait_alu 0xfffe
	s_cselect_b32 s2, s21, s2
	s_add_co_i32 s11, s11, -1
	s_wait_alu 0xfffe
	s_mul_i32 s18, s2, s18
	s_delay_alu instid0(SALU_CYCLE_1) | instskip(NEXT) | instid1(SALU_CYCLE_1)
	s_sub_co_i32 s18, s22, s18
	s_mul_i32 s18, s19, s18
	s_delay_alu instid0(SALU_CYCLE_1)
	s_add_co_i32 s3, s18, s3
	s_cmp_gt_u32 s11, 2
	s_cbranch_scc1 .LBB169_3
.LBB169_4:
	s_mul_u64 s[18:19], s[6:7], s[12:13]
	s_clause 0x1
	s_load_b64 s[16:17], s[0:1], 0x0
	s_load_b64 s[12:13], s[0:1], 0x1c0
	s_mul_i32 s7, s19, s8
	s_add_co_i32 s1, s19, 1
	s_sub_co_i32 s0, s6, s7
	v_mul_lo_u32 v20, s10, v0
	s_sub_co_i32 s7, s0, s8
	s_cmp_ge_u32 s0, s8
	s_cselect_b32 s1, s1, s19
	s_cselect_b32 s0, s7, s0
	s_add_co_i32 s7, s1, 1
	s_cmp_ge_u32 s0, s8
	s_cselect_b32 s0, s7, s1
	s_delay_alu instid0(SALU_CYCLE_1) | instskip(SKIP_2) | instid1(SALU_CYCLE_1)
	s_mul_i32 s1, s0, s8
	s_mul_i32 s0, s0, s14
	s_sub_co_i32 s1, s6, s1
	s_mul_i32 s1, s1, s15
	s_mov_b32 s15, 0
	s_add_co_i32 s14, s0, s1
	s_wait_kmcnt 0x0
	s_bitcmp1_b32 s13, 0
	s_mov_b32 s0, 0x8000
	s_cselect_b32 s6, -1, 0
	s_delay_alu instid0(SALU_CYCLE_1) | instskip(SKIP_3) | instid1(SALU_CYCLE_1)
	s_and_b32 s1, s6, exec_lo
	s_cselect_b32 s7, s0, 0x7fff
	v_cmp_gt_u32_e64 s0, s9, v0
	s_pack_ll_b32_b16 s1, s7, s7
	v_dual_mov_b32 v2, s7 :: v_dual_mov_b32 v1, s1
	s_lshl_b64 s[14:15], s[14:15], 1
	s_delay_alu instid0(SALU_CYCLE_1)
	s_add_nc_u64 s[14:15], s[16:17], s[14:15]
	s_and_saveexec_b32 s7, s0
	s_cbranch_execz .LBB169_6
; %bb.5:
	v_mov_b32_e32 v21, 0
	s_delay_alu instid0(VALU_DEP_1) | instskip(NEXT) | instid1(VALU_DEP_1)
	v_lshlrev_b64_e32 v[1:2], 1, v[20:21]
	v_add_co_u32 v1, vcc_lo, s14, v1
	s_delay_alu instid0(VALU_DEP_1)
	v_add_co_ci_u32_e64 v2, null, s15, v2, vcc_lo
	global_load_u16 v2, v[1:2], off
	s_wait_loadcnt 0x0
	v_bfi_b32 v1, 0xffff, v2, s1
.LBB169_6:
	s_wait_alu 0xfffe
	s_or_b32 exec_lo, exec_lo, s7
	s_clause 0x1
	s_load_b32 s7, s[4:5], 0x6c
	s_load_b64 s[4:5], s[4:5], 0x0
	v_or_b32_e32 v3, 16, v0
	s_delay_alu instid0(VALU_DEP_1)
	v_cmp_gt_u32_e64 s1, s9, v3
	s_and_saveexec_b32 s8, s1
	s_cbranch_execz .LBB169_8
; %bb.7:
	v_mul_lo_u32 v4, s10, v3
	v_mov_b32_e32 v5, 0
	s_delay_alu instid0(VALU_DEP_1) | instskip(NEXT) | instid1(VALU_DEP_1)
	v_lshlrev_b64_e32 v[4:5], 1, v[4:5]
	v_add_co_u32 v4, vcc_lo, s14, v4
	s_wait_alu 0xfffd
	s_delay_alu instid0(VALU_DEP_2)
	v_add_co_ci_u32_e64 v5, null, s15, v5, vcc_lo
	global_load_d16_hi_b16 v1, v[4:5], off
.LBB169_8:
	s_wait_alu 0xfffe
	s_or_b32 exec_lo, exec_lo, s8
	v_lshlrev_b32_e32 v22, 1, v0
	v_dual_mov_b32 v18, 0 :: v_dual_lshlrev_b32 v21, 2, v0
	s_wait_kmcnt 0x0
	s_mul_i32 s2, s7, s2
	v_mul_lo_u32 v17, s12, v0
	ds_store_b16 v22, v2
	s_wait_loadcnt 0x0
	ds_store_b16_d16_hi v22, v1 offset:32
	s_wait_dscnt 0x0
	; wave barrier
	global_inv scope:SCOPE_SE
	ds_load_b32 v27, v21
	s_wait_alu 0xfffe
	s_add_co_i32 s2, s2, s3
	s_mov_b32 s3, 0
	v_mov_b32_e32 v1, 0
	v_dual_mov_b32 v2, 0 :: v_dual_mov_b32 v19, v18
	s_wait_alu 0xfffe
	s_lshl_b64 s[2:3], s[2:3], 3
	s_wait_loadcnt_dscnt 0x0
	s_wait_alu 0xfffe
	s_add_nc_u64 s[8:9], s[4:5], s[2:3]
	; wave barrier
	global_inv scope:SCOPE_SE
	s_and_saveexec_b32 s2, s0
	s_cbranch_execz .LBB169_10
; %bb.9:
	v_lshlrev_b64_e32 v[1:2], 3, v[17:18]
	v_mov_b32_e32 v19, v18
	s_wait_alu 0xfffe
	s_delay_alu instid0(VALU_DEP_2) | instskip(SKIP_1) | instid1(VALU_DEP_3)
	v_add_co_u32 v1, vcc_lo, s8, v1
	s_wait_alu 0xfffd
	v_add_co_ci_u32_e64 v2, null, s9, v2, vcc_lo
	global_load_b64 v[1:2], v[1:2], off
.LBB169_10:
	s_wait_alu 0xfffe
	s_or_b32 exec_lo, exec_lo, s2
	s_xor_b32 s16, s6, -1
	s_and_saveexec_b32 s2, s1
	s_cbranch_execz .LBB169_12
; %bb.11:
	v_mul_lo_u32 v3, s12, v3
	v_mov_b32_e32 v4, 0
	s_delay_alu instid0(VALU_DEP_1) | instskip(NEXT) | instid1(VALU_DEP_1)
	v_lshlrev_b64_e32 v[3:4], 3, v[3:4]
	v_add_co_u32 v3, vcc_lo, s8, v3
	s_wait_alu 0xfffd
	s_delay_alu instid0(VALU_DEP_2)
	v_add_co_ci_u32_e64 v4, null, s9, v4, vcc_lo
	global_load_b64 v[18:19], v[3:4], off
.LBB169_12:
	s_wait_alu 0xfffe
	s_or_b32 exec_lo, exec_lo, s2
	v_mbcnt_lo_u32_b32 v5, -1, 0
	v_lshlrev_b32_e32 v23, 3, v0
	s_getpc_b64 s[2:3]
	s_wait_alu 0xfffe
	s_sext_i32_i16 s3, s3
	s_add_co_u32 s2, s2, _ZN7rocprim17ROCPRIM_400000_NS16block_radix_sortIsLj16ELj2ElLj1ELj1ELj0ELNS0_26block_radix_rank_algorithmE1ELNS0_18block_padding_hintE2ELNS0_4arch9wavefront6targetE0EE19radix_bits_per_passE@rel32@lo+12
	s_wait_alu 0xfffe
	s_add_co_ci_u32 s3, s3, _ZN7rocprim17ROCPRIM_400000_NS16block_radix_sortIsLj16ELj2ElLj1ELj1ELj0ELNS0_26block_radix_rank_algorithmE1ELNS0_18block_padding_hintE2ELNS0_4arch9wavefront6targetE0EE19radix_bits_per_passE@rel32@hi+24
	v_lshlrev_b32_e32 v25, 5, v0
	s_load_b32 s13, s[2:3], 0x0
	v_sub_co_u32 v7, s11, v5, 1
	v_and_b32_e32 v8, 16, v5
	s_wait_loadcnt 0x0
	ds_store_2addr_b64 v23, v[1:2], v[18:19] offset1:16
	s_wait_dscnt 0x0
	; wave barrier
	global_inv scope:SCOPE_SE
	v_and_b32_e32 v6, 15, v5
	v_cmp_lt_i32_e32 vcc_lo, v7, v8
	v_lshlrev_b32_e32 v24, 3, v22
	v_mad_i32_i24 v19, 0xffffffe4, v0, v25
	v_cmp_gt_u32_e64 s7, 0x80, v0
	v_cmp_eq_u32_e64 s5, 0, v6
	s_wait_alu 0xfffd
	v_cndmask_b32_e32 v5, v7, v5, vcc_lo
	ds_load_2addr_b64 v[1:4], v24 offset1:1
	v_cmp_lt_u32_e64 s3, 1, v6
	v_cmp_lt_u32_e64 s6, 3, v6
	v_cmp_lt_u32_e64 s4, 7, v6
	v_cmp_eq_u32_e64 s2, 15, v0
	v_lshlrev_b32_e32 v26, 2, v5
	v_mad_u32_u24 v18, v0, 12, v19
	s_and_b32 vcc_lo, exec_lo, s16
	s_mov_b32 s16, -1
	; wave barrier
	s_wait_loadcnt_dscnt 0x0
	global_inv scope:SCOPE_SE
	s_wait_alu 0xfffe
	s_cbranch_vccz .LBB169_58
; %bb.13:
	s_and_saveexec_b32 s16, s7
	s_cbranch_execz .LBB169_22
; %bb.14:
	v_mov_b32_e32 v5, 0
	v_cmp_gt_u32_e32 vcc_lo, 0x70, v0
	ds_store_b32 v21, v5
	s_and_b32 exec_lo, exec_lo, vcc_lo
	s_cbranch_execz .LBB169_22
; %bb.15:
	v_cmp_gt_u32_e32 vcc_lo, 0x60, v0
	ds_store_b32 v21, v5 offset:64
	s_and_b32 exec_lo, exec_lo, vcc_lo
	s_cbranch_execz .LBB169_22
; %bb.16:
	v_mov_b32_e32 v5, 0
	v_cmp_gt_u32_e32 vcc_lo, 0x50, v0
	ds_store_b32 v21, v5 offset:128
	s_and_b32 exec_lo, exec_lo, vcc_lo
	s_cbranch_execz .LBB169_22
; %bb.17:
	v_cmp_gt_u32_e32 vcc_lo, 64, v0
	ds_store_b32 v21, v5 offset:192
	s_and_b32 exec_lo, exec_lo, vcc_lo
	s_cbranch_execz .LBB169_22
; %bb.18:
	v_mov_b32_e32 v5, 0
	v_cmp_gt_u32_e32 vcc_lo, 48, v0
	ds_store_b32 v21, v5 offset:256
	;; [unrolled: 11-line block ×3, first 2 shown]
	s_and_b32 exec_lo, exec_lo, vcc_lo
; %bb.21:
	ds_store_b32 v21, v5 offset:448
.LBB169_22:
	s_or_b32 exec_lo, exec_lo, s16
	s_wait_kmcnt 0x0
	s_min_u32 s16, s13, 16
	v_xor_b32_e32 v13, 0x80008000, v27
	s_lshl_b32 s16, -1, s16
	s_delay_alu instid0(SALU_CYCLE_1) | instskip(NEXT) | instid1(VALU_DEP_1)
	s_not_b32 s16, s16
	v_lshrrev_b32_e32 v14, 16, v13
	v_and_b32_e32 v5, s16, v13
	s_delay_alu instid0(VALU_DEP_1) | instskip(SKIP_1) | instid1(VALU_DEP_2)
	v_and_b32_e32 v6, 0xffff, v5
	v_lshrrev_b32_e32 v5, 2, v5
	v_lshlrev_b32_e32 v6, 4, v6
	s_delay_alu instid0(VALU_DEP_2) | instskip(NEXT) | instid1(VALU_DEP_2)
	v_and_b32_e32 v5, 0x3ffe, v5
	v_and_or_b32 v6, 0x70, v6, v0
	s_delay_alu instid0(VALU_DEP_1) | instskip(SKIP_4) | instid1(VALU_DEP_2)
	v_lshl_add_u32 v16, v6, 2, v5
	v_and_b32_e32 v5, s16, v14
	ds_load_u16 v15, v16
	v_lshlrev_b32_e32 v6, 4, v5
	v_lshrrev_b32_e32 v5, 2, v5
	v_and_or_b32 v6, 0x70, v6, v0
	s_delay_alu instid0(VALU_DEP_2) | instskip(NEXT) | instid1(VALU_DEP_1)
	v_and_b32_e32 v5, 0x3ffe, v5
	v_lshl_add_u32 v28, v6, 2, v5
	s_wait_dscnt 0x0
	v_add_nc_u16 v7, v15, 1
	ds_store_b16 v16, v7
	ds_load_u16 v30, v28
	s_wait_dscnt 0x0
	v_add_nc_u16 v5, v30, 1
	ds_store_b16 v28, v5
	; wave barrier
	s_wait_loadcnt_dscnt 0x0
	global_inv scope:SCOPE_SE
	ds_load_b128 v[9:12], v25
	ds_load_b128 v[5:8], v25 offset:16
	s_wait_dscnt 0x1
	v_add_nc_u32_e32 v29, v10, v9
	s_delay_alu instid0(VALU_DEP_1) | instskip(SKIP_1) | instid1(VALU_DEP_1)
	v_add3_u32 v29, v29, v11, v12
	s_wait_dscnt 0x0
	v_add3_u32 v29, v29, v5, v6
	s_delay_alu instid0(VALU_DEP_1) | instskip(NEXT) | instid1(VALU_DEP_1)
	v_add3_u32 v8, v29, v7, v8
	v_mov_b32_dpp v29, v8 row_shr:1 row_mask:0xf bank_mask:0xf
	s_delay_alu instid0(VALU_DEP_1) | instskip(NEXT) | instid1(VALU_DEP_1)
	v_cndmask_b32_e64 v29, v29, 0, s5
	v_add_nc_u32_e32 v8, v29, v8
	s_delay_alu instid0(VALU_DEP_1) | instskip(NEXT) | instid1(VALU_DEP_1)
	v_mov_b32_dpp v29, v8 row_shr:2 row_mask:0xf bank_mask:0xf
	v_cndmask_b32_e64 v29, 0, v29, s3
	s_delay_alu instid0(VALU_DEP_1) | instskip(NEXT) | instid1(VALU_DEP_1)
	v_add_nc_u32_e32 v8, v8, v29
	v_mov_b32_dpp v29, v8 row_shr:4 row_mask:0xf bank_mask:0xf
	s_delay_alu instid0(VALU_DEP_1) | instskip(NEXT) | instid1(VALU_DEP_1)
	v_cndmask_b32_e64 v29, 0, v29, s6
	v_add_nc_u32_e32 v8, v8, v29
	s_delay_alu instid0(VALU_DEP_1) | instskip(NEXT) | instid1(VALU_DEP_1)
	v_mov_b32_dpp v29, v8 row_shr:8 row_mask:0xf bank_mask:0xf
	v_cndmask_b32_e64 v29, 0, v29, s4
	s_delay_alu instid0(VALU_DEP_1)
	v_add_nc_u32_e32 v8, v8, v29
	s_and_saveexec_b32 s16, s2
; %bb.23:
	v_mov_b32_e32 v29, 0
	ds_store_b32 v29, v8 offset:512
; %bb.24:
	s_wait_alu 0xfffe
	s_or_b32 exec_lo, exec_lo, s16
	ds_bpermute_b32 v8, v26, v8
	v_mov_b32_e32 v29, 0
	; wave barrier
	s_wait_loadcnt_dscnt 0x0
	global_inv scope:SCOPE_SE
	ds_load_b32 v31, v29 offset:512
	v_cndmask_b32_e64 v8, v8, 0, s11
	s_wait_dscnt 0x0
	s_delay_alu instid0(VALU_DEP_1) | instskip(NEXT) | instid1(VALU_DEP_1)
	v_lshl_add_u32 v8, v31, 16, v8
	v_add_nc_u32_e32 v9, v8, v9
	s_delay_alu instid0(VALU_DEP_1) | instskip(NEXT) | instid1(VALU_DEP_1)
	v_add_nc_u32_e32 v10, v9, v10
	v_add_nc_u32_e32 v11, v10, v11
	s_delay_alu instid0(VALU_DEP_1) | instskip(NEXT) | instid1(VALU_DEP_1)
	v_add_nc_u32_e32 v31, v11, v12
	;; [unrolled: 3-line block ×3, first 2 shown]
	v_add_nc_u32_e32 v34, v33, v7
	v_and_b32_e32 v7, 0xffff, v15
	ds_store_b128 v25, v[8:11]
	ds_store_b128 v25, v[31:34] offset:16
	; wave barrier
	s_wait_loadcnt_dscnt 0x0
	global_inv scope:SCOPE_SE
	ds_load_u16 v5, v16
	ds_load_u16 v6, v28
	v_and_b32_e32 v8, 0xffff, v30
	; wave barrier
	s_wait_loadcnt_dscnt 0x0
	global_inv scope:SCOPE_SE
	v_add_nc_u32_e32 v5, v5, v7
	v_add_nc_u32_e32 v6, v6, v8
	s_delay_alu instid0(VALU_DEP_2) | instskip(NEXT) | instid1(VALU_DEP_2)
	v_lshlrev_b32_e32 v7, 1, v5
	v_lshlrev_b32_e32 v8, 1, v6
	ds_store_b16 v7, v13
	ds_store_b16 v8, v14
	v_mad_u32_u24 v5, v5, 6, v7
	v_mad_u32_u24 v6, v6, 6, v8
	; wave barrier
	s_wait_loadcnt_dscnt 0x0
	global_inv scope:SCOPE_SE
	ds_load_b32 v28, v19
	; wave barrier
	s_wait_loadcnt_dscnt 0x0
	global_inv scope:SCOPE_SE
	ds_store_b64 v5, v[1:2]
	ds_store_b64 v6, v[3:4]
	; wave barrier
	s_wait_loadcnt_dscnt 0x0
	global_inv scope:SCOPE_SE
	ds_load_b128 v[5:8], v18
	; wave barrier
	s_wait_loadcnt_dscnt 0x0
	global_inv scope:SCOPE_SE
	s_and_saveexec_b32 s16, s7
	s_cbranch_execz .LBB169_33
; %bb.25:
	v_cmp_gt_u32_e32 vcc_lo, 0x70, v0
	ds_store_b32 v21, v29
	s_and_b32 exec_lo, exec_lo, vcc_lo
	s_cbranch_execz .LBB169_33
; %bb.26:
	v_mov_b32_e32 v9, 0
	v_cmp_gt_u32_e32 vcc_lo, 0x60, v0
	ds_store_b32 v21, v9 offset:64
	s_and_b32 exec_lo, exec_lo, vcc_lo
	s_cbranch_execz .LBB169_33
; %bb.27:
	v_cmp_gt_u32_e32 vcc_lo, 0x50, v0
	ds_store_b32 v21, v9 offset:128
	s_and_b32 exec_lo, exec_lo, vcc_lo
	s_cbranch_execz .LBB169_33
; %bb.28:
	v_mov_b32_e32 v9, 0
	v_cmp_gt_u32_e32 vcc_lo, 64, v0
	ds_store_b32 v21, v9 offset:192
	s_and_b32 exec_lo, exec_lo, vcc_lo
	s_cbranch_execz .LBB169_33
; %bb.29:
	v_cmp_gt_u32_e32 vcc_lo, 48, v0
	ds_store_b32 v21, v9 offset:256
	;; [unrolled: 11-line block ×3, first 2 shown]
	s_and_b32 exec_lo, exec_lo, vcc_lo
; %bb.32:
	v_mov_b32_e32 v9, 0
	ds_store_b32 v21, v9 offset:448
.LBB169_33:
	s_wait_alu 0xfffe
	s_or_b32 exec_lo, exec_lo, s16
	v_lshrrev_b16 v9, 4, v28
	s_min_u32 s16, s13, 12
	s_wait_alu 0xfffe
	s_lshl_b32 s16, -1, s16
	s_wait_alu 0xfffe
	s_not_b32 s16, s16
	v_and_b32_e32 v9, 0xffff, v9
	s_wait_alu 0xfffe
	s_delay_alu instid0(VALU_DEP_1) | instskip(NEXT) | instid1(VALU_DEP_1)
	v_and_b32_e32 v9, s16, v9
	v_lshlrev_b32_e32 v10, 4, v9
	v_lshrrev_b32_e32 v9, 2, v9
	s_delay_alu instid0(VALU_DEP_2) | instskip(NEXT) | instid1(VALU_DEP_2)
	v_and_or_b32 v10, 0x70, v10, v0
	v_and_b32_e32 v9, 0x3fe, v9
	s_delay_alu instid0(VALU_DEP_1) | instskip(SKIP_3) | instid1(VALU_DEP_1)
	v_lshl_add_u32 v30, v10, 2, v9
	v_lshrrev_b32_e32 v9, 20, v28
	ds_load_u16 v29, v30
	v_and_b32_e32 v9, s16, v9
	v_lshlrev_b32_e32 v10, 4, v9
	v_lshrrev_b32_e32 v9, 2, v9
	s_delay_alu instid0(VALU_DEP_2) | instskip(NEXT) | instid1(VALU_DEP_2)
	v_and_or_b32 v10, 0x70, v10, v0
	v_and_b32_e32 v9, 0x3fe, v9
	s_delay_alu instid0(VALU_DEP_1)
	v_lshl_add_u32 v31, v10, 2, v9
	s_wait_dscnt 0x0
	v_add_nc_u16 v11, v29, 1
	ds_store_b16 v30, v11
	ds_load_u16 v32, v31
	s_wait_dscnt 0x0
	v_add_nc_u16 v9, v32, 1
	ds_store_b16 v31, v9
	; wave barrier
	s_wait_loadcnt_dscnt 0x0
	global_inv scope:SCOPE_SE
	ds_load_b128 v[13:16], v25
	ds_load_b128 v[9:12], v25 offset:16
	s_wait_dscnt 0x1
	v_add_nc_u32_e32 v33, v14, v13
	s_delay_alu instid0(VALU_DEP_1) | instskip(SKIP_1) | instid1(VALU_DEP_1)
	v_add3_u32 v33, v33, v15, v16
	s_wait_dscnt 0x0
	v_add3_u32 v33, v33, v9, v10
	s_delay_alu instid0(VALU_DEP_1) | instskip(NEXT) | instid1(VALU_DEP_1)
	v_add3_u32 v12, v33, v11, v12
	v_mov_b32_dpp v33, v12 row_shr:1 row_mask:0xf bank_mask:0xf
	s_delay_alu instid0(VALU_DEP_1) | instskip(NEXT) | instid1(VALU_DEP_1)
	v_cndmask_b32_e64 v33, v33, 0, s5
	v_add_nc_u32_e32 v12, v33, v12
	s_delay_alu instid0(VALU_DEP_1) | instskip(NEXT) | instid1(VALU_DEP_1)
	v_mov_b32_dpp v33, v12 row_shr:2 row_mask:0xf bank_mask:0xf
	v_cndmask_b32_e64 v33, 0, v33, s3
	s_delay_alu instid0(VALU_DEP_1) | instskip(NEXT) | instid1(VALU_DEP_1)
	v_add_nc_u32_e32 v12, v12, v33
	v_mov_b32_dpp v33, v12 row_shr:4 row_mask:0xf bank_mask:0xf
	s_delay_alu instid0(VALU_DEP_1) | instskip(NEXT) | instid1(VALU_DEP_1)
	v_cndmask_b32_e64 v33, 0, v33, s6
	v_add_nc_u32_e32 v12, v12, v33
	s_delay_alu instid0(VALU_DEP_1) | instskip(NEXT) | instid1(VALU_DEP_1)
	v_mov_b32_dpp v33, v12 row_shr:8 row_mask:0xf bank_mask:0xf
	v_cndmask_b32_e64 v34, 0, v33, s4
	v_lshrrev_b32_e32 v33, 16, v28
	s_delay_alu instid0(VALU_DEP_2)
	v_add_nc_u32_e32 v12, v12, v34
	s_and_saveexec_b32 s16, s2
; %bb.34:
	v_mov_b32_e32 v34, 0
	ds_store_b32 v34, v12 offset:512
; %bb.35:
	s_wait_alu 0xfffe
	s_or_b32 exec_lo, exec_lo, s16
	ds_bpermute_b32 v34, v26, v12
	v_mov_b32_e32 v12, 0
	; wave barrier
	s_wait_loadcnt_dscnt 0x0
	global_inv scope:SCOPE_SE
	ds_load_b32 v35, v12 offset:512
	v_cndmask_b32_e64 v34, v34, 0, s11
	s_wait_dscnt 0x0
	s_delay_alu instid0(VALU_DEP_1) | instskip(NEXT) | instid1(VALU_DEP_1)
	v_lshl_add_u32 v34, v35, 16, v34
	v_add_nc_u32_e32 v35, v34, v13
	s_delay_alu instid0(VALU_DEP_1) | instskip(NEXT) | instid1(VALU_DEP_1)
	v_add_nc_u32_e32 v36, v35, v14
	v_add_nc_u32_e32 v37, v36, v15
	s_delay_alu instid0(VALU_DEP_1) | instskip(NEXT) | instid1(VALU_DEP_1)
	v_add_nc_u32_e32 v13, v37, v16
	;; [unrolled: 3-line block ×3, first 2 shown]
	v_add_nc_u32_e32 v16, v15, v11
	v_and_b32_e32 v11, 0xffff, v29
	ds_store_b128 v25, v[34:37]
	ds_store_b128 v25, v[13:16] offset:16
	; wave barrier
	s_wait_loadcnt_dscnt 0x0
	global_inv scope:SCOPE_SE
	ds_load_u16 v9, v30
	ds_load_u16 v10, v31
	v_and_b32_e32 v13, 0xffff, v32
	; wave barrier
	s_wait_loadcnt_dscnt 0x0
	global_inv scope:SCOPE_SE
	v_add_nc_u32_e32 v9, v9, v11
	v_add_nc_u32_e32 v10, v10, v13
	s_delay_alu instid0(VALU_DEP_2) | instskip(NEXT) | instid1(VALU_DEP_2)
	v_lshlrev_b32_e32 v11, 1, v9
	v_lshlrev_b32_e32 v13, 1, v10
	ds_store_b16 v11, v28
	ds_store_b16 v13, v33
	v_mad_u32_u24 v9, v9, 6, v11
	v_mad_u32_u24 v10, v10, 6, v13
	; wave barrier
	s_wait_loadcnt_dscnt 0x0
	global_inv scope:SCOPE_SE
	ds_load_b32 v28, v19
	; wave barrier
	s_wait_loadcnt_dscnt 0x0
	global_inv scope:SCOPE_SE
	ds_store_b64 v9, v[5:6]
	ds_store_b64 v10, v[7:8]
	; wave barrier
	s_wait_loadcnt_dscnt 0x0
	global_inv scope:SCOPE_SE
	ds_load_b128 v[5:8], v18
	; wave barrier
	s_wait_loadcnt_dscnt 0x0
	global_inv scope:SCOPE_SE
	s_and_saveexec_b32 s16, s7
	s_cbranch_execz .LBB169_44
; %bb.36:
	v_cmp_gt_u32_e32 vcc_lo, 0x70, v0
	ds_store_b32 v21, v12
	s_and_b32 exec_lo, exec_lo, vcc_lo
	s_cbranch_execz .LBB169_44
; %bb.37:
	v_mov_b32_e32 v9, 0
	v_cmp_gt_u32_e32 vcc_lo, 0x60, v0
	ds_store_b32 v21, v9 offset:64
	s_and_b32 exec_lo, exec_lo, vcc_lo
	s_cbranch_execz .LBB169_44
; %bb.38:
	v_cmp_gt_u32_e32 vcc_lo, 0x50, v0
	ds_store_b32 v21, v9 offset:128
	s_and_b32 exec_lo, exec_lo, vcc_lo
	s_cbranch_execz .LBB169_44
; %bb.39:
	v_mov_b32_e32 v9, 0
	v_cmp_gt_u32_e32 vcc_lo, 64, v0
	ds_store_b32 v21, v9 offset:192
	s_and_b32 exec_lo, exec_lo, vcc_lo
	s_cbranch_execz .LBB169_44
; %bb.40:
	v_cmp_gt_u32_e32 vcc_lo, 48, v0
	ds_store_b32 v21, v9 offset:256
	;; [unrolled: 11-line block ×3, first 2 shown]
	s_and_b32 exec_lo, exec_lo, vcc_lo
; %bb.43:
	v_mov_b32_e32 v9, 0
	ds_store_b32 v21, v9 offset:448
.LBB169_44:
	s_wait_alu 0xfffe
	s_or_b32 exec_lo, exec_lo, s16
	v_lshrrev_b16 v9, 8, v28
	s_min_u32 s16, s13, 8
	s_wait_alu 0xfffe
	s_lshl_b32 s16, -1, s16
	s_wait_alu 0xfffe
	s_not_b32 s16, s16
	v_and_b32_e32 v9, 0xffff, v9
	s_wait_alu 0xfffe
	s_delay_alu instid0(VALU_DEP_1) | instskip(NEXT) | instid1(VALU_DEP_1)
	v_and_b32_e32 v9, s16, v9
	v_lshlrev_b32_e32 v10, 4, v9
	v_lshrrev_b32_e32 v9, 2, v9
	s_delay_alu instid0(VALU_DEP_2) | instskip(NEXT) | instid1(VALU_DEP_2)
	v_and_or_b32 v10, 0x70, v10, v0
	v_and_b32_e32 v9, 62, v9
	s_delay_alu instid0(VALU_DEP_1) | instskip(SKIP_3) | instid1(VALU_DEP_1)
	v_lshl_add_u32 v30, v10, 2, v9
	v_lshrrev_b32_e32 v9, 24, v28
	ds_load_u16 v29, v30
	v_and_b32_e32 v9, s16, v9
	v_lshlrev_b32_e32 v10, 4, v9
	v_lshrrev_b32_e32 v9, 2, v9
	s_delay_alu instid0(VALU_DEP_2) | instskip(NEXT) | instid1(VALU_DEP_2)
	v_and_or_b32 v10, 0x70, v10, v0
	v_and_b32_e32 v9, 62, v9
	s_delay_alu instid0(VALU_DEP_1)
	v_lshl_add_u32 v31, v10, 2, v9
	s_wait_dscnt 0x0
	v_add_nc_u16 v11, v29, 1
	ds_store_b16 v30, v11
	ds_load_u16 v32, v31
	s_wait_dscnt 0x0
	v_add_nc_u16 v9, v32, 1
	ds_store_b16 v31, v9
	; wave barrier
	s_wait_loadcnt_dscnt 0x0
	global_inv scope:SCOPE_SE
	ds_load_b128 v[13:16], v25
	ds_load_b128 v[9:12], v25 offset:16
	s_wait_dscnt 0x1
	v_add_nc_u32_e32 v33, v14, v13
	s_delay_alu instid0(VALU_DEP_1) | instskip(SKIP_1) | instid1(VALU_DEP_1)
	v_add3_u32 v33, v33, v15, v16
	s_wait_dscnt 0x0
	v_add3_u32 v33, v33, v9, v10
	s_delay_alu instid0(VALU_DEP_1) | instskip(NEXT) | instid1(VALU_DEP_1)
	v_add3_u32 v12, v33, v11, v12
	v_mov_b32_dpp v33, v12 row_shr:1 row_mask:0xf bank_mask:0xf
	s_delay_alu instid0(VALU_DEP_1) | instskip(NEXT) | instid1(VALU_DEP_1)
	v_cndmask_b32_e64 v33, v33, 0, s5
	v_add_nc_u32_e32 v12, v33, v12
	s_delay_alu instid0(VALU_DEP_1) | instskip(NEXT) | instid1(VALU_DEP_1)
	v_mov_b32_dpp v33, v12 row_shr:2 row_mask:0xf bank_mask:0xf
	v_cndmask_b32_e64 v33, 0, v33, s3
	s_delay_alu instid0(VALU_DEP_1) | instskip(NEXT) | instid1(VALU_DEP_1)
	v_add_nc_u32_e32 v12, v12, v33
	v_mov_b32_dpp v33, v12 row_shr:4 row_mask:0xf bank_mask:0xf
	s_delay_alu instid0(VALU_DEP_1) | instskip(NEXT) | instid1(VALU_DEP_1)
	v_cndmask_b32_e64 v33, 0, v33, s6
	v_add_nc_u32_e32 v12, v12, v33
	s_delay_alu instid0(VALU_DEP_1) | instskip(NEXT) | instid1(VALU_DEP_1)
	v_mov_b32_dpp v33, v12 row_shr:8 row_mask:0xf bank_mask:0xf
	v_cndmask_b32_e64 v34, 0, v33, s4
	v_lshrrev_b32_e32 v33, 16, v28
	s_delay_alu instid0(VALU_DEP_2)
	v_add_nc_u32_e32 v12, v12, v34
	s_and_saveexec_b32 s16, s2
; %bb.45:
	v_mov_b32_e32 v34, 0
	ds_store_b32 v34, v12 offset:512
; %bb.46:
	s_wait_alu 0xfffe
	s_or_b32 exec_lo, exec_lo, s16
	ds_bpermute_b32 v34, v26, v12
	v_mov_b32_e32 v12, 0
	; wave barrier
	s_wait_loadcnt_dscnt 0x0
	global_inv scope:SCOPE_SE
	ds_load_b32 v35, v12 offset:512
	v_cndmask_b32_e64 v34, v34, 0, s11
	s_wait_dscnt 0x0
	s_delay_alu instid0(VALU_DEP_1) | instskip(NEXT) | instid1(VALU_DEP_1)
	v_lshl_add_u32 v34, v35, 16, v34
	v_add_nc_u32_e32 v35, v34, v13
	s_delay_alu instid0(VALU_DEP_1) | instskip(NEXT) | instid1(VALU_DEP_1)
	v_add_nc_u32_e32 v36, v35, v14
	v_add_nc_u32_e32 v37, v36, v15
	s_delay_alu instid0(VALU_DEP_1) | instskip(NEXT) | instid1(VALU_DEP_1)
	v_add_nc_u32_e32 v13, v37, v16
	;; [unrolled: 3-line block ×3, first 2 shown]
	v_add_nc_u32_e32 v16, v15, v11
	v_and_b32_e32 v11, 0xffff, v29
	ds_store_b128 v25, v[34:37]
	ds_store_b128 v25, v[13:16] offset:16
	; wave barrier
	s_wait_loadcnt_dscnt 0x0
	global_inv scope:SCOPE_SE
	ds_load_u16 v9, v30
	ds_load_u16 v10, v31
	v_and_b32_e32 v13, 0xffff, v32
	; wave barrier
	s_wait_loadcnt_dscnt 0x0
	global_inv scope:SCOPE_SE
	v_add_nc_u32_e32 v9, v9, v11
	v_add_nc_u32_e32 v10, v10, v13
	s_delay_alu instid0(VALU_DEP_2) | instskip(NEXT) | instid1(VALU_DEP_2)
	v_lshlrev_b32_e32 v11, 1, v9
	v_lshlrev_b32_e32 v13, 1, v10
	ds_store_b16 v11, v28
	ds_store_b16 v13, v33
	v_mad_u32_u24 v9, v9, 6, v11
	v_mad_u32_u24 v10, v10, 6, v13
	; wave barrier
	s_wait_loadcnt_dscnt 0x0
	global_inv scope:SCOPE_SE
	ds_load_b32 v28, v19
	; wave barrier
	s_wait_loadcnt_dscnt 0x0
	global_inv scope:SCOPE_SE
	ds_store_b64 v9, v[5:6]
	ds_store_b64 v10, v[7:8]
	; wave barrier
	s_wait_loadcnt_dscnt 0x0
	global_inv scope:SCOPE_SE
	ds_load_b128 v[5:8], v18
	; wave barrier
	s_wait_loadcnt_dscnt 0x0
	global_inv scope:SCOPE_SE
	s_and_saveexec_b32 s16, s7
	s_cbranch_execz .LBB169_55
; %bb.47:
	v_cmp_gt_u32_e32 vcc_lo, 0x70, v0
	ds_store_b32 v21, v12
	s_and_b32 exec_lo, exec_lo, vcc_lo
	s_cbranch_execz .LBB169_55
; %bb.48:
	v_mov_b32_e32 v9, 0
	v_cmp_gt_u32_e32 vcc_lo, 0x60, v0
	ds_store_b32 v21, v9 offset:64
	s_and_b32 exec_lo, exec_lo, vcc_lo
	s_cbranch_execz .LBB169_55
; %bb.49:
	v_cmp_gt_u32_e32 vcc_lo, 0x50, v0
	ds_store_b32 v21, v9 offset:128
	s_and_b32 exec_lo, exec_lo, vcc_lo
	s_cbranch_execz .LBB169_55
; %bb.50:
	v_mov_b32_e32 v9, 0
	v_cmp_gt_u32_e32 vcc_lo, 64, v0
	ds_store_b32 v21, v9 offset:192
	s_and_b32 exec_lo, exec_lo, vcc_lo
	s_cbranch_execz .LBB169_55
; %bb.51:
	v_cmp_gt_u32_e32 vcc_lo, 48, v0
	ds_store_b32 v21, v9 offset:256
	;; [unrolled: 11-line block ×3, first 2 shown]
	s_and_b32 exec_lo, exec_lo, vcc_lo
; %bb.54:
	v_mov_b32_e32 v9, 0
	ds_store_b32 v21, v9 offset:448
.LBB169_55:
	s_wait_alu 0xfffe
	s_or_b32 exec_lo, exec_lo, s16
	v_lshrrev_b16 v9, 12, v28
	s_min_u32 s16, s13, 4
	s_wait_alu 0xfffe
	s_lshl_b32 s16, -1, s16
	s_wait_alu 0xfffe
	s_not_b32 s16, s16
	v_and_b32_e32 v9, 0xffff, v9
	s_wait_alu 0xfffe
	s_delay_alu instid0(VALU_DEP_1) | instskip(NEXT) | instid1(VALU_DEP_1)
	v_and_b32_e32 v9, s16, v9
	v_lshlrev_b32_e32 v10, 4, v9
	v_lshrrev_b32_e32 v9, 2, v9
	s_delay_alu instid0(VALU_DEP_2) | instskip(NEXT) | instid1(VALU_DEP_2)
	v_and_or_b32 v10, 0x70, v10, v0
	v_and_b32_e32 v9, 2, v9
	s_delay_alu instid0(VALU_DEP_1) | instskip(SKIP_4) | instid1(VALU_DEP_1)
	v_lshl_or_b32 v30, v10, 2, v9
	v_lshrrev_b32_e32 v9, 28, v28
	ds_load_u16 v29, v30
	v_and_b32_e32 v9, s16, v9
	s_mov_b32 s16, 0
	v_lshlrev_b32_e32 v10, 4, v9
	v_lshrrev_b32_e32 v9, 2, v9
	s_delay_alu instid0(VALU_DEP_2) | instskip(NEXT) | instid1(VALU_DEP_2)
	v_and_or_b32 v10, 0x70, v10, v0
	v_and_b32_e32 v9, 2, v9
	s_delay_alu instid0(VALU_DEP_1)
	v_lshl_or_b32 v31, v10, 2, v9
	s_wait_dscnt 0x0
	v_add_nc_u16 v11, v29, 1
	ds_store_b16 v30, v11
	ds_load_u16 v32, v31
	s_wait_dscnt 0x0
	v_add_nc_u16 v9, v32, 1
	ds_store_b16 v31, v9
	; wave barrier
	s_wait_loadcnt_dscnt 0x0
	global_inv scope:SCOPE_SE
	ds_load_b128 v[13:16], v25
	ds_load_b128 v[9:12], v25 offset:16
	s_wait_dscnt 0x1
	v_add_nc_u32_e32 v33, v14, v13
	s_delay_alu instid0(VALU_DEP_1) | instskip(SKIP_1) | instid1(VALU_DEP_1)
	v_add3_u32 v33, v33, v15, v16
	s_wait_dscnt 0x0
	v_add3_u32 v33, v33, v9, v10
	s_delay_alu instid0(VALU_DEP_1) | instskip(NEXT) | instid1(VALU_DEP_1)
	v_add3_u32 v12, v33, v11, v12
	v_mov_b32_dpp v33, v12 row_shr:1 row_mask:0xf bank_mask:0xf
	s_delay_alu instid0(VALU_DEP_1) | instskip(NEXT) | instid1(VALU_DEP_1)
	v_cndmask_b32_e64 v33, v33, 0, s5
	v_add_nc_u32_e32 v12, v33, v12
	s_delay_alu instid0(VALU_DEP_1) | instskip(NEXT) | instid1(VALU_DEP_1)
	v_mov_b32_dpp v33, v12 row_shr:2 row_mask:0xf bank_mask:0xf
	v_cndmask_b32_e64 v33, 0, v33, s3
	s_delay_alu instid0(VALU_DEP_1) | instskip(NEXT) | instid1(VALU_DEP_1)
	v_add_nc_u32_e32 v12, v12, v33
	v_mov_b32_dpp v33, v12 row_shr:4 row_mask:0xf bank_mask:0xf
	s_delay_alu instid0(VALU_DEP_1) | instskip(NEXT) | instid1(VALU_DEP_1)
	v_cndmask_b32_e64 v33, 0, v33, s6
	v_add_nc_u32_e32 v33, v12, v33
	s_delay_alu instid0(VALU_DEP_1) | instskip(NEXT) | instid1(VALU_DEP_1)
	v_mov_b32_dpp v12, v33 row_shr:8 row_mask:0xf bank_mask:0xf
	v_cndmask_b32_e64 v34, 0, v12, s4
	v_lshrrev_b32_e32 v12, 16, v28
	s_delay_alu instid0(VALU_DEP_2)
	v_add_nc_u32_e32 v33, v33, v34
	s_and_saveexec_b32 s17, s2
; %bb.56:
	v_mov_b32_e32 v34, 0
	ds_store_b32 v34, v33 offset:512
; %bb.57:
	s_wait_alu 0xfffe
	s_or_b32 exec_lo, exec_lo, s17
	ds_bpermute_b32 v33, v26, v33
	v_mov_b32_e32 v34, 0
	; wave barrier
	s_wait_loadcnt_dscnt 0x0
	global_inv scope:SCOPE_SE
	ds_load_b32 v34, v34 offset:512
	v_cndmask_b32_e64 v33, v33, 0, s11
	s_wait_dscnt 0x0
	s_delay_alu instid0(VALU_DEP_1) | instskip(NEXT) | instid1(VALU_DEP_1)
	v_lshl_add_u32 v33, v34, 16, v33
	v_add_nc_u32_e32 v34, v33, v13
	s_delay_alu instid0(VALU_DEP_1) | instskip(NEXT) | instid1(VALU_DEP_1)
	v_add_nc_u32_e32 v35, v34, v14
	v_add_nc_u32_e32 v36, v35, v15
	s_delay_alu instid0(VALU_DEP_1) | instskip(NEXT) | instid1(VALU_DEP_1)
	v_add_nc_u32_e32 v13, v36, v16
	;; [unrolled: 3-line block ×3, first 2 shown]
	v_add_nc_u32_e32 v16, v15, v11
	v_and_b32_e32 v11, 0xffff, v29
	ds_store_b128 v25, v[33:36]
	ds_store_b128 v25, v[13:16] offset:16
	; wave barrier
	s_wait_loadcnt_dscnt 0x0
	global_inv scope:SCOPE_SE
	ds_load_u16 v9, v30
	ds_load_u16 v10, v31
	v_and_b32_e32 v13, 0xffff, v32
	; wave barrier
	s_wait_loadcnt_dscnt 0x0
	global_inv scope:SCOPE_SE
	v_add_nc_u32_e32 v9, v9, v11
	v_add_nc_u32_e32 v10, v10, v13
	s_delay_alu instid0(VALU_DEP_2) | instskip(NEXT) | instid1(VALU_DEP_2)
	v_lshlrev_b32_e32 v11, 1, v9
	v_lshlrev_b32_e32 v13, 1, v10
	ds_store_b16 v11, v28
	ds_store_b16 v13, v12
	; wave barrier
	s_wait_loadcnt_dscnt 0x0
	global_inv scope:SCOPE_SE
	v_mad_u32_u24 v9, v9, 6, v11
	ds_load_b32 v11, v19
	v_mad_u32_u24 v10, v10, 6, v13
	; wave barrier
	s_wait_loadcnt_dscnt 0x0
	global_inv scope:SCOPE_SE
	ds_store_b64 v9, v[5:6]
	ds_store_b64 v10, v[7:8]
	; wave barrier
	s_wait_loadcnt_dscnt 0x0
	global_inv scope:SCOPE_SE
	ds_load_b128 v[5:8], v18
	v_xor_b32_e32 v9, 0x80008000, v11
	s_and_b32 vcc_lo, exec_lo, s16
	s_wait_alu 0xfffe
	s_cbranch_vccnz .LBB169_59
	s_branch .LBB169_104
.LBB169_58:
                                        ; implicit-def: $vgpr7_vgpr8
                                        ; implicit-def: $vgpr9
	s_and_b32 vcc_lo, exec_lo, s16
	s_wait_alu 0xfffe
	s_cbranch_vccz .LBB169_104
.LBB169_59:
	s_and_saveexec_b32 s16, s7
	s_cbranch_execz .LBB169_68
; %bb.60:
	s_wait_dscnt 0x0
	v_mad_i32_i24 v5, v0, -12, v18
	v_mov_b32_e32 v6, 0
	v_cmp_gt_u32_e32 vcc_lo, 0x70, v0
	ds_store_b32 v5, v6
	s_and_b32 exec_lo, exec_lo, vcc_lo
	s_cbranch_execz .LBB169_68
; %bb.61:
	v_mul_i32_i24_e32 v5, -12, v0
	v_cmp_gt_u32_e32 vcc_lo, 0x60, v0
	s_delay_alu instid0(VALU_DEP_2)
	v_add_nc_u32_e32 v5, v18, v5
	ds_store_b32 v5, v6 offset:64
	s_and_b32 exec_lo, exec_lo, vcc_lo
	s_cbranch_execz .LBB169_68
; %bb.62:
	v_mov_b32_e32 v6, 0
	v_cmp_gt_u32_e32 vcc_lo, 0x50, v0
	ds_store_b32 v5, v6 offset:128
	s_and_b32 exec_lo, exec_lo, vcc_lo
	s_cbranch_execz .LBB169_68
; %bb.63:
	v_cmp_gt_u32_e32 vcc_lo, 64, v0
	ds_store_b32 v5, v6 offset:192
	s_and_b32 exec_lo, exec_lo, vcc_lo
	s_cbranch_execz .LBB169_68
; %bb.64:
	v_mov_b32_e32 v6, 0
	v_cmp_gt_u32_e32 vcc_lo, 48, v0
	ds_store_b32 v5, v6 offset:256
	s_and_b32 exec_lo, exec_lo, vcc_lo
	s_cbranch_execz .LBB169_68
; %bb.65:
	v_cmp_gt_u32_e32 vcc_lo, 32, v0
	ds_store_b32 v5, v6 offset:320
	s_and_b32 exec_lo, exec_lo, vcc_lo
	s_cbranch_execz .LBB169_68
; %bb.66:
	v_mov_b32_e32 v6, 0
	v_cmp_gt_u32_e32 vcc_lo, 16, v0
	ds_store_b32 v5, v6 offset:384
	s_and_b32 exec_lo, exec_lo, vcc_lo
; %bb.67:
	ds_store_b32 v5, v6 offset:448
.LBB169_68:
	s_wait_alu 0xfffe
	s_or_b32 exec_lo, exec_lo, s16
	s_wait_kmcnt 0x0
	s_min_u32 s16, s13, 16
	v_xor_b32_e32 v13, 0x7fff7fff, v27
	s_wait_alu 0xfffe
	s_lshl_b32 s16, -1, s16
	s_wait_alu 0xfffe
	s_not_b32 s16, s16
	v_lshrrev_b32_e32 v14, 16, v13
	s_wait_dscnt 0x0
	s_wait_alu 0xfffe
	v_and_b32_e32 v5, s16, v13
	s_delay_alu instid0(VALU_DEP_1) | instskip(SKIP_1) | instid1(VALU_DEP_2)
	v_and_b32_e32 v6, 0xffff, v5
	v_lshrrev_b32_e32 v5, 2, v5
	v_lshlrev_b32_e32 v6, 4, v6
	s_delay_alu instid0(VALU_DEP_2) | instskip(NEXT) | instid1(VALU_DEP_2)
	v_and_b32_e32 v5, 0x3ffe, v5
	v_and_or_b32 v6, 0x70, v6, v0
	s_delay_alu instid0(VALU_DEP_1) | instskip(SKIP_4) | instid1(VALU_DEP_2)
	v_lshl_add_u32 v16, v6, 2, v5
	v_and_b32_e32 v5, s16, v14
	ds_load_u16 v15, v16
	v_lshlrev_b32_e32 v6, 4, v5
	v_lshrrev_b32_e32 v5, 2, v5
	v_and_or_b32 v6, 0x70, v6, v0
	s_delay_alu instid0(VALU_DEP_2) | instskip(NEXT) | instid1(VALU_DEP_1)
	v_and_b32_e32 v5, 0x3ffe, v5
	v_lshl_add_u32 v27, v6, 2, v5
	s_wait_dscnt 0x0
	v_add_nc_u16 v7, v15, 1
	ds_store_b16 v16, v7
	ds_load_u16 v28, v27
	s_wait_dscnt 0x0
	v_add_nc_u16 v5, v28, 1
	ds_store_b16 v27, v5
	; wave barrier
	s_wait_loadcnt_dscnt 0x0
	global_inv scope:SCOPE_SE
	ds_load_b128 v[9:12], v25
	ds_load_b128 v[5:8], v25 offset:16
	s_wait_dscnt 0x1
	v_add_nc_u32_e32 v29, v10, v9
	s_delay_alu instid0(VALU_DEP_1) | instskip(SKIP_1) | instid1(VALU_DEP_1)
	v_add3_u32 v29, v29, v11, v12
	s_wait_dscnt 0x0
	v_add3_u32 v29, v29, v5, v6
	s_delay_alu instid0(VALU_DEP_1) | instskip(NEXT) | instid1(VALU_DEP_1)
	v_add3_u32 v8, v29, v7, v8
	v_mov_b32_dpp v29, v8 row_shr:1 row_mask:0xf bank_mask:0xf
	s_delay_alu instid0(VALU_DEP_1) | instskip(NEXT) | instid1(VALU_DEP_1)
	v_cndmask_b32_e64 v29, v29, 0, s5
	v_add_nc_u32_e32 v8, v29, v8
	s_delay_alu instid0(VALU_DEP_1) | instskip(NEXT) | instid1(VALU_DEP_1)
	v_mov_b32_dpp v29, v8 row_shr:2 row_mask:0xf bank_mask:0xf
	v_cndmask_b32_e64 v29, 0, v29, s3
	s_delay_alu instid0(VALU_DEP_1) | instskip(NEXT) | instid1(VALU_DEP_1)
	v_add_nc_u32_e32 v8, v8, v29
	v_mov_b32_dpp v29, v8 row_shr:4 row_mask:0xf bank_mask:0xf
	s_delay_alu instid0(VALU_DEP_1) | instskip(NEXT) | instid1(VALU_DEP_1)
	v_cndmask_b32_e64 v29, 0, v29, s6
	v_add_nc_u32_e32 v8, v8, v29
	s_delay_alu instid0(VALU_DEP_1) | instskip(NEXT) | instid1(VALU_DEP_1)
	v_mov_b32_dpp v29, v8 row_shr:8 row_mask:0xf bank_mask:0xf
	v_cndmask_b32_e64 v29, 0, v29, s4
	s_delay_alu instid0(VALU_DEP_1)
	v_add_nc_u32_e32 v8, v8, v29
	s_and_saveexec_b32 s16, s2
; %bb.69:
	v_mov_b32_e32 v29, 0
	ds_store_b32 v29, v8 offset:512
; %bb.70:
	s_wait_alu 0xfffe
	s_or_b32 exec_lo, exec_lo, s16
	ds_bpermute_b32 v29, v26, v8
	v_mov_b32_e32 v8, 0
	; wave barrier
	s_wait_loadcnt_dscnt 0x0
	global_inv scope:SCOPE_SE
	ds_load_b32 v30, v8 offset:512
	v_cndmask_b32_e64 v29, v29, 0, s11
	s_wait_dscnt 0x0
	s_delay_alu instid0(VALU_DEP_1) | instskip(NEXT) | instid1(VALU_DEP_1)
	v_lshl_add_u32 v29, v30, 16, v29
	v_add_nc_u32_e32 v30, v29, v9
	s_delay_alu instid0(VALU_DEP_1) | instskip(NEXT) | instid1(VALU_DEP_1)
	v_add_nc_u32_e32 v31, v30, v10
	v_add_nc_u32_e32 v32, v31, v11
	s_delay_alu instid0(VALU_DEP_1) | instskip(NEXT) | instid1(VALU_DEP_1)
	v_add_nc_u32_e32 v9, v32, v12
	;; [unrolled: 3-line block ×3, first 2 shown]
	v_add_nc_u32_e32 v12, v11, v7
	v_and_b32_e32 v7, 0xffff, v15
	ds_store_b128 v25, v[29:32]
	ds_store_b128 v25, v[9:12] offset:16
	; wave barrier
	s_wait_loadcnt_dscnt 0x0
	global_inv scope:SCOPE_SE
	ds_load_u16 v5, v16
	ds_load_u16 v6, v27
	v_and_b32_e32 v9, 0xffff, v28
	; wave barrier
	s_wait_loadcnt_dscnt 0x0
	global_inv scope:SCOPE_SE
	v_add_nc_u32_e32 v5, v5, v7
	v_add_nc_u32_e32 v6, v6, v9
	s_delay_alu instid0(VALU_DEP_2) | instskip(NEXT) | instid1(VALU_DEP_2)
	v_lshlrev_b32_e32 v7, 1, v5
	v_lshlrev_b32_e32 v9, 1, v6
	ds_store_b16 v7, v13
	ds_store_b16 v9, v14
	v_mad_u32_u24 v5, v5, 6, v7
	v_mad_u32_u24 v6, v6, 6, v9
	; wave barrier
	s_wait_loadcnt_dscnt 0x0
	global_inv scope:SCOPE_SE
	ds_load_b32 v13, v19
	; wave barrier
	s_wait_loadcnt_dscnt 0x0
	global_inv scope:SCOPE_SE
	ds_store_b64 v5, v[1:2]
	ds_store_b64 v6, v[3:4]
	; wave barrier
	s_wait_loadcnt_dscnt 0x0
	global_inv scope:SCOPE_SE
	ds_load_b128 v[1:4], v18
	; wave barrier
	s_wait_loadcnt_dscnt 0x0
	global_inv scope:SCOPE_SE
	s_and_saveexec_b32 s16, s7
	s_cbranch_execz .LBB169_79
; %bb.71:
	v_cmp_gt_u32_e32 vcc_lo, 0x70, v0
	ds_store_b32 v21, v8
	s_and_b32 exec_lo, exec_lo, vcc_lo
	s_cbranch_execz .LBB169_79
; %bb.72:
	v_mov_b32_e32 v5, 0
	v_cmp_gt_u32_e32 vcc_lo, 0x60, v0
	ds_store_b32 v21, v5 offset:64
	s_and_b32 exec_lo, exec_lo, vcc_lo
	s_cbranch_execz .LBB169_79
; %bb.73:
	v_cmp_gt_u32_e32 vcc_lo, 0x50, v0
	ds_store_b32 v21, v5 offset:128
	s_and_b32 exec_lo, exec_lo, vcc_lo
	s_cbranch_execz .LBB169_79
; %bb.74:
	v_mov_b32_e32 v5, 0
	v_cmp_gt_u32_e32 vcc_lo, 64, v0
	ds_store_b32 v21, v5 offset:192
	s_and_b32 exec_lo, exec_lo, vcc_lo
	s_cbranch_execz .LBB169_79
; %bb.75:
	v_cmp_gt_u32_e32 vcc_lo, 48, v0
	ds_store_b32 v21, v5 offset:256
	;; [unrolled: 11-line block ×3, first 2 shown]
	s_and_b32 exec_lo, exec_lo, vcc_lo
; %bb.78:
	v_mov_b32_e32 v5, 0
	ds_store_b32 v21, v5 offset:448
.LBB169_79:
	s_wait_alu 0xfffe
	s_or_b32 exec_lo, exec_lo, s16
	v_lshrrev_b16 v5, 4, v13
	s_min_u32 s16, s13, 12
	s_wait_alu 0xfffe
	s_lshl_b32 s16, -1, s16
	s_wait_alu 0xfffe
	s_not_b32 s16, s16
	v_and_b32_e32 v5, 0xffff, v5
	s_wait_alu 0xfffe
	s_delay_alu instid0(VALU_DEP_1) | instskip(NEXT) | instid1(VALU_DEP_1)
	v_and_b32_e32 v5, s16, v5
	v_lshlrev_b32_e32 v6, 4, v5
	v_lshrrev_b32_e32 v5, 2, v5
	s_delay_alu instid0(VALU_DEP_2) | instskip(NEXT) | instid1(VALU_DEP_2)
	v_and_or_b32 v6, 0x70, v6, v0
	v_and_b32_e32 v5, 0x3fe, v5
	s_delay_alu instid0(VALU_DEP_1) | instskip(SKIP_3) | instid1(VALU_DEP_1)
	v_lshl_add_u32 v15, v6, 2, v5
	v_lshrrev_b32_e32 v5, 20, v13
	ds_load_u16 v14, v15
	v_and_b32_e32 v5, s16, v5
	v_lshlrev_b32_e32 v6, 4, v5
	v_lshrrev_b32_e32 v5, 2, v5
	s_delay_alu instid0(VALU_DEP_2) | instskip(NEXT) | instid1(VALU_DEP_2)
	v_and_or_b32 v6, 0x70, v6, v0
	v_and_b32_e32 v5, 0x3fe, v5
	s_delay_alu instid0(VALU_DEP_1)
	v_lshl_add_u32 v16, v6, 2, v5
	s_wait_dscnt 0x0
	v_add_nc_u16 v7, v14, 1
	ds_store_b16 v15, v7
	ds_load_u16 v27, v16
	s_wait_dscnt 0x0
	v_add_nc_u16 v5, v27, 1
	ds_store_b16 v16, v5
	; wave barrier
	s_wait_loadcnt_dscnt 0x0
	global_inv scope:SCOPE_SE
	ds_load_b128 v[9:12], v25
	ds_load_b128 v[5:8], v25 offset:16
	s_wait_dscnt 0x1
	v_add_nc_u32_e32 v28, v10, v9
	s_delay_alu instid0(VALU_DEP_1) | instskip(SKIP_1) | instid1(VALU_DEP_1)
	v_add3_u32 v28, v28, v11, v12
	s_wait_dscnt 0x0
	v_add3_u32 v28, v28, v5, v6
	s_delay_alu instid0(VALU_DEP_1) | instskip(NEXT) | instid1(VALU_DEP_1)
	v_add3_u32 v8, v28, v7, v8
	v_mov_b32_dpp v28, v8 row_shr:1 row_mask:0xf bank_mask:0xf
	s_delay_alu instid0(VALU_DEP_1) | instskip(NEXT) | instid1(VALU_DEP_1)
	v_cndmask_b32_e64 v28, v28, 0, s5
	v_add_nc_u32_e32 v8, v28, v8
	s_delay_alu instid0(VALU_DEP_1) | instskip(NEXT) | instid1(VALU_DEP_1)
	v_mov_b32_dpp v28, v8 row_shr:2 row_mask:0xf bank_mask:0xf
	v_cndmask_b32_e64 v28, 0, v28, s3
	s_delay_alu instid0(VALU_DEP_1) | instskip(NEXT) | instid1(VALU_DEP_1)
	v_add_nc_u32_e32 v8, v8, v28
	v_mov_b32_dpp v28, v8 row_shr:4 row_mask:0xf bank_mask:0xf
	s_delay_alu instid0(VALU_DEP_1) | instskip(NEXT) | instid1(VALU_DEP_1)
	v_cndmask_b32_e64 v28, 0, v28, s6
	v_add_nc_u32_e32 v8, v8, v28
	s_delay_alu instid0(VALU_DEP_1) | instskip(NEXT) | instid1(VALU_DEP_1)
	v_mov_b32_dpp v28, v8 row_shr:8 row_mask:0xf bank_mask:0xf
	v_cndmask_b32_e64 v29, 0, v28, s4
	v_lshrrev_b32_e32 v28, 16, v13
	s_delay_alu instid0(VALU_DEP_2)
	v_add_nc_u32_e32 v8, v8, v29
	s_and_saveexec_b32 s16, s2
; %bb.80:
	v_mov_b32_e32 v29, 0
	ds_store_b32 v29, v8 offset:512
; %bb.81:
	s_wait_alu 0xfffe
	s_or_b32 exec_lo, exec_lo, s16
	ds_bpermute_b32 v29, v26, v8
	v_mov_b32_e32 v8, 0
	; wave barrier
	s_wait_loadcnt_dscnt 0x0
	global_inv scope:SCOPE_SE
	ds_load_b32 v30, v8 offset:512
	v_cndmask_b32_e64 v29, v29, 0, s11
	s_wait_dscnt 0x0
	s_delay_alu instid0(VALU_DEP_1) | instskip(NEXT) | instid1(VALU_DEP_1)
	v_lshl_add_u32 v29, v30, 16, v29
	v_add_nc_u32_e32 v30, v29, v9
	s_delay_alu instid0(VALU_DEP_1) | instskip(NEXT) | instid1(VALU_DEP_1)
	v_add_nc_u32_e32 v31, v30, v10
	v_add_nc_u32_e32 v32, v31, v11
	s_delay_alu instid0(VALU_DEP_1) | instskip(NEXT) | instid1(VALU_DEP_1)
	v_add_nc_u32_e32 v9, v32, v12
	;; [unrolled: 3-line block ×3, first 2 shown]
	v_add_nc_u32_e32 v12, v11, v7
	v_and_b32_e32 v7, 0xffff, v14
	ds_store_b128 v25, v[29:32]
	ds_store_b128 v25, v[9:12] offset:16
	; wave barrier
	s_wait_loadcnt_dscnt 0x0
	global_inv scope:SCOPE_SE
	ds_load_u16 v5, v15
	ds_load_u16 v6, v16
	v_and_b32_e32 v9, 0xffff, v27
	; wave barrier
	s_wait_loadcnt_dscnt 0x0
	global_inv scope:SCOPE_SE
	v_add_nc_u32_e32 v5, v5, v7
	v_add_nc_u32_e32 v6, v6, v9
	s_delay_alu instid0(VALU_DEP_2) | instskip(NEXT) | instid1(VALU_DEP_2)
	v_lshlrev_b32_e32 v7, 1, v5
	v_lshlrev_b32_e32 v9, 1, v6
	ds_store_b16 v7, v13
	ds_store_b16 v9, v28
	v_mad_u32_u24 v5, v5, 6, v7
	v_mad_u32_u24 v6, v6, 6, v9
	; wave barrier
	s_wait_loadcnt_dscnt 0x0
	global_inv scope:SCOPE_SE
	ds_load_b32 v13, v19
	; wave barrier
	s_wait_loadcnt_dscnt 0x0
	global_inv scope:SCOPE_SE
	ds_store_b64 v5, v[1:2]
	ds_store_b64 v6, v[3:4]
	; wave barrier
	s_wait_loadcnt_dscnt 0x0
	global_inv scope:SCOPE_SE
	ds_load_b128 v[1:4], v18
	; wave barrier
	s_wait_loadcnt_dscnt 0x0
	global_inv scope:SCOPE_SE
	s_and_saveexec_b32 s16, s7
	s_cbranch_execz .LBB169_90
; %bb.82:
	v_cmp_gt_u32_e32 vcc_lo, 0x70, v0
	ds_store_b32 v21, v8
	s_and_b32 exec_lo, exec_lo, vcc_lo
	s_cbranch_execz .LBB169_90
; %bb.83:
	v_mov_b32_e32 v5, 0
	v_cmp_gt_u32_e32 vcc_lo, 0x60, v0
	ds_store_b32 v21, v5 offset:64
	s_and_b32 exec_lo, exec_lo, vcc_lo
	s_cbranch_execz .LBB169_90
; %bb.84:
	v_cmp_gt_u32_e32 vcc_lo, 0x50, v0
	ds_store_b32 v21, v5 offset:128
	s_and_b32 exec_lo, exec_lo, vcc_lo
	s_cbranch_execz .LBB169_90
; %bb.85:
	v_mov_b32_e32 v5, 0
	v_cmp_gt_u32_e32 vcc_lo, 64, v0
	ds_store_b32 v21, v5 offset:192
	s_and_b32 exec_lo, exec_lo, vcc_lo
	s_cbranch_execz .LBB169_90
; %bb.86:
	v_cmp_gt_u32_e32 vcc_lo, 48, v0
	ds_store_b32 v21, v5 offset:256
	;; [unrolled: 11-line block ×3, first 2 shown]
	s_and_b32 exec_lo, exec_lo, vcc_lo
; %bb.89:
	v_mov_b32_e32 v5, 0
	ds_store_b32 v21, v5 offset:448
.LBB169_90:
	s_wait_alu 0xfffe
	s_or_b32 exec_lo, exec_lo, s16
	v_lshrrev_b16 v5, 8, v13
	s_min_u32 s16, s13, 8
	s_wait_alu 0xfffe
	s_lshl_b32 s16, -1, s16
	s_wait_alu 0xfffe
	s_not_b32 s16, s16
	v_and_b32_e32 v5, 0xffff, v5
	s_wait_alu 0xfffe
	s_delay_alu instid0(VALU_DEP_1) | instskip(NEXT) | instid1(VALU_DEP_1)
	v_and_b32_e32 v5, s16, v5
	v_lshlrev_b32_e32 v6, 4, v5
	v_lshrrev_b32_e32 v5, 2, v5
	s_delay_alu instid0(VALU_DEP_2) | instskip(NEXT) | instid1(VALU_DEP_2)
	v_and_or_b32 v6, 0x70, v6, v0
	v_and_b32_e32 v5, 62, v5
	s_delay_alu instid0(VALU_DEP_1) | instskip(SKIP_3) | instid1(VALU_DEP_1)
	v_lshl_add_u32 v15, v6, 2, v5
	v_lshrrev_b32_e32 v5, 24, v13
	ds_load_u16 v14, v15
	v_and_b32_e32 v5, s16, v5
	v_lshlrev_b32_e32 v6, 4, v5
	v_lshrrev_b32_e32 v5, 2, v5
	s_delay_alu instid0(VALU_DEP_2) | instskip(NEXT) | instid1(VALU_DEP_2)
	v_and_or_b32 v6, 0x70, v6, v0
	v_and_b32_e32 v5, 62, v5
	s_delay_alu instid0(VALU_DEP_1)
	v_lshl_add_u32 v16, v6, 2, v5
	s_wait_dscnt 0x0
	v_add_nc_u16 v7, v14, 1
	ds_store_b16 v15, v7
	ds_load_u16 v27, v16
	s_wait_dscnt 0x0
	v_add_nc_u16 v5, v27, 1
	ds_store_b16 v16, v5
	; wave barrier
	s_wait_loadcnt_dscnt 0x0
	global_inv scope:SCOPE_SE
	ds_load_b128 v[9:12], v25
	ds_load_b128 v[5:8], v25 offset:16
	s_wait_dscnt 0x1
	v_add_nc_u32_e32 v28, v10, v9
	s_delay_alu instid0(VALU_DEP_1) | instskip(SKIP_1) | instid1(VALU_DEP_1)
	v_add3_u32 v28, v28, v11, v12
	s_wait_dscnt 0x0
	v_add3_u32 v28, v28, v5, v6
	s_delay_alu instid0(VALU_DEP_1) | instskip(NEXT) | instid1(VALU_DEP_1)
	v_add3_u32 v8, v28, v7, v8
	v_mov_b32_dpp v28, v8 row_shr:1 row_mask:0xf bank_mask:0xf
	s_delay_alu instid0(VALU_DEP_1) | instskip(NEXT) | instid1(VALU_DEP_1)
	v_cndmask_b32_e64 v28, v28, 0, s5
	v_add_nc_u32_e32 v8, v28, v8
	s_delay_alu instid0(VALU_DEP_1) | instskip(NEXT) | instid1(VALU_DEP_1)
	v_mov_b32_dpp v28, v8 row_shr:2 row_mask:0xf bank_mask:0xf
	v_cndmask_b32_e64 v28, 0, v28, s3
	s_delay_alu instid0(VALU_DEP_1) | instskip(NEXT) | instid1(VALU_DEP_1)
	v_add_nc_u32_e32 v8, v8, v28
	v_mov_b32_dpp v28, v8 row_shr:4 row_mask:0xf bank_mask:0xf
	s_delay_alu instid0(VALU_DEP_1) | instskip(NEXT) | instid1(VALU_DEP_1)
	v_cndmask_b32_e64 v28, 0, v28, s6
	v_add_nc_u32_e32 v8, v8, v28
	s_delay_alu instid0(VALU_DEP_1) | instskip(NEXT) | instid1(VALU_DEP_1)
	v_mov_b32_dpp v28, v8 row_shr:8 row_mask:0xf bank_mask:0xf
	v_cndmask_b32_e64 v29, 0, v28, s4
	v_lshrrev_b32_e32 v28, 16, v13
	s_delay_alu instid0(VALU_DEP_2)
	v_add_nc_u32_e32 v8, v8, v29
	s_and_saveexec_b32 s16, s2
; %bb.91:
	v_mov_b32_e32 v29, 0
	ds_store_b32 v29, v8 offset:512
; %bb.92:
	s_wait_alu 0xfffe
	s_or_b32 exec_lo, exec_lo, s16
	ds_bpermute_b32 v29, v26, v8
	v_mov_b32_e32 v8, 0
	; wave barrier
	s_wait_loadcnt_dscnt 0x0
	global_inv scope:SCOPE_SE
	ds_load_b32 v30, v8 offset:512
	v_cndmask_b32_e64 v29, v29, 0, s11
	s_wait_dscnt 0x0
	s_delay_alu instid0(VALU_DEP_1) | instskip(NEXT) | instid1(VALU_DEP_1)
	v_lshl_add_u32 v29, v30, 16, v29
	v_add_nc_u32_e32 v30, v29, v9
	s_delay_alu instid0(VALU_DEP_1) | instskip(NEXT) | instid1(VALU_DEP_1)
	v_add_nc_u32_e32 v31, v30, v10
	v_add_nc_u32_e32 v32, v31, v11
	s_delay_alu instid0(VALU_DEP_1) | instskip(NEXT) | instid1(VALU_DEP_1)
	v_add_nc_u32_e32 v9, v32, v12
	;; [unrolled: 3-line block ×3, first 2 shown]
	v_add_nc_u32_e32 v12, v11, v7
	v_and_b32_e32 v7, 0xffff, v14
	ds_store_b128 v25, v[29:32]
	ds_store_b128 v25, v[9:12] offset:16
	; wave barrier
	s_wait_loadcnt_dscnt 0x0
	global_inv scope:SCOPE_SE
	ds_load_u16 v5, v15
	ds_load_u16 v6, v16
	v_and_b32_e32 v9, 0xffff, v27
	; wave barrier
	s_wait_loadcnt_dscnt 0x0
	global_inv scope:SCOPE_SE
	v_add_nc_u32_e32 v5, v5, v7
	v_add_nc_u32_e32 v6, v6, v9
	s_delay_alu instid0(VALU_DEP_2) | instskip(NEXT) | instid1(VALU_DEP_2)
	v_lshlrev_b32_e32 v7, 1, v5
	v_lshlrev_b32_e32 v9, 1, v6
	ds_store_b16 v7, v13
	ds_store_b16 v9, v28
	v_mad_u32_u24 v5, v5, 6, v7
	v_mad_u32_u24 v6, v6, 6, v9
	; wave barrier
	s_wait_loadcnt_dscnt 0x0
	global_inv scope:SCOPE_SE
	ds_load_b32 v13, v19
	; wave barrier
	s_wait_loadcnt_dscnt 0x0
	global_inv scope:SCOPE_SE
	ds_store_b64 v5, v[1:2]
	ds_store_b64 v6, v[3:4]
	; wave barrier
	s_wait_loadcnt_dscnt 0x0
	global_inv scope:SCOPE_SE
	ds_load_b128 v[1:4], v18
	; wave barrier
	s_wait_loadcnt_dscnt 0x0
	global_inv scope:SCOPE_SE
	s_and_saveexec_b32 s16, s7
	s_cbranch_execz .LBB169_101
; %bb.93:
	v_cmp_gt_u32_e32 vcc_lo, 0x70, v0
	ds_store_b32 v21, v8
	s_and_b32 exec_lo, exec_lo, vcc_lo
	s_cbranch_execz .LBB169_101
; %bb.94:
	v_mov_b32_e32 v5, 0
	v_cmp_gt_u32_e32 vcc_lo, 0x60, v0
	ds_store_b32 v21, v5 offset:64
	s_and_b32 exec_lo, exec_lo, vcc_lo
	s_cbranch_execz .LBB169_101
; %bb.95:
	v_cmp_gt_u32_e32 vcc_lo, 0x50, v0
	ds_store_b32 v21, v5 offset:128
	s_and_b32 exec_lo, exec_lo, vcc_lo
	s_cbranch_execz .LBB169_101
; %bb.96:
	v_mov_b32_e32 v5, 0
	v_cmp_gt_u32_e32 vcc_lo, 64, v0
	ds_store_b32 v21, v5 offset:192
	s_and_b32 exec_lo, exec_lo, vcc_lo
	s_cbranch_execz .LBB169_101
; %bb.97:
	v_cmp_gt_u32_e32 vcc_lo, 48, v0
	ds_store_b32 v21, v5 offset:256
	;; [unrolled: 11-line block ×3, first 2 shown]
	s_and_b32 exec_lo, exec_lo, vcc_lo
; %bb.100:
	v_mov_b32_e32 v5, 0
	ds_store_b32 v21, v5 offset:448
.LBB169_101:
	s_wait_alu 0xfffe
	s_or_b32 exec_lo, exec_lo, s16
	v_lshrrev_b16 v5, 12, v13
	s_min_u32 s7, s13, 4
	s_wait_alu 0xfffe
	s_lshl_b32 s7, -1, s7
	s_wait_alu 0xfffe
	s_not_b32 s7, s7
	v_and_b32_e32 v5, 0xffff, v5
	s_wait_alu 0xfffe
	s_delay_alu instid0(VALU_DEP_1) | instskip(NEXT) | instid1(VALU_DEP_1)
	v_and_b32_e32 v5, s7, v5
	v_lshlrev_b32_e32 v6, 4, v5
	v_lshrrev_b32_e32 v5, 2, v5
	s_delay_alu instid0(VALU_DEP_2) | instskip(NEXT) | instid1(VALU_DEP_2)
	v_and_or_b32 v6, 0x70, v6, v0
	v_and_b32_e32 v5, 2, v5
	s_delay_alu instid0(VALU_DEP_1) | instskip(SKIP_3) | instid1(VALU_DEP_1)
	v_lshl_or_b32 v15, v6, 2, v5
	v_lshrrev_b32_e32 v5, 28, v13
	ds_load_u16 v14, v15
	v_and_b32_e32 v5, s7, v5
	v_lshlrev_b32_e32 v6, 4, v5
	v_lshrrev_b32_e32 v5, 2, v5
	s_delay_alu instid0(VALU_DEP_2) | instskip(NEXT) | instid1(VALU_DEP_2)
	v_and_or_b32 v0, 0x70, v6, v0
	v_and_b32_e32 v5, 2, v5
	s_delay_alu instid0(VALU_DEP_1)
	v_lshl_or_b32 v0, v0, 2, v5
	s_wait_dscnt 0x0
	v_add_nc_u16 v6, v14, 1
	ds_store_b16 v15, v6
	ds_load_u16 v16, v0
	s_wait_dscnt 0x0
	v_add_nc_u16 v5, v16, 1
	ds_store_b16 v0, v5
	; wave barrier
	s_wait_loadcnt_dscnt 0x0
	global_inv scope:SCOPE_SE
	ds_load_b128 v[9:12], v25
	ds_load_b128 v[5:8], v25 offset:16
	s_wait_dscnt 0x1
	v_add_nc_u32_e32 v27, v10, v9
	s_delay_alu instid0(VALU_DEP_1) | instskip(SKIP_1) | instid1(VALU_DEP_1)
	v_add3_u32 v27, v27, v11, v12
	s_wait_dscnt 0x0
	v_add3_u32 v27, v27, v5, v6
	s_delay_alu instid0(VALU_DEP_1) | instskip(NEXT) | instid1(VALU_DEP_1)
	v_add3_u32 v8, v27, v7, v8
	v_mov_b32_dpp v27, v8 row_shr:1 row_mask:0xf bank_mask:0xf
	s_delay_alu instid0(VALU_DEP_1) | instskip(NEXT) | instid1(VALU_DEP_1)
	v_cndmask_b32_e64 v27, v27, 0, s5
	v_add_nc_u32_e32 v8, v27, v8
	s_delay_alu instid0(VALU_DEP_1) | instskip(NEXT) | instid1(VALU_DEP_1)
	v_mov_b32_dpp v27, v8 row_shr:2 row_mask:0xf bank_mask:0xf
	v_cndmask_b32_e64 v27, 0, v27, s3
	s_delay_alu instid0(VALU_DEP_1) | instskip(NEXT) | instid1(VALU_DEP_1)
	v_add_nc_u32_e32 v8, v8, v27
	v_mov_b32_dpp v27, v8 row_shr:4 row_mask:0xf bank_mask:0xf
	s_delay_alu instid0(VALU_DEP_1) | instskip(NEXT) | instid1(VALU_DEP_1)
	v_cndmask_b32_e64 v27, 0, v27, s6
	v_add_nc_u32_e32 v27, v8, v27
	s_delay_alu instid0(VALU_DEP_1) | instskip(NEXT) | instid1(VALU_DEP_1)
	v_mov_b32_dpp v8, v27 row_shr:8 row_mask:0xf bank_mask:0xf
	v_cndmask_b32_e64 v28, 0, v8, s4
	v_lshrrev_b32_e32 v8, 16, v13
	s_delay_alu instid0(VALU_DEP_2)
	v_add_nc_u32_e32 v27, v27, v28
	s_and_saveexec_b32 s3, s2
; %bb.102:
	v_mov_b32_e32 v28, 0
	ds_store_b32 v28, v27 offset:512
; %bb.103:
	s_wait_alu 0xfffe
	s_or_b32 exec_lo, exec_lo, s3
	ds_bpermute_b32 v26, v26, v27
	v_mov_b32_e32 v27, 0
	; wave barrier
	s_wait_loadcnt_dscnt 0x0
	global_inv scope:SCOPE_SE
	ds_load_b32 v27, v27 offset:512
	v_cndmask_b32_e64 v26, v26, 0, s11
	s_wait_dscnt 0x0
	s_delay_alu instid0(VALU_DEP_1) | instskip(NEXT) | instid1(VALU_DEP_1)
	v_lshl_add_u32 v26, v27, 16, v26
	v_add_nc_u32_e32 v27, v26, v9
	s_delay_alu instid0(VALU_DEP_1) | instskip(NEXT) | instid1(VALU_DEP_1)
	v_add_nc_u32_e32 v28, v27, v10
	v_add_nc_u32_e32 v29, v28, v11
	s_delay_alu instid0(VALU_DEP_1) | instskip(NEXT) | instid1(VALU_DEP_1)
	v_add_nc_u32_e32 v9, v29, v12
	v_add_nc_u32_e32 v10, v9, v5
	s_delay_alu instid0(VALU_DEP_1) | instskip(SKIP_1) | instid1(VALU_DEP_2)
	v_add_nc_u32_e32 v11, v10, v6
	v_and_b32_e32 v6, 0xffff, v14
	v_add_nc_u32_e32 v12, v11, v7
	v_and_b32_e32 v7, 0xffff, v16
	ds_store_b128 v25, v[26:29]
	ds_store_b128 v25, v[9:12] offset:16
	; wave barrier
	s_wait_loadcnt_dscnt 0x0
	global_inv scope:SCOPE_SE
	ds_load_u16 v5, v15
	ds_load_u16 v0, v0
	; wave barrier
	s_wait_loadcnt_dscnt 0x0
	global_inv scope:SCOPE_SE
	v_add_nc_u32_e32 v5, v5, v6
	v_add_nc_u32_e32 v0, v0, v7
	s_delay_alu instid0(VALU_DEP_2) | instskip(NEXT) | instid1(VALU_DEP_2)
	v_lshlrev_b32_e32 v6, 1, v5
	v_lshlrev_b32_e32 v7, 1, v0
	ds_store_b16 v6, v13
	ds_store_b16 v7, v8
	v_mad_u32_u24 v5, v5, 6, v6
	v_mad_u32_u24 v0, v0, 6, v7
	; wave barrier
	s_wait_loadcnt_dscnt 0x0
	global_inv scope:SCOPE_SE
	ds_load_b32 v9, v19
	; wave barrier
	s_wait_loadcnt_dscnt 0x0
	global_inv scope:SCOPE_SE
	ds_store_b64 v5, v[1:2]
	ds_store_b64 v0, v[3:4]
	; wave barrier
	s_wait_loadcnt_dscnt 0x0
	global_inv scope:SCOPE_SE
	ds_load_b128 v[5:8], v18
	v_xor_b32_e32 v9, 0x7fff7fff, v9
.LBB169_104:
	; wave barrier
	s_wait_loadcnt_dscnt 0x0
	global_inv scope:SCOPE_SE
	ds_store_b32 v21, v9
	; wave barrier
	s_wait_loadcnt_dscnt 0x0
	global_inv scope:SCOPE_SE
	ds_load_u16 v2, v22 offset:32
	v_mov_b32_e32 v21, 0
	s_delay_alu instid0(VALU_DEP_1) | instskip(NEXT) | instid1(VALU_DEP_1)
	v_lshlrev_b64_e32 v[0:1], 1, v[20:21]
	v_add_co_u32 v0, vcc_lo, s14, v0
	s_wait_alu 0xfffd
	s_delay_alu instid0(VALU_DEP_2)
	v_add_co_ci_u32_e64 v1, null, s15, v1, vcc_lo
	s_and_saveexec_b32 s2, s0
	s_cbranch_execz .LBB169_106
; %bb.105:
	ds_load_u16 v3, v22
	s_wait_dscnt 0x0
	global_store_b16 v[0:1], v3, off
.LBB169_106:
	s_wait_alu 0xfffe
	s_or_b32 exec_lo, exec_lo, s2
	s_and_saveexec_b32 s2, s1
	s_cbranch_execz .LBB169_108
; %bb.107:
	s_lshl_b32 s4, s10, 4
	s_mov_b32 s5, 0
	s_wait_alu 0xfffe
	s_lshl_b64 s[4:5], s[4:5], 1
	s_wait_alu 0xfffe
	v_add_co_u32 v0, vcc_lo, v0, s4
	s_wait_alu 0xfffd
	v_add_co_ci_u32_e64 v1, null, s5, v1, vcc_lo
	s_wait_dscnt 0x0
	global_store_b16 v[0:1], v2, off
.LBB169_108:
	s_wait_alu 0xfffe
	s_or_b32 exec_lo, exec_lo, s2
	s_wait_storecnt 0x0
	; wave barrier
	s_wait_loadcnt_dscnt 0x0
	global_inv scope:SCOPE_SE
	ds_store_2addr_b64 v24, v[5:6], v[7:8] offset1:1
	; wave barrier
	s_wait_loadcnt_dscnt 0x0
	global_inv scope:SCOPE_SE
	ds_load_b64 v[0:1], v23 offset:128
	v_mov_b32_e32 v18, 0
	s_delay_alu instid0(VALU_DEP_1) | instskip(NEXT) | instid1(VALU_DEP_1)
	v_lshlrev_b64_e32 v[2:3], 3, v[17:18]
	v_add_co_u32 v2, vcc_lo, s8, v2
	s_wait_alu 0xfffd
	s_delay_alu instid0(VALU_DEP_2)
	v_add_co_ci_u32_e64 v3, null, s9, v3, vcc_lo
	s_and_saveexec_b32 s2, s0
	s_cbranch_execz .LBB169_110
; %bb.109:
	ds_load_b64 v[4:5], v23
	s_wait_dscnt 0x0
	global_store_b64 v[2:3], v[4:5], off
.LBB169_110:
	s_wait_alu 0xfffe
	s_or_b32 exec_lo, exec_lo, s2
	s_and_saveexec_b32 s0, s1
	s_cbranch_execz .LBB169_112
; %bb.111:
	s_lshl_b32 s0, s12, 4
	s_mov_b32 s1, 0
	s_wait_alu 0xfffe
	s_lshl_b64 s[0:1], s[0:1], 3
	s_wait_alu 0xfffe
	v_add_co_u32 v2, vcc_lo, v2, s0
	s_wait_alu 0xfffd
	v_add_co_ci_u32_e64 v3, null, s1, v3, vcc_lo
	s_wait_dscnt 0x0
	global_store_b64 v[2:3], v[0:1], off
.LBB169_112:
	s_endpgm
	.section	.rodata,"a",@progbits
	.p2align	6, 0x0
	.amdhsa_kernel _ZN2at6native18radixSortKVInPlaceILi2ELin1ELi16ELi2EsljEEvNS_4cuda6detail10TensorInfoIT3_T5_EES6_S6_S6_NS4_IT4_S6_EES6_b
		.amdhsa_group_segment_fixed_size 528
		.amdhsa_private_segment_fixed_size 0
		.amdhsa_kernarg_size 712
		.amdhsa_user_sgpr_count 2
		.amdhsa_user_sgpr_dispatch_ptr 0
		.amdhsa_user_sgpr_queue_ptr 0
		.amdhsa_user_sgpr_kernarg_segment_ptr 1
		.amdhsa_user_sgpr_dispatch_id 0
		.amdhsa_user_sgpr_private_segment_size 0
		.amdhsa_wavefront_size32 1
		.amdhsa_uses_dynamic_stack 0
		.amdhsa_enable_private_segment 0
		.amdhsa_system_sgpr_workgroup_id_x 1
		.amdhsa_system_sgpr_workgroup_id_y 1
		.amdhsa_system_sgpr_workgroup_id_z 1
		.amdhsa_system_sgpr_workgroup_info 0
		.amdhsa_system_vgpr_workitem_id 0
		.amdhsa_next_free_vgpr 38
		.amdhsa_next_free_sgpr 24
		.amdhsa_reserve_vcc 1
		.amdhsa_float_round_mode_32 0
		.amdhsa_float_round_mode_16_64 0
		.amdhsa_float_denorm_mode_32 3
		.amdhsa_float_denorm_mode_16_64 3
		.amdhsa_fp16_overflow 0
		.amdhsa_workgroup_processor_mode 1
		.amdhsa_memory_ordered 1
		.amdhsa_forward_progress 1
		.amdhsa_inst_pref_size 71
		.amdhsa_round_robin_scheduling 0
		.amdhsa_exception_fp_ieee_invalid_op 0
		.amdhsa_exception_fp_denorm_src 0
		.amdhsa_exception_fp_ieee_div_zero 0
		.amdhsa_exception_fp_ieee_overflow 0
		.amdhsa_exception_fp_ieee_underflow 0
		.amdhsa_exception_fp_ieee_inexact 0
		.amdhsa_exception_int_div_zero 0
	.end_amdhsa_kernel
	.section	.text._ZN2at6native18radixSortKVInPlaceILi2ELin1ELi16ELi2EsljEEvNS_4cuda6detail10TensorInfoIT3_T5_EES6_S6_S6_NS4_IT4_S6_EES6_b,"axG",@progbits,_ZN2at6native18radixSortKVInPlaceILi2ELin1ELi16ELi2EsljEEvNS_4cuda6detail10TensorInfoIT3_T5_EES6_S6_S6_NS4_IT4_S6_EES6_b,comdat
.Lfunc_end169:
	.size	_ZN2at6native18radixSortKVInPlaceILi2ELin1ELi16ELi2EsljEEvNS_4cuda6detail10TensorInfoIT3_T5_EES6_S6_S6_NS4_IT4_S6_EES6_b, .Lfunc_end169-_ZN2at6native18radixSortKVInPlaceILi2ELin1ELi16ELi2EsljEEvNS_4cuda6detail10TensorInfoIT3_T5_EES6_S6_S6_NS4_IT4_S6_EES6_b
                                        ; -- End function
	.set _ZN2at6native18radixSortKVInPlaceILi2ELin1ELi16ELi2EsljEEvNS_4cuda6detail10TensorInfoIT3_T5_EES6_S6_S6_NS4_IT4_S6_EES6_b.num_vgpr, 38
	.set _ZN2at6native18radixSortKVInPlaceILi2ELin1ELi16ELi2EsljEEvNS_4cuda6detail10TensorInfoIT3_T5_EES6_S6_S6_NS4_IT4_S6_EES6_b.num_agpr, 0
	.set _ZN2at6native18radixSortKVInPlaceILi2ELin1ELi16ELi2EsljEEvNS_4cuda6detail10TensorInfoIT3_T5_EES6_S6_S6_NS4_IT4_S6_EES6_b.numbered_sgpr, 24
	.set _ZN2at6native18radixSortKVInPlaceILi2ELin1ELi16ELi2EsljEEvNS_4cuda6detail10TensorInfoIT3_T5_EES6_S6_S6_NS4_IT4_S6_EES6_b.num_named_barrier, 0
	.set _ZN2at6native18radixSortKVInPlaceILi2ELin1ELi16ELi2EsljEEvNS_4cuda6detail10TensorInfoIT3_T5_EES6_S6_S6_NS4_IT4_S6_EES6_b.private_seg_size, 0
	.set _ZN2at6native18radixSortKVInPlaceILi2ELin1ELi16ELi2EsljEEvNS_4cuda6detail10TensorInfoIT3_T5_EES6_S6_S6_NS4_IT4_S6_EES6_b.uses_vcc, 1
	.set _ZN2at6native18radixSortKVInPlaceILi2ELin1ELi16ELi2EsljEEvNS_4cuda6detail10TensorInfoIT3_T5_EES6_S6_S6_NS4_IT4_S6_EES6_b.uses_flat_scratch, 0
	.set _ZN2at6native18radixSortKVInPlaceILi2ELin1ELi16ELi2EsljEEvNS_4cuda6detail10TensorInfoIT3_T5_EES6_S6_S6_NS4_IT4_S6_EES6_b.has_dyn_sized_stack, 0
	.set _ZN2at6native18radixSortKVInPlaceILi2ELin1ELi16ELi2EsljEEvNS_4cuda6detail10TensorInfoIT3_T5_EES6_S6_S6_NS4_IT4_S6_EES6_b.has_recursion, 0
	.set _ZN2at6native18radixSortKVInPlaceILi2ELin1ELi16ELi2EsljEEvNS_4cuda6detail10TensorInfoIT3_T5_EES6_S6_S6_NS4_IT4_S6_EES6_b.has_indirect_call, 0
	.section	.AMDGPU.csdata,"",@progbits
; Kernel info:
; codeLenInByte = 9068
; TotalNumSgprs: 26
; NumVgprs: 38
; ScratchSize: 0
; MemoryBound: 0
; FloatMode: 240
; IeeeMode: 1
; LDSByteSize: 528 bytes/workgroup (compile time only)
; SGPRBlocks: 0
; VGPRBlocks: 4
; NumSGPRsForWavesPerEU: 26
; NumVGPRsForWavesPerEU: 38
; Occupancy: 16
; WaveLimiterHint : 1
; COMPUTE_PGM_RSRC2:SCRATCH_EN: 0
; COMPUTE_PGM_RSRC2:USER_SGPR: 2
; COMPUTE_PGM_RSRC2:TRAP_HANDLER: 0
; COMPUTE_PGM_RSRC2:TGID_X_EN: 1
; COMPUTE_PGM_RSRC2:TGID_Y_EN: 1
; COMPUTE_PGM_RSRC2:TGID_Z_EN: 1
; COMPUTE_PGM_RSRC2:TIDIG_COMP_CNT: 0
	.section	.text._ZN2at6native18radixSortKVInPlaceILin1ELin1ELi512ELi8EsljEEvNS_4cuda6detail10TensorInfoIT3_T5_EES6_S6_S6_NS4_IT4_S6_EES6_b,"axG",@progbits,_ZN2at6native18radixSortKVInPlaceILin1ELin1ELi512ELi8EsljEEvNS_4cuda6detail10TensorInfoIT3_T5_EES6_S6_S6_NS4_IT4_S6_EES6_b,comdat
	.protected	_ZN2at6native18radixSortKVInPlaceILin1ELin1ELi512ELi8EsljEEvNS_4cuda6detail10TensorInfoIT3_T5_EES6_S6_S6_NS4_IT4_S6_EES6_b ; -- Begin function _ZN2at6native18radixSortKVInPlaceILin1ELin1ELi512ELi8EsljEEvNS_4cuda6detail10TensorInfoIT3_T5_EES6_S6_S6_NS4_IT4_S6_EES6_b
	.globl	_ZN2at6native18radixSortKVInPlaceILin1ELin1ELi512ELi8EsljEEvNS_4cuda6detail10TensorInfoIT3_T5_EES6_S6_S6_NS4_IT4_S6_EES6_b
	.p2align	8
	.type	_ZN2at6native18radixSortKVInPlaceILin1ELin1ELi512ELi8EsljEEvNS_4cuda6detail10TensorInfoIT3_T5_EES6_S6_S6_NS4_IT4_S6_EES6_b,@function
_ZN2at6native18radixSortKVInPlaceILin1ELin1ELi512ELi8EsljEEvNS_4cuda6detail10TensorInfoIT3_T5_EES6_S6_S6_NS4_IT4_S6_EES6_b: ; @_ZN2at6native18radixSortKVInPlaceILin1ELin1ELi512ELi8EsljEEvNS_4cuda6detail10TensorInfoIT3_T5_EES6_S6_S6_NS4_IT4_S6_EES6_b
; %bb.0:
	s_clause 0x1
	s_load_b64 s[2:3], s[0:1], 0x1c8
	s_load_b96 s[24:26], s[0:1], 0xd8
	s_lshr_b32 s4, ttmp7, 16
	s_wait_kmcnt 0x0
	s_mul_i32 s3, s3, s4
	s_and_b32 s4, ttmp7, 0xffff
	s_delay_alu instid0(SALU_CYCLE_1) | instskip(NEXT) | instid1(SALU_CYCLE_1)
	s_add_co_i32 s3, s3, s4
	s_mul_i32 s2, s3, s2
	s_delay_alu instid0(SALU_CYCLE_1) | instskip(NEXT) | instid1(SALU_CYCLE_1)
	s_add_co_i32 s13, s2, ttmp9
	s_cmp_ge_u32 s13, s24
	s_cbranch_scc1 .LBB170_149
; %bb.1:
	s_load_b32 s4, s[0:1], 0xd0
	s_mov_b32 s3, 0
	s_mov_b32 s2, s13
	s_wait_kmcnt 0x0
	s_cmp_lt_i32 s4, 2
	s_cbranch_scc1 .LBB170_4
; %bb.2:
	s_add_co_i32 s2, s4, -1
	s_delay_alu instid0(SALU_CYCLE_1)
	s_lshl_b64 s[6:7], s[2:3], 2
	s_mov_b32 s2, s13
	s_add_nc_u64 s[8:9], s[0:1], s[6:7]
	s_add_co_i32 s6, s4, 1
	s_add_nc_u64 s[4:5], s[8:9], 8
.LBB170_3:                              ; =>This Inner Loop Header: Depth=1
	s_clause 0x1
	s_load_b32 s7, s[4:5], 0x0
	s_load_b32 s8, s[4:5], 0x64
	s_mov_b32 s11, s2
	s_add_nc_u64 s[4:5], s[4:5], -4
	s_wait_kmcnt 0x0
	s_cvt_f32_u32 s9, s7
	s_sub_co_i32 s10, 0, s7
	s_wait_alu 0xfffe
	s_delay_alu instid0(SALU_CYCLE_1) | instskip(NEXT) | instid1(TRANS32_DEP_1)
	v_rcp_iflag_f32_e32 v1, s9
	v_readfirstlane_b32 s9, v1
	s_mul_f32 s9, s9, 0x4f7ffffe
	s_wait_alu 0xfffe
	s_delay_alu instid0(SALU_CYCLE_2) | instskip(SKIP_1) | instid1(SALU_CYCLE_2)
	s_cvt_u32_f32 s9, s9
	s_wait_alu 0xfffe
	s_mul_i32 s10, s10, s9
	s_delay_alu instid0(SALU_CYCLE_1) | instskip(NEXT) | instid1(SALU_CYCLE_1)
	s_mul_hi_u32 s10, s9, s10
	s_add_co_i32 s9, s9, s10
	s_wait_alu 0xfffe
	s_mul_hi_u32 s2, s2, s9
	s_delay_alu instid0(SALU_CYCLE_1)
	s_mul_i32 s9, s2, s7
	s_add_co_i32 s10, s2, 1
	s_wait_alu 0xfffe
	s_sub_co_i32 s9, s11, s9
	s_wait_alu 0xfffe
	s_sub_co_i32 s12, s9, s7
	s_cmp_ge_u32 s9, s7
	s_cselect_b32 s2, s10, s2
	s_cselect_b32 s9, s12, s9
	s_add_co_i32 s10, s2, 1
	s_wait_alu 0xfffe
	s_cmp_ge_u32 s9, s7
	s_cselect_b32 s2, s10, s2
	s_add_co_i32 s6, s6, -1
	s_mul_i32 s7, s2, s7
	s_delay_alu instid0(SALU_CYCLE_1) | instskip(NEXT) | instid1(SALU_CYCLE_1)
	s_sub_co_i32 s7, s11, s7
	s_mul_i32 s7, s8, s7
	s_delay_alu instid0(SALU_CYCLE_1)
	s_add_co_i32 s3, s7, s3
	s_cmp_gt_u32 s6, 2
	s_cbranch_scc1 .LBB170_3
.LBB170_4:
	s_load_b32 s4, s[0:1], 0x1b8
	s_add_nc_u64 s[34:35], s[0:1], 0x1c8
	s_mov_b32 s9, 0
	s_wait_kmcnt 0x0
	s_cmp_lt_i32 s4, 2
	s_cbranch_scc1 .LBB170_7
; %bb.5:
	s_add_co_i32 s8, s4, -1
	s_wait_alu 0xfffe
	s_lshl_b64 s[6:7], s[8:9], 2
	s_delay_alu instid0(SALU_CYCLE_1)
	s_add_nc_u64 s[10:11], s[0:1], s[6:7]
	s_add_co_i32 s6, s4, 1
	s_add_nc_u64 s[4:5], s[10:11], 0xf0
.LBB170_6:                              ; =>This Inner Loop Header: Depth=1
	s_clause 0x1
	s_load_b32 s7, s[4:5], 0x0
	s_load_b32 s8, s[4:5], 0x64
	s_mov_b32 s12, s13
	s_add_nc_u64 s[4:5], s[4:5], -4
	s_wait_kmcnt 0x0
	s_cvt_f32_u32 s10, s7
	s_sub_co_i32 s11, 0, s7
	s_wait_alu 0xfffe
	s_delay_alu instid0(SALU_CYCLE_1) | instskip(NEXT) | instid1(TRANS32_DEP_1)
	v_rcp_iflag_f32_e32 v1, s10
	v_readfirstlane_b32 s10, v1
	s_mul_f32 s10, s10, 0x4f7ffffe
	s_wait_alu 0xfffe
	s_delay_alu instid0(SALU_CYCLE_2) | instskip(SKIP_1) | instid1(SALU_CYCLE_2)
	s_cvt_u32_f32 s10, s10
	s_wait_alu 0xfffe
	s_mul_i32 s11, s11, s10
	s_wait_alu 0xfffe
	s_mul_hi_u32 s11, s10, s11
	s_wait_alu 0xfffe
	s_add_co_i32 s10, s10, s11
	s_wait_alu 0xfffe
	s_mul_hi_u32 s10, s13, s10
	s_wait_alu 0xfffe
	s_mul_i32 s11, s10, s7
	s_wait_alu 0xfffe
	s_sub_co_i32 s11, s13, s11
	s_add_co_i32 s13, s10, 1
	s_wait_alu 0xfffe
	s_sub_co_i32 s14, s11, s7
	s_cmp_ge_u32 s11, s7
	s_cselect_b32 s10, s13, s10
	s_cselect_b32 s11, s14, s11
	s_wait_alu 0xfffe
	s_add_co_i32 s13, s10, 1
	s_cmp_ge_u32 s11, s7
	s_cselect_b32 s13, s13, s10
	s_add_co_i32 s6, s6, -1
	s_mul_i32 s7, s13, s7
	s_delay_alu instid0(SALU_CYCLE_1) | instskip(NEXT) | instid1(SALU_CYCLE_1)
	s_sub_co_i32 s7, s12, s7
	s_mul_i32 s7, s8, s7
	s_delay_alu instid0(SALU_CYCLE_1)
	s_add_co_i32 s9, s7, s9
	s_cmp_gt_u32 s6, 2
	s_cbranch_scc1 .LBB170_6
.LBB170_7:
	s_clause 0x2
	s_load_b32 s4, s[0:1], 0x6c
	s_load_b64 s[28:29], s[0:1], 0x1c0
	s_load_b64 s[10:11], s[0:1], 0x0
	s_mov_b32 s15, 0
	s_wait_kmcnt 0x0
	s_mul_i32 s2, s4, s2
	s_delay_alu instid0(SALU_CYCLE_1) | instskip(SKIP_3) | instid1(SALU_CYCLE_1)
	s_add_co_i32 s14, s2, s3
	s_bitcmp1_b32 s29, 0
	s_mov_b32 s2, 0x8000
	s_cselect_b32 s12, -1, 0
	s_and_b32 s3, s12, exec_lo
	s_cselect_b32 s3, s2, 0x7fff
	s_delay_alu instid0(SALU_CYCLE_1)
	s_pack_ll_b32_b16 s4, s3, s3
	v_mov_b32_e32 v5, s3
	s_mov_b32 s5, s4
	s_mov_b32 s6, s4
	;; [unrolled: 1-line block ×3, first 2 shown]
	v_dual_mov_b32 v1, s4 :: v_dual_and_b32 v46, 0x3ff, v0
	v_dual_mov_b32 v2, s5 :: v_dual_mov_b32 v3, s6
	v_mov_b32_e32 v4, s7
	s_delay_alu instid0(VALU_DEP_3)
	v_mul_lo_u32 v44, s26, v46
	v_cmp_gt_u32_e64 s2, s25, v46
	s_lshl_b64 s[6:7], s[14:15], 1
	s_wait_alu 0xfffe
	s_add_nc_u64 s[30:31], s[10:11], s[6:7]
	s_and_saveexec_b32 s3, s2
	s_cbranch_execz .LBB170_9
; %bb.8:
	v_mov_b32_e32 v45, 0
	v_dual_mov_b32 v3, s4 :: v_dual_mov_b32 v4, s4
	s_delay_alu instid0(VALU_DEP_2) | instskip(NEXT) | instid1(VALU_DEP_1)
	v_lshlrev_b64_e32 v[1:2], 1, v[44:45]
	v_add_co_u32 v1, vcc_lo, s30, v1
	s_delay_alu instid0(VALU_DEP_1)
	v_add_co_ci_u32_e64 v2, null, s31, v2, vcc_lo
	global_load_u16 v5, v[1:2], off
	v_mov_b32_e32 v2, s4
	s_wait_loadcnt 0x0
	v_bfi_b32 v1, 0xffff, v5, s4
.LBB170_9:
	s_wait_alu 0xfffe
	s_or_b32 exec_lo, exec_lo, s3
	v_add_nc_u32_e32 v15, 0x200, v46
	s_delay_alu instid0(VALU_DEP_1)
	v_cmp_gt_u32_e64 s3, s25, v15
	s_and_saveexec_b32 s4, s3
	s_cbranch_execz .LBB170_11
; %bb.10:
	v_mul_lo_u32 v6, s26, v15
	v_mov_b32_e32 v7, 0
	s_delay_alu instid0(VALU_DEP_1) | instskip(NEXT) | instid1(VALU_DEP_1)
	v_lshlrev_b64_e32 v[6:7], 1, v[6:7]
	v_add_co_u32 v6, vcc_lo, s30, v6
	s_wait_alu 0xfffd
	s_delay_alu instid0(VALU_DEP_2)
	v_add_co_ci_u32_e64 v7, null, s31, v7, vcc_lo
	global_load_d16_hi_b16 v1, v[6:7], off
.LBB170_11:
	s_wait_alu 0xfffe
	s_or_b32 exec_lo, exec_lo, s4
	v_or_b32_e32 v16, 0x400, v46
	s_delay_alu instid0(VALU_DEP_1)
	v_cmp_gt_u32_e64 s4, s25, v16
	s_and_saveexec_b32 s5, s4
	s_cbranch_execz .LBB170_13
; %bb.12:
	v_mul_lo_u32 v6, s26, v16
	v_mov_b32_e32 v7, 0
	s_delay_alu instid0(VALU_DEP_1) | instskip(NEXT) | instid1(VALU_DEP_1)
	v_lshlrev_b64_e32 v[6:7], 1, v[6:7]
	v_add_co_u32 v6, vcc_lo, s30, v6
	s_wait_alu 0xfffd
	s_delay_alu instid0(VALU_DEP_2)
	v_add_co_ci_u32_e64 v7, null, s31, v7, vcc_lo
	global_load_d16_b16 v2, v[6:7], off
.LBB170_13:
	s_wait_alu 0xfffe
	s_or_b32 exec_lo, exec_lo, s5
	v_add_nc_u32_e32 v17, 0x600, v46
	s_delay_alu instid0(VALU_DEP_1)
	v_cmp_gt_u32_e64 s5, s25, v17
	s_and_saveexec_b32 s6, s5
	s_cbranch_execz .LBB170_15
; %bb.14:
	v_mul_lo_u32 v6, s26, v17
	v_mov_b32_e32 v7, 0
	s_delay_alu instid0(VALU_DEP_1) | instskip(NEXT) | instid1(VALU_DEP_1)
	v_lshlrev_b64_e32 v[6:7], 1, v[6:7]
	v_add_co_u32 v6, vcc_lo, s30, v6
	s_wait_alu 0xfffd
	s_delay_alu instid0(VALU_DEP_2)
	v_add_co_ci_u32_e64 v7, null, s31, v7, vcc_lo
	s_wait_loadcnt 0x0
	global_load_d16_hi_b16 v2, v[6:7], off
.LBB170_15:
	s_wait_alu 0xfffe
	s_or_b32 exec_lo, exec_lo, s6
	v_or_b32_e32 v18, 0x800, v46
	s_delay_alu instid0(VALU_DEP_1)
	v_cmp_gt_u32_e64 s6, s25, v18
	s_and_saveexec_b32 s7, s6
	s_cbranch_execz .LBB170_17
; %bb.16:
	v_mul_lo_u32 v6, s26, v18
	v_mov_b32_e32 v7, 0
	s_delay_alu instid0(VALU_DEP_1) | instskip(NEXT) | instid1(VALU_DEP_1)
	v_lshlrev_b64_e32 v[6:7], 1, v[6:7]
	v_add_co_u32 v6, vcc_lo, s30, v6
	s_wait_alu 0xfffd
	s_delay_alu instid0(VALU_DEP_2)
	v_add_co_ci_u32_e64 v7, null, s31, v7, vcc_lo
	global_load_d16_b16 v3, v[6:7], off
.LBB170_17:
	s_wait_alu 0xfffe
	s_or_b32 exec_lo, exec_lo, s7
	v_add_nc_u32_e32 v19, 0xa00, v46
	s_delay_alu instid0(VALU_DEP_1)
	v_cmp_gt_u32_e64 s7, s25, v19
	s_and_saveexec_b32 s8, s7
	s_cbranch_execz .LBB170_19
; %bb.18:
	v_mul_lo_u32 v6, s26, v19
	v_mov_b32_e32 v7, 0
	s_delay_alu instid0(VALU_DEP_1) | instskip(NEXT) | instid1(VALU_DEP_1)
	v_lshlrev_b64_e32 v[6:7], 1, v[6:7]
	v_add_co_u32 v6, vcc_lo, s30, v6
	s_wait_alu 0xfffd
	s_delay_alu instid0(VALU_DEP_2)
	v_add_co_ci_u32_e64 v7, null, s31, v7, vcc_lo
	s_wait_loadcnt 0x0
	global_load_d16_hi_b16 v3, v[6:7], off
.LBB170_19:
	s_wait_alu 0xfffe
	s_or_b32 exec_lo, exec_lo, s8
	v_or_b32_e32 v20, 0xc00, v46
	s_delay_alu instid0(VALU_DEP_1)
	v_cmp_gt_u32_e64 s8, s25, v20
	s_and_saveexec_b32 s10, s8
	s_cbranch_execz .LBB170_21
; %bb.20:
	v_mul_lo_u32 v6, s26, v20
	v_mov_b32_e32 v7, 0
	s_delay_alu instid0(VALU_DEP_1) | instskip(NEXT) | instid1(VALU_DEP_1)
	v_lshlrev_b64_e32 v[6:7], 1, v[6:7]
	v_add_co_u32 v6, vcc_lo, s30, v6
	s_wait_alu 0xfffd
	s_delay_alu instid0(VALU_DEP_2)
	v_add_co_ci_u32_e64 v7, null, s31, v7, vcc_lo
	global_load_d16_b16 v4, v[6:7], off
.LBB170_21:
	s_wait_alu 0xfffe
	s_or_b32 exec_lo, exec_lo, s10
	s_clause 0x1
	s_load_b32 s14, s[0:1], 0x154
	s_load_b64 s[10:11], s[0:1], 0xe8
	v_add_nc_u32_e32 v21, 0xe00, v46
	s_delay_alu instid0(VALU_DEP_1)
	v_cmp_gt_u32_e64 s0, s25, v21
	s_and_saveexec_b32 s1, s0
	s_cbranch_execz .LBB170_23
; %bb.22:
	v_mul_lo_u32 v6, s26, v21
	v_mov_b32_e32 v7, 0
	s_delay_alu instid0(VALU_DEP_1) | instskip(NEXT) | instid1(VALU_DEP_1)
	v_lshlrev_b64_e32 v[6:7], 1, v[6:7]
	v_add_co_u32 v6, vcc_lo, s30, v6
	s_wait_alu 0xfffd
	s_delay_alu instid0(VALU_DEP_2)
	v_add_co_ci_u32_e64 v7, null, s31, v7, vcc_lo
	s_wait_loadcnt 0x0
	global_load_d16_hi_b16 v4, v[6:7], off
.LBB170_23:
	s_or_b32 exec_lo, exec_lo, s1
	v_lshrrev_b32_e32 v6, 4, v46
	v_lshrrev_b32_e32 v7, 4, v15
	;; [unrolled: 1-line block ×3, first 2 shown]
	v_dual_mov_b32 v42, 0 :: v_dual_lshlrev_b32 v9, 1, v46
	s_delay_alu instid0(VALU_DEP_4) | instskip(NEXT) | instid1(VALU_DEP_4)
	v_and_b32_e32 v6, 60, v6
	v_and_b32_e32 v7, 0x7c, v7
	s_delay_alu instid0(VALU_DEP_4)
	v_and_b32_e32 v8, 0x7c, v8
	v_lshrrev_b32_e32 v10, 4, v17
	v_lshrrev_b32_e32 v11, 4, v21
	v_mov_b32_e32 v43, v42
	v_add_nc_u32_e32 v51, v6, v9
	v_dual_mov_b32 v12, v42 :: v_dual_add_nc_u32 v45, v7, v9
	v_add_nc_u32_e32 v52, v8, v9
	v_and_b32_e32 v6, 0xfc, v10
	v_lshrrev_b32_e32 v7, 4, v18
	v_lshrrev_b32_e32 v8, 4, v19
	;; [unrolled: 1-line block ×3, first 2 shown]
	s_wait_kmcnt 0x0
	s_mul_i32 s1, s14, s13
	v_add_nc_u32_e32 v53, v6, v9
	v_and_b32_e32 v6, 0xbc, v7
	v_and_b32_e32 v7, 0xfc, v8
	;; [unrolled: 1-line block ×4, first 2 shown]
	v_lshrrev_b32_e32 v11, 1, v46
	v_dual_mov_b32 v13, 0 :: v_dual_add_nc_u32 v54, v6, v9
	v_add_nc_u32_e32 v55, v7, v9
	v_add_nc_u32_e32 v56, v8, v9
	s_delay_alu instid0(VALU_DEP_4) | instskip(SKIP_2) | instid1(VALU_DEP_3)
	v_dual_mov_b32 v11, v42 :: v_dual_and_b32 v6, 0x1fc, v11
	v_mov_b32_e32 v7, v42
	v_dual_mov_b32 v14, 0 :: v_dual_add_nc_u32 v57, v10, v9
	v_lshl_add_u32 v58, v46, 4, v6
	ds_store_b16 v51, v5
	s_wait_loadcnt 0x0
	ds_store_b16_d16_hi v45, v1 offset:1024
	ds_store_b16 v52, v2 offset:2048
	ds_store_b16_d16_hi v53, v2 offset:3072
	ds_store_b16 v54, v3 offset:4096
	ds_store_b16_d16_hi v55, v3 offset:5120
	ds_store_b16 v56, v4 offset:6144
	ds_store_b16_d16_hi v57, v4 offset:7168
	s_wait_dscnt 0x0
	s_barrier_signal -1
	s_barrier_wait -1
	global_inv scope:SCOPE_SE
	ds_load_2addr_b32 v[49:50], v58 offset1:1
	ds_load_2addr_b32 v[47:48], v58 offset0:2 offset1:3
	v_mul_lo_u32 v41, s28, v46
	s_add_co_i32 s14, s1, s9
	v_dual_mov_b32 v9, v42 :: v_dual_mov_b32 v10, v42
	v_dual_mov_b32 v1, v42 :: v_dual_mov_b32 v2, v42
	;; [unrolled: 1-line block ×4, first 2 shown]
	v_mov_b32_e32 v8, v42
	s_lshl_b64 s[14:15], s[14:15], 3
	s_wait_loadcnt_dscnt 0x0
	s_add_nc_u64 s[24:25], s[10:11], s[14:15]
	s_barrier_signal -1
	s_barrier_wait -1
	global_inv scope:SCOPE_SE
	s_and_saveexec_b32 s1, s2
	s_cbranch_execnz .LBB170_79
; %bb.24:
	s_or_b32 exec_lo, exec_lo, s1
	s_and_saveexec_b32 s1, s3
	s_cbranch_execnz .LBB170_80
.LBB170_25:
	s_or_b32 exec_lo, exec_lo, s1
	s_and_saveexec_b32 s1, s4
	s_cbranch_execnz .LBB170_81
.LBB170_26:
	s_or_b32 exec_lo, exec_lo, s1
	s_and_saveexec_b32 s1, s5
	s_cbranch_execnz .LBB170_82
.LBB170_27:
	s_or_b32 exec_lo, exec_lo, s1
	s_and_saveexec_b32 s1, s6
	s_cbranch_execnz .LBB170_83
.LBB170_28:
	s_or_b32 exec_lo, exec_lo, s1
	s_and_saveexec_b32 s1, s7
	s_cbranch_execnz .LBB170_84
.LBB170_29:
	s_or_b32 exec_lo, exec_lo, s1
	s_and_saveexec_b32 s1, s8
	s_cbranch_execz .LBB170_31
.LBB170_30:
	v_mul_lo_u32 v5, s28, v20
	v_mov_b32_e32 v6, 0
	s_delay_alu instid0(VALU_DEP_1) | instskip(SKIP_1) | instid1(VALU_DEP_1)
	v_lshlrev_b64_e32 v[5:6], 3, v[5:6]
	s_wait_alu 0xfffe
	v_add_co_u32 v5, vcc_lo, s24, v5
	s_wait_alu 0xfffd
	s_delay_alu instid0(VALU_DEP_2)
	v_add_co_ci_u32_e64 v6, null, s25, v6, vcc_lo
	global_load_b64 v[5:6], v[5:6], off
.LBB170_31:
	s_or_b32 exec_lo, exec_lo, s1
	v_lshrrev_b32_e32 v69, 5, v46
	v_lshrrev_b32_e32 v25, 5, v15
	;; [unrolled: 1-line block ×8, first 2 shown]
	v_lshlrev_b32_e32 v66, 3, v46
	v_lshrrev_b32_e32 v15, 2, v46
	s_xor_b32 s1, s12, -1
	s_and_saveexec_b32 s9, s0
	s_cbranch_execz .LBB170_33
; %bb.32:
	v_mul_lo_u32 v7, s28, v21
	v_mov_b32_e32 v8, 0
	s_delay_alu instid0(VALU_DEP_1) | instskip(SKIP_1) | instid1(VALU_DEP_1)
	v_lshlrev_b64_e32 v[7:8], 3, v[7:8]
	s_wait_alu 0xfffe
	v_add_co_u32 v7, vcc_lo, s24, v7
	s_wait_alu 0xfffd
	s_delay_alu instid0(VALU_DEP_2)
	v_add_co_ci_u32_e64 v8, null, s25, v8, vcc_lo
	global_load_b64 v[7:8], v[7:8], off
.LBB170_33:
	s_wait_alu 0xfffe
	s_or_b32 exec_lo, exec_lo, s9
	v_lshl_add_u32 v59, v69, 3, v66
	v_lshl_add_u32 v60, v25, 3, v66
	;; [unrolled: 1-line block ×5, first 2 shown]
	s_wait_loadcnt 0x0
	ds_store_b64 v59, v[13:14]
	ds_store_b64 v60, v[42:43] offset:4096
	ds_store_b64 v61, v[9:10] offset:8192
	;; [unrolled: 1-line block ×3, first 2 shown]
	v_lshlrev_b32_e32 v9, 3, v66
	v_lshl_add_u32 v42, v22, 3, v66
	v_lshl_add_u32 v43, v18, 3, v66
	;; [unrolled: 1-line block ×3, first 2 shown]
	ds_store_b64 v42, v[1:2] offset:16384
	ds_store_b64 v43, v[3:4] offset:20480
	;; [unrolled: 1-line block ×4, first 2 shown]
	v_lshl_add_u32 v65, v15, 3, v9
	s_wait_dscnt 0x0
	s_barrier_signal -1
	s_barrier_wait -1
	global_inv scope:SCOPE_SE
	ds_load_2addr_b64 v[5:8], v65 offset1:1
	ds_load_2addr_b64 v[1:4], v65 offset0:2 offset1:3
	v_mbcnt_lo_u32_b32 v70, -1, 0
	v_and_b32_e32 v17, 0x1f00, v66
	ds_load_2addr_b64 v[13:16], v65 offset0:4 offset1:5
	ds_load_2addr_b64 v[9:12], v65 offset0:6 offset1:7
	v_and_b32_e32 v72, 0x3e0, v46
	v_bfe_u32 v73, v0, 10, 10
	v_bfe_u32 v74, v0, 20, 10
	v_or_b32_e32 v71, v70, v17
	v_lshlrev_b32_e32 v67, 2, v66
	v_or_b32_e32 v18, v70, v72
	s_mov_b32 s12, 0
	s_and_b32 vcc_lo, exec_lo, s1
	v_lshlrev_b32_e32 v68, 1, v71
	s_mov_b32 s1, -1
	v_lshlrev_b32_e32 v76, 3, v18
	v_lshlrev_b32_e32 v77, 4, v18
	s_wait_loadcnt_dscnt 0x0
	v_mad_u32_u24 v75, v71, 6, v68
	s_barrier_signal -1
	s_barrier_wait -1
	global_inv scope:SCOPE_SE
	s_wait_alu 0xfffe
	s_cbranch_vccz .LBB170_85
; %bb.34:
	v_xor_b32_e32 v17, 0x80008000, v49
	v_xor_b32_e32 v18, 0x80008000, v50
	;; [unrolled: 1-line block ×4, first 2 shown]
	s_getpc_b64 s[10:11]
	s_wait_alu 0xfffe
	s_sext_i32_i16 s11, s11
	s_add_co_u32 s10, s10, _ZN7rocprim17ROCPRIM_400000_NS16block_radix_sortIsLj512ELj8ElLj1ELj1ELj0ELNS0_26block_radix_rank_algorithmE1ELNS0_18block_padding_hintE2ELNS0_4arch9wavefront6targetE0EE19radix_bits_per_passE@rel32@lo+12
	s_wait_alu 0xfffe
	s_add_co_ci_u32 s11, s11, _ZN7rocprim17ROCPRIM_400000_NS16block_radix_sortIsLj512ELj8ElLj1ELj1ELj0ELNS0_26block_radix_rank_algorithmE1ELNS0_18block_padding_hintE2ELNS0_4arch9wavefront6targetE0EE19radix_bits_per_passE@rel32@hi+24
	s_mov_b32 s13, s12
	s_load_b32 s17, s[10:11], 0x0
	s_mov_b32 s14, s12
	ds_store_b128 v77, v[17:20]
	; wave barrier
	ds_load_u16 v78, v68
	s_mov_b32 s15, s12
	v_lshlrev_b32_e32 v0, 3, v76
	ds_load_u16 v79, v68 offset:64
	ds_load_u16 v80, v68 offset:128
	;; [unrolled: 1-line block ×7, first 2 shown]
	s_wait_loadcnt_dscnt 0x0
	s_barrier_signal -1
	s_barrier_wait -1
	global_inv scope:SCOPE_SE
	ds_store_b128 v0, v[5:8]
	ds_store_b128 v0, v[1:4] offset:16
	ds_store_b128 v0, v[13:16] offset:32
	;; [unrolled: 1-line block ×3, first 2 shown]
	; wave barrier
	s_wait_kmcnt 0x0
	s_min_u32 s1, s17, 16
	s_delay_alu instid0(SALU_CYCLE_1) | instskip(NEXT) | instid1(SALU_CYCLE_1)
	s_lshl_b32 s1, -1, s1
	s_not_b32 s9, s1
	v_and_b32_e32 v17, 0xffff, v78
	s_wait_alu 0xfffe
	s_delay_alu instid0(VALU_DEP_1)
	v_and_b32_e32 v40, s9, v17
	ds_load_2addr_b64 v[21:24], v75 offset1:32
	ds_load_2addr_b64 v[17:20], v75 offset0:64 offset1:96
	ds_load_2addr_b64 v[29:32], v75 offset0:128 offset1:160
	;; [unrolled: 1-line block ×3, first 2 shown]
	s_wait_loadcnt_dscnt 0x0
	s_barrier_signal -1
	v_and_b32_e32 v0, 1, v40
	v_lshlrev_b32_e32 v33, 30, v40
	v_lshlrev_b32_e32 v36, 28, v40
	;; [unrolled: 1-line block ×3, first 2 shown]
	s_barrier_wait -1
	v_add_co_u32 v0, s1, v0, -1
	s_delay_alu instid0(VALU_DEP_1)
	v_cndmask_b32_e64 v34, 0, 1, s1
	v_not_b32_e32 v35, v33
	v_cmp_gt_i32_e64 s1, 0, v33
	global_inv scope:SCOPE_SE
	v_cmp_ne_u32_e32 vcc_lo, 0, v34
	v_lshlrev_b32_e32 v34, 29, v40
	v_ashrrev_i32_e32 v33, 31, v35
	s_wait_alu 0xfffd
	v_xor_b32_e32 v0, vcc_lo, v0
	s_delay_alu instid0(VALU_DEP_3)
	v_not_b32_e32 v35, v34
	v_cmp_gt_i32_e32 vcc_lo, 0, v34
	s_wait_alu 0xf1ff
	v_xor_b32_e32 v33, s1, v33
	s_load_b32 s1, s[34:35], 0xc
	v_and_b32_e32 v0, exec_lo, v0
	v_ashrrev_i32_e32 v34, 31, v35
	v_not_b32_e32 v35, v36
	s_delay_alu instid0(VALU_DEP_3) | instskip(NEXT) | instid1(VALU_DEP_3)
	v_and_b32_e32 v0, v0, v33
	v_xor_b32_e32 v33, vcc_lo, v34
	v_cmp_gt_i32_e32 vcc_lo, 0, v36
	s_delay_alu instid0(VALU_DEP_4) | instskip(SKIP_1) | instid1(VALU_DEP_4)
	v_ashrrev_i32_e32 v34, 31, v35
	v_not_b32_e32 v35, v37
	v_and_b32_e32 v0, v0, v33
	v_lshlrev_b32_e32 v33, 26, v40
	s_wait_alu 0xfffd
	v_xor_b32_e32 v34, vcc_lo, v34
	v_cmp_gt_i32_e32 vcc_lo, 0, v37
	v_ashrrev_i32_e32 v35, 31, v35
	v_not_b32_e32 v36, v33
	s_delay_alu instid0(VALU_DEP_4)
	v_and_b32_e32 v0, v0, v34
	v_lshlrev_b32_e32 v34, 25, v40
	s_wait_alu 0xfffd
	v_xor_b32_e32 v35, vcc_lo, v35
	v_cmp_gt_i32_e32 vcc_lo, 0, v33
	v_ashrrev_i32_e32 v33, 31, v36
	s_wait_kmcnt 0x0
	s_lshr_b32 s10, s1, 16
	v_not_b32_e32 v36, v34
	v_and_b32_e32 v0, v0, v35
	v_lshlrev_b32_e32 v35, 24, v40
	s_wait_alu 0xfffd
	v_xor_b32_e32 v33, vcc_lo, v33
	v_cmp_gt_i32_e32 vcc_lo, 0, v34
	v_ashrrev_i32_e32 v34, 31, v36
	s_wait_alu 0xfffe
	v_mad_u32_u24 v37, v74, s10, v73
	v_not_b32_e32 v36, v35
	v_and_b32_e32 v0, v0, v33
	s_and_b32 s1, s1, 0xffff
	s_wait_alu 0xfffd
	v_xor_b32_e32 v33, vcc_lo, v34
	v_cmp_gt_i32_e32 vcc_lo, 0, v35
	v_ashrrev_i32_e32 v34, 31, v36
	s_wait_alu 0xfffe
	v_mad_co_u64_u32 v[38:39], null, v37, s1, v[46:47]
	v_and_b32_e32 v0, v0, v33
	s_wait_alu 0xfffd
	v_xor_b32_e32 v33, vcc_lo, v34
	v_dual_mov_b32 v37, s15 :: v_dual_mov_b32 v36, s14
	v_dual_mov_b32 v35, s13 :: v_dual_mov_b32 v34, s12
	s_delay_alu instid0(VALU_DEP_3)
	v_and_b32_e32 v33, v0, v33
	v_lshrrev_b32_e32 v0, 5, v38
	ds_store_b128 v67, v[34:37] offset:64
	ds_store_b128 v67, v[34:37] offset:80
	v_mbcnt_lo_u32_b32 v90, v33, 0
	v_lshlrev_b32_e32 v0, 2, v0
	v_lshlrev_b32_e32 v34, 6, v40
	v_cmp_ne_u32_e64 s1, 0, v33
	s_wait_loadcnt_dscnt 0x0
	v_cmp_eq_u32_e32 vcc_lo, 0, v90
	s_barrier_signal -1
	v_add_nc_u32_e32 v91, v0, v34
	s_barrier_wait -1
	global_inv scope:SCOPE_SE
	s_and_b32 s10, s1, vcc_lo
	; wave barrier
	s_wait_alu 0xfffe
	s_and_saveexec_b32 s1, s10
; %bb.35:
	v_bcnt_u32_b32 v33, v33, 0
	ds_store_b32 v91, v33 offset:64
; %bb.36:
	s_wait_alu 0xfffe
	s_or_b32 exec_lo, exec_lo, s1
	v_and_b32_e32 v33, 0xffff, v79
	; wave barrier
	s_delay_alu instid0(VALU_DEP_1) | instskip(NEXT) | instid1(VALU_DEP_1)
	v_and_b32_e32 v33, s9, v33
	v_and_b32_e32 v34, 1, v33
	v_lshlrev_b32_e32 v35, 30, v33
	v_lshlrev_b32_e32 v36, 29, v33
	;; [unrolled: 1-line block ×4, first 2 shown]
	v_add_co_u32 v34, s1, v34, -1
	s_wait_alu 0xf1ff
	v_cndmask_b32_e64 v38, 0, 1, s1
	v_not_b32_e32 v87, v35
	v_cmp_gt_i32_e64 s1, 0, v35
	v_not_b32_e32 v35, v36
	v_lshlrev_b32_e32 v40, 26, v33
	v_cmp_ne_u32_e32 vcc_lo, 0, v38
	v_ashrrev_i32_e32 v87, 31, v87
	v_lshlrev_b32_e32 v86, 25, v33
	v_ashrrev_i32_e32 v35, 31, v35
	v_lshlrev_b32_e32 v38, 24, v33
	s_wait_alu 0xfffd
	v_xor_b32_e32 v34, vcc_lo, v34
	v_cmp_gt_i32_e32 vcc_lo, 0, v36
	v_not_b32_e32 v36, v37
	s_wait_alu 0xf1ff
	v_xor_b32_e32 v87, s1, v87
	v_cmp_gt_i32_e64 s1, 0, v37
	v_and_b32_e32 v34, exec_lo, v34
	v_not_b32_e32 v37, v39
	v_ashrrev_i32_e32 v36, 31, v36
	s_wait_alu 0xfffd
	v_xor_b32_e32 v35, vcc_lo, v35
	v_cmp_gt_i32_e32 vcc_lo, 0, v39
	v_and_b32_e32 v34, v34, v87
	v_not_b32_e32 v39, v40
	v_ashrrev_i32_e32 v37, 31, v37
	s_wait_alu 0xf1ff
	v_xor_b32_e32 v36, s1, v36
	v_cmp_gt_i32_e64 s1, 0, v40
	v_and_b32_e32 v34, v34, v35
	v_not_b32_e32 v35, v86
	v_ashrrev_i32_e32 v39, 31, v39
	s_wait_alu 0xfffd
	v_xor_b32_e32 v37, vcc_lo, v37
	v_cmp_gt_i32_e32 vcc_lo, 0, v86
	v_and_b32_e32 v34, v34, v36
	v_not_b32_e32 v36, v38
	v_ashrrev_i32_e32 v35, 31, v35
	s_wait_alu 0xf1ff
	v_xor_b32_e32 v39, s1, v39
	v_lshlrev_b32_e32 v33, 6, v33
	v_and_b32_e32 v34, v34, v37
	v_cmp_gt_i32_e64 s1, 0, v38
	v_ashrrev_i32_e32 v36, 31, v36
	s_wait_alu 0xfffd
	v_xor_b32_e32 v35, vcc_lo, v35
	v_add_nc_u32_e32 v94, v0, v33
	v_and_b32_e32 v34, v34, v39
	s_wait_alu 0xf1ff
	v_xor_b32_e32 v33, s1, v36
	ds_load_b32 v92, v94 offset:64
	v_and_b32_e32 v34, v34, v35
	; wave barrier
	s_delay_alu instid0(VALU_DEP_1) | instskip(NEXT) | instid1(VALU_DEP_1)
	v_and_b32_e32 v33, v34, v33
	v_mbcnt_lo_u32_b32 v93, v33, 0
	v_cmp_ne_u32_e64 s1, 0, v33
	s_delay_alu instid0(VALU_DEP_2)
	v_cmp_eq_u32_e32 vcc_lo, 0, v93
	s_and_b32 s10, s1, vcc_lo
	s_wait_alu 0xfffe
	s_and_saveexec_b32 s1, s10
	s_cbranch_execz .LBB170_38
; %bb.37:
	s_wait_dscnt 0x0
	v_bcnt_u32_b32 v33, v33, v92
	ds_store_b32 v94, v33 offset:64
.LBB170_38:
	s_wait_alu 0xfffe
	s_or_b32 exec_lo, exec_lo, s1
	v_and_b32_e32 v33, 0xffff, v80
	; wave barrier
	s_delay_alu instid0(VALU_DEP_1) | instskip(NEXT) | instid1(VALU_DEP_1)
	v_and_b32_e32 v33, s9, v33
	v_and_b32_e32 v34, 1, v33
	v_lshlrev_b32_e32 v35, 30, v33
	v_lshlrev_b32_e32 v36, 29, v33
	;; [unrolled: 1-line block ×4, first 2 shown]
	v_add_co_u32 v34, s1, v34, -1
	s_wait_alu 0xf1ff
	v_cndmask_b32_e64 v38, 0, 1, s1
	v_not_b32_e32 v87, v35
	v_cmp_gt_i32_e64 s1, 0, v35
	v_not_b32_e32 v35, v36
	v_lshlrev_b32_e32 v40, 26, v33
	v_cmp_ne_u32_e32 vcc_lo, 0, v38
	v_ashrrev_i32_e32 v87, 31, v87
	v_lshlrev_b32_e32 v86, 25, v33
	v_ashrrev_i32_e32 v35, 31, v35
	v_lshlrev_b32_e32 v38, 24, v33
	s_wait_alu 0xfffd
	v_xor_b32_e32 v34, vcc_lo, v34
	v_cmp_gt_i32_e32 vcc_lo, 0, v36
	v_not_b32_e32 v36, v37
	s_wait_alu 0xf1ff
	v_xor_b32_e32 v87, s1, v87
	v_cmp_gt_i32_e64 s1, 0, v37
	v_and_b32_e32 v34, exec_lo, v34
	v_not_b32_e32 v37, v39
	v_ashrrev_i32_e32 v36, 31, v36
	s_wait_alu 0xfffd
	v_xor_b32_e32 v35, vcc_lo, v35
	v_cmp_gt_i32_e32 vcc_lo, 0, v39
	v_and_b32_e32 v34, v34, v87
	v_not_b32_e32 v39, v40
	v_ashrrev_i32_e32 v37, 31, v37
	s_wait_alu 0xf1ff
	v_xor_b32_e32 v36, s1, v36
	v_cmp_gt_i32_e64 s1, 0, v40
	v_and_b32_e32 v34, v34, v35
	v_not_b32_e32 v35, v86
	v_ashrrev_i32_e32 v39, 31, v39
	s_wait_alu 0xfffd
	v_xor_b32_e32 v37, vcc_lo, v37
	v_cmp_gt_i32_e32 vcc_lo, 0, v86
	v_and_b32_e32 v34, v34, v36
	v_not_b32_e32 v36, v38
	v_ashrrev_i32_e32 v35, 31, v35
	s_wait_alu 0xf1ff
	v_xor_b32_e32 v39, s1, v39
	v_lshlrev_b32_e32 v33, 6, v33
	v_and_b32_e32 v34, v34, v37
	v_cmp_gt_i32_e64 s1, 0, v38
	v_ashrrev_i32_e32 v36, 31, v36
	s_wait_alu 0xfffd
	v_xor_b32_e32 v35, vcc_lo, v35
	v_add_nc_u32_e32 v97, v0, v33
	v_and_b32_e32 v34, v34, v39
	s_wait_alu 0xf1ff
	v_xor_b32_e32 v33, s1, v36
	ds_load_b32 v95, v97 offset:64
	v_and_b32_e32 v34, v34, v35
	; wave barrier
	s_delay_alu instid0(VALU_DEP_1) | instskip(NEXT) | instid1(VALU_DEP_1)
	v_and_b32_e32 v33, v34, v33
	v_mbcnt_lo_u32_b32 v96, v33, 0
	v_cmp_ne_u32_e64 s1, 0, v33
	s_delay_alu instid0(VALU_DEP_2)
	v_cmp_eq_u32_e32 vcc_lo, 0, v96
	s_and_b32 s10, s1, vcc_lo
	s_wait_alu 0xfffe
	s_and_saveexec_b32 s1, s10
	s_cbranch_execz .LBB170_40
; %bb.39:
	s_wait_dscnt 0x0
	v_bcnt_u32_b32 v33, v33, v95
	ds_store_b32 v97, v33 offset:64
.LBB170_40:
	s_wait_alu 0xfffe
	s_or_b32 exec_lo, exec_lo, s1
	v_and_b32_e32 v33, 0xffff, v81
	; wave barrier
	s_delay_alu instid0(VALU_DEP_1) | instskip(NEXT) | instid1(VALU_DEP_1)
	v_and_b32_e32 v33, s9, v33
	v_and_b32_e32 v34, 1, v33
	v_lshlrev_b32_e32 v35, 30, v33
	v_lshlrev_b32_e32 v36, 29, v33
	;; [unrolled: 1-line block ×4, first 2 shown]
	v_add_co_u32 v34, s1, v34, -1
	s_wait_alu 0xf1ff
	v_cndmask_b32_e64 v38, 0, 1, s1
	v_not_b32_e32 v87, v35
	v_cmp_gt_i32_e64 s1, 0, v35
	v_not_b32_e32 v35, v36
	v_lshlrev_b32_e32 v40, 26, v33
	v_cmp_ne_u32_e32 vcc_lo, 0, v38
	v_ashrrev_i32_e32 v87, 31, v87
	v_lshlrev_b32_e32 v86, 25, v33
	v_ashrrev_i32_e32 v35, 31, v35
	v_lshlrev_b32_e32 v38, 24, v33
	s_wait_alu 0xfffd
	v_xor_b32_e32 v34, vcc_lo, v34
	v_cmp_gt_i32_e32 vcc_lo, 0, v36
	v_not_b32_e32 v36, v37
	s_wait_alu 0xf1ff
	v_xor_b32_e32 v87, s1, v87
	v_cmp_gt_i32_e64 s1, 0, v37
	v_and_b32_e32 v34, exec_lo, v34
	v_not_b32_e32 v37, v39
	v_ashrrev_i32_e32 v36, 31, v36
	s_wait_alu 0xfffd
	v_xor_b32_e32 v35, vcc_lo, v35
	v_cmp_gt_i32_e32 vcc_lo, 0, v39
	v_and_b32_e32 v34, v34, v87
	v_not_b32_e32 v39, v40
	v_ashrrev_i32_e32 v37, 31, v37
	s_wait_alu 0xf1ff
	v_xor_b32_e32 v36, s1, v36
	v_cmp_gt_i32_e64 s1, 0, v40
	v_and_b32_e32 v34, v34, v35
	v_not_b32_e32 v35, v86
	v_ashrrev_i32_e32 v39, 31, v39
	s_wait_alu 0xfffd
	v_xor_b32_e32 v37, vcc_lo, v37
	v_cmp_gt_i32_e32 vcc_lo, 0, v86
	v_and_b32_e32 v34, v34, v36
	v_not_b32_e32 v36, v38
	v_ashrrev_i32_e32 v35, 31, v35
	s_wait_alu 0xf1ff
	v_xor_b32_e32 v39, s1, v39
	v_lshlrev_b32_e32 v33, 6, v33
	v_and_b32_e32 v34, v34, v37
	v_cmp_gt_i32_e64 s1, 0, v38
	v_ashrrev_i32_e32 v36, 31, v36
	s_wait_alu 0xfffd
	v_xor_b32_e32 v35, vcc_lo, v35
	v_add_nc_u32_e32 v100, v0, v33
	v_and_b32_e32 v34, v34, v39
	s_wait_alu 0xf1ff
	v_xor_b32_e32 v33, s1, v36
	ds_load_b32 v98, v100 offset:64
	v_and_b32_e32 v34, v34, v35
	; wave barrier
	s_delay_alu instid0(VALU_DEP_1) | instskip(NEXT) | instid1(VALU_DEP_1)
	v_and_b32_e32 v33, v34, v33
	v_mbcnt_lo_u32_b32 v99, v33, 0
	v_cmp_ne_u32_e64 s1, 0, v33
	s_delay_alu instid0(VALU_DEP_2)
	v_cmp_eq_u32_e32 vcc_lo, 0, v99
	s_and_b32 s10, s1, vcc_lo
	s_wait_alu 0xfffe
	s_and_saveexec_b32 s1, s10
	s_cbranch_execz .LBB170_42
; %bb.41:
	s_wait_dscnt 0x0
	v_bcnt_u32_b32 v33, v33, v98
	ds_store_b32 v100, v33 offset:64
.LBB170_42:
	s_wait_alu 0xfffe
	s_or_b32 exec_lo, exec_lo, s1
	v_and_b32_e32 v33, 0xffff, v82
	; wave barrier
	s_delay_alu instid0(VALU_DEP_1) | instskip(NEXT) | instid1(VALU_DEP_1)
	v_and_b32_e32 v33, s9, v33
	v_and_b32_e32 v34, 1, v33
	v_lshlrev_b32_e32 v35, 30, v33
	v_lshlrev_b32_e32 v36, 29, v33
	;; [unrolled: 1-line block ×4, first 2 shown]
	v_add_co_u32 v34, s1, v34, -1
	s_wait_alu 0xf1ff
	v_cndmask_b32_e64 v38, 0, 1, s1
	v_not_b32_e32 v87, v35
	v_cmp_gt_i32_e64 s1, 0, v35
	v_not_b32_e32 v35, v36
	v_lshlrev_b32_e32 v40, 26, v33
	v_cmp_ne_u32_e32 vcc_lo, 0, v38
	v_ashrrev_i32_e32 v87, 31, v87
	v_lshlrev_b32_e32 v86, 25, v33
	v_ashrrev_i32_e32 v35, 31, v35
	v_lshlrev_b32_e32 v38, 24, v33
	s_wait_alu 0xfffd
	v_xor_b32_e32 v34, vcc_lo, v34
	v_cmp_gt_i32_e32 vcc_lo, 0, v36
	v_not_b32_e32 v36, v37
	s_wait_alu 0xf1ff
	v_xor_b32_e32 v87, s1, v87
	v_cmp_gt_i32_e64 s1, 0, v37
	v_and_b32_e32 v34, exec_lo, v34
	v_not_b32_e32 v37, v39
	v_ashrrev_i32_e32 v36, 31, v36
	s_wait_alu 0xfffd
	v_xor_b32_e32 v35, vcc_lo, v35
	v_cmp_gt_i32_e32 vcc_lo, 0, v39
	v_and_b32_e32 v34, v34, v87
	v_not_b32_e32 v39, v40
	v_ashrrev_i32_e32 v37, 31, v37
	s_wait_alu 0xf1ff
	v_xor_b32_e32 v36, s1, v36
	v_cmp_gt_i32_e64 s1, 0, v40
	v_and_b32_e32 v34, v34, v35
	v_not_b32_e32 v35, v86
	v_ashrrev_i32_e32 v39, 31, v39
	s_wait_alu 0xfffd
	v_xor_b32_e32 v37, vcc_lo, v37
	v_cmp_gt_i32_e32 vcc_lo, 0, v86
	v_and_b32_e32 v34, v34, v36
	v_not_b32_e32 v36, v38
	v_ashrrev_i32_e32 v35, 31, v35
	s_wait_alu 0xf1ff
	v_xor_b32_e32 v39, s1, v39
	v_lshlrev_b32_e32 v33, 6, v33
	v_and_b32_e32 v34, v34, v37
	v_cmp_gt_i32_e64 s1, 0, v38
	v_ashrrev_i32_e32 v36, 31, v36
	s_wait_alu 0xfffd
	v_xor_b32_e32 v35, vcc_lo, v35
	v_add_nc_u32_e32 v103, v0, v33
	v_and_b32_e32 v34, v34, v39
	s_wait_alu 0xf1ff
	v_xor_b32_e32 v33, s1, v36
	ds_load_b32 v101, v103 offset:64
	v_and_b32_e32 v34, v34, v35
	; wave barrier
	s_delay_alu instid0(VALU_DEP_1) | instskip(NEXT) | instid1(VALU_DEP_1)
	v_and_b32_e32 v33, v34, v33
	v_mbcnt_lo_u32_b32 v102, v33, 0
	v_cmp_ne_u32_e64 s1, 0, v33
	s_delay_alu instid0(VALU_DEP_2)
	v_cmp_eq_u32_e32 vcc_lo, 0, v102
	s_and_b32 s10, s1, vcc_lo
	s_wait_alu 0xfffe
	s_and_saveexec_b32 s1, s10
	s_cbranch_execz .LBB170_44
; %bb.43:
	s_wait_dscnt 0x0
	v_bcnt_u32_b32 v33, v33, v101
	ds_store_b32 v103, v33 offset:64
.LBB170_44:
	s_wait_alu 0xfffe
	s_or_b32 exec_lo, exec_lo, s1
	v_and_b32_e32 v33, 0xffff, v83
	; wave barrier
	s_delay_alu instid0(VALU_DEP_1) | instskip(NEXT) | instid1(VALU_DEP_1)
	v_and_b32_e32 v33, s9, v33
	v_and_b32_e32 v34, 1, v33
	v_lshlrev_b32_e32 v35, 30, v33
	v_lshlrev_b32_e32 v36, 29, v33
	v_lshlrev_b32_e32 v37, 28, v33
	v_lshlrev_b32_e32 v39, 27, v33
	v_add_co_u32 v34, s1, v34, -1
	s_wait_alu 0xf1ff
	v_cndmask_b32_e64 v38, 0, 1, s1
	v_not_b32_e32 v87, v35
	v_cmp_gt_i32_e64 s1, 0, v35
	v_not_b32_e32 v35, v36
	v_lshlrev_b32_e32 v40, 26, v33
	v_cmp_ne_u32_e32 vcc_lo, 0, v38
	v_ashrrev_i32_e32 v87, 31, v87
	v_lshlrev_b32_e32 v86, 25, v33
	v_ashrrev_i32_e32 v35, 31, v35
	v_lshlrev_b32_e32 v38, 24, v33
	s_wait_alu 0xfffd
	v_xor_b32_e32 v34, vcc_lo, v34
	v_cmp_gt_i32_e32 vcc_lo, 0, v36
	v_not_b32_e32 v36, v37
	s_wait_alu 0xf1ff
	v_xor_b32_e32 v87, s1, v87
	v_cmp_gt_i32_e64 s1, 0, v37
	v_and_b32_e32 v34, exec_lo, v34
	v_not_b32_e32 v37, v39
	v_ashrrev_i32_e32 v36, 31, v36
	s_wait_alu 0xfffd
	v_xor_b32_e32 v35, vcc_lo, v35
	v_cmp_gt_i32_e32 vcc_lo, 0, v39
	v_and_b32_e32 v34, v34, v87
	v_not_b32_e32 v39, v40
	v_ashrrev_i32_e32 v37, 31, v37
	s_wait_alu 0xf1ff
	v_xor_b32_e32 v36, s1, v36
	v_cmp_gt_i32_e64 s1, 0, v40
	v_and_b32_e32 v34, v34, v35
	v_not_b32_e32 v35, v86
	v_ashrrev_i32_e32 v39, 31, v39
	s_wait_alu 0xfffd
	v_xor_b32_e32 v37, vcc_lo, v37
	v_cmp_gt_i32_e32 vcc_lo, 0, v86
	v_and_b32_e32 v34, v34, v36
	v_not_b32_e32 v36, v38
	v_ashrrev_i32_e32 v35, 31, v35
	s_wait_alu 0xf1ff
	v_xor_b32_e32 v39, s1, v39
	v_lshlrev_b32_e32 v33, 6, v33
	v_and_b32_e32 v34, v34, v37
	v_cmp_gt_i32_e64 s1, 0, v38
	v_ashrrev_i32_e32 v36, 31, v36
	s_wait_alu 0xfffd
	v_xor_b32_e32 v35, vcc_lo, v35
	v_add_nc_u32_e32 v106, v0, v33
	v_and_b32_e32 v34, v34, v39
	s_wait_alu 0xf1ff
	v_xor_b32_e32 v33, s1, v36
	ds_load_b32 v104, v106 offset:64
	v_and_b32_e32 v34, v34, v35
	; wave barrier
	s_delay_alu instid0(VALU_DEP_1) | instskip(NEXT) | instid1(VALU_DEP_1)
	v_and_b32_e32 v33, v34, v33
	v_mbcnt_lo_u32_b32 v105, v33, 0
	v_cmp_ne_u32_e64 s1, 0, v33
	s_delay_alu instid0(VALU_DEP_2)
	v_cmp_eq_u32_e32 vcc_lo, 0, v105
	s_and_b32 s10, s1, vcc_lo
	s_wait_alu 0xfffe
	s_and_saveexec_b32 s1, s10
	s_cbranch_execz .LBB170_46
; %bb.45:
	s_wait_dscnt 0x0
	v_bcnt_u32_b32 v33, v33, v104
	ds_store_b32 v106, v33 offset:64
.LBB170_46:
	s_wait_alu 0xfffe
	s_or_b32 exec_lo, exec_lo, s1
	v_and_b32_e32 v33, 0xffff, v84
	; wave barrier
	s_delay_alu instid0(VALU_DEP_1) | instskip(NEXT) | instid1(VALU_DEP_1)
	v_and_b32_e32 v33, s9, v33
	v_and_b32_e32 v34, 1, v33
	v_lshlrev_b32_e32 v35, 30, v33
	v_lshlrev_b32_e32 v36, 29, v33
	;; [unrolled: 1-line block ×4, first 2 shown]
	v_add_co_u32 v34, s1, v34, -1
	s_wait_alu 0xf1ff
	v_cndmask_b32_e64 v38, 0, 1, s1
	v_not_b32_e32 v87, v35
	v_cmp_gt_i32_e64 s1, 0, v35
	v_not_b32_e32 v35, v36
	v_lshlrev_b32_e32 v40, 26, v33
	v_cmp_ne_u32_e32 vcc_lo, 0, v38
	v_ashrrev_i32_e32 v87, 31, v87
	v_lshlrev_b32_e32 v86, 25, v33
	v_ashrrev_i32_e32 v35, 31, v35
	v_lshlrev_b32_e32 v38, 24, v33
	s_wait_alu 0xfffd
	v_xor_b32_e32 v34, vcc_lo, v34
	v_cmp_gt_i32_e32 vcc_lo, 0, v36
	v_not_b32_e32 v36, v37
	s_wait_alu 0xf1ff
	v_xor_b32_e32 v87, s1, v87
	v_cmp_gt_i32_e64 s1, 0, v37
	v_and_b32_e32 v34, exec_lo, v34
	v_not_b32_e32 v37, v39
	v_ashrrev_i32_e32 v36, 31, v36
	s_wait_alu 0xfffd
	v_xor_b32_e32 v35, vcc_lo, v35
	v_cmp_gt_i32_e32 vcc_lo, 0, v39
	v_and_b32_e32 v34, v34, v87
	v_not_b32_e32 v39, v40
	v_ashrrev_i32_e32 v37, 31, v37
	s_wait_alu 0xf1ff
	v_xor_b32_e32 v36, s1, v36
	v_cmp_gt_i32_e64 s1, 0, v40
	v_and_b32_e32 v34, v34, v35
	v_not_b32_e32 v35, v86
	v_ashrrev_i32_e32 v39, 31, v39
	s_wait_alu 0xfffd
	v_xor_b32_e32 v37, vcc_lo, v37
	v_cmp_gt_i32_e32 vcc_lo, 0, v86
	v_and_b32_e32 v34, v34, v36
	v_not_b32_e32 v36, v38
	v_ashrrev_i32_e32 v35, 31, v35
	s_wait_alu 0xf1ff
	v_xor_b32_e32 v39, s1, v39
	v_lshlrev_b32_e32 v33, 6, v33
	v_and_b32_e32 v34, v34, v37
	v_cmp_gt_i32_e64 s1, 0, v38
	v_ashrrev_i32_e32 v36, 31, v36
	s_wait_alu 0xfffd
	v_xor_b32_e32 v35, vcc_lo, v35
	v_add_nc_u32_e32 v109, v0, v33
	v_and_b32_e32 v34, v34, v39
	s_wait_alu 0xf1ff
	v_xor_b32_e32 v33, s1, v36
	ds_load_b32 v107, v109 offset:64
	v_and_b32_e32 v34, v34, v35
	; wave barrier
	s_delay_alu instid0(VALU_DEP_1) | instskip(NEXT) | instid1(VALU_DEP_1)
	v_and_b32_e32 v33, v34, v33
	v_mbcnt_lo_u32_b32 v108, v33, 0
	v_cmp_ne_u32_e64 s1, 0, v33
	s_delay_alu instid0(VALU_DEP_2)
	v_cmp_eq_u32_e32 vcc_lo, 0, v108
	s_and_b32 s10, s1, vcc_lo
	s_wait_alu 0xfffe
	s_and_saveexec_b32 s1, s10
	s_cbranch_execz .LBB170_48
; %bb.47:
	s_wait_dscnt 0x0
	v_bcnt_u32_b32 v33, v33, v107
	ds_store_b32 v109, v33 offset:64
.LBB170_48:
	s_wait_alu 0xfffe
	s_or_b32 exec_lo, exec_lo, s1
	v_and_b32_e32 v33, 0xffff, v85
	; wave barrier
	s_delay_alu instid0(VALU_DEP_1) | instskip(NEXT) | instid1(VALU_DEP_1)
	v_and_b32_e32 v33, s9, v33
	v_and_b32_e32 v34, 1, v33
	v_lshlrev_b32_e32 v35, 30, v33
	v_lshlrev_b32_e32 v36, 29, v33
	;; [unrolled: 1-line block ×4, first 2 shown]
	v_add_co_u32 v34, s1, v34, -1
	s_wait_alu 0xf1ff
	v_cndmask_b32_e64 v38, 0, 1, s1
	v_not_b32_e32 v87, v35
	v_cmp_gt_i32_e64 s1, 0, v35
	v_not_b32_e32 v35, v36
	v_lshlrev_b32_e32 v40, 26, v33
	v_cmp_ne_u32_e32 vcc_lo, 0, v38
	v_ashrrev_i32_e32 v87, 31, v87
	v_lshlrev_b32_e32 v86, 25, v33
	v_ashrrev_i32_e32 v35, 31, v35
	v_lshlrev_b32_e32 v38, 24, v33
	s_wait_alu 0xfffd
	v_xor_b32_e32 v34, vcc_lo, v34
	v_cmp_gt_i32_e32 vcc_lo, 0, v36
	v_not_b32_e32 v36, v37
	s_wait_alu 0xf1ff
	v_xor_b32_e32 v87, s1, v87
	v_cmp_gt_i32_e64 s1, 0, v37
	v_and_b32_e32 v34, exec_lo, v34
	v_not_b32_e32 v37, v39
	v_ashrrev_i32_e32 v36, 31, v36
	s_wait_alu 0xfffd
	v_xor_b32_e32 v35, vcc_lo, v35
	v_cmp_gt_i32_e32 vcc_lo, 0, v39
	v_and_b32_e32 v34, v34, v87
	v_not_b32_e32 v39, v40
	v_ashrrev_i32_e32 v37, 31, v37
	s_wait_alu 0xf1ff
	v_xor_b32_e32 v36, s1, v36
	v_cmp_gt_i32_e64 s1, 0, v40
	v_and_b32_e32 v34, v34, v35
	v_not_b32_e32 v35, v86
	v_ashrrev_i32_e32 v39, 31, v39
	s_wait_alu 0xfffd
	v_xor_b32_e32 v37, vcc_lo, v37
	v_cmp_gt_i32_e32 vcc_lo, 0, v86
	v_and_b32_e32 v34, v34, v36
	v_not_b32_e32 v36, v38
	v_ashrrev_i32_e32 v35, 31, v35
	s_wait_alu 0xf1ff
	v_xor_b32_e32 v39, s1, v39
	v_lshlrev_b32_e32 v33, 6, v33
	v_and_b32_e32 v34, v34, v37
	v_cmp_gt_i32_e64 s1, 0, v38
	v_ashrrev_i32_e32 v36, 31, v36
	s_wait_alu 0xfffd
	v_xor_b32_e32 v35, vcc_lo, v35
	v_add_nc_u32_e32 v112, v0, v33
	v_and_b32_e32 v34, v34, v39
	v_min_u32_e32 v86, 0x1e0, v72
	s_wait_alu 0xf1ff
	v_xor_b32_e32 v33, s1, v36
	ds_load_b32 v110, v112 offset:64
	v_and_b32_e32 v34, v34, v35
	; wave barrier
	s_delay_alu instid0(VALU_DEP_1) | instskip(NEXT) | instid1(VALU_DEP_1)
	v_and_b32_e32 v33, v34, v33
	v_mbcnt_lo_u32_b32 v111, v33, 0
	v_cmp_ne_u32_e64 s1, 0, v33
	s_delay_alu instid0(VALU_DEP_2)
	v_cmp_eq_u32_e32 vcc_lo, 0, v111
	s_and_b32 s9, s1, vcc_lo
	s_wait_alu 0xfffe
	s_and_saveexec_b32 s1, s9
	s_cbranch_execz .LBB170_50
; %bb.49:
	s_wait_dscnt 0x0
	v_bcnt_u32_b32 v33, v33, v110
	ds_store_b32 v112, v33 offset:64
.LBB170_50:
	s_wait_alu 0xfffe
	s_or_b32 exec_lo, exec_lo, s1
	; wave barrier
	s_wait_loadcnt_dscnt 0x0
	s_barrier_signal -1
	s_barrier_wait -1
	global_inv scope:SCOPE_SE
	ds_load_b128 v[37:40], v67 offset:64
	ds_load_b128 v[33:36], v67 offset:80
	v_and_b32_e32 v89, 16, v70
	v_or_b32_e32 v86, 31, v86
	s_delay_alu instid0(VALU_DEP_2) | instskip(NEXT) | instid1(VALU_DEP_2)
	v_cmp_eq_u32_e64 s15, 0, v89
	v_cmp_eq_u32_e64 s13, v46, v86
	s_wait_dscnt 0x1
	v_add_nc_u32_e32 v87, v38, v37
	s_delay_alu instid0(VALU_DEP_1) | instskip(SKIP_1) | instid1(VALU_DEP_1)
	v_add3_u32 v87, v87, v39, v40
	s_wait_dscnt 0x0
	v_add3_u32 v87, v87, v33, v34
	s_delay_alu instid0(VALU_DEP_1) | instskip(SKIP_1) | instid1(VALU_DEP_2)
	v_add3_u32 v36, v87, v35, v36
	v_and_b32_e32 v87, 15, v70
	v_mov_b32_dpp v88, v36 row_shr:1 row_mask:0xf bank_mask:0xf
	s_delay_alu instid0(VALU_DEP_2)
	v_cmp_eq_u32_e32 vcc_lo, 0, v87
	v_cmp_lt_u32_e64 s1, 1, v87
	v_cmp_lt_u32_e64 s9, 3, v87
	;; [unrolled: 1-line block ×3, first 2 shown]
	s_wait_alu 0xfffd
	v_cndmask_b32_e64 v88, v88, 0, vcc_lo
	s_delay_alu instid0(VALU_DEP_1) | instskip(NEXT) | instid1(VALU_DEP_1)
	v_add_nc_u32_e32 v36, v88, v36
	v_mov_b32_dpp v88, v36 row_shr:2 row_mask:0xf bank_mask:0xf
	s_wait_alu 0xf1ff
	s_delay_alu instid0(VALU_DEP_1) | instskip(NEXT) | instid1(VALU_DEP_1)
	v_cndmask_b32_e64 v88, 0, v88, s1
	v_add_nc_u32_e32 v36, v36, v88
	s_delay_alu instid0(VALU_DEP_1) | instskip(NEXT) | instid1(VALU_DEP_1)
	v_mov_b32_dpp v88, v36 row_shr:4 row_mask:0xf bank_mask:0xf
	v_cndmask_b32_e64 v88, 0, v88, s9
	s_delay_alu instid0(VALU_DEP_1) | instskip(NEXT) | instid1(VALU_DEP_1)
	v_add_nc_u32_e32 v36, v36, v88
	v_mov_b32_dpp v88, v36 row_shr:8 row_mask:0xf bank_mask:0xf
	s_delay_alu instid0(VALU_DEP_1) | instskip(NEXT) | instid1(VALU_DEP_1)
	v_cndmask_b32_e64 v87, 0, v88, s10
	v_add_nc_u32_e32 v88, v36, v87
	v_bfe_i32 v87, v70, 4, 1
	ds_swizzle_b32 v36, v88 offset:swizzle(BROADCAST,32,15)
	s_wait_dscnt 0x0
	v_and_b32_e32 v113, v87, v36
	v_mul_i32_i24_e32 v36, 0xffffffe4, v46
	v_lshlrev_b32_e32 v87, 2, v69
	s_delay_alu instid0(VALU_DEP_3)
	v_add_nc_u32_e32 v89, v88, v113
	s_and_saveexec_b32 s11, s13
; %bb.51:
	ds_store_b32 v87, v89
; %bb.52:
	s_wait_alu 0xfffe
	s_or_b32 exec_lo, exec_lo, s11
	v_cmp_gt_u32_e64 s12, 16, v46
	v_add_nc_u32_e32 v86, v67, v36
	s_wait_loadcnt_dscnt 0x0
	s_barrier_signal -1
	s_barrier_wait -1
	global_inv scope:SCOPE_SE
	s_and_saveexec_b32 s11, s12
	s_cbranch_execz .LBB170_54
; %bb.53:
	ds_load_b32 v36, v86
	s_wait_dscnt 0x0
	v_mov_b32_dpp v88, v36 row_shr:1 row_mask:0xf bank_mask:0xf
	s_delay_alu instid0(VALU_DEP_1) | instskip(NEXT) | instid1(VALU_DEP_1)
	v_cndmask_b32_e64 v88, v88, 0, vcc_lo
	v_add_nc_u32_e32 v36, v88, v36
	s_delay_alu instid0(VALU_DEP_1) | instskip(NEXT) | instid1(VALU_DEP_1)
	v_mov_b32_dpp v88, v36 row_shr:2 row_mask:0xf bank_mask:0xf
	v_cndmask_b32_e64 v88, 0, v88, s1
	s_delay_alu instid0(VALU_DEP_1) | instskip(NEXT) | instid1(VALU_DEP_1)
	v_add_nc_u32_e32 v36, v36, v88
	v_mov_b32_dpp v88, v36 row_shr:4 row_mask:0xf bank_mask:0xf
	s_delay_alu instid0(VALU_DEP_1) | instskip(NEXT) | instid1(VALU_DEP_1)
	v_cndmask_b32_e64 v88, 0, v88, s9
	v_add_nc_u32_e32 v36, v36, v88
	s_delay_alu instid0(VALU_DEP_1) | instskip(NEXT) | instid1(VALU_DEP_1)
	v_mov_b32_dpp v88, v36 row_shr:8 row_mask:0xf bank_mask:0xf
	v_cndmask_b32_e64 v88, 0, v88, s10
	s_delay_alu instid0(VALU_DEP_1)
	v_add_nc_u32_e32 v36, v36, v88
	ds_store_b32 v86, v36
.LBB170_54:
	s_wait_alu 0xfffe
	s_or_b32 exec_lo, exec_lo, s11
	v_sub_co_u32 v113, s11, v70, 1
	v_mul_u32_u24_e32 v36, 6, v71
	v_cmp_lt_u32_e64 s14, 31, v46
	v_add_nc_u32_e32 v88, -4, v87
	v_mov_b32_e32 v114, 0
	s_wait_loadcnt_dscnt 0x0
	s_barrier_signal -1
	s_barrier_wait -1
	global_inv scope:SCOPE_SE
	s_and_saveexec_b32 s16, s14
; %bb.55:
	ds_load_b32 v114, v88
; %bb.56:
	s_or_b32 exec_lo, exec_lo, s16
	v_cmp_gt_i32_e64 s16, 0, v113
	s_mov_b32 s20, 0
	s_min_u32 s17, s17, 8
	s_mov_b32 s21, s20
	s_mov_b32 s22, s20
	v_cndmask_b32_e64 v113, v113, v70, s16
	s_mov_b32 s23, s20
	s_wait_dscnt 0x0
	v_add_nc_u32_e32 v115, v114, v89
	v_cmp_eq_u32_e64 s16, 0, v46
	s_lshl_b32 s17, -1, s17
	v_lshlrev_b32_e32 v89, 2, v113
	s_wait_alu 0xfffe
	s_not_b32 s19, s17
	ds_bpermute_b32 v113, v89, v115
	s_wait_dscnt 0x0
	v_cndmask_b32_e64 v113, v113, v114, s11
	s_delay_alu instid0(VALU_DEP_1) | instskip(NEXT) | instid1(VALU_DEP_1)
	v_cndmask_b32_e64 v113, v113, 0, s16
	v_add_nc_u32_e32 v114, v113, v37
	s_delay_alu instid0(VALU_DEP_1) | instskip(NEXT) | instid1(VALU_DEP_1)
	v_add_nc_u32_e32 v115, v114, v38
	v_add_nc_u32_e32 v116, v115, v39
	s_delay_alu instid0(VALU_DEP_1) | instskip(NEXT) | instid1(VALU_DEP_1)
	v_add_nc_u32_e32 v37, v116, v40
	;; [unrolled: 3-line block ×3, first 2 shown]
	v_add_nc_u32_e32 v40, v39, v35
	ds_store_b128 v67, v[113:116] offset:64
	ds_store_b128 v67, v[37:40] offset:80
	s_wait_loadcnt_dscnt 0x0
	s_barrier_signal -1
	s_barrier_wait -1
	global_inv scope:SCOPE_SE
	ds_load_b32 v33, v91 offset:64
	ds_load_b32 v34, v94 offset:64
	;; [unrolled: 1-line block ×8, first 2 shown]
	v_add_nc_u32_e32 v94, v68, v36
	s_wait_loadcnt_dscnt 0x0
	s_barrier_signal -1
	s_barrier_wait -1
	global_inv scope:SCOPE_SE
	v_add_nc_u32_e32 v90, v33, v90
	v_add3_u32 v92, v93, v92, v34
	v_add3_u32 v93, v96, v95, v35
	;; [unrolled: 1-line block ×7, first 2 shown]
	v_lshlrev_b32_e32 v33, 1, v90
	v_lshlrev_b32_e32 v34, 1, v92
	v_lshlrev_b32_e32 v35, 1, v93
	v_lshlrev_b32_e32 v36, 1, v95
	v_lshlrev_b32_e32 v37, 1, v96
	v_lshlrev_b32_e32 v38, 1, v97
	v_lshlrev_b32_e32 v39, 1, v98
	v_lshlrev_b32_e32 v40, 1, v99
	ds_store_b16 v33, v78
	ds_store_b16 v34, v79
	;; [unrolled: 1-line block ×8, first 2 shown]
	s_wait_loadcnt_dscnt 0x0
	s_barrier_signal -1
	s_barrier_wait -1
	global_inv scope:SCOPE_SE
	ds_load_u16 v78, v68
	ds_load_u16 v79, v68 offset:64
	ds_load_u16 v80, v68 offset:128
	;; [unrolled: 1-line block ×7, first 2 shown]
	v_mad_co_u64_u32 v[90:91], null, v90, 6, v[33:34]
	v_mad_co_u64_u32 v[33:34], null, v92, 6, v[34:35]
	;; [unrolled: 1-line block ×3, first 2 shown]
	s_wait_loadcnt_dscnt 0x0
	s_barrier_signal -1
	s_barrier_wait -1
	global_inv scope:SCOPE_SE
	v_mad_co_u64_u32 v[35:36], null, v95, 6, v[36:37]
	v_lshrrev_b16 v91, 8, v78
	ds_store_b64 v90, v[21:22]
	v_mad_co_u64_u32 v[36:37], null, v96, 6, v[37:38]
	v_mad_co_u64_u32 v[37:38], null, v97, 6, v[38:39]
	v_and_b32_e32 v21, 0xffff, v91
	v_mad_co_u64_u32 v[38:39], null, v98, 6, v[39:40]
	v_mad_co_u64_u32 v[39:40], null, v99, 6, v[40:41]
	s_delay_alu instid0(VALU_DEP_3)
	v_and_b32_e32 v40, s19, v21
	ds_store_b64 v33, v[23:24]
	ds_store_b64 v34, v[17:18]
	;; [unrolled: 1-line block ×7, first 2 shown]
	v_and_b32_e32 v17, 1, v40
	v_lshlrev_b32_e32 v18, 30, v40
	v_lshlrev_b32_e32 v19, 29, v40
	;; [unrolled: 1-line block ×4, first 2 shown]
	v_add_co_u32 v17, s17, v17, -1
	s_wait_alu 0xf1ff
	v_cndmask_b32_e64 v21, 0, 1, s17
	v_not_b32_e32 v25, v18
	v_cmp_gt_i32_e64 s18, 0, v18
	v_not_b32_e32 v18, v19
	v_lshlrev_b32_e32 v23, 26, v40
	v_cmp_ne_u32_e64 s17, 0, v21
	v_ashrrev_i32_e32 v25, 31, v25
	v_lshlrev_b32_e32 v24, 25, v40
	v_ashrrev_i32_e32 v18, 31, v18
	v_lshlrev_b32_e32 v21, 24, v40
	s_wait_alu 0xf1ff
	v_xor_b32_e32 v17, s17, v17
	v_cmp_gt_i32_e64 s17, 0, v19
	v_not_b32_e32 v19, v20
	v_xor_b32_e32 v25, s18, v25
	v_cmp_gt_i32_e64 s18, 0, v20
	v_and_b32_e32 v17, exec_lo, v17
	v_not_b32_e32 v20, v22
	v_ashrrev_i32_e32 v19, 31, v19
	s_wait_alu 0xf1ff
	v_xor_b32_e32 v18, s17, v18
	v_cmp_gt_i32_e64 s17, 0, v22
	v_and_b32_e32 v17, v17, v25
	v_not_b32_e32 v22, v23
	v_ashrrev_i32_e32 v20, 31, v20
	v_xor_b32_e32 v19, s18, v19
	v_cmp_gt_i32_e64 s18, 0, v23
	v_and_b32_e32 v17, v17, v18
	v_not_b32_e32 v18, v24
	v_ashrrev_i32_e32 v22, 31, v22
	s_wait_alu 0xf1ff
	v_xor_b32_e32 v20, s17, v20
	v_cmp_gt_i32_e64 s17, 0, v24
	v_and_b32_e32 v17, v17, v19
	v_not_b32_e32 v19, v21
	v_ashrrev_i32_e32 v18, 31, v18
	v_xor_b32_e32 v22, s18, v22
	v_cmp_gt_i32_e64 s18, 0, v21
	v_and_b32_e32 v17, v17, v20
	v_ashrrev_i32_e32 v19, 31, v19
	s_wait_alu 0xf1ff
	v_xor_b32_e32 v18, s17, v18
	s_wait_loadcnt_dscnt 0x0
	s_barrier_signal -1
	v_and_b32_e32 v17, v17, v22
	v_xor_b32_e32 v33, s18, v19
	s_barrier_wait -1
	global_inv scope:SCOPE_SE
	ds_load_2addr_b64 v[21:24], v94 offset1:32
	v_and_b32_e32 v38, v17, v18
	ds_load_2addr_b64 v[29:32], v94 offset0:64 offset1:96
	ds_load_2addr_b64 v[25:28], v94 offset0:128 offset1:160
	;; [unrolled: 1-line block ×3, first 2 shown]
	v_dual_mov_b32 v37, s23 :: v_dual_mov_b32 v36, s22
	v_mov_b32_e32 v35, s21
	v_dual_mov_b32 v34, s20 :: v_dual_and_b32 v33, v38, v33
	v_lshl_add_u32 v91, v40, 6, v0
	s_wait_loadcnt_dscnt 0x0
	s_barrier_signal -1
	s_delay_alu instid0(VALU_DEP_2)
	v_mbcnt_lo_u32_b32 v90, v33, 0
	v_cmp_ne_u32_e64 s18, 0, v33
	s_barrier_wait -1
	global_inv scope:SCOPE_SE
	ds_store_b128 v67, v[34:37] offset:64
	ds_store_b128 v67, v[34:37] offset:80
	v_cmp_eq_u32_e64 s17, 0, v90
	s_wait_loadcnt_dscnt 0x0
	s_barrier_signal -1
	s_barrier_wait -1
	global_inv scope:SCOPE_SE
	s_and_b32 s18, s18, s17
	; wave barrier
	s_wait_alu 0xfffe
	s_and_saveexec_b32 s17, s18
; %bb.57:
	v_bcnt_u32_b32 v33, v33, 0
	ds_store_b32 v91, v33 offset:64
; %bb.58:
	s_wait_alu 0xfffe
	s_or_b32 exec_lo, exec_lo, s17
	v_lshrrev_b16 v33, 8, v79
	; wave barrier
	s_delay_alu instid0(VALU_DEP_1) | instskip(NEXT) | instid1(VALU_DEP_1)
	v_and_b32_e32 v33, s19, v33
	v_and_b32_e32 v34, 1, v33
	v_lshlrev_b32_e32 v35, 30, v33
	v_lshlrev_b32_e32 v36, 29, v33
	;; [unrolled: 1-line block ×4, first 2 shown]
	v_add_co_u32 v34, s17, v34, -1
	s_wait_alu 0xf1ff
	v_cndmask_b32_e64 v38, 0, 1, s17
	v_not_b32_e32 v93, v35
	v_cmp_gt_i32_e64 s18, 0, v35
	v_not_b32_e32 v35, v36
	v_lshlrev_b32_e32 v40, 26, v33
	v_cmp_ne_u32_e64 s17, 0, v38
	v_ashrrev_i32_e32 v93, 31, v93
	v_lshlrev_b32_e32 v92, 25, v33
	v_ashrrev_i32_e32 v35, 31, v35
	v_lshlrev_b32_e32 v38, 24, v33
	s_wait_alu 0xf1ff
	v_xor_b32_e32 v34, s17, v34
	v_cmp_gt_i32_e64 s17, 0, v36
	v_not_b32_e32 v36, v37
	v_xor_b32_e32 v93, s18, v93
	v_cmp_gt_i32_e64 s18, 0, v37
	v_and_b32_e32 v34, exec_lo, v34
	v_not_b32_e32 v37, v39
	v_ashrrev_i32_e32 v36, 31, v36
	s_wait_alu 0xf1ff
	v_xor_b32_e32 v35, s17, v35
	v_cmp_gt_i32_e64 s17, 0, v39
	v_and_b32_e32 v34, v34, v93
	v_not_b32_e32 v39, v40
	v_ashrrev_i32_e32 v37, 31, v37
	v_xor_b32_e32 v36, s18, v36
	v_cmp_gt_i32_e64 s18, 0, v40
	v_and_b32_e32 v34, v34, v35
	v_not_b32_e32 v35, v92
	v_ashrrev_i32_e32 v39, 31, v39
	s_wait_alu 0xf1ff
	v_xor_b32_e32 v37, s17, v37
	v_cmp_gt_i32_e64 s17, 0, v92
	v_and_b32_e32 v34, v34, v36
	v_not_b32_e32 v36, v38
	v_ashrrev_i32_e32 v35, 31, v35
	v_xor_b32_e32 v39, s18, v39
	v_cmp_gt_i32_e64 s18, 0, v38
	v_and_b32_e32 v34, v34, v37
	v_ashrrev_i32_e32 v36, 31, v36
	s_wait_alu 0xf1ff
	v_xor_b32_e32 v35, s17, v35
	v_lshl_add_u32 v94, v33, 6, v0
	v_and_b32_e32 v34, v34, v39
	v_xor_b32_e32 v33, s18, v36
	ds_load_b32 v92, v94 offset:64
	v_and_b32_e32 v34, v34, v35
	; wave barrier
	s_delay_alu instid0(VALU_DEP_1) | instskip(NEXT) | instid1(VALU_DEP_1)
	v_and_b32_e32 v33, v34, v33
	v_mbcnt_lo_u32_b32 v93, v33, 0
	v_cmp_ne_u32_e64 s18, 0, v33
	s_delay_alu instid0(VALU_DEP_2)
	v_cmp_eq_u32_e64 s17, 0, v93
	s_and_b32 s18, s18, s17
	s_wait_alu 0xfffe
	s_and_saveexec_b32 s17, s18
	s_cbranch_execz .LBB170_60
; %bb.59:
	s_wait_dscnt 0x0
	v_bcnt_u32_b32 v33, v33, v92
	ds_store_b32 v94, v33 offset:64
.LBB170_60:
	s_wait_alu 0xfffe
	s_or_b32 exec_lo, exec_lo, s17
	v_lshrrev_b16 v33, 8, v80
	; wave barrier
	s_delay_alu instid0(VALU_DEP_1) | instskip(NEXT) | instid1(VALU_DEP_1)
	v_and_b32_e32 v33, s19, v33
	v_and_b32_e32 v34, 1, v33
	v_lshlrev_b32_e32 v35, 30, v33
	v_lshlrev_b32_e32 v36, 29, v33
	;; [unrolled: 1-line block ×4, first 2 shown]
	v_add_co_u32 v34, s17, v34, -1
	s_wait_alu 0xf1ff
	v_cndmask_b32_e64 v38, 0, 1, s17
	v_not_b32_e32 v96, v35
	v_cmp_gt_i32_e64 s18, 0, v35
	v_not_b32_e32 v35, v36
	v_lshlrev_b32_e32 v40, 26, v33
	v_cmp_ne_u32_e64 s17, 0, v38
	v_ashrrev_i32_e32 v96, 31, v96
	v_lshlrev_b32_e32 v95, 25, v33
	v_ashrrev_i32_e32 v35, 31, v35
	v_lshlrev_b32_e32 v38, 24, v33
	s_wait_alu 0xf1ff
	v_xor_b32_e32 v34, s17, v34
	v_cmp_gt_i32_e64 s17, 0, v36
	v_not_b32_e32 v36, v37
	v_xor_b32_e32 v96, s18, v96
	v_cmp_gt_i32_e64 s18, 0, v37
	v_and_b32_e32 v34, exec_lo, v34
	v_not_b32_e32 v37, v39
	v_ashrrev_i32_e32 v36, 31, v36
	s_wait_alu 0xf1ff
	v_xor_b32_e32 v35, s17, v35
	v_cmp_gt_i32_e64 s17, 0, v39
	v_and_b32_e32 v34, v34, v96
	v_not_b32_e32 v39, v40
	v_ashrrev_i32_e32 v37, 31, v37
	v_xor_b32_e32 v36, s18, v36
	v_cmp_gt_i32_e64 s18, 0, v40
	v_and_b32_e32 v34, v34, v35
	v_not_b32_e32 v35, v95
	v_ashrrev_i32_e32 v39, 31, v39
	s_wait_alu 0xf1ff
	v_xor_b32_e32 v37, s17, v37
	v_cmp_gt_i32_e64 s17, 0, v95
	v_and_b32_e32 v34, v34, v36
	v_not_b32_e32 v36, v38
	v_ashrrev_i32_e32 v35, 31, v35
	v_xor_b32_e32 v39, s18, v39
	v_cmp_gt_i32_e64 s18, 0, v38
	v_and_b32_e32 v34, v34, v37
	v_ashrrev_i32_e32 v36, 31, v36
	s_wait_alu 0xf1ff
	v_xor_b32_e32 v35, s17, v35
	v_lshl_add_u32 v97, v33, 6, v0
	v_and_b32_e32 v34, v34, v39
	v_xor_b32_e32 v33, s18, v36
	ds_load_b32 v95, v97 offset:64
	v_and_b32_e32 v34, v34, v35
	; wave barrier
	s_delay_alu instid0(VALU_DEP_1) | instskip(NEXT) | instid1(VALU_DEP_1)
	v_and_b32_e32 v33, v34, v33
	v_mbcnt_lo_u32_b32 v96, v33, 0
	v_cmp_ne_u32_e64 s18, 0, v33
	s_delay_alu instid0(VALU_DEP_2)
	v_cmp_eq_u32_e64 s17, 0, v96
	s_and_b32 s18, s18, s17
	s_wait_alu 0xfffe
	s_and_saveexec_b32 s17, s18
	s_cbranch_execz .LBB170_62
; %bb.61:
	s_wait_dscnt 0x0
	v_bcnt_u32_b32 v33, v33, v95
	ds_store_b32 v97, v33 offset:64
.LBB170_62:
	s_wait_alu 0xfffe
	s_or_b32 exec_lo, exec_lo, s17
	v_lshrrev_b16 v33, 8, v81
	; wave barrier
	s_delay_alu instid0(VALU_DEP_1) | instskip(NEXT) | instid1(VALU_DEP_1)
	v_and_b32_e32 v33, s19, v33
	v_and_b32_e32 v34, 1, v33
	v_lshlrev_b32_e32 v35, 30, v33
	v_lshlrev_b32_e32 v36, 29, v33
	;; [unrolled: 1-line block ×4, first 2 shown]
	v_add_co_u32 v34, s17, v34, -1
	s_wait_alu 0xf1ff
	v_cndmask_b32_e64 v38, 0, 1, s17
	v_not_b32_e32 v99, v35
	v_cmp_gt_i32_e64 s18, 0, v35
	v_not_b32_e32 v35, v36
	v_lshlrev_b32_e32 v40, 26, v33
	v_cmp_ne_u32_e64 s17, 0, v38
	v_ashrrev_i32_e32 v99, 31, v99
	v_lshlrev_b32_e32 v98, 25, v33
	v_ashrrev_i32_e32 v35, 31, v35
	v_lshlrev_b32_e32 v38, 24, v33
	s_wait_alu 0xf1ff
	v_xor_b32_e32 v34, s17, v34
	v_cmp_gt_i32_e64 s17, 0, v36
	v_not_b32_e32 v36, v37
	v_xor_b32_e32 v99, s18, v99
	v_cmp_gt_i32_e64 s18, 0, v37
	v_and_b32_e32 v34, exec_lo, v34
	v_not_b32_e32 v37, v39
	v_ashrrev_i32_e32 v36, 31, v36
	s_wait_alu 0xf1ff
	v_xor_b32_e32 v35, s17, v35
	v_cmp_gt_i32_e64 s17, 0, v39
	v_and_b32_e32 v34, v34, v99
	v_not_b32_e32 v39, v40
	v_ashrrev_i32_e32 v37, 31, v37
	v_xor_b32_e32 v36, s18, v36
	v_cmp_gt_i32_e64 s18, 0, v40
	v_and_b32_e32 v34, v34, v35
	v_not_b32_e32 v35, v98
	v_ashrrev_i32_e32 v39, 31, v39
	s_wait_alu 0xf1ff
	v_xor_b32_e32 v37, s17, v37
	v_cmp_gt_i32_e64 s17, 0, v98
	v_and_b32_e32 v34, v34, v36
	v_not_b32_e32 v36, v38
	v_ashrrev_i32_e32 v35, 31, v35
	v_xor_b32_e32 v39, s18, v39
	v_cmp_gt_i32_e64 s18, 0, v38
	v_and_b32_e32 v34, v34, v37
	v_ashrrev_i32_e32 v36, 31, v36
	s_wait_alu 0xf1ff
	v_xor_b32_e32 v35, s17, v35
	v_lshl_add_u32 v100, v33, 6, v0
	v_and_b32_e32 v34, v34, v39
	v_xor_b32_e32 v33, s18, v36
	ds_load_b32 v98, v100 offset:64
	v_and_b32_e32 v34, v34, v35
	; wave barrier
	s_delay_alu instid0(VALU_DEP_1) | instskip(NEXT) | instid1(VALU_DEP_1)
	v_and_b32_e32 v33, v34, v33
	v_mbcnt_lo_u32_b32 v99, v33, 0
	v_cmp_ne_u32_e64 s18, 0, v33
	s_delay_alu instid0(VALU_DEP_2)
	v_cmp_eq_u32_e64 s17, 0, v99
	s_and_b32 s18, s18, s17
	s_wait_alu 0xfffe
	s_and_saveexec_b32 s17, s18
	s_cbranch_execz .LBB170_64
; %bb.63:
	s_wait_dscnt 0x0
	v_bcnt_u32_b32 v33, v33, v98
	ds_store_b32 v100, v33 offset:64
.LBB170_64:
	s_wait_alu 0xfffe
	s_or_b32 exec_lo, exec_lo, s17
	v_lshrrev_b16 v33, 8, v82
	; wave barrier
	s_delay_alu instid0(VALU_DEP_1) | instskip(NEXT) | instid1(VALU_DEP_1)
	v_and_b32_e32 v33, s19, v33
	v_and_b32_e32 v34, 1, v33
	v_lshlrev_b32_e32 v35, 30, v33
	v_lshlrev_b32_e32 v36, 29, v33
	;; [unrolled: 1-line block ×4, first 2 shown]
	v_add_co_u32 v34, s17, v34, -1
	s_wait_alu 0xf1ff
	v_cndmask_b32_e64 v38, 0, 1, s17
	v_not_b32_e32 v102, v35
	v_cmp_gt_i32_e64 s18, 0, v35
	v_not_b32_e32 v35, v36
	v_lshlrev_b32_e32 v40, 26, v33
	v_cmp_ne_u32_e64 s17, 0, v38
	v_ashrrev_i32_e32 v102, 31, v102
	v_lshlrev_b32_e32 v101, 25, v33
	v_ashrrev_i32_e32 v35, 31, v35
	v_lshlrev_b32_e32 v38, 24, v33
	s_wait_alu 0xf1ff
	v_xor_b32_e32 v34, s17, v34
	v_cmp_gt_i32_e64 s17, 0, v36
	v_not_b32_e32 v36, v37
	v_xor_b32_e32 v102, s18, v102
	v_cmp_gt_i32_e64 s18, 0, v37
	v_and_b32_e32 v34, exec_lo, v34
	v_not_b32_e32 v37, v39
	v_ashrrev_i32_e32 v36, 31, v36
	s_wait_alu 0xf1ff
	v_xor_b32_e32 v35, s17, v35
	v_cmp_gt_i32_e64 s17, 0, v39
	v_and_b32_e32 v34, v34, v102
	v_not_b32_e32 v39, v40
	v_ashrrev_i32_e32 v37, 31, v37
	v_xor_b32_e32 v36, s18, v36
	v_cmp_gt_i32_e64 s18, 0, v40
	v_and_b32_e32 v34, v34, v35
	v_not_b32_e32 v35, v101
	v_ashrrev_i32_e32 v39, 31, v39
	s_wait_alu 0xf1ff
	v_xor_b32_e32 v37, s17, v37
	v_cmp_gt_i32_e64 s17, 0, v101
	v_and_b32_e32 v34, v34, v36
	v_not_b32_e32 v36, v38
	v_ashrrev_i32_e32 v35, 31, v35
	v_xor_b32_e32 v39, s18, v39
	v_cmp_gt_i32_e64 s18, 0, v38
	v_and_b32_e32 v34, v34, v37
	v_ashrrev_i32_e32 v36, 31, v36
	s_wait_alu 0xf1ff
	v_xor_b32_e32 v35, s17, v35
	v_lshl_add_u32 v103, v33, 6, v0
	v_and_b32_e32 v34, v34, v39
	v_xor_b32_e32 v33, s18, v36
	ds_load_b32 v101, v103 offset:64
	v_and_b32_e32 v34, v34, v35
	; wave barrier
	s_delay_alu instid0(VALU_DEP_1) | instskip(NEXT) | instid1(VALU_DEP_1)
	v_and_b32_e32 v33, v34, v33
	v_mbcnt_lo_u32_b32 v102, v33, 0
	v_cmp_ne_u32_e64 s18, 0, v33
	s_delay_alu instid0(VALU_DEP_2)
	v_cmp_eq_u32_e64 s17, 0, v102
	s_and_b32 s18, s18, s17
	s_wait_alu 0xfffe
	s_and_saveexec_b32 s17, s18
	s_cbranch_execz .LBB170_66
; %bb.65:
	s_wait_dscnt 0x0
	v_bcnt_u32_b32 v33, v33, v101
	ds_store_b32 v103, v33 offset:64
.LBB170_66:
	s_wait_alu 0xfffe
	s_or_b32 exec_lo, exec_lo, s17
	v_lshrrev_b16 v33, 8, v83
	; wave barrier
	s_delay_alu instid0(VALU_DEP_1) | instskip(NEXT) | instid1(VALU_DEP_1)
	v_and_b32_e32 v33, s19, v33
	v_and_b32_e32 v34, 1, v33
	v_lshlrev_b32_e32 v35, 30, v33
	v_lshlrev_b32_e32 v36, 29, v33
	;; [unrolled: 1-line block ×4, first 2 shown]
	v_add_co_u32 v34, s17, v34, -1
	s_wait_alu 0xf1ff
	v_cndmask_b32_e64 v38, 0, 1, s17
	v_not_b32_e32 v105, v35
	v_cmp_gt_i32_e64 s18, 0, v35
	v_not_b32_e32 v35, v36
	v_lshlrev_b32_e32 v40, 26, v33
	v_cmp_ne_u32_e64 s17, 0, v38
	v_ashrrev_i32_e32 v105, 31, v105
	v_lshlrev_b32_e32 v104, 25, v33
	v_ashrrev_i32_e32 v35, 31, v35
	v_lshlrev_b32_e32 v38, 24, v33
	s_wait_alu 0xf1ff
	v_xor_b32_e32 v34, s17, v34
	v_cmp_gt_i32_e64 s17, 0, v36
	v_not_b32_e32 v36, v37
	v_xor_b32_e32 v105, s18, v105
	v_cmp_gt_i32_e64 s18, 0, v37
	v_and_b32_e32 v34, exec_lo, v34
	v_not_b32_e32 v37, v39
	v_ashrrev_i32_e32 v36, 31, v36
	s_wait_alu 0xf1ff
	v_xor_b32_e32 v35, s17, v35
	v_cmp_gt_i32_e64 s17, 0, v39
	v_and_b32_e32 v34, v34, v105
	v_not_b32_e32 v39, v40
	v_ashrrev_i32_e32 v37, 31, v37
	v_xor_b32_e32 v36, s18, v36
	v_cmp_gt_i32_e64 s18, 0, v40
	v_and_b32_e32 v34, v34, v35
	v_not_b32_e32 v35, v104
	v_ashrrev_i32_e32 v39, 31, v39
	s_wait_alu 0xf1ff
	v_xor_b32_e32 v37, s17, v37
	v_cmp_gt_i32_e64 s17, 0, v104
	v_and_b32_e32 v34, v34, v36
	v_not_b32_e32 v36, v38
	v_ashrrev_i32_e32 v35, 31, v35
	v_xor_b32_e32 v39, s18, v39
	v_cmp_gt_i32_e64 s18, 0, v38
	v_and_b32_e32 v34, v34, v37
	v_ashrrev_i32_e32 v36, 31, v36
	s_wait_alu 0xf1ff
	v_xor_b32_e32 v35, s17, v35
	v_lshl_add_u32 v106, v33, 6, v0
	v_and_b32_e32 v34, v34, v39
	v_xor_b32_e32 v33, s18, v36
	ds_load_b32 v104, v106 offset:64
	v_and_b32_e32 v34, v34, v35
	; wave barrier
	s_delay_alu instid0(VALU_DEP_1) | instskip(NEXT) | instid1(VALU_DEP_1)
	v_and_b32_e32 v33, v34, v33
	v_mbcnt_lo_u32_b32 v105, v33, 0
	v_cmp_ne_u32_e64 s18, 0, v33
	s_delay_alu instid0(VALU_DEP_2)
	v_cmp_eq_u32_e64 s17, 0, v105
	s_and_b32 s18, s18, s17
	s_wait_alu 0xfffe
	s_and_saveexec_b32 s17, s18
	s_cbranch_execz .LBB170_68
; %bb.67:
	s_wait_dscnt 0x0
	v_bcnt_u32_b32 v33, v33, v104
	ds_store_b32 v106, v33 offset:64
.LBB170_68:
	s_wait_alu 0xfffe
	s_or_b32 exec_lo, exec_lo, s17
	v_lshrrev_b16 v33, 8, v84
	; wave barrier
	s_delay_alu instid0(VALU_DEP_1) | instskip(NEXT) | instid1(VALU_DEP_1)
	v_and_b32_e32 v33, s19, v33
	v_and_b32_e32 v34, 1, v33
	v_lshlrev_b32_e32 v35, 30, v33
	v_lshlrev_b32_e32 v36, 29, v33
	;; [unrolled: 1-line block ×4, first 2 shown]
	v_add_co_u32 v34, s17, v34, -1
	s_wait_alu 0xf1ff
	v_cndmask_b32_e64 v38, 0, 1, s17
	v_not_b32_e32 v108, v35
	v_cmp_gt_i32_e64 s18, 0, v35
	v_not_b32_e32 v35, v36
	v_lshlrev_b32_e32 v40, 26, v33
	v_cmp_ne_u32_e64 s17, 0, v38
	v_ashrrev_i32_e32 v108, 31, v108
	v_lshlrev_b32_e32 v107, 25, v33
	v_ashrrev_i32_e32 v35, 31, v35
	v_lshlrev_b32_e32 v38, 24, v33
	s_wait_alu 0xf1ff
	v_xor_b32_e32 v34, s17, v34
	v_cmp_gt_i32_e64 s17, 0, v36
	v_not_b32_e32 v36, v37
	v_xor_b32_e32 v108, s18, v108
	v_cmp_gt_i32_e64 s18, 0, v37
	v_and_b32_e32 v34, exec_lo, v34
	v_not_b32_e32 v37, v39
	v_ashrrev_i32_e32 v36, 31, v36
	s_wait_alu 0xf1ff
	v_xor_b32_e32 v35, s17, v35
	v_cmp_gt_i32_e64 s17, 0, v39
	v_and_b32_e32 v34, v34, v108
	v_not_b32_e32 v39, v40
	v_ashrrev_i32_e32 v37, 31, v37
	v_xor_b32_e32 v36, s18, v36
	v_cmp_gt_i32_e64 s18, 0, v40
	v_and_b32_e32 v34, v34, v35
	v_not_b32_e32 v35, v107
	v_ashrrev_i32_e32 v39, 31, v39
	s_wait_alu 0xf1ff
	v_xor_b32_e32 v37, s17, v37
	v_cmp_gt_i32_e64 s17, 0, v107
	v_and_b32_e32 v34, v34, v36
	v_not_b32_e32 v36, v38
	v_ashrrev_i32_e32 v35, 31, v35
	v_xor_b32_e32 v39, s18, v39
	v_cmp_gt_i32_e64 s18, 0, v38
	v_and_b32_e32 v34, v34, v37
	v_ashrrev_i32_e32 v36, 31, v36
	s_wait_alu 0xf1ff
	v_xor_b32_e32 v35, s17, v35
	v_lshl_add_u32 v109, v33, 6, v0
	v_and_b32_e32 v34, v34, v39
	v_xor_b32_e32 v33, s18, v36
	ds_load_b32 v107, v109 offset:64
	v_and_b32_e32 v34, v34, v35
	; wave barrier
	s_delay_alu instid0(VALU_DEP_1) | instskip(NEXT) | instid1(VALU_DEP_1)
	v_and_b32_e32 v33, v34, v33
	v_mbcnt_lo_u32_b32 v108, v33, 0
	v_cmp_ne_u32_e64 s18, 0, v33
	s_delay_alu instid0(VALU_DEP_2)
	v_cmp_eq_u32_e64 s17, 0, v108
	s_and_b32 s18, s18, s17
	s_wait_alu 0xfffe
	s_and_saveexec_b32 s17, s18
	s_cbranch_execz .LBB170_70
; %bb.69:
	s_wait_dscnt 0x0
	v_bcnt_u32_b32 v33, v33, v107
	ds_store_b32 v109, v33 offset:64
.LBB170_70:
	s_wait_alu 0xfffe
	s_or_b32 exec_lo, exec_lo, s17
	v_lshrrev_b16 v33, 8, v85
	; wave barrier
	s_delay_alu instid0(VALU_DEP_1) | instskip(NEXT) | instid1(VALU_DEP_1)
	v_and_b32_e32 v33, s19, v33
	v_and_b32_e32 v34, 1, v33
	v_lshlrev_b32_e32 v35, 30, v33
	v_lshlrev_b32_e32 v36, 29, v33
	;; [unrolled: 1-line block ×4, first 2 shown]
	v_add_co_u32 v34, s17, v34, -1
	s_wait_alu 0xf1ff
	v_cndmask_b32_e64 v38, 0, 1, s17
	v_not_b32_e32 v111, v35
	v_cmp_gt_i32_e64 s18, 0, v35
	v_not_b32_e32 v35, v36
	v_lshlrev_b32_e32 v40, 26, v33
	v_cmp_ne_u32_e64 s17, 0, v38
	v_ashrrev_i32_e32 v111, 31, v111
	v_lshlrev_b32_e32 v110, 25, v33
	v_ashrrev_i32_e32 v35, 31, v35
	v_lshlrev_b32_e32 v38, 24, v33
	s_wait_alu 0xf1ff
	v_xor_b32_e32 v34, s17, v34
	v_cmp_gt_i32_e64 s17, 0, v36
	v_not_b32_e32 v36, v37
	v_xor_b32_e32 v111, s18, v111
	v_cmp_gt_i32_e64 s18, 0, v37
	v_and_b32_e32 v34, exec_lo, v34
	v_not_b32_e32 v37, v39
	v_ashrrev_i32_e32 v36, 31, v36
	s_wait_alu 0xf1ff
	v_xor_b32_e32 v35, s17, v35
	v_cmp_gt_i32_e64 s17, 0, v39
	v_and_b32_e32 v34, v34, v111
	v_not_b32_e32 v39, v40
	v_ashrrev_i32_e32 v37, 31, v37
	v_xor_b32_e32 v36, s18, v36
	v_cmp_gt_i32_e64 s18, 0, v40
	v_and_b32_e32 v34, v34, v35
	v_not_b32_e32 v35, v110
	v_ashrrev_i32_e32 v39, 31, v39
	s_wait_alu 0xf1ff
	v_xor_b32_e32 v37, s17, v37
	v_cmp_gt_i32_e64 s17, 0, v110
	v_and_b32_e32 v34, v34, v36
	v_not_b32_e32 v36, v38
	v_ashrrev_i32_e32 v35, 31, v35
	v_xor_b32_e32 v39, s18, v39
	v_cmp_gt_i32_e64 s18, 0, v38
	v_and_b32_e32 v34, v34, v37
	v_ashrrev_i32_e32 v36, 31, v36
	s_wait_alu 0xf1ff
	v_xor_b32_e32 v35, s17, v35
	v_lshl_add_u32 v111, v33, 6, v0
	v_and_b32_e32 v34, v34, v39
	v_xor_b32_e32 v33, s18, v36
	ds_load_b32 v0, v111 offset:64
	v_and_b32_e32 v34, v34, v35
	; wave barrier
	s_delay_alu instid0(VALU_DEP_1) | instskip(NEXT) | instid1(VALU_DEP_1)
	v_and_b32_e32 v33, v34, v33
	v_mbcnt_lo_u32_b32 v110, v33, 0
	v_cmp_ne_u32_e64 s18, 0, v33
	s_delay_alu instid0(VALU_DEP_2)
	v_cmp_eq_u32_e64 s17, 0, v110
	s_and_b32 s18, s18, s17
	s_wait_alu 0xfffe
	s_and_saveexec_b32 s17, s18
	s_cbranch_execz .LBB170_72
; %bb.71:
	s_wait_dscnt 0x0
	v_bcnt_u32_b32 v33, v33, v0
	ds_store_b32 v111, v33 offset:64
.LBB170_72:
	s_wait_alu 0xfffe
	s_or_b32 exec_lo, exec_lo, s17
	; wave barrier
	s_wait_loadcnt_dscnt 0x0
	s_barrier_signal -1
	s_barrier_wait -1
	global_inv scope:SCOPE_SE
	ds_load_b128 v[37:40], v67 offset:64
	ds_load_b128 v[33:36], v67 offset:80
	s_wait_dscnt 0x1
	v_add_nc_u32_e32 v112, v38, v37
	s_delay_alu instid0(VALU_DEP_1) | instskip(SKIP_1) | instid1(VALU_DEP_1)
	v_add3_u32 v112, v112, v39, v40
	s_wait_dscnt 0x0
	v_add3_u32 v112, v112, v33, v34
	s_delay_alu instid0(VALU_DEP_1) | instskip(NEXT) | instid1(VALU_DEP_1)
	v_add3_u32 v36, v112, v35, v36
	v_mov_b32_dpp v112, v36 row_shr:1 row_mask:0xf bank_mask:0xf
	s_delay_alu instid0(VALU_DEP_1) | instskip(NEXT) | instid1(VALU_DEP_1)
	v_cndmask_b32_e64 v112, v112, 0, vcc_lo
	v_add_nc_u32_e32 v36, v112, v36
	s_delay_alu instid0(VALU_DEP_1) | instskip(NEXT) | instid1(VALU_DEP_1)
	v_mov_b32_dpp v112, v36 row_shr:2 row_mask:0xf bank_mask:0xf
	v_cndmask_b32_e64 v112, 0, v112, s1
	s_delay_alu instid0(VALU_DEP_1) | instskip(NEXT) | instid1(VALU_DEP_1)
	v_add_nc_u32_e32 v36, v36, v112
	v_mov_b32_dpp v112, v36 row_shr:4 row_mask:0xf bank_mask:0xf
	s_delay_alu instid0(VALU_DEP_1) | instskip(NEXT) | instid1(VALU_DEP_1)
	v_cndmask_b32_e64 v112, 0, v112, s9
	v_add_nc_u32_e32 v36, v36, v112
	s_delay_alu instid0(VALU_DEP_1) | instskip(NEXT) | instid1(VALU_DEP_1)
	v_mov_b32_dpp v112, v36 row_shr:8 row_mask:0xf bank_mask:0xf
	v_cndmask_b32_e64 v112, 0, v112, s10
	s_delay_alu instid0(VALU_DEP_1) | instskip(SKIP_3) | instid1(VALU_DEP_1)
	v_add_nc_u32_e32 v36, v36, v112
	ds_swizzle_b32 v112, v36 offset:swizzle(BROADCAST,32,15)
	s_wait_dscnt 0x0
	v_cndmask_b32_e64 v112, v112, 0, s15
	v_add_nc_u32_e32 v36, v36, v112
	s_and_saveexec_b32 s15, s13
; %bb.73:
	ds_store_b32 v87, v36
; %bb.74:
	s_wait_alu 0xfffe
	s_or_b32 exec_lo, exec_lo, s15
	s_wait_loadcnt_dscnt 0x0
	s_barrier_signal -1
	s_barrier_wait -1
	global_inv scope:SCOPE_SE
	s_and_saveexec_b32 s13, s12
	s_cbranch_execz .LBB170_76
; %bb.75:
	ds_load_b32 v87, v86
	s_wait_dscnt 0x0
	v_mov_b32_dpp v112, v87 row_shr:1 row_mask:0xf bank_mask:0xf
	s_delay_alu instid0(VALU_DEP_1) | instskip(NEXT) | instid1(VALU_DEP_1)
	v_cndmask_b32_e64 v112, v112, 0, vcc_lo
	v_add_nc_u32_e32 v87, v112, v87
	s_delay_alu instid0(VALU_DEP_1) | instskip(NEXT) | instid1(VALU_DEP_1)
	v_mov_b32_dpp v112, v87 row_shr:2 row_mask:0xf bank_mask:0xf
	v_cndmask_b32_e64 v112, 0, v112, s1
	s_delay_alu instid0(VALU_DEP_1) | instskip(NEXT) | instid1(VALU_DEP_1)
	v_add_nc_u32_e32 v87, v87, v112
	v_mov_b32_dpp v112, v87 row_shr:4 row_mask:0xf bank_mask:0xf
	s_delay_alu instid0(VALU_DEP_1) | instskip(NEXT) | instid1(VALU_DEP_1)
	v_cndmask_b32_e64 v112, 0, v112, s9
	v_add_nc_u32_e32 v87, v87, v112
	s_delay_alu instid0(VALU_DEP_1) | instskip(NEXT) | instid1(VALU_DEP_1)
	v_mov_b32_dpp v112, v87 row_shr:8 row_mask:0xf bank_mask:0xf
	v_cndmask_b32_e64 v112, 0, v112, s10
	s_delay_alu instid0(VALU_DEP_1)
	v_add_nc_u32_e32 v87, v87, v112
	ds_store_b32 v86, v87
.LBB170_76:
	s_wait_alu 0xfffe
	s_or_b32 exec_lo, exec_lo, s13
	v_mov_b32_e32 v86, 0
	s_wait_loadcnt_dscnt 0x0
	s_barrier_signal -1
	s_barrier_wait -1
	global_inv scope:SCOPE_SE
	s_and_saveexec_b32 s1, s14
; %bb.77:
	ds_load_b32 v86, v88
; %bb.78:
	s_wait_alu 0xfffe
	s_or_b32 exec_lo, exec_lo, s1
	s_wait_dscnt 0x0
	v_add_nc_u32_e32 v36, v86, v36
	ds_bpermute_b32 v36, v89, v36
	s_wait_dscnt 0x0
	v_cndmask_b32_e64 v36, v36, v86, s11
	s_delay_alu instid0(VALU_DEP_1) | instskip(NEXT) | instid1(VALU_DEP_1)
	v_cndmask_b32_e64 v36, v36, 0, s16
	v_add_nc_u32_e32 v37, v36, v37
	s_delay_alu instid0(VALU_DEP_1) | instskip(NEXT) | instid1(VALU_DEP_1)
	v_add_nc_u32_e32 v38, v37, v38
	v_add_nc_u32_e32 v39, v38, v39
	s_delay_alu instid0(VALU_DEP_1) | instskip(NEXT) | instid1(VALU_DEP_1)
	v_add_nc_u32_e32 v86, v39, v40
	;; [unrolled: 3-line block ×3, first 2 shown]
	v_add_nc_u32_e32 v89, v88, v35
	ds_store_b128 v67, v[36:39] offset:64
	ds_store_b128 v67, v[86:89] offset:80
	s_wait_loadcnt_dscnt 0x0
	s_barrier_signal -1
	s_barrier_wait -1
	global_inv scope:SCOPE_SE
	ds_load_b32 v33, v111 offset:64
	ds_load_b32 v34, v109 offset:64
	;; [unrolled: 1-line block ×8, first 2 shown]
	v_lshlrev_b32_e32 v86, 1, v66
	s_wait_loadcnt_dscnt 0x0
	s_barrier_signal -1
	s_barrier_wait -1
	global_inv scope:SCOPE_SE
	v_mad_u32_u24 v87, v46, 48, v86
	v_add3_u32 v88, v110, v0, v33
	v_add3_u32 v89, v108, v107, v34
	;; [unrolled: 1-line block ×3, first 2 shown]
	v_add_nc_u32_e32 v90, v36, v90
	v_add3_u32 v92, v93, v92, v37
	v_add3_u32 v93, v96, v95, v38
	;; [unrolled: 1-line block ×4, first 2 shown]
	v_lshlrev_b32_e32 v0, 1, v90
	v_lshlrev_b32_e32 v33, 1, v92
	;; [unrolled: 1-line block ×8, first 2 shown]
	ds_store_b16 v0, v78
	ds_store_b16 v33, v79
	;; [unrolled: 1-line block ×8, first 2 shown]
	v_mad_co_u64_u32 v[78:79], null, v90, 6, v[0:1]
	v_mad_co_u64_u32 v[79:80], null, v92, 6, v[33:34]
	;; [unrolled: 1-line block ×5, first 2 shown]
	s_wait_loadcnt_dscnt 0x0
	s_barrier_signal -1
	s_barrier_wait -1
	global_inv scope:SCOPE_SE
	v_mad_co_u64_u32 v[83:84], null, v91, 6, v[37:38]
	ds_load_b128 v[33:36], v86
	v_mad_co_u64_u32 v[37:38], null, v89, 6, v[38:39]
	v_mad_co_u64_u32 v[38:39], null, v88, 6, v[39:40]
	s_wait_loadcnt_dscnt 0x0
	s_barrier_signal -1
	s_barrier_wait -1
	global_inv scope:SCOPE_SE
	ds_store_b64 v78, v[21:22]
	ds_store_b64 v79, v[23:24]
	ds_store_b64 v80, v[29:30]
	ds_store_b64 v81, v[31:32]
	ds_store_b64 v82, v[25:26]
	ds_store_b64 v83, v[27:28]
	ds_store_b64 v37, v[17:18]
	ds_store_b64 v38, v[19:20]
	s_wait_loadcnt_dscnt 0x0
	s_barrier_signal -1
	s_barrier_wait -1
	global_inv scope:SCOPE_SE
	ds_load_b128 v[29:32], v87
	ds_load_b128 v[25:28], v87 offset:16
	ds_load_b128 v[21:24], v87 offset:32
	;; [unrolled: 1-line block ×3, first 2 shown]
	v_xor_b32_e32 v0, 0x80008000, v33
	v_xor_b32_e32 v34, 0x80008000, v34
	;; [unrolled: 1-line block ×4, first 2 shown]
	s_branch .LBB170_131
.LBB170_79:
	v_lshlrev_b64_e32 v[1:2], 3, v[41:42]
	v_dual_mov_b32 v43, v42 :: v_dual_mov_b32 v10, v42
	v_dual_mov_b32 v9, v42 :: v_dual_mov_b32 v12, v42
	v_mov_b32_e32 v11, v42
	s_wait_alu 0xfffe
	s_delay_alu instid0(VALU_DEP_4)
	v_add_co_u32 v1, vcc_lo, s24, v1
	s_wait_alu 0xfffd
	v_add_co_ci_u32_e64 v2, null, s25, v2, vcc_lo
	v_dual_mov_b32 v3, v42 :: v_dual_mov_b32 v6, v42
	v_dual_mov_b32 v5, v42 :: v_dual_mov_b32 v8, v42
	global_load_b64 v[13:14], v[1:2], off
	v_dual_mov_b32 v1, v42 :: v_dual_mov_b32 v4, v42
	v_dual_mov_b32 v2, v42 :: v_dual_mov_b32 v7, v42
	s_or_b32 exec_lo, exec_lo, s1
	s_and_saveexec_b32 s1, s3
	s_cbranch_execz .LBB170_25
.LBB170_80:
	v_mul_lo_u32 v22, s28, v15
	v_mov_b32_e32 v23, 0
	s_delay_alu instid0(VALU_DEP_1) | instskip(SKIP_1) | instid1(VALU_DEP_1)
	v_lshlrev_b64_e32 v[22:23], 3, v[22:23]
	s_wait_alu 0xfffe
	v_add_co_u32 v22, vcc_lo, s24, v22
	s_wait_alu 0xfffd
	s_delay_alu instid0(VALU_DEP_2)
	v_add_co_ci_u32_e64 v23, null, s25, v23, vcc_lo
	global_load_b64 v[42:43], v[22:23], off
	s_or_b32 exec_lo, exec_lo, s1
	s_and_saveexec_b32 s1, s4
	s_cbranch_execz .LBB170_26
.LBB170_81:
	v_mul_lo_u32 v9, s28, v16
	v_mov_b32_e32 v10, 0
	s_delay_alu instid0(VALU_DEP_1) | instskip(SKIP_1) | instid1(VALU_DEP_1)
	v_lshlrev_b64_e32 v[9:10], 3, v[9:10]
	s_wait_alu 0xfffe
	v_add_co_u32 v9, vcc_lo, s24, v9
	s_wait_alu 0xfffd
	s_delay_alu instid0(VALU_DEP_2)
	v_add_co_ci_u32_e64 v10, null, s25, v10, vcc_lo
	global_load_b64 v[9:10], v[9:10], off
	s_or_b32 exec_lo, exec_lo, s1
	s_and_saveexec_b32 s1, s5
	s_cbranch_execz .LBB170_27
.LBB170_82:
	v_mul_lo_u32 v11, s28, v17
	v_mov_b32_e32 v12, 0
	s_delay_alu instid0(VALU_DEP_1) | instskip(SKIP_1) | instid1(VALU_DEP_1)
	v_lshlrev_b64_e32 v[11:12], 3, v[11:12]
	s_wait_alu 0xfffe
	v_add_co_u32 v11, vcc_lo, s24, v11
	s_wait_alu 0xfffd
	s_delay_alu instid0(VALU_DEP_2)
	v_add_co_ci_u32_e64 v12, null, s25, v12, vcc_lo
	global_load_b64 v[11:12], v[11:12], off
	s_or_b32 exec_lo, exec_lo, s1
	s_and_saveexec_b32 s1, s6
	s_cbranch_execz .LBB170_28
.LBB170_83:
	v_mul_lo_u32 v1, s28, v18
	v_mov_b32_e32 v2, 0
	s_delay_alu instid0(VALU_DEP_1) | instskip(SKIP_1) | instid1(VALU_DEP_1)
	v_lshlrev_b64_e32 v[1:2], 3, v[1:2]
	s_wait_alu 0xfffe
	v_add_co_u32 v1, vcc_lo, s24, v1
	s_wait_alu 0xfffd
	s_delay_alu instid0(VALU_DEP_2)
	v_add_co_ci_u32_e64 v2, null, s25, v2, vcc_lo
	global_load_b64 v[1:2], v[1:2], off
	s_or_b32 exec_lo, exec_lo, s1
	s_and_saveexec_b32 s1, s7
	s_cbranch_execz .LBB170_29
.LBB170_84:
	v_mul_lo_u32 v3, s28, v19
	v_mov_b32_e32 v4, 0
	s_delay_alu instid0(VALU_DEP_1) | instskip(SKIP_1) | instid1(VALU_DEP_1)
	v_lshlrev_b64_e32 v[3:4], 3, v[3:4]
	s_wait_alu 0xfffe
	v_add_co_u32 v3, vcc_lo, s24, v3
	s_wait_alu 0xfffd
	s_delay_alu instid0(VALU_DEP_2)
	v_add_co_ci_u32_e64 v4, null, s25, v4, vcc_lo
	global_load_b64 v[3:4], v[3:4], off
	s_or_b32 exec_lo, exec_lo, s1
	s_and_saveexec_b32 s1, s8
	s_cbranch_execnz .LBB170_30
	s_branch .LBB170_31
.LBB170_85:
                                        ; implicit-def: $vgpr33
                                        ; implicit-def: $vgpr34
                                        ; implicit-def: $vgpr0
                                        ; implicit-def: $vgpr19_vgpr20
                                        ; implicit-def: $vgpr23_vgpr24
                                        ; implicit-def: $vgpr27_vgpr28
                                        ; implicit-def: $vgpr31_vgpr32
                                        ; implicit-def: $vgpr35
	s_and_b32 vcc_lo, exec_lo, s1
	s_wait_alu 0xfffe
	s_cbranch_vccz .LBB170_131
; %bb.86:
	s_wait_dscnt 0x0
	v_xor_b32_e32 v17, 0x7fff7fff, v49
	v_xor_b32_e32 v18, 0x7fff7fff, v50
	;; [unrolled: 1-line block ×4, first 2 shown]
	s_getpc_b64 s[10:11]
	s_wait_alu 0xfffe
	s_sext_i32_i16 s11, s11
	s_add_co_u32 s10, s10, _ZN7rocprim17ROCPRIM_400000_NS16block_radix_sortIsLj512ELj8ElLj1ELj1ELj0ELNS0_26block_radix_rank_algorithmE1ELNS0_18block_padding_hintE2ELNS0_4arch9wavefront6targetE0EE19radix_bits_per_passE@rel32@lo+12
	s_wait_alu 0xfffe
	s_add_co_ci_u32 s11, s11, _ZN7rocprim17ROCPRIM_400000_NS16block_radix_sortIsLj512ELj8ElLj1ELj1ELj0ELNS0_26block_radix_rank_algorithmE1ELNS0_18block_padding_hintE2ELNS0_4arch9wavefront6targetE0EE19radix_bits_per_passE@rel32@hi+24
	s_mov_b32 s12, 0
	s_load_b32 s17, s[10:11], 0x0
	s_mov_b32 s13, s12
	ds_store_b128 v77, v[17:20]
	; wave barrier
	ds_load_u16 v25, v68
	s_mov_b32 s14, s12
	s_mov_b32 s15, s12
	v_mad_u32_u24 v0, v76, 6, v77
	ds_load_u16 v26, v68 offset:64
	ds_load_u16 v27, v68 offset:128
	;; [unrolled: 1-line block ×7, first 2 shown]
	s_wait_loadcnt_dscnt 0x0
	s_barrier_signal -1
	s_barrier_wait -1
	global_inv scope:SCOPE_SE
	ds_store_b128 v0, v[5:8]
	ds_store_b128 v0, v[1:4] offset:16
	ds_store_b128 v0, v[13:16] offset:32
	;; [unrolled: 1-line block ×3, first 2 shown]
	; wave barrier
	ds_load_2addr_b64 v[4:7], v75 offset1:32
	ds_load_2addr_b64 v[0:3], v75 offset0:64 offset1:96
	ds_load_2addr_b64 v[12:15], v75 offset0:128 offset1:160
	;; [unrolled: 1-line block ×3, first 2 shown]
	s_wait_kmcnt 0x0
	s_min_u32 s1, s17, 16
	s_wait_loadcnt_dscnt 0x0
	s_lshl_b32 s1, -1, s1
	s_barrier_signal -1
	s_not_b32 s9, s1
	v_and_b32_e32 v17, 0xffff, v25
	s_barrier_wait -1
	global_inv scope:SCOPE_SE
	s_load_b32 s10, s[34:35], 0xc
	v_and_b32_e32 v23, s9, v17
	s_delay_alu instid0(VALU_DEP_1) | instskip(SKIP_3) | instid1(VALU_DEP_4)
	v_and_b32_e32 v16, 1, v23
	v_lshlrev_b32_e32 v17, 30, v23
	v_lshlrev_b32_e32 v20, 28, v23
	;; [unrolled: 1-line block ×3, first 2 shown]
	v_add_co_u32 v16, s1, v16, -1
	s_delay_alu instid0(VALU_DEP_1) | instskip(SKIP_2) | instid1(VALU_DEP_3)
	v_cndmask_b32_e64 v18, 0, 1, s1
	v_not_b32_e32 v19, v17
	v_cmp_gt_i32_e64 s1, 0, v17
	v_cmp_ne_u32_e32 vcc_lo, 0, v18
	v_lshlrev_b32_e32 v18, 29, v23
	s_delay_alu instid0(VALU_DEP_4) | instskip(SKIP_2) | instid1(VALU_DEP_3)
	v_ashrrev_i32_e32 v17, 31, v19
	s_wait_alu 0xfffd
	v_xor_b32_e32 v16, vcc_lo, v16
	v_not_b32_e32 v19, v18
	s_wait_alu 0xf1ff
	v_xor_b32_e32 v17, s1, v17
	v_cmp_gt_i32_e32 vcc_lo, 0, v18
	s_wait_kmcnt 0x0
	s_lshr_b32 s1, s10, 16
	v_and_b32_e32 v16, exec_lo, v16
	v_ashrrev_i32_e32 v18, 31, v19
	v_not_b32_e32 v19, v20
	s_and_b32 s10, s10, 0xffff
	s_delay_alu instid0(VALU_DEP_3)
	v_and_b32_e32 v16, v16, v17
	s_wait_alu 0xfffd
	v_xor_b32_e32 v17, vcc_lo, v18
	v_cmp_gt_i32_e32 vcc_lo, 0, v20
	v_ashrrev_i32_e32 v18, 31, v19
	v_not_b32_e32 v19, v21
	s_delay_alu instid0(VALU_DEP_4)
	v_and_b32_e32 v16, v16, v17
	v_lshlrev_b32_e32 v17, 26, v23
	s_wait_alu 0xfffd
	v_xor_b32_e32 v18, vcc_lo, v18
	v_cmp_gt_i32_e32 vcc_lo, 0, v21
	v_ashrrev_i32_e32 v19, 31, v19
	v_not_b32_e32 v20, v17
	s_delay_alu instid0(VALU_DEP_4)
	v_and_b32_e32 v16, v16, v18
	v_lshlrev_b32_e32 v18, 25, v23
	;; [unrolled: 8-line block ×3, first 2 shown]
	s_wait_alu 0xfffd
	v_xor_b32_e32 v17, vcc_lo, v17
	v_cmp_gt_i32_e32 vcc_lo, 0, v18
	v_ashrrev_i32_e32 v18, 31, v20
	s_wait_alu 0xfffe
	v_mad_u32_u24 v20, v74, s1, v73
	v_not_b32_e32 v21, v19
	v_and_b32_e32 v16, v16, v17
	s_wait_alu 0xfffd
	v_xor_b32_e32 v17, vcc_lo, v18
	v_cmp_gt_i32_e32 vcc_lo, 0, v19
	v_ashrrev_i32_e32 v18, 31, v21
	v_mad_co_u64_u32 v[21:22], null, v20, s10, v[46:47]
	s_delay_alu instid0(VALU_DEP_4) | instskip(SKIP_1) | instid1(VALU_DEP_3)
	v_and_b32_e32 v16, v16, v17
	s_wait_alu 0xfffd
	v_xor_b32_e32 v22, vcc_lo, v18
	v_dual_mov_b32 v20, s15 :: v_dual_mov_b32 v19, s14
	v_dual_mov_b32 v18, s13 :: v_dual_mov_b32 v17, s12
	s_delay_alu instid0(VALU_DEP_3)
	v_and_b32_e32 v16, v16, v22
	v_lshrrev_b32_e32 v21, 5, v21
	ds_store_b128 v67, v[17:20] offset:64
	ds_store_b128 v67, v[17:20] offset:80
	v_mbcnt_lo_u32_b32 v37, v16, 0
	v_lshlrev_b32_e32 v24, 2, v21
	v_lshlrev_b32_e32 v17, 6, v23
	v_cmp_ne_u32_e64 s1, 0, v16
	s_wait_loadcnt_dscnt 0x0
	v_cmp_eq_u32_e32 vcc_lo, 0, v37
	s_barrier_signal -1
	v_add_nc_u32_e32 v38, v24, v17
	s_barrier_wait -1
	global_inv scope:SCOPE_SE
	s_and_b32 s10, s1, vcc_lo
	; wave barrier
	s_wait_alu 0xfffe
	s_and_saveexec_b32 s1, s10
; %bb.87:
	v_bcnt_u32_b32 v16, v16, 0
	ds_store_b32 v38, v16 offset:64
; %bb.88:
	s_wait_alu 0xfffe
	s_or_b32 exec_lo, exec_lo, s1
	v_and_b32_e32 v16, 0xffff, v26
	; wave barrier
	s_delay_alu instid0(VALU_DEP_1) | instskip(NEXT) | instid1(VALU_DEP_1)
	v_and_b32_e32 v16, s9, v16
	v_and_b32_e32 v17, 1, v16
	v_lshlrev_b32_e32 v18, 30, v16
	v_lshlrev_b32_e32 v19, 29, v16
	;; [unrolled: 1-line block ×4, first 2 shown]
	v_add_co_u32 v17, s1, v17, -1
	s_wait_alu 0xf1ff
	v_cndmask_b32_e64 v21, 0, 1, s1
	v_not_b32_e32 v34, v18
	v_cmp_gt_i32_e64 s1, 0, v18
	v_not_b32_e32 v18, v19
	v_lshlrev_b32_e32 v23, 26, v16
	v_cmp_ne_u32_e32 vcc_lo, 0, v21
	v_ashrrev_i32_e32 v34, 31, v34
	v_lshlrev_b32_e32 v33, 25, v16
	v_ashrrev_i32_e32 v18, 31, v18
	v_lshlrev_b32_e32 v21, 24, v16
	s_wait_alu 0xfffd
	v_xor_b32_e32 v17, vcc_lo, v17
	v_cmp_gt_i32_e32 vcc_lo, 0, v19
	v_not_b32_e32 v19, v20
	s_wait_alu 0xf1ff
	v_xor_b32_e32 v34, s1, v34
	v_cmp_gt_i32_e64 s1, 0, v20
	v_and_b32_e32 v17, exec_lo, v17
	v_not_b32_e32 v20, v22
	v_ashrrev_i32_e32 v19, 31, v19
	s_wait_alu 0xfffd
	v_xor_b32_e32 v18, vcc_lo, v18
	v_cmp_gt_i32_e32 vcc_lo, 0, v22
	v_and_b32_e32 v17, v17, v34
	v_not_b32_e32 v22, v23
	v_ashrrev_i32_e32 v20, 31, v20
	s_wait_alu 0xf1ff
	v_xor_b32_e32 v19, s1, v19
	v_cmp_gt_i32_e64 s1, 0, v23
	v_and_b32_e32 v17, v17, v18
	v_not_b32_e32 v18, v33
	v_ashrrev_i32_e32 v22, 31, v22
	s_wait_alu 0xfffd
	v_xor_b32_e32 v20, vcc_lo, v20
	v_cmp_gt_i32_e32 vcc_lo, 0, v33
	v_and_b32_e32 v17, v17, v19
	v_not_b32_e32 v19, v21
	v_ashrrev_i32_e32 v18, 31, v18
	s_wait_alu 0xf1ff
	v_xor_b32_e32 v22, s1, v22
	v_lshlrev_b32_e32 v16, 6, v16
	v_and_b32_e32 v17, v17, v20
	v_cmp_gt_i32_e64 s1, 0, v21
	v_ashrrev_i32_e32 v19, 31, v19
	s_wait_alu 0xfffd
	v_xor_b32_e32 v18, vcc_lo, v18
	v_add_nc_u32_e32 v47, v24, v16
	v_and_b32_e32 v17, v17, v22
	s_wait_alu 0xf1ff
	v_xor_b32_e32 v16, s1, v19
	ds_load_b32 v39, v47 offset:64
	v_and_b32_e32 v17, v17, v18
	; wave barrier
	s_delay_alu instid0(VALU_DEP_1) | instskip(NEXT) | instid1(VALU_DEP_1)
	v_and_b32_e32 v16, v17, v16
	v_mbcnt_lo_u32_b32 v40, v16, 0
	v_cmp_ne_u32_e64 s1, 0, v16
	s_delay_alu instid0(VALU_DEP_2)
	v_cmp_eq_u32_e32 vcc_lo, 0, v40
	s_and_b32 s10, s1, vcc_lo
	s_wait_alu 0xfffe
	s_and_saveexec_b32 s1, s10
	s_cbranch_execz .LBB170_90
; %bb.89:
	s_wait_dscnt 0x0
	v_bcnt_u32_b32 v16, v16, v39
	ds_store_b32 v47, v16 offset:64
.LBB170_90:
	s_wait_alu 0xfffe
	s_or_b32 exec_lo, exec_lo, s1
	v_and_b32_e32 v16, 0xffff, v27
	; wave barrier
	s_delay_alu instid0(VALU_DEP_1) | instskip(NEXT) | instid1(VALU_DEP_1)
	v_and_b32_e32 v16, s9, v16
	v_and_b32_e32 v17, 1, v16
	v_lshlrev_b32_e32 v18, 30, v16
	v_lshlrev_b32_e32 v19, 29, v16
	;; [unrolled: 1-line block ×4, first 2 shown]
	v_add_co_u32 v17, s1, v17, -1
	s_wait_alu 0xf1ff
	v_cndmask_b32_e64 v21, 0, 1, s1
	v_not_b32_e32 v34, v18
	v_cmp_gt_i32_e64 s1, 0, v18
	v_not_b32_e32 v18, v19
	v_lshlrev_b32_e32 v23, 26, v16
	v_cmp_ne_u32_e32 vcc_lo, 0, v21
	v_ashrrev_i32_e32 v34, 31, v34
	v_lshlrev_b32_e32 v33, 25, v16
	v_ashrrev_i32_e32 v18, 31, v18
	v_lshlrev_b32_e32 v21, 24, v16
	s_wait_alu 0xfffd
	v_xor_b32_e32 v17, vcc_lo, v17
	v_cmp_gt_i32_e32 vcc_lo, 0, v19
	v_not_b32_e32 v19, v20
	s_wait_alu 0xf1ff
	v_xor_b32_e32 v34, s1, v34
	v_cmp_gt_i32_e64 s1, 0, v20
	v_and_b32_e32 v17, exec_lo, v17
	v_not_b32_e32 v20, v22
	v_ashrrev_i32_e32 v19, 31, v19
	s_wait_alu 0xfffd
	v_xor_b32_e32 v18, vcc_lo, v18
	v_cmp_gt_i32_e32 vcc_lo, 0, v22
	v_and_b32_e32 v17, v17, v34
	v_not_b32_e32 v22, v23
	v_ashrrev_i32_e32 v20, 31, v20
	s_wait_alu 0xf1ff
	v_xor_b32_e32 v19, s1, v19
	v_cmp_gt_i32_e64 s1, 0, v23
	v_and_b32_e32 v17, v17, v18
	v_not_b32_e32 v18, v33
	v_ashrrev_i32_e32 v22, 31, v22
	s_wait_alu 0xfffd
	v_xor_b32_e32 v20, vcc_lo, v20
	v_cmp_gt_i32_e32 vcc_lo, 0, v33
	v_and_b32_e32 v17, v17, v19
	v_not_b32_e32 v19, v21
	v_ashrrev_i32_e32 v18, 31, v18
	s_wait_alu 0xf1ff
	v_xor_b32_e32 v22, s1, v22
	v_lshlrev_b32_e32 v16, 6, v16
	v_and_b32_e32 v17, v17, v20
	v_cmp_gt_i32_e64 s1, 0, v21
	v_ashrrev_i32_e32 v19, 31, v19
	s_wait_alu 0xfffd
	v_xor_b32_e32 v18, vcc_lo, v18
	v_add_nc_u32_e32 v50, v24, v16
	v_and_b32_e32 v17, v17, v22
	s_wait_alu 0xf1ff
	v_xor_b32_e32 v16, s1, v19
	ds_load_b32 v48, v50 offset:64
	v_and_b32_e32 v17, v17, v18
	; wave barrier
	s_delay_alu instid0(VALU_DEP_1) | instskip(NEXT) | instid1(VALU_DEP_1)
	v_and_b32_e32 v16, v17, v16
	v_mbcnt_lo_u32_b32 v49, v16, 0
	v_cmp_ne_u32_e64 s1, 0, v16
	s_delay_alu instid0(VALU_DEP_2)
	v_cmp_eq_u32_e32 vcc_lo, 0, v49
	s_and_b32 s10, s1, vcc_lo
	s_wait_alu 0xfffe
	s_and_saveexec_b32 s1, s10
	s_cbranch_execz .LBB170_92
; %bb.91:
	s_wait_dscnt 0x0
	v_bcnt_u32_b32 v16, v16, v48
	ds_store_b32 v50, v16 offset:64
.LBB170_92:
	s_wait_alu 0xfffe
	s_or_b32 exec_lo, exec_lo, s1
	v_and_b32_e32 v16, 0xffff, v28
	; wave barrier
	s_delay_alu instid0(VALU_DEP_1) | instskip(NEXT) | instid1(VALU_DEP_1)
	v_and_b32_e32 v16, s9, v16
	v_and_b32_e32 v17, 1, v16
	v_lshlrev_b32_e32 v18, 30, v16
	v_lshlrev_b32_e32 v19, 29, v16
	;; [unrolled: 1-line block ×4, first 2 shown]
	v_add_co_u32 v17, s1, v17, -1
	s_wait_alu 0xf1ff
	v_cndmask_b32_e64 v21, 0, 1, s1
	v_not_b32_e32 v34, v18
	v_cmp_gt_i32_e64 s1, 0, v18
	v_not_b32_e32 v18, v19
	v_lshlrev_b32_e32 v23, 26, v16
	v_cmp_ne_u32_e32 vcc_lo, 0, v21
	v_ashrrev_i32_e32 v34, 31, v34
	v_lshlrev_b32_e32 v33, 25, v16
	v_ashrrev_i32_e32 v18, 31, v18
	v_lshlrev_b32_e32 v21, 24, v16
	s_wait_alu 0xfffd
	v_xor_b32_e32 v17, vcc_lo, v17
	v_cmp_gt_i32_e32 vcc_lo, 0, v19
	v_not_b32_e32 v19, v20
	s_wait_alu 0xf1ff
	v_xor_b32_e32 v34, s1, v34
	v_cmp_gt_i32_e64 s1, 0, v20
	v_and_b32_e32 v17, exec_lo, v17
	v_not_b32_e32 v20, v22
	v_ashrrev_i32_e32 v19, 31, v19
	s_wait_alu 0xfffd
	v_xor_b32_e32 v18, vcc_lo, v18
	v_cmp_gt_i32_e32 vcc_lo, 0, v22
	v_and_b32_e32 v17, v17, v34
	v_not_b32_e32 v22, v23
	v_ashrrev_i32_e32 v20, 31, v20
	s_wait_alu 0xf1ff
	v_xor_b32_e32 v19, s1, v19
	v_cmp_gt_i32_e64 s1, 0, v23
	v_and_b32_e32 v17, v17, v18
	v_not_b32_e32 v18, v33
	v_ashrrev_i32_e32 v22, 31, v22
	s_wait_alu 0xfffd
	v_xor_b32_e32 v20, vcc_lo, v20
	v_cmp_gt_i32_e32 vcc_lo, 0, v33
	v_and_b32_e32 v17, v17, v19
	v_not_b32_e32 v19, v21
	v_ashrrev_i32_e32 v18, 31, v18
	s_wait_alu 0xf1ff
	v_xor_b32_e32 v22, s1, v22
	v_lshlrev_b32_e32 v16, 6, v16
	v_and_b32_e32 v17, v17, v20
	v_cmp_gt_i32_e64 s1, 0, v21
	v_ashrrev_i32_e32 v19, 31, v19
	s_wait_alu 0xfffd
	v_xor_b32_e32 v18, vcc_lo, v18
	v_add_nc_u32_e32 v75, v24, v16
	v_and_b32_e32 v17, v17, v22
	s_wait_alu 0xf1ff
	v_xor_b32_e32 v16, s1, v19
	ds_load_b32 v73, v75 offset:64
	v_and_b32_e32 v17, v17, v18
	; wave barrier
	s_delay_alu instid0(VALU_DEP_1) | instskip(NEXT) | instid1(VALU_DEP_1)
	v_and_b32_e32 v16, v17, v16
	v_mbcnt_lo_u32_b32 v74, v16, 0
	v_cmp_ne_u32_e64 s1, 0, v16
	s_delay_alu instid0(VALU_DEP_2)
	v_cmp_eq_u32_e32 vcc_lo, 0, v74
	s_and_b32 s10, s1, vcc_lo
	s_wait_alu 0xfffe
	s_and_saveexec_b32 s1, s10
	s_cbranch_execz .LBB170_94
; %bb.93:
	s_wait_dscnt 0x0
	v_bcnt_u32_b32 v16, v16, v73
	ds_store_b32 v75, v16 offset:64
.LBB170_94:
	s_wait_alu 0xfffe
	s_or_b32 exec_lo, exec_lo, s1
	v_and_b32_e32 v16, 0xffff, v29
	; wave barrier
	s_delay_alu instid0(VALU_DEP_1) | instskip(NEXT) | instid1(VALU_DEP_1)
	v_and_b32_e32 v16, s9, v16
	v_and_b32_e32 v17, 1, v16
	v_lshlrev_b32_e32 v18, 30, v16
	v_lshlrev_b32_e32 v19, 29, v16
	;; [unrolled: 1-line block ×4, first 2 shown]
	v_add_co_u32 v17, s1, v17, -1
	s_wait_alu 0xf1ff
	v_cndmask_b32_e64 v21, 0, 1, s1
	v_not_b32_e32 v34, v18
	v_cmp_gt_i32_e64 s1, 0, v18
	v_not_b32_e32 v18, v19
	v_lshlrev_b32_e32 v23, 26, v16
	v_cmp_ne_u32_e32 vcc_lo, 0, v21
	v_ashrrev_i32_e32 v34, 31, v34
	v_lshlrev_b32_e32 v33, 25, v16
	v_ashrrev_i32_e32 v18, 31, v18
	v_lshlrev_b32_e32 v21, 24, v16
	s_wait_alu 0xfffd
	v_xor_b32_e32 v17, vcc_lo, v17
	v_cmp_gt_i32_e32 vcc_lo, 0, v19
	v_not_b32_e32 v19, v20
	s_wait_alu 0xf1ff
	v_xor_b32_e32 v34, s1, v34
	v_cmp_gt_i32_e64 s1, 0, v20
	v_and_b32_e32 v17, exec_lo, v17
	v_not_b32_e32 v20, v22
	v_ashrrev_i32_e32 v19, 31, v19
	s_wait_alu 0xfffd
	v_xor_b32_e32 v18, vcc_lo, v18
	v_cmp_gt_i32_e32 vcc_lo, 0, v22
	v_and_b32_e32 v17, v17, v34
	v_not_b32_e32 v22, v23
	v_ashrrev_i32_e32 v20, 31, v20
	s_wait_alu 0xf1ff
	v_xor_b32_e32 v19, s1, v19
	v_cmp_gt_i32_e64 s1, 0, v23
	v_and_b32_e32 v17, v17, v18
	v_not_b32_e32 v18, v33
	v_ashrrev_i32_e32 v22, 31, v22
	s_wait_alu 0xfffd
	v_xor_b32_e32 v20, vcc_lo, v20
	v_cmp_gt_i32_e32 vcc_lo, 0, v33
	v_and_b32_e32 v17, v17, v19
	v_not_b32_e32 v19, v21
	v_ashrrev_i32_e32 v18, 31, v18
	s_wait_alu 0xf1ff
	v_xor_b32_e32 v22, s1, v22
	v_lshlrev_b32_e32 v16, 6, v16
	v_and_b32_e32 v17, v17, v20
	v_cmp_gt_i32_e64 s1, 0, v21
	v_ashrrev_i32_e32 v19, 31, v19
	s_wait_alu 0xfffd
	v_xor_b32_e32 v18, vcc_lo, v18
	v_add_nc_u32_e32 v78, v24, v16
	v_and_b32_e32 v17, v17, v22
	s_wait_alu 0xf1ff
	v_xor_b32_e32 v16, s1, v19
	ds_load_b32 v76, v78 offset:64
	v_and_b32_e32 v17, v17, v18
	; wave barrier
	s_delay_alu instid0(VALU_DEP_1) | instskip(NEXT) | instid1(VALU_DEP_1)
	v_and_b32_e32 v16, v17, v16
	v_mbcnt_lo_u32_b32 v77, v16, 0
	v_cmp_ne_u32_e64 s1, 0, v16
	s_delay_alu instid0(VALU_DEP_2)
	v_cmp_eq_u32_e32 vcc_lo, 0, v77
	s_and_b32 s10, s1, vcc_lo
	s_wait_alu 0xfffe
	s_and_saveexec_b32 s1, s10
	s_cbranch_execz .LBB170_96
; %bb.95:
	s_wait_dscnt 0x0
	v_bcnt_u32_b32 v16, v16, v76
	ds_store_b32 v78, v16 offset:64
.LBB170_96:
	s_wait_alu 0xfffe
	s_or_b32 exec_lo, exec_lo, s1
	v_and_b32_e32 v16, 0xffff, v30
	; wave barrier
	s_delay_alu instid0(VALU_DEP_1) | instskip(NEXT) | instid1(VALU_DEP_1)
	v_and_b32_e32 v16, s9, v16
	v_and_b32_e32 v17, 1, v16
	v_lshlrev_b32_e32 v18, 30, v16
	v_lshlrev_b32_e32 v19, 29, v16
	;; [unrolled: 1-line block ×4, first 2 shown]
	v_add_co_u32 v17, s1, v17, -1
	s_wait_alu 0xf1ff
	v_cndmask_b32_e64 v21, 0, 1, s1
	v_not_b32_e32 v34, v18
	v_cmp_gt_i32_e64 s1, 0, v18
	v_not_b32_e32 v18, v19
	v_lshlrev_b32_e32 v23, 26, v16
	v_cmp_ne_u32_e32 vcc_lo, 0, v21
	v_ashrrev_i32_e32 v34, 31, v34
	v_lshlrev_b32_e32 v33, 25, v16
	v_ashrrev_i32_e32 v18, 31, v18
	v_lshlrev_b32_e32 v21, 24, v16
	s_wait_alu 0xfffd
	v_xor_b32_e32 v17, vcc_lo, v17
	v_cmp_gt_i32_e32 vcc_lo, 0, v19
	v_not_b32_e32 v19, v20
	s_wait_alu 0xf1ff
	v_xor_b32_e32 v34, s1, v34
	v_cmp_gt_i32_e64 s1, 0, v20
	v_and_b32_e32 v17, exec_lo, v17
	v_not_b32_e32 v20, v22
	v_ashrrev_i32_e32 v19, 31, v19
	s_wait_alu 0xfffd
	v_xor_b32_e32 v18, vcc_lo, v18
	v_cmp_gt_i32_e32 vcc_lo, 0, v22
	v_and_b32_e32 v17, v17, v34
	v_not_b32_e32 v22, v23
	v_ashrrev_i32_e32 v20, 31, v20
	s_wait_alu 0xf1ff
	v_xor_b32_e32 v19, s1, v19
	v_cmp_gt_i32_e64 s1, 0, v23
	v_and_b32_e32 v17, v17, v18
	v_not_b32_e32 v18, v33
	v_ashrrev_i32_e32 v22, 31, v22
	s_wait_alu 0xfffd
	v_xor_b32_e32 v20, vcc_lo, v20
	v_cmp_gt_i32_e32 vcc_lo, 0, v33
	v_and_b32_e32 v17, v17, v19
	v_not_b32_e32 v19, v21
	v_ashrrev_i32_e32 v18, 31, v18
	s_wait_alu 0xf1ff
	v_xor_b32_e32 v22, s1, v22
	v_lshlrev_b32_e32 v16, 6, v16
	v_and_b32_e32 v17, v17, v20
	v_cmp_gt_i32_e64 s1, 0, v21
	v_ashrrev_i32_e32 v19, 31, v19
	s_wait_alu 0xfffd
	v_xor_b32_e32 v18, vcc_lo, v18
	v_add_nc_u32_e32 v81, v24, v16
	v_and_b32_e32 v17, v17, v22
	s_wait_alu 0xf1ff
	v_xor_b32_e32 v16, s1, v19
	ds_load_b32 v79, v81 offset:64
	v_and_b32_e32 v17, v17, v18
	; wave barrier
	s_delay_alu instid0(VALU_DEP_1) | instskip(NEXT) | instid1(VALU_DEP_1)
	v_and_b32_e32 v16, v17, v16
	v_mbcnt_lo_u32_b32 v80, v16, 0
	v_cmp_ne_u32_e64 s1, 0, v16
	s_delay_alu instid0(VALU_DEP_2)
	v_cmp_eq_u32_e32 vcc_lo, 0, v80
	s_and_b32 s10, s1, vcc_lo
	s_wait_alu 0xfffe
	s_and_saveexec_b32 s1, s10
	s_cbranch_execz .LBB170_98
; %bb.97:
	s_wait_dscnt 0x0
	v_bcnt_u32_b32 v16, v16, v79
	ds_store_b32 v81, v16 offset:64
.LBB170_98:
	s_wait_alu 0xfffe
	s_or_b32 exec_lo, exec_lo, s1
	v_and_b32_e32 v16, 0xffff, v31
	; wave barrier
	s_delay_alu instid0(VALU_DEP_1) | instskip(NEXT) | instid1(VALU_DEP_1)
	v_and_b32_e32 v16, s9, v16
	v_and_b32_e32 v17, 1, v16
	v_lshlrev_b32_e32 v18, 30, v16
	v_lshlrev_b32_e32 v19, 29, v16
	;; [unrolled: 1-line block ×4, first 2 shown]
	v_add_co_u32 v17, s1, v17, -1
	s_wait_alu 0xf1ff
	v_cndmask_b32_e64 v21, 0, 1, s1
	v_not_b32_e32 v34, v18
	v_cmp_gt_i32_e64 s1, 0, v18
	v_not_b32_e32 v18, v19
	v_lshlrev_b32_e32 v23, 26, v16
	v_cmp_ne_u32_e32 vcc_lo, 0, v21
	v_ashrrev_i32_e32 v34, 31, v34
	v_lshlrev_b32_e32 v33, 25, v16
	v_ashrrev_i32_e32 v18, 31, v18
	v_lshlrev_b32_e32 v21, 24, v16
	s_wait_alu 0xfffd
	v_xor_b32_e32 v17, vcc_lo, v17
	v_cmp_gt_i32_e32 vcc_lo, 0, v19
	v_not_b32_e32 v19, v20
	s_wait_alu 0xf1ff
	v_xor_b32_e32 v34, s1, v34
	v_cmp_gt_i32_e64 s1, 0, v20
	v_and_b32_e32 v17, exec_lo, v17
	v_not_b32_e32 v20, v22
	v_ashrrev_i32_e32 v19, 31, v19
	s_wait_alu 0xfffd
	v_xor_b32_e32 v18, vcc_lo, v18
	v_cmp_gt_i32_e32 vcc_lo, 0, v22
	v_and_b32_e32 v17, v17, v34
	v_not_b32_e32 v22, v23
	v_ashrrev_i32_e32 v20, 31, v20
	s_wait_alu 0xf1ff
	v_xor_b32_e32 v19, s1, v19
	v_cmp_gt_i32_e64 s1, 0, v23
	v_and_b32_e32 v17, v17, v18
	v_not_b32_e32 v18, v33
	v_ashrrev_i32_e32 v22, 31, v22
	s_wait_alu 0xfffd
	v_xor_b32_e32 v20, vcc_lo, v20
	v_cmp_gt_i32_e32 vcc_lo, 0, v33
	v_and_b32_e32 v17, v17, v19
	v_not_b32_e32 v19, v21
	v_ashrrev_i32_e32 v18, 31, v18
	s_wait_alu 0xf1ff
	v_xor_b32_e32 v22, s1, v22
	v_lshlrev_b32_e32 v16, 6, v16
	v_and_b32_e32 v17, v17, v20
	v_cmp_gt_i32_e64 s1, 0, v21
	v_ashrrev_i32_e32 v19, 31, v19
	s_wait_alu 0xfffd
	v_xor_b32_e32 v18, vcc_lo, v18
	v_add_nc_u32_e32 v84, v24, v16
	v_and_b32_e32 v17, v17, v22
	s_wait_alu 0xf1ff
	v_xor_b32_e32 v16, s1, v19
	ds_load_b32 v82, v84 offset:64
	v_and_b32_e32 v17, v17, v18
	; wave barrier
	s_delay_alu instid0(VALU_DEP_1) | instskip(NEXT) | instid1(VALU_DEP_1)
	v_and_b32_e32 v16, v17, v16
	v_mbcnt_lo_u32_b32 v83, v16, 0
	v_cmp_ne_u32_e64 s1, 0, v16
	s_delay_alu instid0(VALU_DEP_2)
	v_cmp_eq_u32_e32 vcc_lo, 0, v83
	s_and_b32 s10, s1, vcc_lo
	s_wait_alu 0xfffe
	s_and_saveexec_b32 s1, s10
	s_cbranch_execz .LBB170_100
; %bb.99:
	s_wait_dscnt 0x0
	v_bcnt_u32_b32 v16, v16, v82
	ds_store_b32 v84, v16 offset:64
.LBB170_100:
	s_wait_alu 0xfffe
	s_or_b32 exec_lo, exec_lo, s1
	v_and_b32_e32 v16, 0xffff, v32
	; wave barrier
	s_delay_alu instid0(VALU_DEP_1) | instskip(NEXT) | instid1(VALU_DEP_1)
	v_and_b32_e32 v16, s9, v16
	v_and_b32_e32 v17, 1, v16
	v_lshlrev_b32_e32 v18, 30, v16
	v_lshlrev_b32_e32 v19, 29, v16
	;; [unrolled: 1-line block ×4, first 2 shown]
	v_add_co_u32 v17, s1, v17, -1
	s_wait_alu 0xf1ff
	v_cndmask_b32_e64 v21, 0, 1, s1
	v_not_b32_e32 v34, v18
	v_cmp_gt_i32_e64 s1, 0, v18
	v_not_b32_e32 v18, v19
	v_lshlrev_b32_e32 v23, 26, v16
	v_cmp_ne_u32_e32 vcc_lo, 0, v21
	v_ashrrev_i32_e32 v34, 31, v34
	v_lshlrev_b32_e32 v33, 25, v16
	v_ashrrev_i32_e32 v18, 31, v18
	v_lshlrev_b32_e32 v21, 24, v16
	s_wait_alu 0xfffd
	v_xor_b32_e32 v17, vcc_lo, v17
	v_cmp_gt_i32_e32 vcc_lo, 0, v19
	v_not_b32_e32 v19, v20
	s_wait_alu 0xf1ff
	v_xor_b32_e32 v34, s1, v34
	v_cmp_gt_i32_e64 s1, 0, v20
	v_and_b32_e32 v17, exec_lo, v17
	v_not_b32_e32 v20, v22
	v_ashrrev_i32_e32 v19, 31, v19
	s_wait_alu 0xfffd
	v_xor_b32_e32 v18, vcc_lo, v18
	v_cmp_gt_i32_e32 vcc_lo, 0, v22
	v_and_b32_e32 v17, v17, v34
	v_not_b32_e32 v22, v23
	v_ashrrev_i32_e32 v20, 31, v20
	s_wait_alu 0xf1ff
	v_xor_b32_e32 v19, s1, v19
	v_cmp_gt_i32_e64 s1, 0, v23
	v_and_b32_e32 v17, v17, v18
	v_not_b32_e32 v18, v33
	v_ashrrev_i32_e32 v22, 31, v22
	s_wait_alu 0xfffd
	v_xor_b32_e32 v20, vcc_lo, v20
	v_cmp_gt_i32_e32 vcc_lo, 0, v33
	v_and_b32_e32 v17, v17, v19
	v_not_b32_e32 v19, v21
	v_ashrrev_i32_e32 v18, 31, v18
	s_wait_alu 0xf1ff
	v_xor_b32_e32 v22, s1, v22
	v_lshlrev_b32_e32 v16, 6, v16
	v_and_b32_e32 v17, v17, v20
	v_cmp_gt_i32_e64 s1, 0, v21
	v_ashrrev_i32_e32 v19, 31, v19
	s_wait_alu 0xfffd
	v_xor_b32_e32 v18, vcc_lo, v18
	v_add_nc_u32_e32 v87, v24, v16
	v_and_b32_e32 v17, v17, v22
	v_min_u32_e32 v33, 0x1e0, v72
	s_wait_alu 0xf1ff
	v_xor_b32_e32 v16, s1, v19
	ds_load_b32 v85, v87 offset:64
	v_and_b32_e32 v17, v17, v18
	; wave barrier
	s_delay_alu instid0(VALU_DEP_1) | instskip(NEXT) | instid1(VALU_DEP_1)
	v_and_b32_e32 v16, v17, v16
	v_mbcnt_lo_u32_b32 v86, v16, 0
	v_cmp_ne_u32_e64 s1, 0, v16
	s_delay_alu instid0(VALU_DEP_2)
	v_cmp_eq_u32_e32 vcc_lo, 0, v86
	s_and_b32 s9, s1, vcc_lo
	s_wait_alu 0xfffe
	s_and_saveexec_b32 s1, s9
	s_cbranch_execz .LBB170_102
; %bb.101:
	s_wait_dscnt 0x0
	v_bcnt_u32_b32 v16, v16, v85
	ds_store_b32 v87, v16 offset:64
.LBB170_102:
	s_wait_alu 0xfffe
	s_or_b32 exec_lo, exec_lo, s1
	; wave barrier
	s_wait_loadcnt_dscnt 0x0
	s_barrier_signal -1
	s_barrier_wait -1
	global_inv scope:SCOPE_SE
	ds_load_b128 v[20:23], v67 offset:64
	ds_load_b128 v[16:19], v67 offset:80
	v_and_b32_e32 v36, 16, v70
	v_or_b32_e32 v33, 31, v33
	s_delay_alu instid0(VALU_DEP_2) | instskip(NEXT) | instid1(VALU_DEP_2)
	v_cmp_eq_u32_e64 s15, 0, v36
	v_cmp_eq_u32_e64 s13, v46, v33
	s_wait_dscnt 0x1
	v_add_nc_u32_e32 v34, v21, v20
	s_delay_alu instid0(VALU_DEP_1) | instskip(SKIP_1) | instid1(VALU_DEP_1)
	v_add3_u32 v34, v34, v22, v23
	s_wait_dscnt 0x0
	v_add3_u32 v34, v34, v16, v17
	s_delay_alu instid0(VALU_DEP_1) | instskip(SKIP_1) | instid1(VALU_DEP_2)
	v_add3_u32 v19, v34, v18, v19
	v_and_b32_e32 v34, 15, v70
	v_mov_b32_dpp v35, v19 row_shr:1 row_mask:0xf bank_mask:0xf
	s_delay_alu instid0(VALU_DEP_2)
	v_cmp_eq_u32_e32 vcc_lo, 0, v34
	v_cmp_lt_u32_e64 s1, 1, v34
	v_cmp_lt_u32_e64 s9, 3, v34
	;; [unrolled: 1-line block ×3, first 2 shown]
	s_wait_alu 0xfffd
	v_cndmask_b32_e64 v35, v35, 0, vcc_lo
	s_delay_alu instid0(VALU_DEP_1) | instskip(NEXT) | instid1(VALU_DEP_1)
	v_add_nc_u32_e32 v19, v35, v19
	v_mov_b32_dpp v35, v19 row_shr:2 row_mask:0xf bank_mask:0xf
	s_wait_alu 0xf1ff
	s_delay_alu instid0(VALU_DEP_1) | instskip(NEXT) | instid1(VALU_DEP_1)
	v_cndmask_b32_e64 v35, 0, v35, s1
	v_add_nc_u32_e32 v19, v19, v35
	s_delay_alu instid0(VALU_DEP_1) | instskip(NEXT) | instid1(VALU_DEP_1)
	v_mov_b32_dpp v35, v19 row_shr:4 row_mask:0xf bank_mask:0xf
	v_cndmask_b32_e64 v35, 0, v35, s9
	s_delay_alu instid0(VALU_DEP_1) | instskip(NEXT) | instid1(VALU_DEP_1)
	v_add_nc_u32_e32 v19, v19, v35
	v_mov_b32_dpp v35, v19 row_shr:8 row_mask:0xf bank_mask:0xf
	s_delay_alu instid0(VALU_DEP_1) | instskip(NEXT) | instid1(VALU_DEP_1)
	v_cndmask_b32_e64 v34, 0, v35, s10
	v_add_nc_u32_e32 v35, v19, v34
	v_bfe_i32 v34, v70, 4, 1
	ds_swizzle_b32 v19, v35 offset:swizzle(BROADCAST,32,15)
	s_wait_dscnt 0x0
	v_and_b32_e32 v72, v34, v19
	v_mul_i32_i24_e32 v19, 0xffffffe4, v46
	v_lshlrev_b32_e32 v34, 2, v69
	s_delay_alu instid0(VALU_DEP_3)
	v_add_nc_u32_e32 v36, v35, v72
	s_and_saveexec_b32 s11, s13
; %bb.103:
	ds_store_b32 v34, v36
; %bb.104:
	s_wait_alu 0xfffe
	s_or_b32 exec_lo, exec_lo, s11
	v_cmp_gt_u32_e64 s12, 16, v46
	v_add_nc_u32_e32 v33, v67, v19
	s_wait_loadcnt_dscnt 0x0
	s_barrier_signal -1
	s_barrier_wait -1
	global_inv scope:SCOPE_SE
	s_and_saveexec_b32 s11, s12
	s_cbranch_execz .LBB170_106
; %bb.105:
	ds_load_b32 v19, v33
	s_wait_dscnt 0x0
	v_mov_b32_dpp v35, v19 row_shr:1 row_mask:0xf bank_mask:0xf
	s_delay_alu instid0(VALU_DEP_1) | instskip(NEXT) | instid1(VALU_DEP_1)
	v_cndmask_b32_e64 v35, v35, 0, vcc_lo
	v_add_nc_u32_e32 v19, v35, v19
	s_delay_alu instid0(VALU_DEP_1) | instskip(NEXT) | instid1(VALU_DEP_1)
	v_mov_b32_dpp v35, v19 row_shr:2 row_mask:0xf bank_mask:0xf
	v_cndmask_b32_e64 v35, 0, v35, s1
	s_delay_alu instid0(VALU_DEP_1) | instskip(NEXT) | instid1(VALU_DEP_1)
	v_add_nc_u32_e32 v19, v19, v35
	v_mov_b32_dpp v35, v19 row_shr:4 row_mask:0xf bank_mask:0xf
	s_delay_alu instid0(VALU_DEP_1) | instskip(NEXT) | instid1(VALU_DEP_1)
	v_cndmask_b32_e64 v35, 0, v35, s9
	v_add_nc_u32_e32 v19, v19, v35
	s_delay_alu instid0(VALU_DEP_1) | instskip(NEXT) | instid1(VALU_DEP_1)
	v_mov_b32_dpp v35, v19 row_shr:8 row_mask:0xf bank_mask:0xf
	v_cndmask_b32_e64 v35, 0, v35, s10
	s_delay_alu instid0(VALU_DEP_1)
	v_add_nc_u32_e32 v19, v19, v35
	ds_store_b32 v33, v19
.LBB170_106:
	s_wait_alu 0xfffe
	s_or_b32 exec_lo, exec_lo, s11
	v_sub_co_u32 v69, s11, v70, 1
	v_mul_u32_u24_e32 v19, 6, v71
	v_cmp_lt_u32_e64 s14, 31, v46
	v_add_nc_u32_e32 v35, -4, v34
	v_mov_b32_e32 v71, 0
	s_wait_loadcnt_dscnt 0x0
	s_barrier_signal -1
	s_barrier_wait -1
	global_inv scope:SCOPE_SE
	s_and_saveexec_b32 s16, s14
; %bb.107:
	ds_load_b32 v71, v35
; %bb.108:
	s_or_b32 exec_lo, exec_lo, s16
	v_cmp_gt_i32_e64 s16, 0, v69
	s_mov_b32 s20, 0
	s_min_u32 s17, s17, 8
	s_mov_b32 s21, s20
	s_mov_b32 s22, s20
	v_cndmask_b32_e64 v69, v69, v70, s16
	s_mov_b32 s23, s20
	s_wait_dscnt 0x0
	v_add_nc_u32_e32 v70, v71, v36
	v_cmp_eq_u32_e64 s16, 0, v46
	s_lshl_b32 s17, -1, s17
	v_lshlrev_b32_e32 v36, 2, v69
	s_wait_alu 0xfffe
	s_not_b32 s19, s17
	ds_bpermute_b32 v69, v36, v70
	s_wait_dscnt 0x0
	v_cndmask_b32_e64 v69, v69, v71, s11
	s_delay_alu instid0(VALU_DEP_1) | instskip(NEXT) | instid1(VALU_DEP_1)
	v_cndmask_b32_e64 v69, v69, 0, s16
	v_add_nc_u32_e32 v70, v69, v20
	s_delay_alu instid0(VALU_DEP_1) | instskip(NEXT) | instid1(VALU_DEP_1)
	v_add_nc_u32_e32 v71, v70, v21
	v_add_nc_u32_e32 v72, v71, v22
	s_delay_alu instid0(VALU_DEP_1) | instskip(NEXT) | instid1(VALU_DEP_1)
	v_add_nc_u32_e32 v20, v72, v23
	;; [unrolled: 3-line block ×3, first 2 shown]
	v_add_nc_u32_e32 v23, v22, v18
	ds_store_b128 v67, v[69:72] offset:64
	ds_store_b128 v67, v[20:23] offset:80
	s_wait_loadcnt_dscnt 0x0
	s_barrier_signal -1
	s_barrier_wait -1
	global_inv scope:SCOPE_SE
	ds_load_b32 v16, v38 offset:64
	ds_load_b32 v17, v47 offset:64
	;; [unrolled: 1-line block ×8, first 2 shown]
	v_add_nc_u32_e32 v47, v68, v19
	s_wait_loadcnt_dscnt 0x0
	s_barrier_signal -1
	s_barrier_wait -1
	global_inv scope:SCOPE_SE
	v_add_nc_u32_e32 v37, v16, v37
	v_add3_u32 v39, v40, v39, v17
	v_add3_u32 v40, v49, v48, v18
	;; [unrolled: 1-line block ×7, first 2 shown]
	v_lshlrev_b32_e32 v16, 1, v37
	v_lshlrev_b32_e32 v17, 1, v39
	;; [unrolled: 1-line block ×8, first 2 shown]
	ds_store_b16 v16, v25
	ds_store_b16 v17, v26
	ds_store_b16 v18, v27
	ds_store_b16 v19, v28
	ds_store_b16 v20, v29
	ds_store_b16 v21, v30
	ds_store_b16 v22, v31
	ds_store_b16 v23, v32
	s_wait_loadcnt_dscnt 0x0
	s_barrier_signal -1
	s_barrier_wait -1
	global_inv scope:SCOPE_SE
	ds_load_u16 v25, v68
	ds_load_u16 v26, v68 offset:64
	ds_load_u16 v27, v68 offset:128
	;; [unrolled: 1-line block ×7, first 2 shown]
	v_mad_co_u64_u32 v[37:38], null, v37, 6, v[16:17]
	v_mad_co_u64_u32 v[16:17], null, v39, 6, v[17:18]
	;; [unrolled: 1-line block ×3, first 2 shown]
	s_wait_loadcnt_dscnt 0x0
	s_barrier_signal -1
	s_barrier_wait -1
	global_inv scope:SCOPE_SE
	v_mad_co_u64_u32 v[18:19], null, v48, 6, v[19:20]
	v_lshrrev_b16 v38, 8, v25
	ds_store_b64 v37, v[4:5]
	v_mad_co_u64_u32 v[19:20], null, v49, 6, v[20:21]
	v_mad_co_u64_u32 v[20:21], null, v50, 6, v[21:22]
	v_and_b32_e32 v4, 0xffff, v38
	v_mad_co_u64_u32 v[21:22], null, v69, 6, v[22:23]
	v_mad_co_u64_u32 v[22:23], null, v70, 6, v[23:24]
	s_delay_alu instid0(VALU_DEP_3)
	v_and_b32_e32 v23, s19, v4
	ds_store_b64 v16, v[6:7]
	ds_store_b64 v17, v[0:1]
	;; [unrolled: 1-line block ×7, first 2 shown]
	v_and_b32_e32 v0, 1, v23
	v_lshlrev_b32_e32 v1, 30, v23
	v_lshlrev_b32_e32 v2, 29, v23
	v_lshlrev_b32_e32 v3, 28, v23
	v_lshlrev_b32_e32 v5, 27, v23
	v_add_co_u32 v0, s17, v0, -1
	s_wait_alu 0xf1ff
	v_cndmask_b32_e64 v4, 0, 1, s17
	v_not_b32_e32 v8, v1
	v_cmp_gt_i32_e64 s18, 0, v1
	v_not_b32_e32 v1, v2
	v_lshlrev_b32_e32 v6, 26, v23
	v_cmp_ne_u32_e64 s17, 0, v4
	v_ashrrev_i32_e32 v8, 31, v8
	v_lshlrev_b32_e32 v7, 25, v23
	v_ashrrev_i32_e32 v1, 31, v1
	v_lshlrev_b32_e32 v4, 24, v23
	s_wait_alu 0xf1ff
	v_xor_b32_e32 v0, s17, v0
	v_cmp_gt_i32_e64 s17, 0, v2
	v_not_b32_e32 v2, v3
	v_xor_b32_e32 v8, s18, v8
	v_cmp_gt_i32_e64 s18, 0, v3
	v_and_b32_e32 v0, exec_lo, v0
	v_not_b32_e32 v3, v5
	v_ashrrev_i32_e32 v2, 31, v2
	s_wait_alu 0xf1ff
	v_xor_b32_e32 v1, s17, v1
	v_cmp_gt_i32_e64 s17, 0, v5
	v_and_b32_e32 v0, v0, v8
	v_not_b32_e32 v5, v6
	v_ashrrev_i32_e32 v3, 31, v3
	v_xor_b32_e32 v2, s18, v2
	v_cmp_gt_i32_e64 s18, 0, v6
	v_and_b32_e32 v0, v0, v1
	v_not_b32_e32 v1, v7
	v_ashrrev_i32_e32 v5, 31, v5
	s_wait_alu 0xf1ff
	v_xor_b32_e32 v3, s17, v3
	v_cmp_gt_i32_e64 s17, 0, v7
	v_and_b32_e32 v0, v0, v2
	v_not_b32_e32 v2, v4
	v_ashrrev_i32_e32 v1, 31, v1
	v_xor_b32_e32 v5, s18, v5
	v_cmp_gt_i32_e64 s18, 0, v4
	v_and_b32_e32 v0, v0, v3
	v_ashrrev_i32_e32 v2, 31, v2
	s_wait_alu 0xf1ff
	v_xor_b32_e32 v1, s17, v1
	s_wait_loadcnt_dscnt 0x0
	s_barrier_signal -1
	v_and_b32_e32 v0, v0, v5
	v_xor_b32_e32 v16, s18, v2
	s_barrier_wait -1
	global_inv scope:SCOPE_SE
	ds_load_2addr_b64 v[4:7], v47 offset1:32
	v_and_b32_e32 v21, v0, v1
	ds_load_2addr_b64 v[12:15], v47 offset0:64 offset1:96
	ds_load_2addr_b64 v[8:11], v47 offset0:128 offset1:160
	;; [unrolled: 1-line block ×3, first 2 shown]
	v_dual_mov_b32 v17, s20 :: v_dual_mov_b32 v18, s21
	v_dual_mov_b32 v19, s22 :: v_dual_and_b32 v16, v21, v16
	v_mov_b32_e32 v20, s23
	v_lshl_add_u32 v38, v23, 6, v24
	s_wait_loadcnt_dscnt 0x0
	s_barrier_signal -1
	v_mbcnt_lo_u32_b32 v37, v16, 0
	v_cmp_ne_u32_e64 s18, 0, v16
	s_barrier_wait -1
	global_inv scope:SCOPE_SE
	ds_store_b128 v67, v[17:20] offset:64
	ds_store_b128 v67, v[17:20] offset:80
	v_cmp_eq_u32_e64 s17, 0, v37
	s_wait_loadcnt_dscnt 0x0
	s_barrier_signal -1
	s_barrier_wait -1
	global_inv scope:SCOPE_SE
	s_and_b32 s18, s18, s17
	; wave barrier
	s_wait_alu 0xfffe
	s_and_saveexec_b32 s17, s18
; %bb.109:
	v_bcnt_u32_b32 v16, v16, 0
	ds_store_b32 v38, v16 offset:64
; %bb.110:
	s_wait_alu 0xfffe
	s_or_b32 exec_lo, exec_lo, s17
	v_lshrrev_b16 v16, 8, v26
	; wave barrier
	s_delay_alu instid0(VALU_DEP_1) | instskip(NEXT) | instid1(VALU_DEP_1)
	v_and_b32_e32 v16, s19, v16
	v_and_b32_e32 v17, 1, v16
	v_lshlrev_b32_e32 v18, 30, v16
	v_lshlrev_b32_e32 v19, 29, v16
	;; [unrolled: 1-line block ×4, first 2 shown]
	v_add_co_u32 v17, s17, v17, -1
	s_wait_alu 0xf1ff
	v_cndmask_b32_e64 v21, 0, 1, s17
	v_not_b32_e32 v40, v18
	v_cmp_gt_i32_e64 s18, 0, v18
	v_not_b32_e32 v18, v19
	v_lshlrev_b32_e32 v23, 26, v16
	v_cmp_ne_u32_e64 s17, 0, v21
	v_ashrrev_i32_e32 v40, 31, v40
	v_lshlrev_b32_e32 v39, 25, v16
	v_ashrrev_i32_e32 v18, 31, v18
	v_lshlrev_b32_e32 v21, 24, v16
	s_wait_alu 0xf1ff
	v_xor_b32_e32 v17, s17, v17
	v_cmp_gt_i32_e64 s17, 0, v19
	v_not_b32_e32 v19, v20
	v_xor_b32_e32 v40, s18, v40
	v_cmp_gt_i32_e64 s18, 0, v20
	v_and_b32_e32 v17, exec_lo, v17
	v_not_b32_e32 v20, v22
	v_ashrrev_i32_e32 v19, 31, v19
	s_wait_alu 0xf1ff
	v_xor_b32_e32 v18, s17, v18
	v_cmp_gt_i32_e64 s17, 0, v22
	v_and_b32_e32 v17, v17, v40
	v_not_b32_e32 v22, v23
	v_ashrrev_i32_e32 v20, 31, v20
	v_xor_b32_e32 v19, s18, v19
	v_cmp_gt_i32_e64 s18, 0, v23
	v_and_b32_e32 v17, v17, v18
	v_not_b32_e32 v18, v39
	v_ashrrev_i32_e32 v22, 31, v22
	s_wait_alu 0xf1ff
	v_xor_b32_e32 v20, s17, v20
	v_cmp_gt_i32_e64 s17, 0, v39
	v_and_b32_e32 v17, v17, v19
	v_not_b32_e32 v19, v21
	v_ashrrev_i32_e32 v18, 31, v18
	v_xor_b32_e32 v22, s18, v22
	v_cmp_gt_i32_e64 s18, 0, v21
	v_and_b32_e32 v17, v17, v20
	v_ashrrev_i32_e32 v19, 31, v19
	s_wait_alu 0xf1ff
	v_xor_b32_e32 v18, s17, v18
	v_lshl_add_u32 v47, v16, 6, v24
	v_and_b32_e32 v17, v17, v22
	v_xor_b32_e32 v16, s18, v19
	ds_load_b32 v39, v47 offset:64
	v_and_b32_e32 v17, v17, v18
	; wave barrier
	s_delay_alu instid0(VALU_DEP_1) | instskip(NEXT) | instid1(VALU_DEP_1)
	v_and_b32_e32 v16, v17, v16
	v_mbcnt_lo_u32_b32 v40, v16, 0
	v_cmp_ne_u32_e64 s18, 0, v16
	s_delay_alu instid0(VALU_DEP_2)
	v_cmp_eq_u32_e64 s17, 0, v40
	s_and_b32 s18, s18, s17
	s_wait_alu 0xfffe
	s_and_saveexec_b32 s17, s18
	s_cbranch_execz .LBB170_112
; %bb.111:
	s_wait_dscnt 0x0
	v_bcnt_u32_b32 v16, v16, v39
	ds_store_b32 v47, v16 offset:64
.LBB170_112:
	s_wait_alu 0xfffe
	s_or_b32 exec_lo, exec_lo, s17
	v_lshrrev_b16 v16, 8, v27
	; wave barrier
	s_delay_alu instid0(VALU_DEP_1) | instskip(NEXT) | instid1(VALU_DEP_1)
	v_and_b32_e32 v16, s19, v16
	v_and_b32_e32 v17, 1, v16
	v_lshlrev_b32_e32 v18, 30, v16
	v_lshlrev_b32_e32 v19, 29, v16
	;; [unrolled: 1-line block ×4, first 2 shown]
	v_add_co_u32 v17, s17, v17, -1
	s_wait_alu 0xf1ff
	v_cndmask_b32_e64 v21, 0, 1, s17
	v_not_b32_e32 v49, v18
	v_cmp_gt_i32_e64 s18, 0, v18
	v_not_b32_e32 v18, v19
	v_lshlrev_b32_e32 v23, 26, v16
	v_cmp_ne_u32_e64 s17, 0, v21
	v_ashrrev_i32_e32 v49, 31, v49
	v_lshlrev_b32_e32 v48, 25, v16
	v_ashrrev_i32_e32 v18, 31, v18
	v_lshlrev_b32_e32 v21, 24, v16
	s_wait_alu 0xf1ff
	v_xor_b32_e32 v17, s17, v17
	v_cmp_gt_i32_e64 s17, 0, v19
	v_not_b32_e32 v19, v20
	v_xor_b32_e32 v49, s18, v49
	v_cmp_gt_i32_e64 s18, 0, v20
	v_and_b32_e32 v17, exec_lo, v17
	v_not_b32_e32 v20, v22
	v_ashrrev_i32_e32 v19, 31, v19
	s_wait_alu 0xf1ff
	v_xor_b32_e32 v18, s17, v18
	v_cmp_gt_i32_e64 s17, 0, v22
	v_and_b32_e32 v17, v17, v49
	v_not_b32_e32 v22, v23
	v_ashrrev_i32_e32 v20, 31, v20
	v_xor_b32_e32 v19, s18, v19
	v_cmp_gt_i32_e64 s18, 0, v23
	v_and_b32_e32 v17, v17, v18
	v_not_b32_e32 v18, v48
	v_ashrrev_i32_e32 v22, 31, v22
	s_wait_alu 0xf1ff
	v_xor_b32_e32 v20, s17, v20
	v_cmp_gt_i32_e64 s17, 0, v48
	v_and_b32_e32 v17, v17, v19
	v_not_b32_e32 v19, v21
	v_ashrrev_i32_e32 v18, 31, v18
	v_xor_b32_e32 v22, s18, v22
	v_cmp_gt_i32_e64 s18, 0, v21
	v_and_b32_e32 v17, v17, v20
	v_ashrrev_i32_e32 v19, 31, v19
	s_wait_alu 0xf1ff
	v_xor_b32_e32 v18, s17, v18
	v_lshl_add_u32 v50, v16, 6, v24
	v_and_b32_e32 v17, v17, v22
	v_xor_b32_e32 v16, s18, v19
	ds_load_b32 v48, v50 offset:64
	v_and_b32_e32 v17, v17, v18
	; wave barrier
	s_delay_alu instid0(VALU_DEP_1) | instskip(NEXT) | instid1(VALU_DEP_1)
	v_and_b32_e32 v16, v17, v16
	v_mbcnt_lo_u32_b32 v49, v16, 0
	v_cmp_ne_u32_e64 s18, 0, v16
	s_delay_alu instid0(VALU_DEP_2)
	v_cmp_eq_u32_e64 s17, 0, v49
	s_and_b32 s18, s18, s17
	s_wait_alu 0xfffe
	s_and_saveexec_b32 s17, s18
	s_cbranch_execz .LBB170_114
; %bb.113:
	s_wait_dscnt 0x0
	v_bcnt_u32_b32 v16, v16, v48
	ds_store_b32 v50, v16 offset:64
.LBB170_114:
	s_wait_alu 0xfffe
	s_or_b32 exec_lo, exec_lo, s17
	v_lshrrev_b16 v16, 8, v28
	; wave barrier
	s_delay_alu instid0(VALU_DEP_1) | instskip(NEXT) | instid1(VALU_DEP_1)
	v_and_b32_e32 v16, s19, v16
	v_and_b32_e32 v17, 1, v16
	v_lshlrev_b32_e32 v18, 30, v16
	v_lshlrev_b32_e32 v19, 29, v16
	;; [unrolled: 1-line block ×4, first 2 shown]
	v_add_co_u32 v17, s17, v17, -1
	s_wait_alu 0xf1ff
	v_cndmask_b32_e64 v21, 0, 1, s17
	v_not_b32_e32 v69, v18
	v_cmp_gt_i32_e64 s18, 0, v18
	v_not_b32_e32 v18, v19
	v_lshlrev_b32_e32 v23, 26, v16
	v_cmp_ne_u32_e64 s17, 0, v21
	v_ashrrev_i32_e32 v69, 31, v69
	v_lshlrev_b32_e32 v68, 25, v16
	v_ashrrev_i32_e32 v18, 31, v18
	v_lshlrev_b32_e32 v21, 24, v16
	s_wait_alu 0xf1ff
	v_xor_b32_e32 v17, s17, v17
	v_cmp_gt_i32_e64 s17, 0, v19
	v_not_b32_e32 v19, v20
	v_xor_b32_e32 v69, s18, v69
	v_cmp_gt_i32_e64 s18, 0, v20
	v_and_b32_e32 v17, exec_lo, v17
	v_not_b32_e32 v20, v22
	v_ashrrev_i32_e32 v19, 31, v19
	s_wait_alu 0xf1ff
	v_xor_b32_e32 v18, s17, v18
	v_cmp_gt_i32_e64 s17, 0, v22
	v_and_b32_e32 v17, v17, v69
	v_not_b32_e32 v22, v23
	v_ashrrev_i32_e32 v20, 31, v20
	v_xor_b32_e32 v19, s18, v19
	v_cmp_gt_i32_e64 s18, 0, v23
	v_and_b32_e32 v17, v17, v18
	v_not_b32_e32 v18, v68
	v_ashrrev_i32_e32 v22, 31, v22
	s_wait_alu 0xf1ff
	v_xor_b32_e32 v20, s17, v20
	v_cmp_gt_i32_e64 s17, 0, v68
	v_and_b32_e32 v17, v17, v19
	v_not_b32_e32 v19, v21
	v_ashrrev_i32_e32 v18, 31, v18
	v_xor_b32_e32 v22, s18, v22
	v_cmp_gt_i32_e64 s18, 0, v21
	v_and_b32_e32 v17, v17, v20
	v_ashrrev_i32_e32 v19, 31, v19
	s_wait_alu 0xf1ff
	v_xor_b32_e32 v18, s17, v18
	v_lshl_add_u32 v70, v16, 6, v24
	v_and_b32_e32 v17, v17, v22
	v_xor_b32_e32 v16, s18, v19
	ds_load_b32 v68, v70 offset:64
	v_and_b32_e32 v17, v17, v18
	; wave barrier
	s_delay_alu instid0(VALU_DEP_1) | instskip(NEXT) | instid1(VALU_DEP_1)
	v_and_b32_e32 v16, v17, v16
	v_mbcnt_lo_u32_b32 v69, v16, 0
	v_cmp_ne_u32_e64 s18, 0, v16
	s_delay_alu instid0(VALU_DEP_2)
	v_cmp_eq_u32_e64 s17, 0, v69
	s_and_b32 s18, s18, s17
	s_wait_alu 0xfffe
	s_and_saveexec_b32 s17, s18
	s_cbranch_execz .LBB170_116
; %bb.115:
	s_wait_dscnt 0x0
	v_bcnt_u32_b32 v16, v16, v68
	ds_store_b32 v70, v16 offset:64
.LBB170_116:
	s_wait_alu 0xfffe
	s_or_b32 exec_lo, exec_lo, s17
	v_lshrrev_b16 v16, 8, v29
	; wave barrier
	s_delay_alu instid0(VALU_DEP_1) | instskip(NEXT) | instid1(VALU_DEP_1)
	v_and_b32_e32 v16, s19, v16
	v_and_b32_e32 v17, 1, v16
	v_lshlrev_b32_e32 v18, 30, v16
	v_lshlrev_b32_e32 v19, 29, v16
	;; [unrolled: 1-line block ×4, first 2 shown]
	v_add_co_u32 v17, s17, v17, -1
	s_wait_alu 0xf1ff
	v_cndmask_b32_e64 v21, 0, 1, s17
	v_not_b32_e32 v72, v18
	v_cmp_gt_i32_e64 s18, 0, v18
	v_not_b32_e32 v18, v19
	v_lshlrev_b32_e32 v23, 26, v16
	v_cmp_ne_u32_e64 s17, 0, v21
	v_ashrrev_i32_e32 v72, 31, v72
	v_lshlrev_b32_e32 v71, 25, v16
	v_ashrrev_i32_e32 v18, 31, v18
	v_lshlrev_b32_e32 v21, 24, v16
	s_wait_alu 0xf1ff
	v_xor_b32_e32 v17, s17, v17
	v_cmp_gt_i32_e64 s17, 0, v19
	v_not_b32_e32 v19, v20
	v_xor_b32_e32 v72, s18, v72
	v_cmp_gt_i32_e64 s18, 0, v20
	v_and_b32_e32 v17, exec_lo, v17
	v_not_b32_e32 v20, v22
	v_ashrrev_i32_e32 v19, 31, v19
	s_wait_alu 0xf1ff
	v_xor_b32_e32 v18, s17, v18
	v_cmp_gt_i32_e64 s17, 0, v22
	v_and_b32_e32 v17, v17, v72
	v_not_b32_e32 v22, v23
	v_ashrrev_i32_e32 v20, 31, v20
	v_xor_b32_e32 v19, s18, v19
	v_cmp_gt_i32_e64 s18, 0, v23
	v_and_b32_e32 v17, v17, v18
	v_not_b32_e32 v18, v71
	v_ashrrev_i32_e32 v22, 31, v22
	s_wait_alu 0xf1ff
	v_xor_b32_e32 v20, s17, v20
	v_cmp_gt_i32_e64 s17, 0, v71
	v_and_b32_e32 v17, v17, v19
	v_not_b32_e32 v19, v21
	v_ashrrev_i32_e32 v18, 31, v18
	v_xor_b32_e32 v22, s18, v22
	v_cmp_gt_i32_e64 s18, 0, v21
	v_and_b32_e32 v17, v17, v20
	v_ashrrev_i32_e32 v19, 31, v19
	s_wait_alu 0xf1ff
	v_xor_b32_e32 v18, s17, v18
	v_lshl_add_u32 v73, v16, 6, v24
	v_and_b32_e32 v17, v17, v22
	v_xor_b32_e32 v16, s18, v19
	ds_load_b32 v71, v73 offset:64
	v_and_b32_e32 v17, v17, v18
	; wave barrier
	s_delay_alu instid0(VALU_DEP_1) | instskip(NEXT) | instid1(VALU_DEP_1)
	v_and_b32_e32 v16, v17, v16
	v_mbcnt_lo_u32_b32 v72, v16, 0
	v_cmp_ne_u32_e64 s18, 0, v16
	s_delay_alu instid0(VALU_DEP_2)
	v_cmp_eq_u32_e64 s17, 0, v72
	s_and_b32 s18, s18, s17
	s_wait_alu 0xfffe
	s_and_saveexec_b32 s17, s18
	s_cbranch_execz .LBB170_118
; %bb.117:
	s_wait_dscnt 0x0
	v_bcnt_u32_b32 v16, v16, v71
	ds_store_b32 v73, v16 offset:64
.LBB170_118:
	s_wait_alu 0xfffe
	s_or_b32 exec_lo, exec_lo, s17
	v_lshrrev_b16 v16, 8, v30
	; wave barrier
	s_delay_alu instid0(VALU_DEP_1) | instskip(NEXT) | instid1(VALU_DEP_1)
	v_and_b32_e32 v16, s19, v16
	v_and_b32_e32 v17, 1, v16
	v_lshlrev_b32_e32 v18, 30, v16
	v_lshlrev_b32_e32 v19, 29, v16
	;; [unrolled: 1-line block ×4, first 2 shown]
	v_add_co_u32 v17, s17, v17, -1
	s_wait_alu 0xf1ff
	v_cndmask_b32_e64 v21, 0, 1, s17
	v_not_b32_e32 v75, v18
	v_cmp_gt_i32_e64 s18, 0, v18
	v_not_b32_e32 v18, v19
	v_lshlrev_b32_e32 v23, 26, v16
	v_cmp_ne_u32_e64 s17, 0, v21
	v_ashrrev_i32_e32 v75, 31, v75
	v_lshlrev_b32_e32 v74, 25, v16
	v_ashrrev_i32_e32 v18, 31, v18
	v_lshlrev_b32_e32 v21, 24, v16
	s_wait_alu 0xf1ff
	v_xor_b32_e32 v17, s17, v17
	v_cmp_gt_i32_e64 s17, 0, v19
	v_not_b32_e32 v19, v20
	v_xor_b32_e32 v75, s18, v75
	v_cmp_gt_i32_e64 s18, 0, v20
	v_and_b32_e32 v17, exec_lo, v17
	v_not_b32_e32 v20, v22
	v_ashrrev_i32_e32 v19, 31, v19
	s_wait_alu 0xf1ff
	v_xor_b32_e32 v18, s17, v18
	v_cmp_gt_i32_e64 s17, 0, v22
	v_and_b32_e32 v17, v17, v75
	v_not_b32_e32 v22, v23
	v_ashrrev_i32_e32 v20, 31, v20
	v_xor_b32_e32 v19, s18, v19
	v_cmp_gt_i32_e64 s18, 0, v23
	v_and_b32_e32 v17, v17, v18
	v_not_b32_e32 v18, v74
	v_ashrrev_i32_e32 v22, 31, v22
	s_wait_alu 0xf1ff
	v_xor_b32_e32 v20, s17, v20
	v_cmp_gt_i32_e64 s17, 0, v74
	v_and_b32_e32 v17, v17, v19
	v_not_b32_e32 v19, v21
	v_ashrrev_i32_e32 v18, 31, v18
	v_xor_b32_e32 v22, s18, v22
	v_cmp_gt_i32_e64 s18, 0, v21
	v_and_b32_e32 v17, v17, v20
	v_ashrrev_i32_e32 v19, 31, v19
	s_wait_alu 0xf1ff
	v_xor_b32_e32 v18, s17, v18
	v_lshl_add_u32 v76, v16, 6, v24
	v_and_b32_e32 v17, v17, v22
	v_xor_b32_e32 v16, s18, v19
	ds_load_b32 v74, v76 offset:64
	v_and_b32_e32 v17, v17, v18
	; wave barrier
	s_delay_alu instid0(VALU_DEP_1) | instskip(NEXT) | instid1(VALU_DEP_1)
	v_and_b32_e32 v16, v17, v16
	v_mbcnt_lo_u32_b32 v75, v16, 0
	v_cmp_ne_u32_e64 s18, 0, v16
	s_delay_alu instid0(VALU_DEP_2)
	v_cmp_eq_u32_e64 s17, 0, v75
	s_and_b32 s18, s18, s17
	s_wait_alu 0xfffe
	s_and_saveexec_b32 s17, s18
	s_cbranch_execz .LBB170_120
; %bb.119:
	s_wait_dscnt 0x0
	v_bcnt_u32_b32 v16, v16, v74
	ds_store_b32 v76, v16 offset:64
.LBB170_120:
	s_wait_alu 0xfffe
	s_or_b32 exec_lo, exec_lo, s17
	v_lshrrev_b16 v16, 8, v31
	; wave barrier
	s_delay_alu instid0(VALU_DEP_1) | instskip(NEXT) | instid1(VALU_DEP_1)
	v_and_b32_e32 v16, s19, v16
	v_and_b32_e32 v17, 1, v16
	v_lshlrev_b32_e32 v18, 30, v16
	v_lshlrev_b32_e32 v19, 29, v16
	;; [unrolled: 1-line block ×4, first 2 shown]
	v_add_co_u32 v17, s17, v17, -1
	s_wait_alu 0xf1ff
	v_cndmask_b32_e64 v21, 0, 1, s17
	v_not_b32_e32 v78, v18
	v_cmp_gt_i32_e64 s18, 0, v18
	v_not_b32_e32 v18, v19
	v_lshlrev_b32_e32 v23, 26, v16
	v_cmp_ne_u32_e64 s17, 0, v21
	v_ashrrev_i32_e32 v78, 31, v78
	v_lshlrev_b32_e32 v77, 25, v16
	v_ashrrev_i32_e32 v18, 31, v18
	v_lshlrev_b32_e32 v21, 24, v16
	s_wait_alu 0xf1ff
	v_xor_b32_e32 v17, s17, v17
	v_cmp_gt_i32_e64 s17, 0, v19
	v_not_b32_e32 v19, v20
	v_xor_b32_e32 v78, s18, v78
	v_cmp_gt_i32_e64 s18, 0, v20
	v_and_b32_e32 v17, exec_lo, v17
	v_not_b32_e32 v20, v22
	v_ashrrev_i32_e32 v19, 31, v19
	s_wait_alu 0xf1ff
	v_xor_b32_e32 v18, s17, v18
	v_cmp_gt_i32_e64 s17, 0, v22
	v_and_b32_e32 v17, v17, v78
	v_not_b32_e32 v22, v23
	v_ashrrev_i32_e32 v20, 31, v20
	v_xor_b32_e32 v19, s18, v19
	v_cmp_gt_i32_e64 s18, 0, v23
	v_and_b32_e32 v17, v17, v18
	v_not_b32_e32 v18, v77
	v_ashrrev_i32_e32 v22, 31, v22
	s_wait_alu 0xf1ff
	v_xor_b32_e32 v20, s17, v20
	v_cmp_gt_i32_e64 s17, 0, v77
	v_and_b32_e32 v17, v17, v19
	v_not_b32_e32 v19, v21
	v_ashrrev_i32_e32 v18, 31, v18
	v_xor_b32_e32 v22, s18, v22
	v_cmp_gt_i32_e64 s18, 0, v21
	v_and_b32_e32 v17, v17, v20
	v_ashrrev_i32_e32 v19, 31, v19
	s_wait_alu 0xf1ff
	v_xor_b32_e32 v18, s17, v18
	v_lshl_add_u32 v79, v16, 6, v24
	v_and_b32_e32 v17, v17, v22
	v_xor_b32_e32 v16, s18, v19
	ds_load_b32 v77, v79 offset:64
	v_and_b32_e32 v17, v17, v18
	; wave barrier
	s_delay_alu instid0(VALU_DEP_1) | instskip(NEXT) | instid1(VALU_DEP_1)
	v_and_b32_e32 v16, v17, v16
	v_mbcnt_lo_u32_b32 v78, v16, 0
	v_cmp_ne_u32_e64 s18, 0, v16
	s_delay_alu instid0(VALU_DEP_2)
	v_cmp_eq_u32_e64 s17, 0, v78
	s_and_b32 s18, s18, s17
	s_wait_alu 0xfffe
	s_and_saveexec_b32 s17, s18
	s_cbranch_execz .LBB170_122
; %bb.121:
	s_wait_dscnt 0x0
	v_bcnt_u32_b32 v16, v16, v77
	ds_store_b32 v79, v16 offset:64
.LBB170_122:
	s_wait_alu 0xfffe
	s_or_b32 exec_lo, exec_lo, s17
	v_lshrrev_b16 v16, 8, v32
	; wave barrier
	s_delay_alu instid0(VALU_DEP_1) | instskip(NEXT) | instid1(VALU_DEP_1)
	v_and_b32_e32 v16, s19, v16
	v_and_b32_e32 v17, 1, v16
	v_lshlrev_b32_e32 v18, 30, v16
	v_lshlrev_b32_e32 v19, 29, v16
	;; [unrolled: 1-line block ×4, first 2 shown]
	v_add_co_u32 v17, s17, v17, -1
	s_wait_alu 0xf1ff
	v_cndmask_b32_e64 v21, 0, 1, s17
	v_not_b32_e32 v81, v18
	v_cmp_gt_i32_e64 s18, 0, v18
	v_not_b32_e32 v18, v19
	v_lshlrev_b32_e32 v23, 26, v16
	v_cmp_ne_u32_e64 s17, 0, v21
	v_ashrrev_i32_e32 v81, 31, v81
	v_lshlrev_b32_e32 v80, 25, v16
	v_ashrrev_i32_e32 v18, 31, v18
	v_lshlrev_b32_e32 v21, 24, v16
	s_wait_alu 0xf1ff
	v_xor_b32_e32 v17, s17, v17
	v_cmp_gt_i32_e64 s17, 0, v19
	v_not_b32_e32 v19, v20
	v_xor_b32_e32 v81, s18, v81
	v_cmp_gt_i32_e64 s18, 0, v20
	v_and_b32_e32 v17, exec_lo, v17
	v_not_b32_e32 v20, v22
	v_ashrrev_i32_e32 v19, 31, v19
	s_wait_alu 0xf1ff
	v_xor_b32_e32 v18, s17, v18
	v_cmp_gt_i32_e64 s17, 0, v22
	v_and_b32_e32 v17, v17, v81
	v_not_b32_e32 v22, v23
	v_ashrrev_i32_e32 v20, 31, v20
	v_xor_b32_e32 v19, s18, v19
	v_cmp_gt_i32_e64 s18, 0, v23
	v_and_b32_e32 v17, v17, v18
	v_not_b32_e32 v18, v80
	v_ashrrev_i32_e32 v22, 31, v22
	s_wait_alu 0xf1ff
	v_xor_b32_e32 v20, s17, v20
	v_cmp_gt_i32_e64 s17, 0, v80
	v_and_b32_e32 v17, v17, v19
	v_not_b32_e32 v19, v21
	v_ashrrev_i32_e32 v18, 31, v18
	v_xor_b32_e32 v22, s18, v22
	v_cmp_gt_i32_e64 s18, 0, v21
	v_and_b32_e32 v17, v17, v20
	v_ashrrev_i32_e32 v19, 31, v19
	s_wait_alu 0xf1ff
	v_xor_b32_e32 v18, s17, v18
	v_lshl_add_u32 v81, v16, 6, v24
	v_and_b32_e32 v17, v17, v22
	v_xor_b32_e32 v16, s18, v19
	ds_load_b32 v24, v81 offset:64
	v_and_b32_e32 v17, v17, v18
	; wave barrier
	s_delay_alu instid0(VALU_DEP_1) | instskip(NEXT) | instid1(VALU_DEP_1)
	v_and_b32_e32 v16, v17, v16
	v_mbcnt_lo_u32_b32 v80, v16, 0
	v_cmp_ne_u32_e64 s18, 0, v16
	s_delay_alu instid0(VALU_DEP_2)
	v_cmp_eq_u32_e64 s17, 0, v80
	s_and_b32 s18, s18, s17
	s_wait_alu 0xfffe
	s_and_saveexec_b32 s17, s18
	s_cbranch_execz .LBB170_124
; %bb.123:
	s_wait_dscnt 0x0
	v_bcnt_u32_b32 v16, v16, v24
	ds_store_b32 v81, v16 offset:64
.LBB170_124:
	s_wait_alu 0xfffe
	s_or_b32 exec_lo, exec_lo, s17
	; wave barrier
	s_wait_loadcnt_dscnt 0x0
	s_barrier_signal -1
	s_barrier_wait -1
	global_inv scope:SCOPE_SE
	ds_load_b128 v[20:23], v67 offset:64
	ds_load_b128 v[16:19], v67 offset:80
	s_wait_dscnt 0x1
	v_add_nc_u32_e32 v82, v21, v20
	s_delay_alu instid0(VALU_DEP_1) | instskip(SKIP_1) | instid1(VALU_DEP_1)
	v_add3_u32 v82, v82, v22, v23
	s_wait_dscnt 0x0
	v_add3_u32 v82, v82, v16, v17
	s_delay_alu instid0(VALU_DEP_1) | instskip(NEXT) | instid1(VALU_DEP_1)
	v_add3_u32 v19, v82, v18, v19
	v_mov_b32_dpp v82, v19 row_shr:1 row_mask:0xf bank_mask:0xf
	s_delay_alu instid0(VALU_DEP_1) | instskip(NEXT) | instid1(VALU_DEP_1)
	v_cndmask_b32_e64 v82, v82, 0, vcc_lo
	v_add_nc_u32_e32 v19, v82, v19
	s_delay_alu instid0(VALU_DEP_1) | instskip(NEXT) | instid1(VALU_DEP_1)
	v_mov_b32_dpp v82, v19 row_shr:2 row_mask:0xf bank_mask:0xf
	v_cndmask_b32_e64 v82, 0, v82, s1
	s_delay_alu instid0(VALU_DEP_1) | instskip(NEXT) | instid1(VALU_DEP_1)
	v_add_nc_u32_e32 v19, v19, v82
	v_mov_b32_dpp v82, v19 row_shr:4 row_mask:0xf bank_mask:0xf
	s_delay_alu instid0(VALU_DEP_1) | instskip(NEXT) | instid1(VALU_DEP_1)
	v_cndmask_b32_e64 v82, 0, v82, s9
	v_add_nc_u32_e32 v19, v19, v82
	s_delay_alu instid0(VALU_DEP_1) | instskip(NEXT) | instid1(VALU_DEP_1)
	v_mov_b32_dpp v82, v19 row_shr:8 row_mask:0xf bank_mask:0xf
	v_cndmask_b32_e64 v82, 0, v82, s10
	s_delay_alu instid0(VALU_DEP_1) | instskip(SKIP_3) | instid1(VALU_DEP_1)
	v_add_nc_u32_e32 v19, v19, v82
	ds_swizzle_b32 v82, v19 offset:swizzle(BROADCAST,32,15)
	s_wait_dscnt 0x0
	v_cndmask_b32_e64 v82, v82, 0, s15
	v_add_nc_u32_e32 v19, v19, v82
	s_and_saveexec_b32 s15, s13
; %bb.125:
	ds_store_b32 v34, v19
; %bb.126:
	s_wait_alu 0xfffe
	s_or_b32 exec_lo, exec_lo, s15
	s_wait_loadcnt_dscnt 0x0
	s_barrier_signal -1
	s_barrier_wait -1
	global_inv scope:SCOPE_SE
	s_and_saveexec_b32 s13, s12
	s_cbranch_execz .LBB170_128
; %bb.127:
	ds_load_b32 v34, v33
	s_wait_dscnt 0x0
	v_mov_b32_dpp v82, v34 row_shr:1 row_mask:0xf bank_mask:0xf
	s_delay_alu instid0(VALU_DEP_1) | instskip(NEXT) | instid1(VALU_DEP_1)
	v_cndmask_b32_e64 v82, v82, 0, vcc_lo
	v_add_nc_u32_e32 v34, v82, v34
	s_delay_alu instid0(VALU_DEP_1) | instskip(NEXT) | instid1(VALU_DEP_1)
	v_mov_b32_dpp v82, v34 row_shr:2 row_mask:0xf bank_mask:0xf
	v_cndmask_b32_e64 v82, 0, v82, s1
	s_delay_alu instid0(VALU_DEP_1) | instskip(NEXT) | instid1(VALU_DEP_1)
	v_add_nc_u32_e32 v34, v34, v82
	v_mov_b32_dpp v82, v34 row_shr:4 row_mask:0xf bank_mask:0xf
	s_delay_alu instid0(VALU_DEP_1) | instskip(NEXT) | instid1(VALU_DEP_1)
	v_cndmask_b32_e64 v82, 0, v82, s9
	v_add_nc_u32_e32 v34, v34, v82
	s_delay_alu instid0(VALU_DEP_1) | instskip(NEXT) | instid1(VALU_DEP_1)
	v_mov_b32_dpp v82, v34 row_shr:8 row_mask:0xf bank_mask:0xf
	v_cndmask_b32_e64 v82, 0, v82, s10
	s_delay_alu instid0(VALU_DEP_1)
	v_add_nc_u32_e32 v34, v34, v82
	ds_store_b32 v33, v34
.LBB170_128:
	s_wait_alu 0xfffe
	s_or_b32 exec_lo, exec_lo, s13
	v_mov_b32_e32 v33, 0
	s_wait_loadcnt_dscnt 0x0
	s_barrier_signal -1
	s_barrier_wait -1
	global_inv scope:SCOPE_SE
	s_and_saveexec_b32 s1, s14
; %bb.129:
	ds_load_b32 v33, v35
; %bb.130:
	s_wait_alu 0xfffe
	s_or_b32 exec_lo, exec_lo, s1
	s_wait_dscnt 0x0
	v_add_nc_u32_e32 v19, v33, v19
	ds_bpermute_b32 v19, v36, v19
	s_wait_dscnt 0x0
	v_cndmask_b32_e64 v19, v19, v33, s11
	s_delay_alu instid0(VALU_DEP_1) | instskip(NEXT) | instid1(VALU_DEP_1)
	v_cndmask_b32_e64 v19, v19, 0, s16
	v_add_nc_u32_e32 v20, v19, v20
	s_delay_alu instid0(VALU_DEP_1) | instskip(NEXT) | instid1(VALU_DEP_1)
	v_add_nc_u32_e32 v21, v20, v21
	v_add_nc_u32_e32 v22, v21, v22
	s_delay_alu instid0(VALU_DEP_1) | instskip(NEXT) | instid1(VALU_DEP_1)
	v_add_nc_u32_e32 v33, v22, v23
	;; [unrolled: 3-line block ×3, first 2 shown]
	v_add_nc_u32_e32 v36, v35, v18
	ds_store_b128 v67, v[19:22] offset:64
	ds_store_b128 v67, v[33:36] offset:80
	s_wait_loadcnt_dscnt 0x0
	s_barrier_signal -1
	s_barrier_wait -1
	global_inv scope:SCOPE_SE
	ds_load_b32 v16, v81 offset:64
	ds_load_b32 v17, v79 offset:64
	;; [unrolled: 1-line block ×8, first 2 shown]
	v_lshlrev_b32_e32 v33, 1, v66
	s_wait_loadcnt_dscnt 0x0
	s_barrier_signal -1
	s_barrier_wait -1
	global_inv scope:SCOPE_SE
	v_mad_u32_u24 v38, v46, 48, v33
	v_add3_u32 v34, v80, v24, v16
	v_add3_u32 v35, v78, v77, v17
	;; [unrolled: 1-line block ×3, first 2 shown]
	v_add_nc_u32_e32 v24, v19, v37
	v_add3_u32 v37, v40, v39, v20
	v_add3_u32 v39, v49, v48, v21
	;; [unrolled: 1-line block ×4, first 2 shown]
	v_lshlrev_b32_e32 v16, 1, v24
	v_lshlrev_b32_e32 v17, 1, v37
	;; [unrolled: 1-line block ×8, first 2 shown]
	ds_store_b16 v16, v25
	ds_store_b16 v17, v26
	;; [unrolled: 1-line block ×8, first 2 shown]
	v_mad_co_u64_u32 v[24:25], null, v24, 6, v[16:17]
	v_mad_co_u64_u32 v[16:17], null, v37, 6, v[17:18]
	;; [unrolled: 1-line block ×8, first 2 shown]
	s_wait_loadcnt_dscnt 0x0
	s_barrier_signal -1
	s_barrier_wait -1
	global_inv scope:SCOPE_SE
	ds_load_b128 v[33:36], v33
	s_wait_loadcnt_dscnt 0x0
	s_barrier_signal -1
	s_barrier_wait -1
	global_inv scope:SCOPE_SE
	ds_store_b64 v24, v[4:5]
	ds_store_b64 v16, v[6:7]
	;; [unrolled: 1-line block ×8, first 2 shown]
	s_wait_loadcnt_dscnt 0x0
	s_barrier_signal -1
	s_barrier_wait -1
	global_inv scope:SCOPE_SE
	ds_load_b128 v[29:32], v38
	ds_load_b128 v[25:28], v38 offset:16
	ds_load_b128 v[21:24], v38 offset:32
	;; [unrolled: 1-line block ×3, first 2 shown]
	v_xor_b32_e32 v0, 0x7fff7fff, v33
	v_xor_b32_e32 v34, 0x7fff7fff, v34
	;; [unrolled: 1-line block ×4, first 2 shown]
.LBB170_131:
	s_wait_loadcnt_dscnt 0x0
	s_barrier_signal -1
	s_barrier_wait -1
	global_inv scope:SCOPE_SE
	ds_store_2addr_b32 v58, v0, v34 offset1:1
	ds_store_2addr_b32 v58, v33, v35 offset0:2 offset1:3
	s_wait_loadcnt_dscnt 0x0
	s_barrier_signal -1
	s_barrier_wait -1
	global_inv scope:SCOPE_SE
	ds_load_u16 v8, v45 offset:1024
	ds_load_u16 v7, v52 offset:2048
	;; [unrolled: 1-line block ×7, first 2 shown]
	v_mov_b32_e32 v45, 0
	s_delay_alu instid0(VALU_DEP_1) | instskip(NEXT) | instid1(VALU_DEP_1)
	v_lshlrev_b64_e32 v[0:1], 1, v[44:45]
	v_add_co_u32 v0, vcc_lo, s30, v0
	s_wait_alu 0xfffd
	s_delay_alu instid0(VALU_DEP_2)
	v_add_co_ci_u32_e64 v1, null, s31, v1, vcc_lo
	s_and_saveexec_b32 s1, s2
	s_cbranch_execnz .LBB170_150
; %bb.132:
	s_wait_alu 0xfffe
	s_or_b32 exec_lo, exec_lo, s1
	s_and_saveexec_b32 s1, s3
	s_cbranch_execnz .LBB170_151
.LBB170_133:
	s_wait_alu 0xfffe
	s_or_b32 exec_lo, exec_lo, s1
	s_and_saveexec_b32 s1, s4
	s_cbranch_execnz .LBB170_152
.LBB170_134:
	s_wait_alu 0xfffe
	s_or_b32 exec_lo, exec_lo, s1
	s_and_saveexec_b32 s1, s5
	s_cbranch_execnz .LBB170_153
.LBB170_135:
	s_wait_alu 0xfffe
	s_or_b32 exec_lo, exec_lo, s1
	s_and_saveexec_b32 s1, s6
	s_cbranch_execnz .LBB170_154
.LBB170_136:
	s_wait_alu 0xfffe
	s_or_b32 exec_lo, exec_lo, s1
	s_and_saveexec_b32 s1, s7
	s_cbranch_execnz .LBB170_155
.LBB170_137:
	s_wait_alu 0xfffe
	s_or_b32 exec_lo, exec_lo, s1
	s_and_saveexec_b32 s1, s8
	s_cbranch_execnz .LBB170_156
.LBB170_138:
	s_wait_alu 0xfffe
	s_or_b32 exec_lo, exec_lo, s1
	s_and_saveexec_b32 s1, s0
	s_cbranch_execz .LBB170_140
.LBB170_139:
	s_mul_i32 s10, s26, 0xe00
	s_mov_b32 s11, 0
	s_wait_alu 0xfffe
	s_lshl_b64 s[10:11], s[10:11], 1
	s_wait_alu 0xfffe
	v_add_co_u32 v0, vcc_lo, v0, s10
	s_wait_alu 0xfffd
	v_add_co_ci_u32_e64 v1, null, s11, v1, vcc_lo
	s_wait_dscnt 0x0
	global_store_b16 v[0:1], v2, off
.LBB170_140:
	s_wait_alu 0xfffe
	s_or_b32 exec_lo, exec_lo, s1
	s_wait_storecnt 0x0
	s_wait_loadcnt_dscnt 0x0
	s_barrier_signal -1
	s_barrier_wait -1
	global_inv scope:SCOPE_SE
	ds_store_2addr_b64 v65, v[29:30], v[31:32] offset1:1
	ds_store_2addr_b64 v65, v[25:26], v[27:28] offset0:2 offset1:3
	ds_store_2addr_b64 v65, v[21:22], v[23:24] offset0:4 offset1:5
	;; [unrolled: 1-line block ×3, first 2 shown]
	s_wait_loadcnt_dscnt 0x0
	s_barrier_signal -1
	s_barrier_wait -1
	global_inv scope:SCOPE_SE
	ds_load_b64 v[14:15], v60 offset:4096
	ds_load_b64 v[12:13], v61 offset:8192
	ds_load_b64 v[10:11], v62 offset:12288
	ds_load_b64 v[8:9], v42 offset:16384
	ds_load_b64 v[6:7], v43 offset:20480
	ds_load_b64 v[4:5], v63 offset:24576
	ds_load_b64 v[0:1], v64 offset:28672
	v_mov_b32_e32 v42, 0
	s_delay_alu instid0(VALU_DEP_1) | instskip(NEXT) | instid1(VALU_DEP_1)
	v_lshlrev_b64_e32 v[2:3], 3, v[41:42]
	v_add_co_u32 v2, vcc_lo, s24, v2
	s_wait_alu 0xfffd
	s_delay_alu instid0(VALU_DEP_2)
	v_add_co_ci_u32_e64 v3, null, s25, v3, vcc_lo
	s_and_saveexec_b32 s1, s2
	s_cbranch_execnz .LBB170_157
; %bb.141:
	s_wait_alu 0xfffe
	s_or_b32 exec_lo, exec_lo, s1
	s_and_saveexec_b32 s1, s3
	s_cbranch_execnz .LBB170_158
.LBB170_142:
	s_wait_alu 0xfffe
	s_or_b32 exec_lo, exec_lo, s1
	s_and_saveexec_b32 s1, s4
	s_cbranch_execnz .LBB170_159
.LBB170_143:
	s_wait_alu 0xfffe
	s_or_b32 exec_lo, exec_lo, s1
	s_and_saveexec_b32 s1, s5
	s_cbranch_execnz .LBB170_160
.LBB170_144:
	s_wait_alu 0xfffe
	s_or_b32 exec_lo, exec_lo, s1
	s_and_saveexec_b32 s1, s6
	s_cbranch_execnz .LBB170_161
.LBB170_145:
	s_wait_alu 0xfffe
	s_or_b32 exec_lo, exec_lo, s1
	s_and_saveexec_b32 s1, s7
	s_cbranch_execnz .LBB170_162
.LBB170_146:
	s_wait_alu 0xfffe
	s_or_b32 exec_lo, exec_lo, s1
	s_and_saveexec_b32 s1, s8
	s_cbranch_execnz .LBB170_163
.LBB170_147:
	s_wait_alu 0xfffe
	s_or_b32 exec_lo, exec_lo, s1
	s_and_saveexec_b32 s1, s0
	s_cbranch_execz .LBB170_149
.LBB170_148:
	s_mul_i32 s0, s28, 0xe00
	s_mov_b32 s1, 0
	s_wait_alu 0xfffe
	s_lshl_b64 s[0:1], s[0:1], 3
	s_wait_alu 0xfffe
	v_add_co_u32 v2, vcc_lo, v2, s0
	s_wait_alu 0xfffd
	v_add_co_ci_u32_e64 v3, null, s1, v3, vcc_lo
	s_wait_dscnt 0x0
	global_store_b64 v[2:3], v[0:1], off
.LBB170_149:
	s_nop 0
	s_sendmsg sendmsg(MSG_DEALLOC_VGPRS)
	s_endpgm
.LBB170_150:
	ds_load_u16 v9, v51
	s_wait_dscnt 0x0
	global_store_b16 v[0:1], v9, off
	s_wait_alu 0xfffe
	s_or_b32 exec_lo, exec_lo, s1
	s_and_saveexec_b32 s1, s3
	s_cbranch_execz .LBB170_133
.LBB170_151:
	s_lshl_b32 s10, s26, 9
	s_mov_b32 s11, 0
	s_wait_alu 0xfffe
	s_lshl_b64 s[10:11], s[10:11], 1
	s_wait_alu 0xfffe
	v_add_co_u32 v9, vcc_lo, v0, s10
	s_wait_alu 0xfffd
	v_add_co_ci_u32_e64 v10, null, s11, v1, vcc_lo
	s_wait_dscnt 0x6
	global_store_b16 v[9:10], v8, off
	s_or_b32 exec_lo, exec_lo, s1
	s_and_saveexec_b32 s1, s4
	s_cbranch_execz .LBB170_134
.LBB170_152:
	s_lshl_b32 s10, s26, 10
	s_mov_b32 s11, 0
	s_wait_alu 0xfffe
	s_lshl_b64 s[10:11], s[10:11], 1
	s_wait_dscnt 0x6
	s_wait_alu 0xfffe
	v_add_co_u32 v8, vcc_lo, v0, s10
	s_wait_alu 0xfffd
	v_add_co_ci_u32_e64 v9, null, s11, v1, vcc_lo
	s_wait_dscnt 0x5
	global_store_b16 v[8:9], v7, off
	s_or_b32 exec_lo, exec_lo, s1
	s_and_saveexec_b32 s1, s5
	s_cbranch_execz .LBB170_135
.LBB170_153:
	s_mul_i32 s10, s26, 0x600
	s_mov_b32 s11, 0
	s_wait_alu 0xfffe
	s_lshl_b64 s[10:11], s[10:11], 1
	s_wait_dscnt 0x5
	s_wait_alu 0xfffe
	v_add_co_u32 v7, vcc_lo, v0, s10
	s_wait_alu 0xfffd
	v_add_co_ci_u32_e64 v8, null, s11, v1, vcc_lo
	s_wait_dscnt 0x4
	global_store_b16 v[7:8], v6, off
	s_or_b32 exec_lo, exec_lo, s1
	s_and_saveexec_b32 s1, s6
	s_cbranch_execz .LBB170_136
.LBB170_154:
	s_lshl_b32 s10, s26, 11
	s_mov_b32 s11, 0
	s_wait_alu 0xfffe
	s_lshl_b64 s[10:11], s[10:11], 1
	s_wait_dscnt 0x4
	s_wait_alu 0xfffe
	v_add_co_u32 v6, vcc_lo, v0, s10
	s_wait_alu 0xfffd
	v_add_co_ci_u32_e64 v7, null, s11, v1, vcc_lo
	s_wait_dscnt 0x3
	global_store_b16 v[6:7], v5, off
	s_or_b32 exec_lo, exec_lo, s1
	s_and_saveexec_b32 s1, s7
	s_cbranch_execz .LBB170_137
.LBB170_155:
	s_mul_i32 s10, s26, 0xa00
	s_mov_b32 s11, 0
	s_wait_alu 0xfffe
	s_lshl_b64 s[10:11], s[10:11], 1
	s_wait_dscnt 0x3
	s_wait_alu 0xfffe
	v_add_co_u32 v5, vcc_lo, v0, s10
	s_wait_alu 0xfffd
	v_add_co_ci_u32_e64 v6, null, s11, v1, vcc_lo
	s_wait_dscnt 0x2
	global_store_b16 v[5:6], v4, off
	s_or_b32 exec_lo, exec_lo, s1
	s_and_saveexec_b32 s1, s8
	s_cbranch_execz .LBB170_138
.LBB170_156:
	s_mul_i32 s10, s26, 0xc00
	s_mov_b32 s11, 0
	s_wait_alu 0xfffe
	s_lshl_b64 s[10:11], s[10:11], 1
	s_wait_dscnt 0x2
	s_wait_alu 0xfffe
	v_add_co_u32 v4, vcc_lo, v0, s10
	s_wait_alu 0xfffd
	v_add_co_ci_u32_e64 v5, null, s11, v1, vcc_lo
	s_wait_dscnt 0x1
	global_store_b16 v[4:5], v3, off
	s_or_b32 exec_lo, exec_lo, s1
	s_and_saveexec_b32 s1, s0
	s_cbranch_execnz .LBB170_139
	s_branch .LBB170_140
.LBB170_157:
	ds_load_b64 v[16:17], v59
	s_wait_dscnt 0x0
	global_store_b64 v[2:3], v[16:17], off
	s_wait_alu 0xfffe
	s_or_b32 exec_lo, exec_lo, s1
	s_and_saveexec_b32 s1, s3
	s_cbranch_execz .LBB170_142
.LBB170_158:
	s_lshl_b32 s2, s28, 9
	s_mov_b32 s3, 0
	s_wait_alu 0xfffe
	s_lshl_b64 s[2:3], s[2:3], 3
	s_wait_alu 0xfffe
	v_add_co_u32 v16, vcc_lo, v2, s2
	s_wait_alu 0xfffd
	v_add_co_ci_u32_e64 v17, null, s3, v3, vcc_lo
	s_wait_dscnt 0x6
	global_store_b64 v[16:17], v[14:15], off
	s_or_b32 exec_lo, exec_lo, s1
	s_and_saveexec_b32 s1, s4
	s_cbranch_execz .LBB170_143
.LBB170_159:
	s_lshl_b32 s2, s28, 10
	s_mov_b32 s3, 0
	s_wait_alu 0xfffe
	s_lshl_b64 s[2:3], s[2:3], 3
	s_wait_dscnt 0x6
	s_wait_alu 0xfffe
	v_add_co_u32 v14, vcc_lo, v2, s2
	s_wait_alu 0xfffd
	v_add_co_ci_u32_e64 v15, null, s3, v3, vcc_lo
	s_wait_dscnt 0x5
	global_store_b64 v[14:15], v[12:13], off
	s_or_b32 exec_lo, exec_lo, s1
	s_and_saveexec_b32 s1, s5
	s_cbranch_execz .LBB170_144
.LBB170_160:
	s_mul_i32 s2, s28, 0x600
	s_mov_b32 s3, 0
	s_wait_alu 0xfffe
	s_lshl_b64 s[2:3], s[2:3], 3
	s_wait_dscnt 0x5
	s_wait_alu 0xfffe
	v_add_co_u32 v12, vcc_lo, v2, s2
	s_wait_alu 0xfffd
	v_add_co_ci_u32_e64 v13, null, s3, v3, vcc_lo
	s_wait_dscnt 0x4
	global_store_b64 v[12:13], v[10:11], off
	s_or_b32 exec_lo, exec_lo, s1
	s_and_saveexec_b32 s1, s6
	s_cbranch_execz .LBB170_145
.LBB170_161:
	s_lshl_b32 s2, s28, 11
	s_mov_b32 s3, 0
	s_wait_alu 0xfffe
	s_lshl_b64 s[2:3], s[2:3], 3
	s_wait_dscnt 0x4
	s_wait_alu 0xfffe
	v_add_co_u32 v10, vcc_lo, v2, s2
	s_wait_alu 0xfffd
	v_add_co_ci_u32_e64 v11, null, s3, v3, vcc_lo
	s_wait_dscnt 0x3
	global_store_b64 v[10:11], v[8:9], off
	s_or_b32 exec_lo, exec_lo, s1
	s_and_saveexec_b32 s1, s7
	s_cbranch_execz .LBB170_146
.LBB170_162:
	s_mul_i32 s2, s28, 0xa00
	s_mov_b32 s3, 0
	s_wait_alu 0xfffe
	s_lshl_b64 s[2:3], s[2:3], 3
	s_wait_dscnt 0x3
	s_wait_alu 0xfffe
	v_add_co_u32 v8, vcc_lo, v2, s2
	s_wait_alu 0xfffd
	v_add_co_ci_u32_e64 v9, null, s3, v3, vcc_lo
	s_wait_dscnt 0x2
	global_store_b64 v[8:9], v[6:7], off
	s_or_b32 exec_lo, exec_lo, s1
	s_and_saveexec_b32 s1, s8
	s_cbranch_execz .LBB170_147
.LBB170_163:
	s_mul_i32 s2, s28, 0xc00
	s_mov_b32 s3, 0
	s_wait_alu 0xfffe
	s_lshl_b64 s[2:3], s[2:3], 3
	s_wait_dscnt 0x2
	s_wait_alu 0xfffe
	v_add_co_u32 v6, vcc_lo, v2, s2
	s_wait_alu 0xfffd
	v_add_co_ci_u32_e64 v7, null, s3, v3, vcc_lo
	s_wait_dscnt 0x1
	global_store_b64 v[6:7], v[4:5], off
	s_or_b32 exec_lo, exec_lo, s1
	s_and_saveexec_b32 s1, s0
	s_cbranch_execnz .LBB170_148
	s_branch .LBB170_149
	.section	.rodata,"a",@progbits
	.p2align	6, 0x0
	.amdhsa_kernel _ZN2at6native18radixSortKVInPlaceILin1ELin1ELi512ELi8EsljEEvNS_4cuda6detail10TensorInfoIT3_T5_EES6_S6_S6_NS4_IT4_S6_EES6_b
		.amdhsa_group_segment_fixed_size 33792
		.amdhsa_private_segment_fixed_size 0
		.amdhsa_kernarg_size 712
		.amdhsa_user_sgpr_count 2
		.amdhsa_user_sgpr_dispatch_ptr 0
		.amdhsa_user_sgpr_queue_ptr 0
		.amdhsa_user_sgpr_kernarg_segment_ptr 1
		.amdhsa_user_sgpr_dispatch_id 0
		.amdhsa_user_sgpr_private_segment_size 0
		.amdhsa_wavefront_size32 1
		.amdhsa_uses_dynamic_stack 0
		.amdhsa_enable_private_segment 0
		.amdhsa_system_sgpr_workgroup_id_x 1
		.amdhsa_system_sgpr_workgroup_id_y 1
		.amdhsa_system_sgpr_workgroup_id_z 1
		.amdhsa_system_sgpr_workgroup_info 0
		.amdhsa_system_vgpr_workitem_id 2
		.amdhsa_next_free_vgpr 117
		.amdhsa_next_free_sgpr 36
		.amdhsa_reserve_vcc 1
		.amdhsa_float_round_mode_32 0
		.amdhsa_float_round_mode_16_64 0
		.amdhsa_float_denorm_mode_32 3
		.amdhsa_float_denorm_mode_16_64 3
		.amdhsa_fp16_overflow 0
		.amdhsa_workgroup_processor_mode 1
		.amdhsa_memory_ordered 1
		.amdhsa_forward_progress 1
		.amdhsa_inst_pref_size 171
		.amdhsa_round_robin_scheduling 0
		.amdhsa_exception_fp_ieee_invalid_op 0
		.amdhsa_exception_fp_denorm_src 0
		.amdhsa_exception_fp_ieee_div_zero 0
		.amdhsa_exception_fp_ieee_overflow 0
		.amdhsa_exception_fp_ieee_underflow 0
		.amdhsa_exception_fp_ieee_inexact 0
		.amdhsa_exception_int_div_zero 0
	.end_amdhsa_kernel
	.section	.text._ZN2at6native18radixSortKVInPlaceILin1ELin1ELi512ELi8EsljEEvNS_4cuda6detail10TensorInfoIT3_T5_EES6_S6_S6_NS4_IT4_S6_EES6_b,"axG",@progbits,_ZN2at6native18radixSortKVInPlaceILin1ELin1ELi512ELi8EsljEEvNS_4cuda6detail10TensorInfoIT3_T5_EES6_S6_S6_NS4_IT4_S6_EES6_b,comdat
.Lfunc_end170:
	.size	_ZN2at6native18radixSortKVInPlaceILin1ELin1ELi512ELi8EsljEEvNS_4cuda6detail10TensorInfoIT3_T5_EES6_S6_S6_NS4_IT4_S6_EES6_b, .Lfunc_end170-_ZN2at6native18radixSortKVInPlaceILin1ELin1ELi512ELi8EsljEEvNS_4cuda6detail10TensorInfoIT3_T5_EES6_S6_S6_NS4_IT4_S6_EES6_b
                                        ; -- End function
	.set _ZN2at6native18radixSortKVInPlaceILin1ELin1ELi512ELi8EsljEEvNS_4cuda6detail10TensorInfoIT3_T5_EES6_S6_S6_NS4_IT4_S6_EES6_b.num_vgpr, 117
	.set _ZN2at6native18radixSortKVInPlaceILin1ELin1ELi512ELi8EsljEEvNS_4cuda6detail10TensorInfoIT3_T5_EES6_S6_S6_NS4_IT4_S6_EES6_b.num_agpr, 0
	.set _ZN2at6native18radixSortKVInPlaceILin1ELin1ELi512ELi8EsljEEvNS_4cuda6detail10TensorInfoIT3_T5_EES6_S6_S6_NS4_IT4_S6_EES6_b.numbered_sgpr, 36
	.set _ZN2at6native18radixSortKVInPlaceILin1ELin1ELi512ELi8EsljEEvNS_4cuda6detail10TensorInfoIT3_T5_EES6_S6_S6_NS4_IT4_S6_EES6_b.num_named_barrier, 0
	.set _ZN2at6native18radixSortKVInPlaceILin1ELin1ELi512ELi8EsljEEvNS_4cuda6detail10TensorInfoIT3_T5_EES6_S6_S6_NS4_IT4_S6_EES6_b.private_seg_size, 0
	.set _ZN2at6native18radixSortKVInPlaceILin1ELin1ELi512ELi8EsljEEvNS_4cuda6detail10TensorInfoIT3_T5_EES6_S6_S6_NS4_IT4_S6_EES6_b.uses_vcc, 1
	.set _ZN2at6native18radixSortKVInPlaceILin1ELin1ELi512ELi8EsljEEvNS_4cuda6detail10TensorInfoIT3_T5_EES6_S6_S6_NS4_IT4_S6_EES6_b.uses_flat_scratch, 0
	.set _ZN2at6native18radixSortKVInPlaceILin1ELin1ELi512ELi8EsljEEvNS_4cuda6detail10TensorInfoIT3_T5_EES6_S6_S6_NS4_IT4_S6_EES6_b.has_dyn_sized_stack, 0
	.set _ZN2at6native18radixSortKVInPlaceILin1ELin1ELi512ELi8EsljEEvNS_4cuda6detail10TensorInfoIT3_T5_EES6_S6_S6_NS4_IT4_S6_EES6_b.has_recursion, 0
	.set _ZN2at6native18radixSortKVInPlaceILin1ELin1ELi512ELi8EsljEEvNS_4cuda6detail10TensorInfoIT3_T5_EES6_S6_S6_NS4_IT4_S6_EES6_b.has_indirect_call, 0
	.section	.AMDGPU.csdata,"",@progbits
; Kernel info:
; codeLenInByte = 21784
; TotalNumSgprs: 38
; NumVgprs: 117
; ScratchSize: 0
; MemoryBound: 0
; FloatMode: 240
; IeeeMode: 1
; LDSByteSize: 33792 bytes/workgroup (compile time only)
; SGPRBlocks: 0
; VGPRBlocks: 14
; NumSGPRsForWavesPerEU: 38
; NumVGPRsForWavesPerEU: 117
; Occupancy: 12
; WaveLimiterHint : 1
; COMPUTE_PGM_RSRC2:SCRATCH_EN: 0
; COMPUTE_PGM_RSRC2:USER_SGPR: 2
; COMPUTE_PGM_RSRC2:TRAP_HANDLER: 0
; COMPUTE_PGM_RSRC2:TGID_X_EN: 1
; COMPUTE_PGM_RSRC2:TGID_Y_EN: 1
; COMPUTE_PGM_RSRC2:TGID_Z_EN: 1
; COMPUTE_PGM_RSRC2:TIDIG_COMP_CNT: 2
	.section	.text._ZN2at6native18radixSortKVInPlaceILin1ELin1ELi256ELi8EsljEEvNS_4cuda6detail10TensorInfoIT3_T5_EES6_S6_S6_NS4_IT4_S6_EES6_b,"axG",@progbits,_ZN2at6native18radixSortKVInPlaceILin1ELin1ELi256ELi8EsljEEvNS_4cuda6detail10TensorInfoIT3_T5_EES6_S6_S6_NS4_IT4_S6_EES6_b,comdat
	.protected	_ZN2at6native18radixSortKVInPlaceILin1ELin1ELi256ELi8EsljEEvNS_4cuda6detail10TensorInfoIT3_T5_EES6_S6_S6_NS4_IT4_S6_EES6_b ; -- Begin function _ZN2at6native18radixSortKVInPlaceILin1ELin1ELi256ELi8EsljEEvNS_4cuda6detail10TensorInfoIT3_T5_EES6_S6_S6_NS4_IT4_S6_EES6_b
	.globl	_ZN2at6native18radixSortKVInPlaceILin1ELin1ELi256ELi8EsljEEvNS_4cuda6detail10TensorInfoIT3_T5_EES6_S6_S6_NS4_IT4_S6_EES6_b
	.p2align	8
	.type	_ZN2at6native18radixSortKVInPlaceILin1ELin1ELi256ELi8EsljEEvNS_4cuda6detail10TensorInfoIT3_T5_EES6_S6_S6_NS4_IT4_S6_EES6_b,@function
_ZN2at6native18radixSortKVInPlaceILin1ELin1ELi256ELi8EsljEEvNS_4cuda6detail10TensorInfoIT3_T5_EES6_S6_S6_NS4_IT4_S6_EES6_b: ; @_ZN2at6native18radixSortKVInPlaceILin1ELin1ELi256ELi8EsljEEvNS_4cuda6detail10TensorInfoIT3_T5_EES6_S6_S6_NS4_IT4_S6_EES6_b
; %bb.0:
	s_clause 0x1
	s_load_b64 s[2:3], s[0:1], 0x1c8
	s_load_b96 s[20:22], s[0:1], 0xd8
	s_lshr_b32 s4, ttmp7, 16
	s_wait_kmcnt 0x0
	s_mul_i32 s3, s3, s4
	s_and_b32 s4, ttmp7, 0xffff
	s_delay_alu instid0(SALU_CYCLE_1) | instskip(NEXT) | instid1(SALU_CYCLE_1)
	s_add_co_i32 s3, s3, s4
	s_mul_i32 s2, s3, s2
	s_delay_alu instid0(SALU_CYCLE_1) | instskip(NEXT) | instid1(SALU_CYCLE_1)
	s_add_co_i32 s13, s2, ttmp9
	s_cmp_ge_u32 s13, s20
	s_cbranch_scc1 .LBB171_149
; %bb.1:
	s_load_b32 s4, s[0:1], 0xd0
	s_mov_b32 s3, 0
	s_mov_b32 s2, s13
	s_wait_kmcnt 0x0
	s_cmp_lt_i32 s4, 2
	s_cbranch_scc1 .LBB171_4
; %bb.2:
	s_add_co_i32 s2, s4, -1
	s_delay_alu instid0(SALU_CYCLE_1)
	s_lshl_b64 s[6:7], s[2:3], 2
	s_mov_b32 s2, s13
	s_add_nc_u64 s[8:9], s[0:1], s[6:7]
	s_add_co_i32 s6, s4, 1
	s_add_nc_u64 s[4:5], s[8:9], 8
.LBB171_3:                              ; =>This Inner Loop Header: Depth=1
	s_clause 0x1
	s_load_b32 s7, s[4:5], 0x0
	s_load_b32 s8, s[4:5], 0x64
	s_mov_b32 s11, s2
	s_add_nc_u64 s[4:5], s[4:5], -4
	s_wait_kmcnt 0x0
	s_cvt_f32_u32 s9, s7
	s_sub_co_i32 s10, 0, s7
	s_wait_alu 0xfffe
	s_delay_alu instid0(SALU_CYCLE_1) | instskip(NEXT) | instid1(TRANS32_DEP_1)
	v_rcp_iflag_f32_e32 v1, s9
	v_readfirstlane_b32 s9, v1
	s_mul_f32 s9, s9, 0x4f7ffffe
	s_wait_alu 0xfffe
	s_delay_alu instid0(SALU_CYCLE_2) | instskip(SKIP_1) | instid1(SALU_CYCLE_2)
	s_cvt_u32_f32 s9, s9
	s_wait_alu 0xfffe
	s_mul_i32 s10, s10, s9
	s_delay_alu instid0(SALU_CYCLE_1) | instskip(NEXT) | instid1(SALU_CYCLE_1)
	s_mul_hi_u32 s10, s9, s10
	s_add_co_i32 s9, s9, s10
	s_wait_alu 0xfffe
	s_mul_hi_u32 s2, s2, s9
	s_delay_alu instid0(SALU_CYCLE_1)
	s_mul_i32 s9, s2, s7
	s_add_co_i32 s10, s2, 1
	s_wait_alu 0xfffe
	s_sub_co_i32 s9, s11, s9
	s_wait_alu 0xfffe
	s_sub_co_i32 s12, s9, s7
	s_cmp_ge_u32 s9, s7
	s_cselect_b32 s2, s10, s2
	s_cselect_b32 s9, s12, s9
	s_add_co_i32 s10, s2, 1
	s_wait_alu 0xfffe
	s_cmp_ge_u32 s9, s7
	s_cselect_b32 s2, s10, s2
	s_add_co_i32 s6, s6, -1
	s_mul_i32 s7, s2, s7
	s_delay_alu instid0(SALU_CYCLE_1) | instskip(NEXT) | instid1(SALU_CYCLE_1)
	s_sub_co_i32 s7, s11, s7
	s_mul_i32 s7, s8, s7
	s_delay_alu instid0(SALU_CYCLE_1)
	s_add_co_i32 s3, s7, s3
	s_cmp_gt_u32 s6, 2
	s_cbranch_scc1 .LBB171_3
.LBB171_4:
	s_load_b32 s4, s[0:1], 0x1b8
	s_add_nc_u64 s[36:37], s[0:1], 0x1c8
	s_mov_b32 s9, 0
	s_wait_kmcnt 0x0
	s_cmp_lt_i32 s4, 2
	s_cbranch_scc1 .LBB171_7
; %bb.5:
	s_add_co_i32 s8, s4, -1
	s_wait_alu 0xfffe
	s_lshl_b64 s[6:7], s[8:9], 2
	s_delay_alu instid0(SALU_CYCLE_1)
	s_add_nc_u64 s[10:11], s[0:1], s[6:7]
	s_add_co_i32 s6, s4, 1
	s_add_nc_u64 s[4:5], s[10:11], 0xf0
.LBB171_6:                              ; =>This Inner Loop Header: Depth=1
	s_clause 0x1
	s_load_b32 s7, s[4:5], 0x0
	s_load_b32 s8, s[4:5], 0x64
	s_mov_b32 s12, s13
	s_add_nc_u64 s[4:5], s[4:5], -4
	s_wait_kmcnt 0x0
	s_cvt_f32_u32 s10, s7
	s_sub_co_i32 s11, 0, s7
	s_wait_alu 0xfffe
	s_delay_alu instid0(SALU_CYCLE_1) | instskip(NEXT) | instid1(TRANS32_DEP_1)
	v_rcp_iflag_f32_e32 v1, s10
	v_readfirstlane_b32 s10, v1
	s_mul_f32 s10, s10, 0x4f7ffffe
	s_wait_alu 0xfffe
	s_delay_alu instid0(SALU_CYCLE_2) | instskip(SKIP_1) | instid1(SALU_CYCLE_2)
	s_cvt_u32_f32 s10, s10
	s_wait_alu 0xfffe
	s_mul_i32 s11, s11, s10
	s_wait_alu 0xfffe
	s_mul_hi_u32 s11, s10, s11
	s_wait_alu 0xfffe
	s_add_co_i32 s10, s10, s11
	s_wait_alu 0xfffe
	s_mul_hi_u32 s10, s13, s10
	s_wait_alu 0xfffe
	s_mul_i32 s11, s10, s7
	s_wait_alu 0xfffe
	s_sub_co_i32 s11, s13, s11
	s_add_co_i32 s13, s10, 1
	s_wait_alu 0xfffe
	s_sub_co_i32 s14, s11, s7
	s_cmp_ge_u32 s11, s7
	s_cselect_b32 s10, s13, s10
	s_cselect_b32 s11, s14, s11
	s_wait_alu 0xfffe
	s_add_co_i32 s13, s10, 1
	s_cmp_ge_u32 s11, s7
	s_cselect_b32 s13, s13, s10
	s_add_co_i32 s6, s6, -1
	s_mul_i32 s7, s13, s7
	s_delay_alu instid0(SALU_CYCLE_1) | instskip(NEXT) | instid1(SALU_CYCLE_1)
	s_sub_co_i32 s7, s12, s7
	s_mul_i32 s7, s8, s7
	s_delay_alu instid0(SALU_CYCLE_1)
	s_add_co_i32 s9, s7, s9
	s_cmp_gt_u32 s6, 2
	s_cbranch_scc1 .LBB171_6
.LBB171_7:
	s_clause 0x2
	s_load_b32 s4, s[0:1], 0x6c
	s_load_b64 s[28:29], s[0:1], 0x1c0
	s_load_b64 s[10:11], s[0:1], 0x0
	s_mov_b32 s15, 0
	s_wait_kmcnt 0x0
	s_mul_i32 s2, s4, s2
	s_delay_alu instid0(SALU_CYCLE_1) | instskip(SKIP_3) | instid1(SALU_CYCLE_1)
	s_add_co_i32 s14, s2, s3
	s_bitcmp1_b32 s29, 0
	s_mov_b32 s2, 0x8000
	s_cselect_b32 s12, -1, 0
	s_and_b32 s3, s12, exec_lo
	s_cselect_b32 s3, s2, 0x7fff
	s_delay_alu instid0(SALU_CYCLE_1)
	s_pack_ll_b32_b16 s4, s3, s3
	v_mov_b32_e32 v5, s3
	s_mov_b32 s5, s4
	s_mov_b32 s6, s4
	;; [unrolled: 1-line block ×3, first 2 shown]
	v_dual_mov_b32 v1, s4 :: v_dual_and_b32 v46, 0x3ff, v0
	v_dual_mov_b32 v2, s5 :: v_dual_mov_b32 v3, s6
	v_mov_b32_e32 v4, s7
	s_delay_alu instid0(VALU_DEP_3)
	v_mul_lo_u32 v44, s22, v46
	v_cmp_gt_u32_e64 s2, s21, v46
	s_lshl_b64 s[6:7], s[14:15], 1
	s_wait_alu 0xfffe
	s_add_nc_u64 s[30:31], s[10:11], s[6:7]
	s_and_saveexec_b32 s3, s2
	s_cbranch_execz .LBB171_9
; %bb.8:
	v_mov_b32_e32 v45, 0
	v_dual_mov_b32 v3, s4 :: v_dual_mov_b32 v4, s4
	s_delay_alu instid0(VALU_DEP_2) | instskip(NEXT) | instid1(VALU_DEP_1)
	v_lshlrev_b64_e32 v[1:2], 1, v[44:45]
	v_add_co_u32 v1, vcc_lo, s30, v1
	s_delay_alu instid0(VALU_DEP_1)
	v_add_co_ci_u32_e64 v2, null, s31, v2, vcc_lo
	global_load_u16 v5, v[1:2], off
	v_mov_b32_e32 v2, s4
	s_wait_loadcnt 0x0
	v_bfi_b32 v1, 0xffff, v5, s4
.LBB171_9:
	s_wait_alu 0xfffe
	s_or_b32 exec_lo, exec_lo, s3
	v_add_nc_u32_e32 v15, 0x100, v46
	s_delay_alu instid0(VALU_DEP_1)
	v_cmp_gt_u32_e64 s3, s21, v15
	s_and_saveexec_b32 s4, s3
	s_cbranch_execz .LBB171_11
; %bb.10:
	v_mul_lo_u32 v6, s22, v15
	v_mov_b32_e32 v7, 0
	s_delay_alu instid0(VALU_DEP_1) | instskip(NEXT) | instid1(VALU_DEP_1)
	v_lshlrev_b64_e32 v[6:7], 1, v[6:7]
	v_add_co_u32 v6, vcc_lo, s30, v6
	s_wait_alu 0xfffd
	s_delay_alu instid0(VALU_DEP_2)
	v_add_co_ci_u32_e64 v7, null, s31, v7, vcc_lo
	global_load_d16_hi_b16 v1, v[6:7], off
.LBB171_11:
	s_wait_alu 0xfffe
	s_or_b32 exec_lo, exec_lo, s4
	v_add_nc_u32_e32 v16, 0x200, v46
	s_delay_alu instid0(VALU_DEP_1)
	v_cmp_gt_u32_e64 s4, s21, v16
	s_and_saveexec_b32 s5, s4
	s_cbranch_execz .LBB171_13
; %bb.12:
	v_mul_lo_u32 v6, s22, v16
	v_mov_b32_e32 v7, 0
	s_delay_alu instid0(VALU_DEP_1) | instskip(NEXT) | instid1(VALU_DEP_1)
	v_lshlrev_b64_e32 v[6:7], 1, v[6:7]
	v_add_co_u32 v6, vcc_lo, s30, v6
	s_wait_alu 0xfffd
	s_delay_alu instid0(VALU_DEP_2)
	v_add_co_ci_u32_e64 v7, null, s31, v7, vcc_lo
	global_load_d16_b16 v2, v[6:7], off
.LBB171_13:
	s_wait_alu 0xfffe
	s_or_b32 exec_lo, exec_lo, s5
	v_add_nc_u32_e32 v17, 0x300, v46
	s_delay_alu instid0(VALU_DEP_1)
	v_cmp_gt_u32_e64 s5, s21, v17
	s_and_saveexec_b32 s6, s5
	s_cbranch_execz .LBB171_15
; %bb.14:
	v_mul_lo_u32 v6, s22, v17
	v_mov_b32_e32 v7, 0
	s_delay_alu instid0(VALU_DEP_1) | instskip(NEXT) | instid1(VALU_DEP_1)
	v_lshlrev_b64_e32 v[6:7], 1, v[6:7]
	v_add_co_u32 v6, vcc_lo, s30, v6
	s_wait_alu 0xfffd
	s_delay_alu instid0(VALU_DEP_2)
	v_add_co_ci_u32_e64 v7, null, s31, v7, vcc_lo
	s_wait_loadcnt 0x0
	global_load_d16_hi_b16 v2, v[6:7], off
.LBB171_15:
	s_wait_alu 0xfffe
	s_or_b32 exec_lo, exec_lo, s6
	v_or_b32_e32 v18, 0x400, v46
	s_delay_alu instid0(VALU_DEP_1)
	v_cmp_gt_u32_e64 s6, s21, v18
	s_and_saveexec_b32 s7, s6
	s_cbranch_execz .LBB171_17
; %bb.16:
	v_mul_lo_u32 v6, s22, v18
	v_mov_b32_e32 v7, 0
	s_delay_alu instid0(VALU_DEP_1) | instskip(NEXT) | instid1(VALU_DEP_1)
	v_lshlrev_b64_e32 v[6:7], 1, v[6:7]
	v_add_co_u32 v6, vcc_lo, s30, v6
	s_wait_alu 0xfffd
	s_delay_alu instid0(VALU_DEP_2)
	v_add_co_ci_u32_e64 v7, null, s31, v7, vcc_lo
	global_load_d16_b16 v3, v[6:7], off
.LBB171_17:
	s_wait_alu 0xfffe
	s_or_b32 exec_lo, exec_lo, s7
	v_add_nc_u32_e32 v19, 0x500, v46
	s_delay_alu instid0(VALU_DEP_1)
	v_cmp_gt_u32_e64 s7, s21, v19
	s_and_saveexec_b32 s8, s7
	s_cbranch_execz .LBB171_19
; %bb.18:
	v_mul_lo_u32 v6, s22, v19
	v_mov_b32_e32 v7, 0
	s_delay_alu instid0(VALU_DEP_1) | instskip(NEXT) | instid1(VALU_DEP_1)
	v_lshlrev_b64_e32 v[6:7], 1, v[6:7]
	v_add_co_u32 v6, vcc_lo, s30, v6
	s_wait_alu 0xfffd
	s_delay_alu instid0(VALU_DEP_2)
	v_add_co_ci_u32_e64 v7, null, s31, v7, vcc_lo
	s_wait_loadcnt 0x0
	global_load_d16_hi_b16 v3, v[6:7], off
.LBB171_19:
	s_wait_alu 0xfffe
	s_or_b32 exec_lo, exec_lo, s8
	v_add_nc_u32_e32 v20, 0x600, v46
	s_delay_alu instid0(VALU_DEP_1)
	v_cmp_gt_u32_e64 s8, s21, v20
	s_and_saveexec_b32 s10, s8
	s_cbranch_execz .LBB171_21
; %bb.20:
	v_mul_lo_u32 v6, s22, v20
	v_mov_b32_e32 v7, 0
	s_delay_alu instid0(VALU_DEP_1) | instskip(NEXT) | instid1(VALU_DEP_1)
	v_lshlrev_b64_e32 v[6:7], 1, v[6:7]
	v_add_co_u32 v6, vcc_lo, s30, v6
	s_wait_alu 0xfffd
	s_delay_alu instid0(VALU_DEP_2)
	v_add_co_ci_u32_e64 v7, null, s31, v7, vcc_lo
	global_load_d16_b16 v4, v[6:7], off
.LBB171_21:
	s_wait_alu 0xfffe
	s_or_b32 exec_lo, exec_lo, s10
	s_clause 0x1
	s_load_b32 s14, s[0:1], 0x154
	s_load_b64 s[10:11], s[0:1], 0xe8
	v_add_nc_u32_e32 v21, 0x700, v46
	s_delay_alu instid0(VALU_DEP_1)
	v_cmp_gt_u32_e64 s0, s21, v21
	s_and_saveexec_b32 s1, s0
	s_cbranch_execz .LBB171_23
; %bb.22:
	v_mul_lo_u32 v6, s22, v21
	v_mov_b32_e32 v7, 0
	s_delay_alu instid0(VALU_DEP_1) | instskip(NEXT) | instid1(VALU_DEP_1)
	v_lshlrev_b64_e32 v[6:7], 1, v[6:7]
	v_add_co_u32 v6, vcc_lo, s30, v6
	s_wait_alu 0xfffd
	s_delay_alu instid0(VALU_DEP_2)
	v_add_co_ci_u32_e64 v7, null, s31, v7, vcc_lo
	s_wait_loadcnt 0x0
	global_load_d16_hi_b16 v4, v[6:7], off
.LBB171_23:
	s_or_b32 exec_lo, exec_lo, s1
	v_lshrrev_b32_e32 v6, 4, v46
	v_lshrrev_b32_e32 v7, 4, v15
	;; [unrolled: 1-line block ×3, first 2 shown]
	v_dual_mov_b32 v42, 0 :: v_dual_lshlrev_b32 v9, 1, v46
	s_delay_alu instid0(VALU_DEP_4) | instskip(NEXT) | instid1(VALU_DEP_4)
	v_and_b32_e32 v6, 60, v6
	v_and_b32_e32 v7, 0x7c, v7
	s_delay_alu instid0(VALU_DEP_4)
	v_and_b32_e32 v8, 0x7c, v8
	v_lshrrev_b32_e32 v10, 4, v17
	v_lshrrev_b32_e32 v11, 4, v21
	v_mov_b32_e32 v43, v42
	v_add_nc_u32_e32 v51, v6, v9
	v_dual_mov_b32 v12, v42 :: v_dual_add_nc_u32 v45, v7, v9
	v_add_nc_u32_e32 v52, v8, v9
	v_and_b32_e32 v6, 0x7c, v10
	v_lshrrev_b32_e32 v7, 4, v18
	v_lshrrev_b32_e32 v8, 4, v19
	;; [unrolled: 1-line block ×3, first 2 shown]
	s_wait_kmcnt 0x0
	s_mul_i32 s1, s14, s13
	v_add_nc_u32_e32 v53, v6, v9
	v_and_b32_e32 v6, 0x7c, v7
	v_and_b32_e32 v7, 0xfc, v8
	;; [unrolled: 1-line block ×4, first 2 shown]
	v_lshrrev_b32_e32 v11, 1, v46
	v_dual_mov_b32 v13, 0 :: v_dual_add_nc_u32 v54, v6, v9
	v_add_nc_u32_e32 v55, v7, v9
	v_add_nc_u32_e32 v56, v8, v9
	s_delay_alu instid0(VALU_DEP_4) | instskip(SKIP_2) | instid1(VALU_DEP_3)
	v_dual_mov_b32 v11, v42 :: v_dual_and_b32 v6, 0x1fc, v11
	v_mov_b32_e32 v7, v42
	v_dual_mov_b32 v14, 0 :: v_dual_add_nc_u32 v57, v10, v9
	v_lshl_add_u32 v58, v46, 4, v6
	ds_store_b16 v51, v5
	s_wait_loadcnt 0x0
	ds_store_b16_d16_hi v45, v1 offset:512
	ds_store_b16 v52, v2 offset:1024
	ds_store_b16_d16_hi v53, v2 offset:1536
	ds_store_b16 v54, v3 offset:2048
	;; [unrolled: 2-line block ×3, first 2 shown]
	ds_store_b16_d16_hi v57, v4 offset:3584
	s_wait_dscnt 0x0
	s_barrier_signal -1
	s_barrier_wait -1
	global_inv scope:SCOPE_SE
	ds_load_2addr_b32 v[49:50], v58 offset1:1
	ds_load_2addr_b32 v[47:48], v58 offset0:2 offset1:3
	v_mul_lo_u32 v41, s28, v46
	s_add_co_i32 s14, s1, s9
	v_dual_mov_b32 v9, v42 :: v_dual_mov_b32 v10, v42
	v_dual_mov_b32 v1, v42 :: v_dual_mov_b32 v2, v42
	;; [unrolled: 1-line block ×4, first 2 shown]
	v_mov_b32_e32 v8, v42
	s_lshl_b64 s[14:15], s[14:15], 3
	s_wait_loadcnt_dscnt 0x0
	s_add_nc_u64 s[34:35], s[10:11], s[14:15]
	s_barrier_signal -1
	s_barrier_wait -1
	global_inv scope:SCOPE_SE
	s_and_saveexec_b32 s1, s2
	s_cbranch_execnz .LBB171_79
; %bb.24:
	s_or_b32 exec_lo, exec_lo, s1
	s_and_saveexec_b32 s1, s3
	s_cbranch_execnz .LBB171_80
.LBB171_25:
	s_or_b32 exec_lo, exec_lo, s1
	s_and_saveexec_b32 s1, s4
	s_cbranch_execnz .LBB171_81
.LBB171_26:
	s_or_b32 exec_lo, exec_lo, s1
	s_and_saveexec_b32 s1, s5
	s_cbranch_execnz .LBB171_82
.LBB171_27:
	s_or_b32 exec_lo, exec_lo, s1
	s_and_saveexec_b32 s1, s6
	s_cbranch_execnz .LBB171_83
.LBB171_28:
	s_or_b32 exec_lo, exec_lo, s1
	s_and_saveexec_b32 s1, s7
	s_cbranch_execnz .LBB171_84
.LBB171_29:
	s_or_b32 exec_lo, exec_lo, s1
	s_and_saveexec_b32 s1, s8
	s_cbranch_execz .LBB171_31
.LBB171_30:
	v_mul_lo_u32 v5, s28, v20
	v_mov_b32_e32 v6, 0
	s_delay_alu instid0(VALU_DEP_1) | instskip(NEXT) | instid1(VALU_DEP_1)
	v_lshlrev_b64_e32 v[5:6], 3, v[5:6]
	v_add_co_u32 v5, vcc_lo, s34, v5
	s_wait_alu 0xfffd
	s_delay_alu instid0(VALU_DEP_2)
	v_add_co_ci_u32_e64 v6, null, s35, v6, vcc_lo
	global_load_b64 v[5:6], v[5:6], off
.LBB171_31:
	s_or_b32 exec_lo, exec_lo, s1
	v_lshrrev_b32_e32 v69, 5, v46
	v_lshrrev_b32_e32 v25, 5, v15
	;; [unrolled: 1-line block ×8, first 2 shown]
	v_lshlrev_b32_e32 v66, 3, v46
	v_lshrrev_b32_e32 v15, 2, v46
	s_xor_b32 s1, s12, -1
	s_and_saveexec_b32 s9, s0
	s_cbranch_execz .LBB171_33
; %bb.32:
	v_mul_lo_u32 v7, s28, v21
	v_mov_b32_e32 v8, 0
	s_delay_alu instid0(VALU_DEP_1) | instskip(NEXT) | instid1(VALU_DEP_1)
	v_lshlrev_b64_e32 v[7:8], 3, v[7:8]
	v_add_co_u32 v7, vcc_lo, s34, v7
	s_wait_alu 0xfffd
	s_delay_alu instid0(VALU_DEP_2)
	v_add_co_ci_u32_e64 v8, null, s35, v8, vcc_lo
	global_load_b64 v[7:8], v[7:8], off
.LBB171_33:
	s_wait_alu 0xfffe
	s_or_b32 exec_lo, exec_lo, s9
	v_lshl_add_u32 v59, v69, 3, v66
	v_lshl_add_u32 v60, v25, 3, v66
	;; [unrolled: 1-line block ×5, first 2 shown]
	s_wait_loadcnt 0x0
	ds_store_b64 v59, v[13:14]
	ds_store_b64 v60, v[42:43] offset:2048
	ds_store_b64 v61, v[9:10] offset:4096
	;; [unrolled: 1-line block ×3, first 2 shown]
	v_lshlrev_b32_e32 v9, 3, v66
	v_lshl_add_u32 v42, v22, 3, v66
	v_lshl_add_u32 v43, v18, 3, v66
	;; [unrolled: 1-line block ×3, first 2 shown]
	ds_store_b64 v42, v[1:2] offset:8192
	ds_store_b64 v43, v[3:4] offset:10240
	;; [unrolled: 1-line block ×4, first 2 shown]
	v_lshl_add_u32 v65, v15, 3, v9
	s_wait_dscnt 0x0
	s_barrier_signal -1
	s_barrier_wait -1
	global_inv scope:SCOPE_SE
	ds_load_2addr_b64 v[5:8], v65 offset1:1
	ds_load_2addr_b64 v[1:4], v65 offset0:2 offset1:3
	v_mbcnt_lo_u32_b32 v70, -1, 0
	v_and_b32_e32 v17, 0x1f00, v66
	ds_load_2addr_b64 v[13:16], v65 offset0:4 offset1:5
	ds_load_2addr_b64 v[9:12], v65 offset0:6 offset1:7
	v_and_b32_e32 v72, 0x3e0, v46
	v_bfe_u32 v73, v0, 10, 10
	v_bfe_u32 v74, v0, 20, 10
	v_or_b32_e32 v71, v70, v17
	v_lshlrev_b32_e32 v67, 2, v66
	v_or_b32_e32 v18, v70, v72
	s_mov_b32 s12, 0
	s_and_b32 vcc_lo, exec_lo, s1
	v_lshlrev_b32_e32 v68, 1, v71
	s_mov_b32 s1, -1
	v_lshlrev_b32_e32 v76, 3, v18
	v_lshlrev_b32_e32 v77, 4, v18
	s_wait_loadcnt_dscnt 0x0
	v_mad_u32_u24 v75, v71, 6, v68
	s_barrier_signal -1
	s_barrier_wait -1
	global_inv scope:SCOPE_SE
	s_wait_alu 0xfffe
	s_cbranch_vccz .LBB171_85
; %bb.34:
	v_xor_b32_e32 v17, 0x80008000, v49
	v_xor_b32_e32 v18, 0x80008000, v50
	;; [unrolled: 1-line block ×4, first 2 shown]
	s_getpc_b64 s[10:11]
	s_wait_alu 0xfffe
	s_sext_i32_i16 s11, s11
	s_add_co_u32 s10, s10, _ZN7rocprim17ROCPRIM_400000_NS16block_radix_sortIsLj256ELj8ElLj1ELj1ELj0ELNS0_26block_radix_rank_algorithmE1ELNS0_18block_padding_hintE2ELNS0_4arch9wavefront6targetE0EE19radix_bits_per_passE@rel32@lo+12
	s_wait_alu 0xfffe
	s_add_co_ci_u32 s11, s11, _ZN7rocprim17ROCPRIM_400000_NS16block_radix_sortIsLj256ELj8ElLj1ELj1ELj0ELNS0_26block_radix_rank_algorithmE1ELNS0_18block_padding_hintE2ELNS0_4arch9wavefront6targetE0EE19radix_bits_per_passE@rel32@hi+24
	s_mov_b32 s13, s12
	s_load_b32 s20, s[10:11], 0x0
	s_mov_b32 s14, s12
	ds_store_b128 v77, v[17:20]
	; wave barrier
	ds_load_u16 v78, v68
	s_mov_b32 s15, s12
	v_lshlrev_b32_e32 v0, 3, v76
	ds_load_u16 v79, v68 offset:64
	ds_load_u16 v80, v68 offset:128
	;; [unrolled: 1-line block ×7, first 2 shown]
	s_wait_loadcnt_dscnt 0x0
	s_barrier_signal -1
	s_barrier_wait -1
	global_inv scope:SCOPE_SE
	ds_store_b128 v0, v[5:8]
	ds_store_b128 v0, v[1:4] offset:16
	ds_store_b128 v0, v[13:16] offset:32
	;; [unrolled: 1-line block ×3, first 2 shown]
	; wave barrier
	s_wait_kmcnt 0x0
	s_min_u32 s1, s20, 16
	s_delay_alu instid0(SALU_CYCLE_1) | instskip(NEXT) | instid1(SALU_CYCLE_1)
	s_lshl_b32 s1, -1, s1
	s_not_b32 s9, s1
	v_and_b32_e32 v17, 0xffff, v78
	s_wait_alu 0xfffe
	s_delay_alu instid0(VALU_DEP_1)
	v_and_b32_e32 v40, s9, v17
	ds_load_2addr_b64 v[21:24], v75 offset1:32
	ds_load_2addr_b64 v[17:20], v75 offset0:64 offset1:96
	ds_load_2addr_b64 v[29:32], v75 offset0:128 offset1:160
	;; [unrolled: 1-line block ×3, first 2 shown]
	s_wait_loadcnt_dscnt 0x0
	s_barrier_signal -1
	v_and_b32_e32 v0, 1, v40
	v_lshlrev_b32_e32 v33, 30, v40
	v_lshlrev_b32_e32 v36, 28, v40
	;; [unrolled: 1-line block ×3, first 2 shown]
	s_barrier_wait -1
	v_add_co_u32 v0, s1, v0, -1
	s_delay_alu instid0(VALU_DEP_1)
	v_cndmask_b32_e64 v34, 0, 1, s1
	v_not_b32_e32 v35, v33
	v_cmp_gt_i32_e64 s1, 0, v33
	global_inv scope:SCOPE_SE
	v_cmp_ne_u32_e32 vcc_lo, 0, v34
	v_lshlrev_b32_e32 v34, 29, v40
	v_ashrrev_i32_e32 v33, 31, v35
	s_wait_alu 0xfffd
	v_xor_b32_e32 v0, vcc_lo, v0
	s_delay_alu instid0(VALU_DEP_3)
	v_not_b32_e32 v35, v34
	v_cmp_gt_i32_e32 vcc_lo, 0, v34
	s_wait_alu 0xf1ff
	v_xor_b32_e32 v33, s1, v33
	s_load_b32 s1, s[36:37], 0xc
	v_and_b32_e32 v0, exec_lo, v0
	v_ashrrev_i32_e32 v34, 31, v35
	v_not_b32_e32 v35, v36
	s_delay_alu instid0(VALU_DEP_3) | instskip(NEXT) | instid1(VALU_DEP_3)
	v_and_b32_e32 v0, v0, v33
	v_xor_b32_e32 v33, vcc_lo, v34
	v_cmp_gt_i32_e32 vcc_lo, 0, v36
	s_delay_alu instid0(VALU_DEP_4) | instskip(SKIP_1) | instid1(VALU_DEP_4)
	v_ashrrev_i32_e32 v34, 31, v35
	v_not_b32_e32 v35, v37
	v_and_b32_e32 v0, v0, v33
	v_lshlrev_b32_e32 v33, 26, v40
	s_wait_alu 0xfffd
	v_xor_b32_e32 v34, vcc_lo, v34
	v_cmp_gt_i32_e32 vcc_lo, 0, v37
	v_ashrrev_i32_e32 v35, 31, v35
	v_not_b32_e32 v36, v33
	s_delay_alu instid0(VALU_DEP_4)
	v_and_b32_e32 v0, v0, v34
	v_lshlrev_b32_e32 v34, 25, v40
	s_wait_alu 0xfffd
	v_xor_b32_e32 v35, vcc_lo, v35
	v_cmp_gt_i32_e32 vcc_lo, 0, v33
	v_ashrrev_i32_e32 v33, 31, v36
	s_wait_kmcnt 0x0
	s_lshr_b32 s10, s1, 16
	v_not_b32_e32 v36, v34
	v_and_b32_e32 v0, v0, v35
	v_lshlrev_b32_e32 v35, 24, v40
	s_wait_alu 0xfffd
	v_xor_b32_e32 v33, vcc_lo, v33
	v_cmp_gt_i32_e32 vcc_lo, 0, v34
	v_ashrrev_i32_e32 v34, 31, v36
	s_wait_alu 0xfffe
	v_mad_u32_u24 v37, v74, s10, v73
	v_not_b32_e32 v36, v35
	v_and_b32_e32 v0, v0, v33
	s_and_b32 s1, s1, 0xffff
	s_wait_alu 0xfffd
	v_xor_b32_e32 v33, vcc_lo, v34
	v_cmp_gt_i32_e32 vcc_lo, 0, v35
	v_ashrrev_i32_e32 v34, 31, v36
	s_wait_alu 0xfffe
	v_mad_co_u64_u32 v[38:39], null, v37, s1, v[46:47]
	v_and_b32_e32 v0, v0, v33
	s_wait_alu 0xfffd
	v_xor_b32_e32 v33, vcc_lo, v34
	v_dual_mov_b32 v37, s15 :: v_dual_mov_b32 v36, s14
	v_dual_mov_b32 v35, s13 :: v_dual_mov_b32 v34, s12
	s_delay_alu instid0(VALU_DEP_3)
	v_and_b32_e32 v33, v0, v33
	v_lshrrev_b32_e32 v0, 5, v38
	ds_store_b128 v67, v[34:37] offset:32
	ds_store_b128 v67, v[34:37] offset:48
	v_mbcnt_lo_u32_b32 v90, v33, 0
	v_lshlrev_b32_e32 v0, 2, v0
	v_lshlrev_b32_e32 v34, 5, v40
	v_cmp_ne_u32_e64 s1, 0, v33
	s_wait_loadcnt_dscnt 0x0
	v_cmp_eq_u32_e32 vcc_lo, 0, v90
	s_barrier_signal -1
	v_add_nc_u32_e32 v91, v0, v34
	s_barrier_wait -1
	global_inv scope:SCOPE_SE
	s_and_b32 s10, s1, vcc_lo
	; wave barrier
	s_wait_alu 0xfffe
	s_and_saveexec_b32 s1, s10
; %bb.35:
	v_bcnt_u32_b32 v33, v33, 0
	ds_store_b32 v91, v33 offset:32
; %bb.36:
	s_wait_alu 0xfffe
	s_or_b32 exec_lo, exec_lo, s1
	v_and_b32_e32 v33, 0xffff, v79
	; wave barrier
	s_delay_alu instid0(VALU_DEP_1) | instskip(NEXT) | instid1(VALU_DEP_1)
	v_and_b32_e32 v33, s9, v33
	v_and_b32_e32 v34, 1, v33
	v_lshlrev_b32_e32 v35, 30, v33
	v_lshlrev_b32_e32 v36, 29, v33
	;; [unrolled: 1-line block ×4, first 2 shown]
	v_add_co_u32 v34, s1, v34, -1
	s_wait_alu 0xf1ff
	v_cndmask_b32_e64 v38, 0, 1, s1
	v_not_b32_e32 v87, v35
	v_cmp_gt_i32_e64 s1, 0, v35
	v_not_b32_e32 v35, v36
	v_lshlrev_b32_e32 v40, 26, v33
	v_cmp_ne_u32_e32 vcc_lo, 0, v38
	v_ashrrev_i32_e32 v87, 31, v87
	v_lshlrev_b32_e32 v86, 25, v33
	v_ashrrev_i32_e32 v35, 31, v35
	v_lshlrev_b32_e32 v38, 24, v33
	s_wait_alu 0xfffd
	v_xor_b32_e32 v34, vcc_lo, v34
	v_cmp_gt_i32_e32 vcc_lo, 0, v36
	v_not_b32_e32 v36, v37
	s_wait_alu 0xf1ff
	v_xor_b32_e32 v87, s1, v87
	v_cmp_gt_i32_e64 s1, 0, v37
	v_and_b32_e32 v34, exec_lo, v34
	v_not_b32_e32 v37, v39
	v_ashrrev_i32_e32 v36, 31, v36
	s_wait_alu 0xfffd
	v_xor_b32_e32 v35, vcc_lo, v35
	v_cmp_gt_i32_e32 vcc_lo, 0, v39
	v_and_b32_e32 v34, v34, v87
	v_not_b32_e32 v39, v40
	v_ashrrev_i32_e32 v37, 31, v37
	s_wait_alu 0xf1ff
	v_xor_b32_e32 v36, s1, v36
	v_cmp_gt_i32_e64 s1, 0, v40
	v_and_b32_e32 v34, v34, v35
	v_not_b32_e32 v35, v86
	v_ashrrev_i32_e32 v39, 31, v39
	s_wait_alu 0xfffd
	v_xor_b32_e32 v37, vcc_lo, v37
	v_cmp_gt_i32_e32 vcc_lo, 0, v86
	v_and_b32_e32 v34, v34, v36
	v_not_b32_e32 v36, v38
	v_ashrrev_i32_e32 v35, 31, v35
	s_wait_alu 0xf1ff
	v_xor_b32_e32 v39, s1, v39
	v_lshlrev_b32_e32 v33, 5, v33
	v_and_b32_e32 v34, v34, v37
	v_cmp_gt_i32_e64 s1, 0, v38
	v_ashrrev_i32_e32 v36, 31, v36
	s_wait_alu 0xfffd
	v_xor_b32_e32 v35, vcc_lo, v35
	v_add_nc_u32_e32 v94, v0, v33
	v_and_b32_e32 v34, v34, v39
	s_wait_alu 0xf1ff
	v_xor_b32_e32 v33, s1, v36
	ds_load_b32 v92, v94 offset:32
	v_and_b32_e32 v34, v34, v35
	; wave barrier
	s_delay_alu instid0(VALU_DEP_1) | instskip(NEXT) | instid1(VALU_DEP_1)
	v_and_b32_e32 v33, v34, v33
	v_mbcnt_lo_u32_b32 v93, v33, 0
	v_cmp_ne_u32_e64 s1, 0, v33
	s_delay_alu instid0(VALU_DEP_2)
	v_cmp_eq_u32_e32 vcc_lo, 0, v93
	s_and_b32 s10, s1, vcc_lo
	s_wait_alu 0xfffe
	s_and_saveexec_b32 s1, s10
	s_cbranch_execz .LBB171_38
; %bb.37:
	s_wait_dscnt 0x0
	v_bcnt_u32_b32 v33, v33, v92
	ds_store_b32 v94, v33 offset:32
.LBB171_38:
	s_wait_alu 0xfffe
	s_or_b32 exec_lo, exec_lo, s1
	v_and_b32_e32 v33, 0xffff, v80
	; wave barrier
	s_delay_alu instid0(VALU_DEP_1) | instskip(NEXT) | instid1(VALU_DEP_1)
	v_and_b32_e32 v33, s9, v33
	v_and_b32_e32 v34, 1, v33
	v_lshlrev_b32_e32 v35, 30, v33
	v_lshlrev_b32_e32 v36, 29, v33
	;; [unrolled: 1-line block ×4, first 2 shown]
	v_add_co_u32 v34, s1, v34, -1
	s_wait_alu 0xf1ff
	v_cndmask_b32_e64 v38, 0, 1, s1
	v_not_b32_e32 v87, v35
	v_cmp_gt_i32_e64 s1, 0, v35
	v_not_b32_e32 v35, v36
	v_lshlrev_b32_e32 v40, 26, v33
	v_cmp_ne_u32_e32 vcc_lo, 0, v38
	v_ashrrev_i32_e32 v87, 31, v87
	v_lshlrev_b32_e32 v86, 25, v33
	v_ashrrev_i32_e32 v35, 31, v35
	v_lshlrev_b32_e32 v38, 24, v33
	s_wait_alu 0xfffd
	v_xor_b32_e32 v34, vcc_lo, v34
	v_cmp_gt_i32_e32 vcc_lo, 0, v36
	v_not_b32_e32 v36, v37
	s_wait_alu 0xf1ff
	v_xor_b32_e32 v87, s1, v87
	v_cmp_gt_i32_e64 s1, 0, v37
	v_and_b32_e32 v34, exec_lo, v34
	v_not_b32_e32 v37, v39
	v_ashrrev_i32_e32 v36, 31, v36
	s_wait_alu 0xfffd
	v_xor_b32_e32 v35, vcc_lo, v35
	v_cmp_gt_i32_e32 vcc_lo, 0, v39
	v_and_b32_e32 v34, v34, v87
	v_not_b32_e32 v39, v40
	v_ashrrev_i32_e32 v37, 31, v37
	s_wait_alu 0xf1ff
	v_xor_b32_e32 v36, s1, v36
	v_cmp_gt_i32_e64 s1, 0, v40
	v_and_b32_e32 v34, v34, v35
	v_not_b32_e32 v35, v86
	v_ashrrev_i32_e32 v39, 31, v39
	s_wait_alu 0xfffd
	v_xor_b32_e32 v37, vcc_lo, v37
	v_cmp_gt_i32_e32 vcc_lo, 0, v86
	v_and_b32_e32 v34, v34, v36
	v_not_b32_e32 v36, v38
	v_ashrrev_i32_e32 v35, 31, v35
	s_wait_alu 0xf1ff
	v_xor_b32_e32 v39, s1, v39
	v_lshlrev_b32_e32 v33, 5, v33
	v_and_b32_e32 v34, v34, v37
	v_cmp_gt_i32_e64 s1, 0, v38
	v_ashrrev_i32_e32 v36, 31, v36
	s_wait_alu 0xfffd
	v_xor_b32_e32 v35, vcc_lo, v35
	v_add_nc_u32_e32 v97, v0, v33
	v_and_b32_e32 v34, v34, v39
	s_wait_alu 0xf1ff
	v_xor_b32_e32 v33, s1, v36
	ds_load_b32 v95, v97 offset:32
	v_and_b32_e32 v34, v34, v35
	; wave barrier
	s_delay_alu instid0(VALU_DEP_1) | instskip(NEXT) | instid1(VALU_DEP_1)
	v_and_b32_e32 v33, v34, v33
	v_mbcnt_lo_u32_b32 v96, v33, 0
	v_cmp_ne_u32_e64 s1, 0, v33
	s_delay_alu instid0(VALU_DEP_2)
	v_cmp_eq_u32_e32 vcc_lo, 0, v96
	s_and_b32 s10, s1, vcc_lo
	s_wait_alu 0xfffe
	s_and_saveexec_b32 s1, s10
	s_cbranch_execz .LBB171_40
; %bb.39:
	s_wait_dscnt 0x0
	v_bcnt_u32_b32 v33, v33, v95
	ds_store_b32 v97, v33 offset:32
.LBB171_40:
	s_wait_alu 0xfffe
	s_or_b32 exec_lo, exec_lo, s1
	v_and_b32_e32 v33, 0xffff, v81
	; wave barrier
	s_delay_alu instid0(VALU_DEP_1) | instskip(NEXT) | instid1(VALU_DEP_1)
	v_and_b32_e32 v33, s9, v33
	v_and_b32_e32 v34, 1, v33
	v_lshlrev_b32_e32 v35, 30, v33
	v_lshlrev_b32_e32 v36, 29, v33
	;; [unrolled: 1-line block ×4, first 2 shown]
	v_add_co_u32 v34, s1, v34, -1
	s_wait_alu 0xf1ff
	v_cndmask_b32_e64 v38, 0, 1, s1
	v_not_b32_e32 v87, v35
	v_cmp_gt_i32_e64 s1, 0, v35
	v_not_b32_e32 v35, v36
	v_lshlrev_b32_e32 v40, 26, v33
	v_cmp_ne_u32_e32 vcc_lo, 0, v38
	v_ashrrev_i32_e32 v87, 31, v87
	v_lshlrev_b32_e32 v86, 25, v33
	v_ashrrev_i32_e32 v35, 31, v35
	v_lshlrev_b32_e32 v38, 24, v33
	s_wait_alu 0xfffd
	v_xor_b32_e32 v34, vcc_lo, v34
	v_cmp_gt_i32_e32 vcc_lo, 0, v36
	v_not_b32_e32 v36, v37
	s_wait_alu 0xf1ff
	v_xor_b32_e32 v87, s1, v87
	v_cmp_gt_i32_e64 s1, 0, v37
	v_and_b32_e32 v34, exec_lo, v34
	v_not_b32_e32 v37, v39
	v_ashrrev_i32_e32 v36, 31, v36
	s_wait_alu 0xfffd
	v_xor_b32_e32 v35, vcc_lo, v35
	v_cmp_gt_i32_e32 vcc_lo, 0, v39
	v_and_b32_e32 v34, v34, v87
	v_not_b32_e32 v39, v40
	v_ashrrev_i32_e32 v37, 31, v37
	s_wait_alu 0xf1ff
	v_xor_b32_e32 v36, s1, v36
	v_cmp_gt_i32_e64 s1, 0, v40
	v_and_b32_e32 v34, v34, v35
	v_not_b32_e32 v35, v86
	v_ashrrev_i32_e32 v39, 31, v39
	s_wait_alu 0xfffd
	v_xor_b32_e32 v37, vcc_lo, v37
	v_cmp_gt_i32_e32 vcc_lo, 0, v86
	v_and_b32_e32 v34, v34, v36
	v_not_b32_e32 v36, v38
	v_ashrrev_i32_e32 v35, 31, v35
	s_wait_alu 0xf1ff
	v_xor_b32_e32 v39, s1, v39
	v_lshlrev_b32_e32 v33, 5, v33
	v_and_b32_e32 v34, v34, v37
	v_cmp_gt_i32_e64 s1, 0, v38
	v_ashrrev_i32_e32 v36, 31, v36
	s_wait_alu 0xfffd
	v_xor_b32_e32 v35, vcc_lo, v35
	v_add_nc_u32_e32 v100, v0, v33
	v_and_b32_e32 v34, v34, v39
	s_wait_alu 0xf1ff
	v_xor_b32_e32 v33, s1, v36
	ds_load_b32 v98, v100 offset:32
	v_and_b32_e32 v34, v34, v35
	; wave barrier
	s_delay_alu instid0(VALU_DEP_1) | instskip(NEXT) | instid1(VALU_DEP_1)
	v_and_b32_e32 v33, v34, v33
	v_mbcnt_lo_u32_b32 v99, v33, 0
	v_cmp_ne_u32_e64 s1, 0, v33
	s_delay_alu instid0(VALU_DEP_2)
	v_cmp_eq_u32_e32 vcc_lo, 0, v99
	s_and_b32 s10, s1, vcc_lo
	s_wait_alu 0xfffe
	s_and_saveexec_b32 s1, s10
	s_cbranch_execz .LBB171_42
; %bb.41:
	s_wait_dscnt 0x0
	v_bcnt_u32_b32 v33, v33, v98
	ds_store_b32 v100, v33 offset:32
.LBB171_42:
	s_wait_alu 0xfffe
	s_or_b32 exec_lo, exec_lo, s1
	v_and_b32_e32 v33, 0xffff, v82
	; wave barrier
	s_delay_alu instid0(VALU_DEP_1) | instskip(NEXT) | instid1(VALU_DEP_1)
	v_and_b32_e32 v33, s9, v33
	v_and_b32_e32 v34, 1, v33
	v_lshlrev_b32_e32 v35, 30, v33
	v_lshlrev_b32_e32 v36, 29, v33
	;; [unrolled: 1-line block ×4, first 2 shown]
	v_add_co_u32 v34, s1, v34, -1
	s_wait_alu 0xf1ff
	v_cndmask_b32_e64 v38, 0, 1, s1
	v_not_b32_e32 v87, v35
	v_cmp_gt_i32_e64 s1, 0, v35
	v_not_b32_e32 v35, v36
	v_lshlrev_b32_e32 v40, 26, v33
	v_cmp_ne_u32_e32 vcc_lo, 0, v38
	v_ashrrev_i32_e32 v87, 31, v87
	v_lshlrev_b32_e32 v86, 25, v33
	v_ashrrev_i32_e32 v35, 31, v35
	v_lshlrev_b32_e32 v38, 24, v33
	s_wait_alu 0xfffd
	v_xor_b32_e32 v34, vcc_lo, v34
	v_cmp_gt_i32_e32 vcc_lo, 0, v36
	v_not_b32_e32 v36, v37
	s_wait_alu 0xf1ff
	v_xor_b32_e32 v87, s1, v87
	v_cmp_gt_i32_e64 s1, 0, v37
	v_and_b32_e32 v34, exec_lo, v34
	v_not_b32_e32 v37, v39
	v_ashrrev_i32_e32 v36, 31, v36
	s_wait_alu 0xfffd
	v_xor_b32_e32 v35, vcc_lo, v35
	v_cmp_gt_i32_e32 vcc_lo, 0, v39
	v_and_b32_e32 v34, v34, v87
	v_not_b32_e32 v39, v40
	v_ashrrev_i32_e32 v37, 31, v37
	s_wait_alu 0xf1ff
	v_xor_b32_e32 v36, s1, v36
	v_cmp_gt_i32_e64 s1, 0, v40
	v_and_b32_e32 v34, v34, v35
	v_not_b32_e32 v35, v86
	v_ashrrev_i32_e32 v39, 31, v39
	s_wait_alu 0xfffd
	v_xor_b32_e32 v37, vcc_lo, v37
	v_cmp_gt_i32_e32 vcc_lo, 0, v86
	v_and_b32_e32 v34, v34, v36
	v_not_b32_e32 v36, v38
	v_ashrrev_i32_e32 v35, 31, v35
	s_wait_alu 0xf1ff
	v_xor_b32_e32 v39, s1, v39
	v_lshlrev_b32_e32 v33, 5, v33
	v_and_b32_e32 v34, v34, v37
	v_cmp_gt_i32_e64 s1, 0, v38
	v_ashrrev_i32_e32 v36, 31, v36
	s_wait_alu 0xfffd
	v_xor_b32_e32 v35, vcc_lo, v35
	v_add_nc_u32_e32 v103, v0, v33
	v_and_b32_e32 v34, v34, v39
	s_wait_alu 0xf1ff
	v_xor_b32_e32 v33, s1, v36
	ds_load_b32 v101, v103 offset:32
	v_and_b32_e32 v34, v34, v35
	; wave barrier
	s_delay_alu instid0(VALU_DEP_1) | instskip(NEXT) | instid1(VALU_DEP_1)
	v_and_b32_e32 v33, v34, v33
	v_mbcnt_lo_u32_b32 v102, v33, 0
	v_cmp_ne_u32_e64 s1, 0, v33
	s_delay_alu instid0(VALU_DEP_2)
	v_cmp_eq_u32_e32 vcc_lo, 0, v102
	s_and_b32 s10, s1, vcc_lo
	s_wait_alu 0xfffe
	s_and_saveexec_b32 s1, s10
	s_cbranch_execz .LBB171_44
; %bb.43:
	s_wait_dscnt 0x0
	v_bcnt_u32_b32 v33, v33, v101
	ds_store_b32 v103, v33 offset:32
.LBB171_44:
	s_wait_alu 0xfffe
	s_or_b32 exec_lo, exec_lo, s1
	v_and_b32_e32 v33, 0xffff, v83
	; wave barrier
	s_delay_alu instid0(VALU_DEP_1) | instskip(NEXT) | instid1(VALU_DEP_1)
	v_and_b32_e32 v33, s9, v33
	v_and_b32_e32 v34, 1, v33
	v_lshlrev_b32_e32 v35, 30, v33
	v_lshlrev_b32_e32 v36, 29, v33
	;; [unrolled: 1-line block ×4, first 2 shown]
	v_add_co_u32 v34, s1, v34, -1
	s_wait_alu 0xf1ff
	v_cndmask_b32_e64 v38, 0, 1, s1
	v_not_b32_e32 v87, v35
	v_cmp_gt_i32_e64 s1, 0, v35
	v_not_b32_e32 v35, v36
	v_lshlrev_b32_e32 v40, 26, v33
	v_cmp_ne_u32_e32 vcc_lo, 0, v38
	v_ashrrev_i32_e32 v87, 31, v87
	v_lshlrev_b32_e32 v86, 25, v33
	v_ashrrev_i32_e32 v35, 31, v35
	v_lshlrev_b32_e32 v38, 24, v33
	s_wait_alu 0xfffd
	v_xor_b32_e32 v34, vcc_lo, v34
	v_cmp_gt_i32_e32 vcc_lo, 0, v36
	v_not_b32_e32 v36, v37
	s_wait_alu 0xf1ff
	v_xor_b32_e32 v87, s1, v87
	v_cmp_gt_i32_e64 s1, 0, v37
	v_and_b32_e32 v34, exec_lo, v34
	v_not_b32_e32 v37, v39
	v_ashrrev_i32_e32 v36, 31, v36
	s_wait_alu 0xfffd
	v_xor_b32_e32 v35, vcc_lo, v35
	v_cmp_gt_i32_e32 vcc_lo, 0, v39
	v_and_b32_e32 v34, v34, v87
	v_not_b32_e32 v39, v40
	v_ashrrev_i32_e32 v37, 31, v37
	s_wait_alu 0xf1ff
	v_xor_b32_e32 v36, s1, v36
	v_cmp_gt_i32_e64 s1, 0, v40
	v_and_b32_e32 v34, v34, v35
	v_not_b32_e32 v35, v86
	v_ashrrev_i32_e32 v39, 31, v39
	s_wait_alu 0xfffd
	v_xor_b32_e32 v37, vcc_lo, v37
	v_cmp_gt_i32_e32 vcc_lo, 0, v86
	v_and_b32_e32 v34, v34, v36
	v_not_b32_e32 v36, v38
	v_ashrrev_i32_e32 v35, 31, v35
	s_wait_alu 0xf1ff
	v_xor_b32_e32 v39, s1, v39
	v_lshlrev_b32_e32 v33, 5, v33
	v_and_b32_e32 v34, v34, v37
	v_cmp_gt_i32_e64 s1, 0, v38
	v_ashrrev_i32_e32 v36, 31, v36
	s_wait_alu 0xfffd
	v_xor_b32_e32 v35, vcc_lo, v35
	v_add_nc_u32_e32 v106, v0, v33
	v_and_b32_e32 v34, v34, v39
	s_wait_alu 0xf1ff
	v_xor_b32_e32 v33, s1, v36
	ds_load_b32 v104, v106 offset:32
	v_and_b32_e32 v34, v34, v35
	; wave barrier
	s_delay_alu instid0(VALU_DEP_1) | instskip(NEXT) | instid1(VALU_DEP_1)
	v_and_b32_e32 v33, v34, v33
	v_mbcnt_lo_u32_b32 v105, v33, 0
	v_cmp_ne_u32_e64 s1, 0, v33
	s_delay_alu instid0(VALU_DEP_2)
	v_cmp_eq_u32_e32 vcc_lo, 0, v105
	s_and_b32 s10, s1, vcc_lo
	s_wait_alu 0xfffe
	s_and_saveexec_b32 s1, s10
	s_cbranch_execz .LBB171_46
; %bb.45:
	s_wait_dscnt 0x0
	v_bcnt_u32_b32 v33, v33, v104
	ds_store_b32 v106, v33 offset:32
.LBB171_46:
	s_wait_alu 0xfffe
	s_or_b32 exec_lo, exec_lo, s1
	v_and_b32_e32 v33, 0xffff, v84
	; wave barrier
	s_delay_alu instid0(VALU_DEP_1) | instskip(NEXT) | instid1(VALU_DEP_1)
	v_and_b32_e32 v33, s9, v33
	v_and_b32_e32 v34, 1, v33
	v_lshlrev_b32_e32 v35, 30, v33
	v_lshlrev_b32_e32 v36, 29, v33
	;; [unrolled: 1-line block ×4, first 2 shown]
	v_add_co_u32 v34, s1, v34, -1
	s_wait_alu 0xf1ff
	v_cndmask_b32_e64 v38, 0, 1, s1
	v_not_b32_e32 v87, v35
	v_cmp_gt_i32_e64 s1, 0, v35
	v_not_b32_e32 v35, v36
	v_lshlrev_b32_e32 v40, 26, v33
	v_cmp_ne_u32_e32 vcc_lo, 0, v38
	v_ashrrev_i32_e32 v87, 31, v87
	v_lshlrev_b32_e32 v86, 25, v33
	v_ashrrev_i32_e32 v35, 31, v35
	v_lshlrev_b32_e32 v38, 24, v33
	s_wait_alu 0xfffd
	v_xor_b32_e32 v34, vcc_lo, v34
	v_cmp_gt_i32_e32 vcc_lo, 0, v36
	v_not_b32_e32 v36, v37
	s_wait_alu 0xf1ff
	v_xor_b32_e32 v87, s1, v87
	v_cmp_gt_i32_e64 s1, 0, v37
	v_and_b32_e32 v34, exec_lo, v34
	v_not_b32_e32 v37, v39
	v_ashrrev_i32_e32 v36, 31, v36
	s_wait_alu 0xfffd
	v_xor_b32_e32 v35, vcc_lo, v35
	v_cmp_gt_i32_e32 vcc_lo, 0, v39
	v_and_b32_e32 v34, v34, v87
	v_not_b32_e32 v39, v40
	v_ashrrev_i32_e32 v37, 31, v37
	s_wait_alu 0xf1ff
	v_xor_b32_e32 v36, s1, v36
	v_cmp_gt_i32_e64 s1, 0, v40
	v_and_b32_e32 v34, v34, v35
	v_not_b32_e32 v35, v86
	v_ashrrev_i32_e32 v39, 31, v39
	s_wait_alu 0xfffd
	v_xor_b32_e32 v37, vcc_lo, v37
	v_cmp_gt_i32_e32 vcc_lo, 0, v86
	v_and_b32_e32 v34, v34, v36
	v_not_b32_e32 v36, v38
	v_ashrrev_i32_e32 v35, 31, v35
	s_wait_alu 0xf1ff
	v_xor_b32_e32 v39, s1, v39
	v_lshlrev_b32_e32 v33, 5, v33
	v_and_b32_e32 v34, v34, v37
	v_cmp_gt_i32_e64 s1, 0, v38
	v_ashrrev_i32_e32 v36, 31, v36
	s_wait_alu 0xfffd
	v_xor_b32_e32 v35, vcc_lo, v35
	v_add_nc_u32_e32 v109, v0, v33
	v_and_b32_e32 v34, v34, v39
	s_wait_alu 0xf1ff
	v_xor_b32_e32 v33, s1, v36
	ds_load_b32 v107, v109 offset:32
	v_and_b32_e32 v34, v34, v35
	; wave barrier
	s_delay_alu instid0(VALU_DEP_1) | instskip(NEXT) | instid1(VALU_DEP_1)
	v_and_b32_e32 v33, v34, v33
	v_mbcnt_lo_u32_b32 v108, v33, 0
	v_cmp_ne_u32_e64 s1, 0, v33
	s_delay_alu instid0(VALU_DEP_2)
	v_cmp_eq_u32_e32 vcc_lo, 0, v108
	s_and_b32 s10, s1, vcc_lo
	s_wait_alu 0xfffe
	s_and_saveexec_b32 s1, s10
	s_cbranch_execz .LBB171_48
; %bb.47:
	s_wait_dscnt 0x0
	v_bcnt_u32_b32 v33, v33, v107
	ds_store_b32 v109, v33 offset:32
.LBB171_48:
	s_wait_alu 0xfffe
	s_or_b32 exec_lo, exec_lo, s1
	v_and_b32_e32 v33, 0xffff, v85
	; wave barrier
	s_delay_alu instid0(VALU_DEP_1) | instskip(NEXT) | instid1(VALU_DEP_1)
	v_and_b32_e32 v33, s9, v33
	v_and_b32_e32 v34, 1, v33
	v_lshlrev_b32_e32 v35, 30, v33
	v_lshlrev_b32_e32 v36, 29, v33
	;; [unrolled: 1-line block ×4, first 2 shown]
	v_add_co_u32 v34, s1, v34, -1
	s_wait_alu 0xf1ff
	v_cndmask_b32_e64 v38, 0, 1, s1
	v_not_b32_e32 v87, v35
	v_cmp_gt_i32_e64 s1, 0, v35
	v_not_b32_e32 v35, v36
	v_lshlrev_b32_e32 v40, 26, v33
	v_cmp_ne_u32_e32 vcc_lo, 0, v38
	v_ashrrev_i32_e32 v87, 31, v87
	v_lshlrev_b32_e32 v86, 25, v33
	v_ashrrev_i32_e32 v35, 31, v35
	v_lshlrev_b32_e32 v38, 24, v33
	s_wait_alu 0xfffd
	v_xor_b32_e32 v34, vcc_lo, v34
	v_cmp_gt_i32_e32 vcc_lo, 0, v36
	v_not_b32_e32 v36, v37
	s_wait_alu 0xf1ff
	v_xor_b32_e32 v87, s1, v87
	v_cmp_gt_i32_e64 s1, 0, v37
	v_and_b32_e32 v34, exec_lo, v34
	v_not_b32_e32 v37, v39
	v_ashrrev_i32_e32 v36, 31, v36
	s_wait_alu 0xfffd
	v_xor_b32_e32 v35, vcc_lo, v35
	v_cmp_gt_i32_e32 vcc_lo, 0, v39
	v_and_b32_e32 v34, v34, v87
	v_not_b32_e32 v39, v40
	v_ashrrev_i32_e32 v37, 31, v37
	s_wait_alu 0xf1ff
	v_xor_b32_e32 v36, s1, v36
	v_cmp_gt_i32_e64 s1, 0, v40
	v_and_b32_e32 v34, v34, v35
	v_not_b32_e32 v35, v86
	v_ashrrev_i32_e32 v39, 31, v39
	s_wait_alu 0xfffd
	v_xor_b32_e32 v37, vcc_lo, v37
	v_cmp_gt_i32_e32 vcc_lo, 0, v86
	v_and_b32_e32 v34, v34, v36
	v_not_b32_e32 v36, v38
	v_ashrrev_i32_e32 v35, 31, v35
	s_wait_alu 0xf1ff
	v_xor_b32_e32 v39, s1, v39
	v_lshlrev_b32_e32 v33, 5, v33
	v_and_b32_e32 v34, v34, v37
	v_cmp_gt_i32_e64 s1, 0, v38
	v_ashrrev_i32_e32 v36, 31, v36
	s_wait_alu 0xfffd
	v_xor_b32_e32 v35, vcc_lo, v35
	v_add_nc_u32_e32 v112, v0, v33
	v_and_b32_e32 v34, v34, v39
	v_min_u32_e32 v86, 0xe0, v72
	s_wait_alu 0xf1ff
	v_xor_b32_e32 v33, s1, v36
	ds_load_b32 v110, v112 offset:32
	v_and_b32_e32 v34, v34, v35
	; wave barrier
	s_delay_alu instid0(VALU_DEP_1) | instskip(NEXT) | instid1(VALU_DEP_1)
	v_and_b32_e32 v33, v34, v33
	v_mbcnt_lo_u32_b32 v111, v33, 0
	v_cmp_ne_u32_e64 s1, 0, v33
	s_delay_alu instid0(VALU_DEP_2)
	v_cmp_eq_u32_e32 vcc_lo, 0, v111
	s_and_b32 s9, s1, vcc_lo
	s_wait_alu 0xfffe
	s_and_saveexec_b32 s1, s9
	s_cbranch_execz .LBB171_50
; %bb.49:
	s_wait_dscnt 0x0
	v_bcnt_u32_b32 v33, v33, v110
	ds_store_b32 v112, v33 offset:32
.LBB171_50:
	s_wait_alu 0xfffe
	s_or_b32 exec_lo, exec_lo, s1
	; wave barrier
	s_wait_loadcnt_dscnt 0x0
	s_barrier_signal -1
	s_barrier_wait -1
	global_inv scope:SCOPE_SE
	ds_load_b128 v[37:40], v67 offset:32
	ds_load_b128 v[33:36], v67 offset:48
	v_and_b32_e32 v89, 16, v70
	v_or_b32_e32 v86, 31, v86
	s_delay_alu instid0(VALU_DEP_2) | instskip(NEXT) | instid1(VALU_DEP_2)
	v_cmp_eq_u32_e64 s17, 0, v89
	v_cmp_eq_u32_e64 s15, v46, v86
	s_wait_dscnt 0x1
	v_add_nc_u32_e32 v87, v38, v37
	s_delay_alu instid0(VALU_DEP_1) | instskip(SKIP_1) | instid1(VALU_DEP_1)
	v_add3_u32 v87, v87, v39, v40
	s_wait_dscnt 0x0
	v_add3_u32 v87, v87, v33, v34
	s_delay_alu instid0(VALU_DEP_1) | instskip(SKIP_1) | instid1(VALU_DEP_2)
	v_add3_u32 v36, v87, v35, v36
	v_and_b32_e32 v87, 15, v70
	v_mov_b32_dpp v88, v36 row_shr:1 row_mask:0xf bank_mask:0xf
	s_delay_alu instid0(VALU_DEP_2)
	v_cmp_eq_u32_e64 s9, 0, v87
	v_cmp_lt_u32_e64 s11, 1, v87
	v_cmp_lt_u32_e64 s12, 3, v87
	;; [unrolled: 1-line block ×3, first 2 shown]
	s_wait_alu 0xf1ff
	v_cndmask_b32_e64 v88, v88, 0, s9
	s_delay_alu instid0(VALU_DEP_1) | instskip(NEXT) | instid1(VALU_DEP_1)
	v_add_nc_u32_e32 v36, v88, v36
	v_mov_b32_dpp v88, v36 row_shr:2 row_mask:0xf bank_mask:0xf
	s_delay_alu instid0(VALU_DEP_1) | instskip(NEXT) | instid1(VALU_DEP_1)
	v_cndmask_b32_e64 v88, 0, v88, s11
	v_add_nc_u32_e32 v36, v36, v88
	s_delay_alu instid0(VALU_DEP_1) | instskip(NEXT) | instid1(VALU_DEP_1)
	v_mov_b32_dpp v88, v36 row_shr:4 row_mask:0xf bank_mask:0xf
	v_cndmask_b32_e64 v88, 0, v88, s12
	s_delay_alu instid0(VALU_DEP_1) | instskip(NEXT) | instid1(VALU_DEP_1)
	v_add_nc_u32_e32 v36, v36, v88
	v_mov_b32_dpp v88, v36 row_shr:8 row_mask:0xf bank_mask:0xf
	s_delay_alu instid0(VALU_DEP_1) | instskip(NEXT) | instid1(VALU_DEP_1)
	v_cndmask_b32_e64 v87, 0, v88, s14
	v_add_nc_u32_e32 v88, v36, v87
	v_bfe_i32 v87, v70, 4, 1
	ds_swizzle_b32 v36, v88 offset:swizzle(BROADCAST,32,15)
	s_wait_dscnt 0x0
	v_and_b32_e32 v113, v87, v36
	v_mul_i32_i24_e32 v36, 0xffffffe4, v46
	v_lshlrev_b32_e32 v87, 2, v69
	s_delay_alu instid0(VALU_DEP_3)
	v_add_nc_u32_e32 v89, v88, v113
	s_and_saveexec_b32 s1, s15
; %bb.51:
	ds_store_b32 v87, v89
; %bb.52:
	s_wait_alu 0xfffe
	s_or_b32 exec_lo, exec_lo, s1
	v_and_b32_e32 v86, 7, v70
	v_cmp_gt_u32_e64 s16, 8, v46
	s_wait_loadcnt_dscnt 0x0
	s_barrier_signal -1
	s_barrier_wait -1
	v_cmp_eq_u32_e64 s13, 0, v86
	v_cmp_lt_u32_e64 s10, 1, v86
	v_cmp_lt_u32_e32 vcc_lo, 3, v86
	v_add_nc_u32_e32 v86, v67, v36
	global_inv scope:SCOPE_SE
	s_and_saveexec_b32 s1, s16
	s_cbranch_execz .LBB171_54
; %bb.53:
	ds_load_b32 v36, v86
	s_wait_dscnt 0x0
	v_mov_b32_dpp v88, v36 row_shr:1 row_mask:0xf bank_mask:0xf
	s_wait_alu 0xf1ff
	s_delay_alu instid0(VALU_DEP_1) | instskip(NEXT) | instid1(VALU_DEP_1)
	v_cndmask_b32_e64 v88, v88, 0, s13
	v_add_nc_u32_e32 v36, v88, v36
	s_delay_alu instid0(VALU_DEP_1) | instskip(NEXT) | instid1(VALU_DEP_1)
	v_mov_b32_dpp v88, v36 row_shr:2 row_mask:0xf bank_mask:0xf
	v_cndmask_b32_e64 v88, 0, v88, s10
	s_delay_alu instid0(VALU_DEP_1) | instskip(NEXT) | instid1(VALU_DEP_1)
	v_add_nc_u32_e32 v36, v36, v88
	v_mov_b32_dpp v88, v36 row_shr:4 row_mask:0xf bank_mask:0xf
	s_wait_alu 0xfffd
	s_delay_alu instid0(VALU_DEP_1) | instskip(NEXT) | instid1(VALU_DEP_1)
	v_cndmask_b32_e32 v88, 0, v88, vcc_lo
	v_add_nc_u32_e32 v36, v36, v88
	ds_store_b32 v86, v36
.LBB171_54:
	s_wait_alu 0xfffe
	s_or_b32 exec_lo, exec_lo, s1
	v_sub_co_u32 v113, s1, v70, 1
	v_mul_u32_u24_e32 v36, 6, v71
	v_cmp_lt_u32_e64 s18, 31, v46
	v_add_nc_u32_e32 v88, -4, v87
	v_mov_b32_e32 v114, 0
	s_wait_loadcnt_dscnt 0x0
	s_barrier_signal -1
	s_barrier_wait -1
	global_inv scope:SCOPE_SE
	s_and_saveexec_b32 s19, s18
; %bb.55:
	ds_load_b32 v114, v88
; %bb.56:
	s_or_b32 exec_lo, exec_lo, s19
	v_cmp_gt_i32_e64 s19, 0, v113
	s_mov_b32 s24, 0
	s_min_u32 s20, s20, 8
	s_mov_b32 s25, s24
	s_mov_b32 s26, s24
	v_cndmask_b32_e64 v113, v113, v70, s19
	s_mov_b32 s27, s24
	s_wait_dscnt 0x0
	v_add_nc_u32_e32 v115, v114, v89
	v_cmp_eq_u32_e64 s19, 0, v46
	s_wait_alu 0xfffe
	s_lshl_b32 s20, -1, s20
	v_lshlrev_b32_e32 v89, 2, v113
	s_wait_alu 0xfffe
	s_not_b32 s23, s20
	ds_bpermute_b32 v113, v89, v115
	s_wait_dscnt 0x0
	v_cndmask_b32_e64 v113, v113, v114, s1
	s_delay_alu instid0(VALU_DEP_1) | instskip(NEXT) | instid1(VALU_DEP_1)
	v_cndmask_b32_e64 v113, v113, 0, s19
	v_add_nc_u32_e32 v114, v113, v37
	s_delay_alu instid0(VALU_DEP_1) | instskip(NEXT) | instid1(VALU_DEP_1)
	v_add_nc_u32_e32 v115, v114, v38
	v_add_nc_u32_e32 v116, v115, v39
	s_delay_alu instid0(VALU_DEP_1) | instskip(NEXT) | instid1(VALU_DEP_1)
	v_add_nc_u32_e32 v37, v116, v40
	v_add_nc_u32_e32 v38, v37, v33
	s_delay_alu instid0(VALU_DEP_1) | instskip(NEXT) | instid1(VALU_DEP_1)
	v_add_nc_u32_e32 v39, v38, v34
	v_add_nc_u32_e32 v40, v39, v35
	ds_store_b128 v67, v[113:116] offset:32
	ds_store_b128 v67, v[37:40] offset:48
	s_wait_loadcnt_dscnt 0x0
	s_barrier_signal -1
	s_barrier_wait -1
	global_inv scope:SCOPE_SE
	ds_load_b32 v33, v91 offset:32
	ds_load_b32 v34, v94 offset:32
	;; [unrolled: 1-line block ×8, first 2 shown]
	v_add_nc_u32_e32 v94, v68, v36
	s_wait_loadcnt_dscnt 0x0
	s_barrier_signal -1
	s_barrier_wait -1
	global_inv scope:SCOPE_SE
	v_add_nc_u32_e32 v90, v33, v90
	v_add3_u32 v92, v93, v92, v34
	v_add3_u32 v93, v96, v95, v35
	;; [unrolled: 1-line block ×7, first 2 shown]
	v_lshlrev_b32_e32 v33, 1, v90
	v_lshlrev_b32_e32 v34, 1, v92
	;; [unrolled: 1-line block ×8, first 2 shown]
	ds_store_b16 v33, v78
	ds_store_b16 v34, v79
	;; [unrolled: 1-line block ×8, first 2 shown]
	s_wait_loadcnt_dscnt 0x0
	s_barrier_signal -1
	s_barrier_wait -1
	global_inv scope:SCOPE_SE
	ds_load_u16 v78, v68
	ds_load_u16 v79, v68 offset:64
	ds_load_u16 v80, v68 offset:128
	ds_load_u16 v81, v68 offset:192
	ds_load_u16 v82, v68 offset:256
	ds_load_u16 v83, v68 offset:320
	ds_load_u16 v84, v68 offset:384
	ds_load_u16 v85, v68 offset:448
	v_mad_co_u64_u32 v[90:91], null, v90, 6, v[33:34]
	v_mad_co_u64_u32 v[33:34], null, v92, 6, v[34:35]
	;; [unrolled: 1-line block ×3, first 2 shown]
	s_wait_loadcnt_dscnt 0x0
	s_barrier_signal -1
	s_barrier_wait -1
	global_inv scope:SCOPE_SE
	v_mad_co_u64_u32 v[35:36], null, v95, 6, v[36:37]
	v_lshrrev_b16 v91, 8, v78
	ds_store_b64 v90, v[21:22]
	v_mad_co_u64_u32 v[36:37], null, v96, 6, v[37:38]
	v_mad_co_u64_u32 v[37:38], null, v97, 6, v[38:39]
	v_and_b32_e32 v21, 0xffff, v91
	v_mad_co_u64_u32 v[38:39], null, v98, 6, v[39:40]
	v_mad_co_u64_u32 v[39:40], null, v99, 6, v[40:41]
	s_wait_alu 0xfffe
	s_delay_alu instid0(VALU_DEP_3)
	v_and_b32_e32 v40, s23, v21
	ds_store_b64 v33, v[23:24]
	ds_store_b64 v34, v[17:18]
	;; [unrolled: 1-line block ×7, first 2 shown]
	v_and_b32_e32 v17, 1, v40
	v_lshlrev_b32_e32 v18, 30, v40
	v_lshlrev_b32_e32 v19, 29, v40
	;; [unrolled: 1-line block ×4, first 2 shown]
	v_add_co_u32 v17, s20, v17, -1
	s_wait_alu 0xf1ff
	v_cndmask_b32_e64 v21, 0, 1, s20
	v_not_b32_e32 v25, v18
	v_cmp_gt_i32_e64 s21, 0, v18
	v_not_b32_e32 v18, v19
	v_lshlrev_b32_e32 v23, 26, v40
	v_cmp_ne_u32_e64 s20, 0, v21
	v_ashrrev_i32_e32 v25, 31, v25
	v_lshlrev_b32_e32 v24, 25, v40
	v_ashrrev_i32_e32 v18, 31, v18
	v_lshlrev_b32_e32 v21, 24, v40
	s_wait_alu 0xf1ff
	v_xor_b32_e32 v17, s20, v17
	v_cmp_gt_i32_e64 s20, 0, v19
	v_not_b32_e32 v19, v20
	v_xor_b32_e32 v25, s21, v25
	v_cmp_gt_i32_e64 s21, 0, v20
	v_and_b32_e32 v17, exec_lo, v17
	v_not_b32_e32 v20, v22
	v_ashrrev_i32_e32 v19, 31, v19
	s_wait_alu 0xf1ff
	v_xor_b32_e32 v18, s20, v18
	v_cmp_gt_i32_e64 s20, 0, v22
	v_and_b32_e32 v17, v17, v25
	v_not_b32_e32 v22, v23
	v_ashrrev_i32_e32 v20, 31, v20
	v_xor_b32_e32 v19, s21, v19
	v_cmp_gt_i32_e64 s21, 0, v23
	v_and_b32_e32 v17, v17, v18
	v_not_b32_e32 v18, v24
	v_ashrrev_i32_e32 v22, 31, v22
	s_wait_alu 0xf1ff
	v_xor_b32_e32 v20, s20, v20
	v_cmp_gt_i32_e64 s20, 0, v24
	v_and_b32_e32 v17, v17, v19
	v_not_b32_e32 v19, v21
	v_ashrrev_i32_e32 v18, 31, v18
	v_xor_b32_e32 v22, s21, v22
	v_cmp_gt_i32_e64 s21, 0, v21
	v_and_b32_e32 v17, v17, v20
	v_ashrrev_i32_e32 v19, 31, v19
	s_wait_alu 0xf1ff
	v_xor_b32_e32 v18, s20, v18
	s_wait_loadcnt_dscnt 0x0
	s_barrier_signal -1
	v_and_b32_e32 v17, v17, v22
	v_xor_b32_e32 v33, s21, v19
	s_barrier_wait -1
	global_inv scope:SCOPE_SE
	ds_load_2addr_b64 v[21:24], v94 offset1:32
	v_and_b32_e32 v38, v17, v18
	ds_load_2addr_b64 v[29:32], v94 offset0:64 offset1:96
	ds_load_2addr_b64 v[25:28], v94 offset0:128 offset1:160
	;; [unrolled: 1-line block ×3, first 2 shown]
	v_dual_mov_b32 v37, s27 :: v_dual_mov_b32 v36, s26
	v_mov_b32_e32 v35, s25
	v_dual_mov_b32 v34, s24 :: v_dual_and_b32 v33, v38, v33
	v_lshl_add_u32 v91, v40, 5, v0
	s_wait_loadcnt_dscnt 0x0
	s_barrier_signal -1
	s_delay_alu instid0(VALU_DEP_2)
	v_mbcnt_lo_u32_b32 v90, v33, 0
	v_cmp_ne_u32_e64 s21, 0, v33
	s_barrier_wait -1
	global_inv scope:SCOPE_SE
	ds_store_b128 v67, v[34:37] offset:32
	ds_store_b128 v67, v[34:37] offset:48
	v_cmp_eq_u32_e64 s20, 0, v90
	s_wait_loadcnt_dscnt 0x0
	s_barrier_signal -1
	s_barrier_wait -1
	global_inv scope:SCOPE_SE
	s_and_b32 s21, s21, s20
	; wave barrier
	s_wait_alu 0xfffe
	s_and_saveexec_b32 s20, s21
; %bb.57:
	v_bcnt_u32_b32 v33, v33, 0
	ds_store_b32 v91, v33 offset:32
; %bb.58:
	s_wait_alu 0xfffe
	s_or_b32 exec_lo, exec_lo, s20
	v_lshrrev_b16 v33, 8, v79
	; wave barrier
	s_delay_alu instid0(VALU_DEP_1) | instskip(NEXT) | instid1(VALU_DEP_1)
	v_and_b32_e32 v33, s23, v33
	v_and_b32_e32 v34, 1, v33
	v_lshlrev_b32_e32 v35, 30, v33
	v_lshlrev_b32_e32 v36, 29, v33
	;; [unrolled: 1-line block ×4, first 2 shown]
	v_add_co_u32 v34, s20, v34, -1
	s_wait_alu 0xf1ff
	v_cndmask_b32_e64 v38, 0, 1, s20
	v_not_b32_e32 v93, v35
	v_cmp_gt_i32_e64 s21, 0, v35
	v_not_b32_e32 v35, v36
	v_lshlrev_b32_e32 v40, 26, v33
	v_cmp_ne_u32_e64 s20, 0, v38
	v_ashrrev_i32_e32 v93, 31, v93
	v_lshlrev_b32_e32 v92, 25, v33
	v_ashrrev_i32_e32 v35, 31, v35
	v_lshlrev_b32_e32 v38, 24, v33
	s_wait_alu 0xf1ff
	v_xor_b32_e32 v34, s20, v34
	v_cmp_gt_i32_e64 s20, 0, v36
	v_not_b32_e32 v36, v37
	v_xor_b32_e32 v93, s21, v93
	v_cmp_gt_i32_e64 s21, 0, v37
	v_and_b32_e32 v34, exec_lo, v34
	v_not_b32_e32 v37, v39
	v_ashrrev_i32_e32 v36, 31, v36
	s_wait_alu 0xf1ff
	v_xor_b32_e32 v35, s20, v35
	v_cmp_gt_i32_e64 s20, 0, v39
	v_and_b32_e32 v34, v34, v93
	v_not_b32_e32 v39, v40
	v_ashrrev_i32_e32 v37, 31, v37
	v_xor_b32_e32 v36, s21, v36
	v_cmp_gt_i32_e64 s21, 0, v40
	v_and_b32_e32 v34, v34, v35
	v_not_b32_e32 v35, v92
	v_ashrrev_i32_e32 v39, 31, v39
	s_wait_alu 0xf1ff
	v_xor_b32_e32 v37, s20, v37
	v_cmp_gt_i32_e64 s20, 0, v92
	v_and_b32_e32 v34, v34, v36
	v_not_b32_e32 v36, v38
	v_ashrrev_i32_e32 v35, 31, v35
	v_xor_b32_e32 v39, s21, v39
	v_cmp_gt_i32_e64 s21, 0, v38
	v_and_b32_e32 v34, v34, v37
	v_ashrrev_i32_e32 v36, 31, v36
	s_wait_alu 0xf1ff
	v_xor_b32_e32 v35, s20, v35
	v_lshl_add_u32 v94, v33, 5, v0
	v_and_b32_e32 v34, v34, v39
	v_xor_b32_e32 v33, s21, v36
	ds_load_b32 v92, v94 offset:32
	v_and_b32_e32 v34, v34, v35
	; wave barrier
	s_delay_alu instid0(VALU_DEP_1) | instskip(NEXT) | instid1(VALU_DEP_1)
	v_and_b32_e32 v33, v34, v33
	v_mbcnt_lo_u32_b32 v93, v33, 0
	v_cmp_ne_u32_e64 s21, 0, v33
	s_delay_alu instid0(VALU_DEP_2)
	v_cmp_eq_u32_e64 s20, 0, v93
	s_and_b32 s21, s21, s20
	s_wait_alu 0xfffe
	s_and_saveexec_b32 s20, s21
	s_cbranch_execz .LBB171_60
; %bb.59:
	s_wait_dscnt 0x0
	v_bcnt_u32_b32 v33, v33, v92
	ds_store_b32 v94, v33 offset:32
.LBB171_60:
	s_wait_alu 0xfffe
	s_or_b32 exec_lo, exec_lo, s20
	v_lshrrev_b16 v33, 8, v80
	; wave barrier
	s_delay_alu instid0(VALU_DEP_1) | instskip(NEXT) | instid1(VALU_DEP_1)
	v_and_b32_e32 v33, s23, v33
	v_and_b32_e32 v34, 1, v33
	v_lshlrev_b32_e32 v35, 30, v33
	v_lshlrev_b32_e32 v36, 29, v33
	;; [unrolled: 1-line block ×4, first 2 shown]
	v_add_co_u32 v34, s20, v34, -1
	s_wait_alu 0xf1ff
	v_cndmask_b32_e64 v38, 0, 1, s20
	v_not_b32_e32 v96, v35
	v_cmp_gt_i32_e64 s21, 0, v35
	v_not_b32_e32 v35, v36
	v_lshlrev_b32_e32 v40, 26, v33
	v_cmp_ne_u32_e64 s20, 0, v38
	v_ashrrev_i32_e32 v96, 31, v96
	v_lshlrev_b32_e32 v95, 25, v33
	v_ashrrev_i32_e32 v35, 31, v35
	v_lshlrev_b32_e32 v38, 24, v33
	s_wait_alu 0xf1ff
	v_xor_b32_e32 v34, s20, v34
	v_cmp_gt_i32_e64 s20, 0, v36
	v_not_b32_e32 v36, v37
	v_xor_b32_e32 v96, s21, v96
	v_cmp_gt_i32_e64 s21, 0, v37
	v_and_b32_e32 v34, exec_lo, v34
	v_not_b32_e32 v37, v39
	v_ashrrev_i32_e32 v36, 31, v36
	s_wait_alu 0xf1ff
	v_xor_b32_e32 v35, s20, v35
	v_cmp_gt_i32_e64 s20, 0, v39
	v_and_b32_e32 v34, v34, v96
	v_not_b32_e32 v39, v40
	v_ashrrev_i32_e32 v37, 31, v37
	v_xor_b32_e32 v36, s21, v36
	v_cmp_gt_i32_e64 s21, 0, v40
	v_and_b32_e32 v34, v34, v35
	v_not_b32_e32 v35, v95
	v_ashrrev_i32_e32 v39, 31, v39
	s_wait_alu 0xf1ff
	v_xor_b32_e32 v37, s20, v37
	v_cmp_gt_i32_e64 s20, 0, v95
	v_and_b32_e32 v34, v34, v36
	v_not_b32_e32 v36, v38
	v_ashrrev_i32_e32 v35, 31, v35
	v_xor_b32_e32 v39, s21, v39
	v_cmp_gt_i32_e64 s21, 0, v38
	v_and_b32_e32 v34, v34, v37
	v_ashrrev_i32_e32 v36, 31, v36
	s_wait_alu 0xf1ff
	v_xor_b32_e32 v35, s20, v35
	v_lshl_add_u32 v97, v33, 5, v0
	v_and_b32_e32 v34, v34, v39
	v_xor_b32_e32 v33, s21, v36
	ds_load_b32 v95, v97 offset:32
	v_and_b32_e32 v34, v34, v35
	; wave barrier
	s_delay_alu instid0(VALU_DEP_1) | instskip(NEXT) | instid1(VALU_DEP_1)
	v_and_b32_e32 v33, v34, v33
	v_mbcnt_lo_u32_b32 v96, v33, 0
	v_cmp_ne_u32_e64 s21, 0, v33
	s_delay_alu instid0(VALU_DEP_2)
	v_cmp_eq_u32_e64 s20, 0, v96
	s_and_b32 s21, s21, s20
	s_wait_alu 0xfffe
	s_and_saveexec_b32 s20, s21
	s_cbranch_execz .LBB171_62
; %bb.61:
	s_wait_dscnt 0x0
	v_bcnt_u32_b32 v33, v33, v95
	ds_store_b32 v97, v33 offset:32
.LBB171_62:
	s_wait_alu 0xfffe
	s_or_b32 exec_lo, exec_lo, s20
	v_lshrrev_b16 v33, 8, v81
	; wave barrier
	s_delay_alu instid0(VALU_DEP_1) | instskip(NEXT) | instid1(VALU_DEP_1)
	v_and_b32_e32 v33, s23, v33
	v_and_b32_e32 v34, 1, v33
	v_lshlrev_b32_e32 v35, 30, v33
	v_lshlrev_b32_e32 v36, 29, v33
	;; [unrolled: 1-line block ×4, first 2 shown]
	v_add_co_u32 v34, s20, v34, -1
	s_wait_alu 0xf1ff
	v_cndmask_b32_e64 v38, 0, 1, s20
	v_not_b32_e32 v99, v35
	v_cmp_gt_i32_e64 s21, 0, v35
	v_not_b32_e32 v35, v36
	v_lshlrev_b32_e32 v40, 26, v33
	v_cmp_ne_u32_e64 s20, 0, v38
	v_ashrrev_i32_e32 v99, 31, v99
	v_lshlrev_b32_e32 v98, 25, v33
	v_ashrrev_i32_e32 v35, 31, v35
	v_lshlrev_b32_e32 v38, 24, v33
	s_wait_alu 0xf1ff
	v_xor_b32_e32 v34, s20, v34
	v_cmp_gt_i32_e64 s20, 0, v36
	v_not_b32_e32 v36, v37
	v_xor_b32_e32 v99, s21, v99
	v_cmp_gt_i32_e64 s21, 0, v37
	v_and_b32_e32 v34, exec_lo, v34
	v_not_b32_e32 v37, v39
	v_ashrrev_i32_e32 v36, 31, v36
	s_wait_alu 0xf1ff
	v_xor_b32_e32 v35, s20, v35
	v_cmp_gt_i32_e64 s20, 0, v39
	v_and_b32_e32 v34, v34, v99
	v_not_b32_e32 v39, v40
	v_ashrrev_i32_e32 v37, 31, v37
	v_xor_b32_e32 v36, s21, v36
	v_cmp_gt_i32_e64 s21, 0, v40
	v_and_b32_e32 v34, v34, v35
	v_not_b32_e32 v35, v98
	v_ashrrev_i32_e32 v39, 31, v39
	s_wait_alu 0xf1ff
	v_xor_b32_e32 v37, s20, v37
	v_cmp_gt_i32_e64 s20, 0, v98
	v_and_b32_e32 v34, v34, v36
	v_not_b32_e32 v36, v38
	v_ashrrev_i32_e32 v35, 31, v35
	v_xor_b32_e32 v39, s21, v39
	v_cmp_gt_i32_e64 s21, 0, v38
	v_and_b32_e32 v34, v34, v37
	v_ashrrev_i32_e32 v36, 31, v36
	s_wait_alu 0xf1ff
	v_xor_b32_e32 v35, s20, v35
	v_lshl_add_u32 v100, v33, 5, v0
	v_and_b32_e32 v34, v34, v39
	v_xor_b32_e32 v33, s21, v36
	ds_load_b32 v98, v100 offset:32
	v_and_b32_e32 v34, v34, v35
	; wave barrier
	s_delay_alu instid0(VALU_DEP_1) | instskip(NEXT) | instid1(VALU_DEP_1)
	v_and_b32_e32 v33, v34, v33
	v_mbcnt_lo_u32_b32 v99, v33, 0
	v_cmp_ne_u32_e64 s21, 0, v33
	s_delay_alu instid0(VALU_DEP_2)
	v_cmp_eq_u32_e64 s20, 0, v99
	s_and_b32 s21, s21, s20
	s_wait_alu 0xfffe
	s_and_saveexec_b32 s20, s21
	s_cbranch_execz .LBB171_64
; %bb.63:
	s_wait_dscnt 0x0
	v_bcnt_u32_b32 v33, v33, v98
	ds_store_b32 v100, v33 offset:32
.LBB171_64:
	s_wait_alu 0xfffe
	s_or_b32 exec_lo, exec_lo, s20
	v_lshrrev_b16 v33, 8, v82
	; wave barrier
	s_delay_alu instid0(VALU_DEP_1) | instskip(NEXT) | instid1(VALU_DEP_1)
	v_and_b32_e32 v33, s23, v33
	v_and_b32_e32 v34, 1, v33
	v_lshlrev_b32_e32 v35, 30, v33
	v_lshlrev_b32_e32 v36, 29, v33
	;; [unrolled: 1-line block ×4, first 2 shown]
	v_add_co_u32 v34, s20, v34, -1
	s_wait_alu 0xf1ff
	v_cndmask_b32_e64 v38, 0, 1, s20
	v_not_b32_e32 v102, v35
	v_cmp_gt_i32_e64 s21, 0, v35
	v_not_b32_e32 v35, v36
	v_lshlrev_b32_e32 v40, 26, v33
	v_cmp_ne_u32_e64 s20, 0, v38
	v_ashrrev_i32_e32 v102, 31, v102
	v_lshlrev_b32_e32 v101, 25, v33
	v_ashrrev_i32_e32 v35, 31, v35
	v_lshlrev_b32_e32 v38, 24, v33
	s_wait_alu 0xf1ff
	v_xor_b32_e32 v34, s20, v34
	v_cmp_gt_i32_e64 s20, 0, v36
	v_not_b32_e32 v36, v37
	v_xor_b32_e32 v102, s21, v102
	v_cmp_gt_i32_e64 s21, 0, v37
	v_and_b32_e32 v34, exec_lo, v34
	v_not_b32_e32 v37, v39
	v_ashrrev_i32_e32 v36, 31, v36
	s_wait_alu 0xf1ff
	v_xor_b32_e32 v35, s20, v35
	v_cmp_gt_i32_e64 s20, 0, v39
	v_and_b32_e32 v34, v34, v102
	v_not_b32_e32 v39, v40
	v_ashrrev_i32_e32 v37, 31, v37
	v_xor_b32_e32 v36, s21, v36
	v_cmp_gt_i32_e64 s21, 0, v40
	v_and_b32_e32 v34, v34, v35
	v_not_b32_e32 v35, v101
	v_ashrrev_i32_e32 v39, 31, v39
	s_wait_alu 0xf1ff
	v_xor_b32_e32 v37, s20, v37
	v_cmp_gt_i32_e64 s20, 0, v101
	v_and_b32_e32 v34, v34, v36
	v_not_b32_e32 v36, v38
	v_ashrrev_i32_e32 v35, 31, v35
	v_xor_b32_e32 v39, s21, v39
	v_cmp_gt_i32_e64 s21, 0, v38
	v_and_b32_e32 v34, v34, v37
	v_ashrrev_i32_e32 v36, 31, v36
	s_wait_alu 0xf1ff
	v_xor_b32_e32 v35, s20, v35
	v_lshl_add_u32 v103, v33, 5, v0
	v_and_b32_e32 v34, v34, v39
	v_xor_b32_e32 v33, s21, v36
	ds_load_b32 v101, v103 offset:32
	v_and_b32_e32 v34, v34, v35
	; wave barrier
	s_delay_alu instid0(VALU_DEP_1) | instskip(NEXT) | instid1(VALU_DEP_1)
	v_and_b32_e32 v33, v34, v33
	v_mbcnt_lo_u32_b32 v102, v33, 0
	v_cmp_ne_u32_e64 s21, 0, v33
	s_delay_alu instid0(VALU_DEP_2)
	v_cmp_eq_u32_e64 s20, 0, v102
	s_and_b32 s21, s21, s20
	s_wait_alu 0xfffe
	s_and_saveexec_b32 s20, s21
	s_cbranch_execz .LBB171_66
; %bb.65:
	s_wait_dscnt 0x0
	v_bcnt_u32_b32 v33, v33, v101
	ds_store_b32 v103, v33 offset:32
.LBB171_66:
	s_wait_alu 0xfffe
	s_or_b32 exec_lo, exec_lo, s20
	v_lshrrev_b16 v33, 8, v83
	; wave barrier
	s_delay_alu instid0(VALU_DEP_1) | instskip(NEXT) | instid1(VALU_DEP_1)
	v_and_b32_e32 v33, s23, v33
	v_and_b32_e32 v34, 1, v33
	v_lshlrev_b32_e32 v35, 30, v33
	v_lshlrev_b32_e32 v36, 29, v33
	;; [unrolled: 1-line block ×4, first 2 shown]
	v_add_co_u32 v34, s20, v34, -1
	s_wait_alu 0xf1ff
	v_cndmask_b32_e64 v38, 0, 1, s20
	v_not_b32_e32 v105, v35
	v_cmp_gt_i32_e64 s21, 0, v35
	v_not_b32_e32 v35, v36
	v_lshlrev_b32_e32 v40, 26, v33
	v_cmp_ne_u32_e64 s20, 0, v38
	v_ashrrev_i32_e32 v105, 31, v105
	v_lshlrev_b32_e32 v104, 25, v33
	v_ashrrev_i32_e32 v35, 31, v35
	v_lshlrev_b32_e32 v38, 24, v33
	s_wait_alu 0xf1ff
	v_xor_b32_e32 v34, s20, v34
	v_cmp_gt_i32_e64 s20, 0, v36
	v_not_b32_e32 v36, v37
	v_xor_b32_e32 v105, s21, v105
	v_cmp_gt_i32_e64 s21, 0, v37
	v_and_b32_e32 v34, exec_lo, v34
	v_not_b32_e32 v37, v39
	v_ashrrev_i32_e32 v36, 31, v36
	s_wait_alu 0xf1ff
	v_xor_b32_e32 v35, s20, v35
	v_cmp_gt_i32_e64 s20, 0, v39
	v_and_b32_e32 v34, v34, v105
	v_not_b32_e32 v39, v40
	v_ashrrev_i32_e32 v37, 31, v37
	v_xor_b32_e32 v36, s21, v36
	v_cmp_gt_i32_e64 s21, 0, v40
	v_and_b32_e32 v34, v34, v35
	v_not_b32_e32 v35, v104
	v_ashrrev_i32_e32 v39, 31, v39
	s_wait_alu 0xf1ff
	v_xor_b32_e32 v37, s20, v37
	v_cmp_gt_i32_e64 s20, 0, v104
	v_and_b32_e32 v34, v34, v36
	v_not_b32_e32 v36, v38
	v_ashrrev_i32_e32 v35, 31, v35
	v_xor_b32_e32 v39, s21, v39
	v_cmp_gt_i32_e64 s21, 0, v38
	v_and_b32_e32 v34, v34, v37
	v_ashrrev_i32_e32 v36, 31, v36
	s_wait_alu 0xf1ff
	v_xor_b32_e32 v35, s20, v35
	v_lshl_add_u32 v106, v33, 5, v0
	v_and_b32_e32 v34, v34, v39
	v_xor_b32_e32 v33, s21, v36
	ds_load_b32 v104, v106 offset:32
	v_and_b32_e32 v34, v34, v35
	; wave barrier
	s_delay_alu instid0(VALU_DEP_1) | instskip(NEXT) | instid1(VALU_DEP_1)
	v_and_b32_e32 v33, v34, v33
	v_mbcnt_lo_u32_b32 v105, v33, 0
	v_cmp_ne_u32_e64 s21, 0, v33
	s_delay_alu instid0(VALU_DEP_2)
	v_cmp_eq_u32_e64 s20, 0, v105
	s_and_b32 s21, s21, s20
	s_wait_alu 0xfffe
	s_and_saveexec_b32 s20, s21
	s_cbranch_execz .LBB171_68
; %bb.67:
	s_wait_dscnt 0x0
	v_bcnt_u32_b32 v33, v33, v104
	ds_store_b32 v106, v33 offset:32
.LBB171_68:
	s_wait_alu 0xfffe
	s_or_b32 exec_lo, exec_lo, s20
	v_lshrrev_b16 v33, 8, v84
	; wave barrier
	s_delay_alu instid0(VALU_DEP_1) | instskip(NEXT) | instid1(VALU_DEP_1)
	v_and_b32_e32 v33, s23, v33
	v_and_b32_e32 v34, 1, v33
	v_lshlrev_b32_e32 v35, 30, v33
	v_lshlrev_b32_e32 v36, 29, v33
	;; [unrolled: 1-line block ×4, first 2 shown]
	v_add_co_u32 v34, s20, v34, -1
	s_wait_alu 0xf1ff
	v_cndmask_b32_e64 v38, 0, 1, s20
	v_not_b32_e32 v108, v35
	v_cmp_gt_i32_e64 s21, 0, v35
	v_not_b32_e32 v35, v36
	v_lshlrev_b32_e32 v40, 26, v33
	v_cmp_ne_u32_e64 s20, 0, v38
	v_ashrrev_i32_e32 v108, 31, v108
	v_lshlrev_b32_e32 v107, 25, v33
	v_ashrrev_i32_e32 v35, 31, v35
	v_lshlrev_b32_e32 v38, 24, v33
	s_wait_alu 0xf1ff
	v_xor_b32_e32 v34, s20, v34
	v_cmp_gt_i32_e64 s20, 0, v36
	v_not_b32_e32 v36, v37
	v_xor_b32_e32 v108, s21, v108
	v_cmp_gt_i32_e64 s21, 0, v37
	v_and_b32_e32 v34, exec_lo, v34
	v_not_b32_e32 v37, v39
	v_ashrrev_i32_e32 v36, 31, v36
	s_wait_alu 0xf1ff
	v_xor_b32_e32 v35, s20, v35
	v_cmp_gt_i32_e64 s20, 0, v39
	v_and_b32_e32 v34, v34, v108
	v_not_b32_e32 v39, v40
	v_ashrrev_i32_e32 v37, 31, v37
	v_xor_b32_e32 v36, s21, v36
	v_cmp_gt_i32_e64 s21, 0, v40
	v_and_b32_e32 v34, v34, v35
	v_not_b32_e32 v35, v107
	v_ashrrev_i32_e32 v39, 31, v39
	s_wait_alu 0xf1ff
	v_xor_b32_e32 v37, s20, v37
	v_cmp_gt_i32_e64 s20, 0, v107
	v_and_b32_e32 v34, v34, v36
	v_not_b32_e32 v36, v38
	v_ashrrev_i32_e32 v35, 31, v35
	v_xor_b32_e32 v39, s21, v39
	v_cmp_gt_i32_e64 s21, 0, v38
	v_and_b32_e32 v34, v34, v37
	v_ashrrev_i32_e32 v36, 31, v36
	s_wait_alu 0xf1ff
	v_xor_b32_e32 v35, s20, v35
	v_lshl_add_u32 v109, v33, 5, v0
	v_and_b32_e32 v34, v34, v39
	v_xor_b32_e32 v33, s21, v36
	ds_load_b32 v107, v109 offset:32
	v_and_b32_e32 v34, v34, v35
	; wave barrier
	s_delay_alu instid0(VALU_DEP_1) | instskip(NEXT) | instid1(VALU_DEP_1)
	v_and_b32_e32 v33, v34, v33
	v_mbcnt_lo_u32_b32 v108, v33, 0
	v_cmp_ne_u32_e64 s21, 0, v33
	s_delay_alu instid0(VALU_DEP_2)
	v_cmp_eq_u32_e64 s20, 0, v108
	s_and_b32 s21, s21, s20
	s_wait_alu 0xfffe
	s_and_saveexec_b32 s20, s21
	s_cbranch_execz .LBB171_70
; %bb.69:
	s_wait_dscnt 0x0
	v_bcnt_u32_b32 v33, v33, v107
	ds_store_b32 v109, v33 offset:32
.LBB171_70:
	s_wait_alu 0xfffe
	s_or_b32 exec_lo, exec_lo, s20
	v_lshrrev_b16 v33, 8, v85
	; wave barrier
	s_delay_alu instid0(VALU_DEP_1) | instskip(NEXT) | instid1(VALU_DEP_1)
	v_and_b32_e32 v33, s23, v33
	v_and_b32_e32 v34, 1, v33
	v_lshlrev_b32_e32 v35, 30, v33
	v_lshlrev_b32_e32 v36, 29, v33
	;; [unrolled: 1-line block ×4, first 2 shown]
	v_add_co_u32 v34, s20, v34, -1
	s_wait_alu 0xf1ff
	v_cndmask_b32_e64 v38, 0, 1, s20
	v_not_b32_e32 v111, v35
	v_cmp_gt_i32_e64 s21, 0, v35
	v_not_b32_e32 v35, v36
	v_lshlrev_b32_e32 v40, 26, v33
	v_cmp_ne_u32_e64 s20, 0, v38
	v_ashrrev_i32_e32 v111, 31, v111
	v_lshlrev_b32_e32 v110, 25, v33
	v_ashrrev_i32_e32 v35, 31, v35
	v_lshlrev_b32_e32 v38, 24, v33
	s_wait_alu 0xf1ff
	v_xor_b32_e32 v34, s20, v34
	v_cmp_gt_i32_e64 s20, 0, v36
	v_not_b32_e32 v36, v37
	v_xor_b32_e32 v111, s21, v111
	v_cmp_gt_i32_e64 s21, 0, v37
	v_and_b32_e32 v34, exec_lo, v34
	v_not_b32_e32 v37, v39
	v_ashrrev_i32_e32 v36, 31, v36
	s_wait_alu 0xf1ff
	v_xor_b32_e32 v35, s20, v35
	v_cmp_gt_i32_e64 s20, 0, v39
	v_and_b32_e32 v34, v34, v111
	v_not_b32_e32 v39, v40
	v_ashrrev_i32_e32 v37, 31, v37
	v_xor_b32_e32 v36, s21, v36
	v_cmp_gt_i32_e64 s21, 0, v40
	v_and_b32_e32 v34, v34, v35
	v_not_b32_e32 v35, v110
	v_ashrrev_i32_e32 v39, 31, v39
	s_wait_alu 0xf1ff
	v_xor_b32_e32 v37, s20, v37
	v_cmp_gt_i32_e64 s20, 0, v110
	v_and_b32_e32 v34, v34, v36
	v_not_b32_e32 v36, v38
	v_ashrrev_i32_e32 v35, 31, v35
	v_xor_b32_e32 v39, s21, v39
	v_cmp_gt_i32_e64 s21, 0, v38
	v_and_b32_e32 v34, v34, v37
	v_ashrrev_i32_e32 v36, 31, v36
	s_wait_alu 0xf1ff
	v_xor_b32_e32 v35, s20, v35
	v_lshl_add_u32 v111, v33, 5, v0
	v_and_b32_e32 v34, v34, v39
	v_xor_b32_e32 v33, s21, v36
	ds_load_b32 v0, v111 offset:32
	v_and_b32_e32 v34, v34, v35
	; wave barrier
	s_delay_alu instid0(VALU_DEP_1) | instskip(NEXT) | instid1(VALU_DEP_1)
	v_and_b32_e32 v33, v34, v33
	v_mbcnt_lo_u32_b32 v110, v33, 0
	v_cmp_ne_u32_e64 s21, 0, v33
	s_delay_alu instid0(VALU_DEP_2)
	v_cmp_eq_u32_e64 s20, 0, v110
	s_and_b32 s21, s21, s20
	s_wait_alu 0xfffe
	s_and_saveexec_b32 s20, s21
	s_cbranch_execz .LBB171_72
; %bb.71:
	s_wait_dscnt 0x0
	v_bcnt_u32_b32 v33, v33, v0
	ds_store_b32 v111, v33 offset:32
.LBB171_72:
	s_wait_alu 0xfffe
	s_or_b32 exec_lo, exec_lo, s20
	; wave barrier
	s_wait_loadcnt_dscnt 0x0
	s_barrier_signal -1
	s_barrier_wait -1
	global_inv scope:SCOPE_SE
	ds_load_b128 v[37:40], v67 offset:32
	ds_load_b128 v[33:36], v67 offset:48
	s_wait_dscnt 0x1
	v_add_nc_u32_e32 v112, v38, v37
	s_delay_alu instid0(VALU_DEP_1) | instskip(SKIP_1) | instid1(VALU_DEP_1)
	v_add3_u32 v112, v112, v39, v40
	s_wait_dscnt 0x0
	v_add3_u32 v112, v112, v33, v34
	s_delay_alu instid0(VALU_DEP_1) | instskip(NEXT) | instid1(VALU_DEP_1)
	v_add3_u32 v36, v112, v35, v36
	v_mov_b32_dpp v112, v36 row_shr:1 row_mask:0xf bank_mask:0xf
	s_delay_alu instid0(VALU_DEP_1) | instskip(NEXT) | instid1(VALU_DEP_1)
	v_cndmask_b32_e64 v112, v112, 0, s9
	v_add_nc_u32_e32 v36, v112, v36
	s_delay_alu instid0(VALU_DEP_1) | instskip(NEXT) | instid1(VALU_DEP_1)
	v_mov_b32_dpp v112, v36 row_shr:2 row_mask:0xf bank_mask:0xf
	v_cndmask_b32_e64 v112, 0, v112, s11
	s_delay_alu instid0(VALU_DEP_1) | instskip(NEXT) | instid1(VALU_DEP_1)
	v_add_nc_u32_e32 v36, v36, v112
	v_mov_b32_dpp v112, v36 row_shr:4 row_mask:0xf bank_mask:0xf
	s_delay_alu instid0(VALU_DEP_1) | instskip(NEXT) | instid1(VALU_DEP_1)
	v_cndmask_b32_e64 v112, 0, v112, s12
	v_add_nc_u32_e32 v36, v36, v112
	s_delay_alu instid0(VALU_DEP_1) | instskip(NEXT) | instid1(VALU_DEP_1)
	v_mov_b32_dpp v112, v36 row_shr:8 row_mask:0xf bank_mask:0xf
	v_cndmask_b32_e64 v112, 0, v112, s14
	s_delay_alu instid0(VALU_DEP_1) | instskip(SKIP_3) | instid1(VALU_DEP_1)
	v_add_nc_u32_e32 v36, v36, v112
	ds_swizzle_b32 v112, v36 offset:swizzle(BROADCAST,32,15)
	s_wait_dscnt 0x0
	v_cndmask_b32_e64 v112, v112, 0, s17
	v_add_nc_u32_e32 v36, v36, v112
	s_and_saveexec_b32 s9, s15
; %bb.73:
	ds_store_b32 v87, v36
; %bb.74:
	s_wait_alu 0xfffe
	s_or_b32 exec_lo, exec_lo, s9
	s_wait_loadcnt_dscnt 0x0
	s_barrier_signal -1
	s_barrier_wait -1
	global_inv scope:SCOPE_SE
	s_and_saveexec_b32 s9, s16
	s_cbranch_execz .LBB171_76
; %bb.75:
	ds_load_b32 v87, v86
	s_wait_dscnt 0x0
	v_mov_b32_dpp v112, v87 row_shr:1 row_mask:0xf bank_mask:0xf
	s_delay_alu instid0(VALU_DEP_1) | instskip(NEXT) | instid1(VALU_DEP_1)
	v_cndmask_b32_e64 v112, v112, 0, s13
	v_add_nc_u32_e32 v87, v112, v87
	s_delay_alu instid0(VALU_DEP_1) | instskip(NEXT) | instid1(VALU_DEP_1)
	v_mov_b32_dpp v112, v87 row_shr:2 row_mask:0xf bank_mask:0xf
	v_cndmask_b32_e64 v112, 0, v112, s10
	s_delay_alu instid0(VALU_DEP_1) | instskip(NEXT) | instid1(VALU_DEP_1)
	v_add_nc_u32_e32 v87, v87, v112
	v_mov_b32_dpp v112, v87 row_shr:4 row_mask:0xf bank_mask:0xf
	s_wait_alu 0xfffd
	s_delay_alu instid0(VALU_DEP_1) | instskip(NEXT) | instid1(VALU_DEP_1)
	v_cndmask_b32_e32 v112, 0, v112, vcc_lo
	v_add_nc_u32_e32 v87, v87, v112
	ds_store_b32 v86, v87
.LBB171_76:
	s_wait_alu 0xfffe
	s_or_b32 exec_lo, exec_lo, s9
	v_mov_b32_e32 v86, 0
	s_wait_loadcnt_dscnt 0x0
	s_barrier_signal -1
	s_barrier_wait -1
	global_inv scope:SCOPE_SE
	s_and_saveexec_b32 s9, s18
; %bb.77:
	ds_load_b32 v86, v88
; %bb.78:
	s_wait_alu 0xfffe
	s_or_b32 exec_lo, exec_lo, s9
	s_wait_dscnt 0x0
	v_add_nc_u32_e32 v36, v86, v36
	ds_bpermute_b32 v36, v89, v36
	s_wait_dscnt 0x0
	v_cndmask_b32_e64 v36, v36, v86, s1
	s_delay_alu instid0(VALU_DEP_1) | instskip(NEXT) | instid1(VALU_DEP_1)
	v_cndmask_b32_e64 v36, v36, 0, s19
	v_add_nc_u32_e32 v37, v36, v37
	s_delay_alu instid0(VALU_DEP_1) | instskip(NEXT) | instid1(VALU_DEP_1)
	v_add_nc_u32_e32 v38, v37, v38
	v_add_nc_u32_e32 v39, v38, v39
	s_delay_alu instid0(VALU_DEP_1) | instskip(NEXT) | instid1(VALU_DEP_1)
	v_add_nc_u32_e32 v86, v39, v40
	;; [unrolled: 3-line block ×3, first 2 shown]
	v_add_nc_u32_e32 v89, v88, v35
	ds_store_b128 v67, v[36:39] offset:32
	ds_store_b128 v67, v[86:89] offset:48
	s_wait_loadcnt_dscnt 0x0
	s_barrier_signal -1
	s_barrier_wait -1
	global_inv scope:SCOPE_SE
	ds_load_b32 v33, v111 offset:32
	ds_load_b32 v34, v109 offset:32
	;; [unrolled: 1-line block ×8, first 2 shown]
	v_lshlrev_b32_e32 v86, 1, v66
	s_wait_loadcnt_dscnt 0x0
	s_barrier_signal -1
	s_barrier_wait -1
	global_inv scope:SCOPE_SE
	v_mad_u32_u24 v87, v46, 48, v86
	v_add3_u32 v88, v110, v0, v33
	v_add3_u32 v89, v108, v107, v34
	;; [unrolled: 1-line block ×3, first 2 shown]
	v_add_nc_u32_e32 v90, v36, v90
	v_add3_u32 v92, v93, v92, v37
	v_add3_u32 v93, v96, v95, v38
	v_add3_u32 v94, v99, v98, v39
	v_add3_u32 v40, v102, v101, v40
	v_lshlrev_b32_e32 v0, 1, v90
	v_lshlrev_b32_e32 v33, 1, v92
	;; [unrolled: 1-line block ×8, first 2 shown]
	ds_store_b16 v0, v78
	ds_store_b16 v33, v79
	ds_store_b16 v34, v80
	ds_store_b16 v35, v81
	ds_store_b16 v36, v82
	ds_store_b16 v37, v83
	ds_store_b16 v38, v84
	ds_store_b16 v39, v85
	v_mad_co_u64_u32 v[78:79], null, v90, 6, v[0:1]
	v_mad_co_u64_u32 v[79:80], null, v92, 6, v[33:34]
	;; [unrolled: 1-line block ×5, first 2 shown]
	s_wait_loadcnt_dscnt 0x0
	s_barrier_signal -1
	s_barrier_wait -1
	global_inv scope:SCOPE_SE
	v_mad_co_u64_u32 v[83:84], null, v91, 6, v[37:38]
	ds_load_b128 v[33:36], v86
	v_mad_co_u64_u32 v[37:38], null, v89, 6, v[38:39]
	v_mad_co_u64_u32 v[38:39], null, v88, 6, v[39:40]
	s_wait_loadcnt_dscnt 0x0
	s_barrier_signal -1
	s_barrier_wait -1
	global_inv scope:SCOPE_SE
	ds_store_b64 v78, v[21:22]
	ds_store_b64 v79, v[23:24]
	;; [unrolled: 1-line block ×8, first 2 shown]
	s_wait_loadcnt_dscnt 0x0
	s_barrier_signal -1
	s_barrier_wait -1
	global_inv scope:SCOPE_SE
	ds_load_b128 v[29:32], v87
	ds_load_b128 v[25:28], v87 offset:16
	ds_load_b128 v[21:24], v87 offset:32
	;; [unrolled: 1-line block ×3, first 2 shown]
	v_xor_b32_e32 v0, 0x80008000, v33
	v_xor_b32_e32 v34, 0x80008000, v34
	;; [unrolled: 1-line block ×4, first 2 shown]
	s_branch .LBB171_131
.LBB171_79:
	v_lshlrev_b64_e32 v[1:2], 3, v[41:42]
	v_dual_mov_b32 v43, v42 :: v_dual_mov_b32 v10, v42
	v_dual_mov_b32 v9, v42 :: v_dual_mov_b32 v12, v42
	v_mov_b32_e32 v11, v42
	s_delay_alu instid0(VALU_DEP_4)
	v_add_co_u32 v1, vcc_lo, s34, v1
	s_wait_alu 0xfffd
	v_add_co_ci_u32_e64 v2, null, s35, v2, vcc_lo
	v_dual_mov_b32 v3, v42 :: v_dual_mov_b32 v6, v42
	v_dual_mov_b32 v5, v42 :: v_dual_mov_b32 v8, v42
	global_load_b64 v[13:14], v[1:2], off
	v_dual_mov_b32 v1, v42 :: v_dual_mov_b32 v4, v42
	v_dual_mov_b32 v2, v42 :: v_dual_mov_b32 v7, v42
	s_or_b32 exec_lo, exec_lo, s1
	s_and_saveexec_b32 s1, s3
	s_cbranch_execz .LBB171_25
.LBB171_80:
	v_mul_lo_u32 v22, s28, v15
	v_mov_b32_e32 v23, 0
	s_delay_alu instid0(VALU_DEP_1) | instskip(NEXT) | instid1(VALU_DEP_1)
	v_lshlrev_b64_e32 v[22:23], 3, v[22:23]
	v_add_co_u32 v22, vcc_lo, s34, v22
	s_wait_alu 0xfffd
	s_delay_alu instid0(VALU_DEP_2)
	v_add_co_ci_u32_e64 v23, null, s35, v23, vcc_lo
	global_load_b64 v[42:43], v[22:23], off
	s_or_b32 exec_lo, exec_lo, s1
	s_and_saveexec_b32 s1, s4
	s_cbranch_execz .LBB171_26
.LBB171_81:
	v_mul_lo_u32 v9, s28, v16
	v_mov_b32_e32 v10, 0
	s_delay_alu instid0(VALU_DEP_1) | instskip(NEXT) | instid1(VALU_DEP_1)
	v_lshlrev_b64_e32 v[9:10], 3, v[9:10]
	v_add_co_u32 v9, vcc_lo, s34, v9
	s_wait_alu 0xfffd
	s_delay_alu instid0(VALU_DEP_2)
	v_add_co_ci_u32_e64 v10, null, s35, v10, vcc_lo
	global_load_b64 v[9:10], v[9:10], off
	s_or_b32 exec_lo, exec_lo, s1
	s_and_saveexec_b32 s1, s5
	s_cbranch_execz .LBB171_27
.LBB171_82:
	v_mul_lo_u32 v11, s28, v17
	v_mov_b32_e32 v12, 0
	s_delay_alu instid0(VALU_DEP_1) | instskip(NEXT) | instid1(VALU_DEP_1)
	v_lshlrev_b64_e32 v[11:12], 3, v[11:12]
	v_add_co_u32 v11, vcc_lo, s34, v11
	s_wait_alu 0xfffd
	s_delay_alu instid0(VALU_DEP_2)
	v_add_co_ci_u32_e64 v12, null, s35, v12, vcc_lo
	global_load_b64 v[11:12], v[11:12], off
	s_or_b32 exec_lo, exec_lo, s1
	s_and_saveexec_b32 s1, s6
	s_cbranch_execz .LBB171_28
.LBB171_83:
	v_mul_lo_u32 v1, s28, v18
	v_mov_b32_e32 v2, 0
	s_delay_alu instid0(VALU_DEP_1) | instskip(NEXT) | instid1(VALU_DEP_1)
	v_lshlrev_b64_e32 v[1:2], 3, v[1:2]
	v_add_co_u32 v1, vcc_lo, s34, v1
	s_wait_alu 0xfffd
	s_delay_alu instid0(VALU_DEP_2)
	v_add_co_ci_u32_e64 v2, null, s35, v2, vcc_lo
	global_load_b64 v[1:2], v[1:2], off
	s_or_b32 exec_lo, exec_lo, s1
	s_and_saveexec_b32 s1, s7
	s_cbranch_execz .LBB171_29
.LBB171_84:
	v_mul_lo_u32 v3, s28, v19
	v_mov_b32_e32 v4, 0
	s_delay_alu instid0(VALU_DEP_1) | instskip(NEXT) | instid1(VALU_DEP_1)
	v_lshlrev_b64_e32 v[3:4], 3, v[3:4]
	v_add_co_u32 v3, vcc_lo, s34, v3
	s_wait_alu 0xfffd
	s_delay_alu instid0(VALU_DEP_2)
	v_add_co_ci_u32_e64 v4, null, s35, v4, vcc_lo
	global_load_b64 v[3:4], v[3:4], off
	s_or_b32 exec_lo, exec_lo, s1
	s_and_saveexec_b32 s1, s8
	s_cbranch_execnz .LBB171_30
	s_branch .LBB171_31
.LBB171_85:
                                        ; implicit-def: $vgpr33
                                        ; implicit-def: $vgpr34
                                        ; implicit-def: $vgpr0
                                        ; implicit-def: $vgpr19_vgpr20
                                        ; implicit-def: $vgpr23_vgpr24
                                        ; implicit-def: $vgpr27_vgpr28
                                        ; implicit-def: $vgpr31_vgpr32
                                        ; implicit-def: $vgpr35
	s_and_b32 vcc_lo, exec_lo, s1
	s_wait_alu 0xfffe
	s_cbranch_vccz .LBB171_131
; %bb.86:
	s_wait_dscnt 0x0
	v_xor_b32_e32 v17, 0x7fff7fff, v49
	v_xor_b32_e32 v18, 0x7fff7fff, v50
	;; [unrolled: 1-line block ×4, first 2 shown]
	s_getpc_b64 s[10:11]
	s_wait_alu 0xfffe
	s_sext_i32_i16 s11, s11
	s_add_co_u32 s10, s10, _ZN7rocprim17ROCPRIM_400000_NS16block_radix_sortIsLj256ELj8ElLj1ELj1ELj0ELNS0_26block_radix_rank_algorithmE1ELNS0_18block_padding_hintE2ELNS0_4arch9wavefront6targetE0EE19radix_bits_per_passE@rel32@lo+12
	s_wait_alu 0xfffe
	s_add_co_ci_u32 s11, s11, _ZN7rocprim17ROCPRIM_400000_NS16block_radix_sortIsLj256ELj8ElLj1ELj1ELj0ELNS0_26block_radix_rank_algorithmE1ELNS0_18block_padding_hintE2ELNS0_4arch9wavefront6targetE0EE19radix_bits_per_passE@rel32@hi+24
	s_mov_b32 s12, 0
	s_load_b32 s20, s[10:11], 0x0
	s_mov_b32 s13, s12
	ds_store_b128 v77, v[17:20]
	; wave barrier
	ds_load_u16 v25, v68
	s_mov_b32 s14, s12
	s_mov_b32 s15, s12
	v_mad_u32_u24 v0, v76, 6, v77
	ds_load_u16 v26, v68 offset:64
	ds_load_u16 v27, v68 offset:128
	;; [unrolled: 1-line block ×7, first 2 shown]
	s_wait_loadcnt_dscnt 0x0
	s_barrier_signal -1
	s_barrier_wait -1
	global_inv scope:SCOPE_SE
	ds_store_b128 v0, v[5:8]
	ds_store_b128 v0, v[1:4] offset:16
	ds_store_b128 v0, v[13:16] offset:32
	;; [unrolled: 1-line block ×3, first 2 shown]
	; wave barrier
	ds_load_2addr_b64 v[4:7], v75 offset1:32
	ds_load_2addr_b64 v[0:3], v75 offset0:64 offset1:96
	ds_load_2addr_b64 v[12:15], v75 offset0:128 offset1:160
	ds_load_2addr_b64 v[8:11], v75 offset0:192 offset1:224
	s_wait_kmcnt 0x0
	s_min_u32 s1, s20, 16
	s_wait_loadcnt_dscnt 0x0
	s_lshl_b32 s1, -1, s1
	s_barrier_signal -1
	s_not_b32 s9, s1
	v_and_b32_e32 v17, 0xffff, v25
	s_barrier_wait -1
	global_inv scope:SCOPE_SE
	s_load_b32 s10, s[36:37], 0xc
	v_and_b32_e32 v23, s9, v17
	s_delay_alu instid0(VALU_DEP_1) | instskip(SKIP_3) | instid1(VALU_DEP_4)
	v_and_b32_e32 v16, 1, v23
	v_lshlrev_b32_e32 v17, 30, v23
	v_lshlrev_b32_e32 v20, 28, v23
	;; [unrolled: 1-line block ×3, first 2 shown]
	v_add_co_u32 v16, s1, v16, -1
	s_delay_alu instid0(VALU_DEP_1) | instskip(SKIP_2) | instid1(VALU_DEP_3)
	v_cndmask_b32_e64 v18, 0, 1, s1
	v_not_b32_e32 v19, v17
	v_cmp_gt_i32_e64 s1, 0, v17
	v_cmp_ne_u32_e32 vcc_lo, 0, v18
	v_lshlrev_b32_e32 v18, 29, v23
	s_delay_alu instid0(VALU_DEP_4) | instskip(SKIP_2) | instid1(VALU_DEP_3)
	v_ashrrev_i32_e32 v17, 31, v19
	s_wait_alu 0xfffd
	v_xor_b32_e32 v16, vcc_lo, v16
	v_not_b32_e32 v19, v18
	s_wait_alu 0xf1ff
	v_xor_b32_e32 v17, s1, v17
	v_cmp_gt_i32_e32 vcc_lo, 0, v18
	s_wait_kmcnt 0x0
	s_lshr_b32 s1, s10, 16
	v_and_b32_e32 v16, exec_lo, v16
	v_ashrrev_i32_e32 v18, 31, v19
	v_not_b32_e32 v19, v20
	s_and_b32 s10, s10, 0xffff
	s_delay_alu instid0(VALU_DEP_3)
	v_and_b32_e32 v16, v16, v17
	s_wait_alu 0xfffd
	v_xor_b32_e32 v17, vcc_lo, v18
	v_cmp_gt_i32_e32 vcc_lo, 0, v20
	v_ashrrev_i32_e32 v18, 31, v19
	v_not_b32_e32 v19, v21
	s_delay_alu instid0(VALU_DEP_4)
	v_and_b32_e32 v16, v16, v17
	v_lshlrev_b32_e32 v17, 26, v23
	s_wait_alu 0xfffd
	v_xor_b32_e32 v18, vcc_lo, v18
	v_cmp_gt_i32_e32 vcc_lo, 0, v21
	v_ashrrev_i32_e32 v19, 31, v19
	v_not_b32_e32 v20, v17
	s_delay_alu instid0(VALU_DEP_4)
	v_and_b32_e32 v16, v16, v18
	v_lshlrev_b32_e32 v18, 25, v23
	;; [unrolled: 8-line block ×3, first 2 shown]
	s_wait_alu 0xfffd
	v_xor_b32_e32 v17, vcc_lo, v17
	v_cmp_gt_i32_e32 vcc_lo, 0, v18
	v_ashrrev_i32_e32 v18, 31, v20
	s_wait_alu 0xfffe
	v_mad_u32_u24 v20, v74, s1, v73
	v_not_b32_e32 v21, v19
	v_and_b32_e32 v16, v16, v17
	s_wait_alu 0xfffd
	v_xor_b32_e32 v17, vcc_lo, v18
	v_cmp_gt_i32_e32 vcc_lo, 0, v19
	v_ashrrev_i32_e32 v18, 31, v21
	v_mad_co_u64_u32 v[21:22], null, v20, s10, v[46:47]
	s_delay_alu instid0(VALU_DEP_4) | instskip(SKIP_1) | instid1(VALU_DEP_3)
	v_and_b32_e32 v16, v16, v17
	s_wait_alu 0xfffd
	v_xor_b32_e32 v22, vcc_lo, v18
	v_dual_mov_b32 v20, s15 :: v_dual_mov_b32 v19, s14
	v_dual_mov_b32 v18, s13 :: v_dual_mov_b32 v17, s12
	s_delay_alu instid0(VALU_DEP_3)
	v_and_b32_e32 v16, v16, v22
	v_lshrrev_b32_e32 v21, 5, v21
	ds_store_b128 v67, v[17:20] offset:32
	ds_store_b128 v67, v[17:20] offset:48
	v_mbcnt_lo_u32_b32 v37, v16, 0
	v_lshlrev_b32_e32 v24, 2, v21
	v_lshlrev_b32_e32 v17, 5, v23
	v_cmp_ne_u32_e64 s1, 0, v16
	s_wait_loadcnt_dscnt 0x0
	v_cmp_eq_u32_e32 vcc_lo, 0, v37
	s_barrier_signal -1
	v_add_nc_u32_e32 v38, v24, v17
	s_barrier_wait -1
	global_inv scope:SCOPE_SE
	s_and_b32 s10, s1, vcc_lo
	; wave barrier
	s_wait_alu 0xfffe
	s_and_saveexec_b32 s1, s10
; %bb.87:
	v_bcnt_u32_b32 v16, v16, 0
	ds_store_b32 v38, v16 offset:32
; %bb.88:
	s_wait_alu 0xfffe
	s_or_b32 exec_lo, exec_lo, s1
	v_and_b32_e32 v16, 0xffff, v26
	; wave barrier
	s_delay_alu instid0(VALU_DEP_1) | instskip(NEXT) | instid1(VALU_DEP_1)
	v_and_b32_e32 v16, s9, v16
	v_and_b32_e32 v17, 1, v16
	v_lshlrev_b32_e32 v18, 30, v16
	v_lshlrev_b32_e32 v19, 29, v16
	;; [unrolled: 1-line block ×4, first 2 shown]
	v_add_co_u32 v17, s1, v17, -1
	s_wait_alu 0xf1ff
	v_cndmask_b32_e64 v21, 0, 1, s1
	v_not_b32_e32 v34, v18
	v_cmp_gt_i32_e64 s1, 0, v18
	v_not_b32_e32 v18, v19
	v_lshlrev_b32_e32 v23, 26, v16
	v_cmp_ne_u32_e32 vcc_lo, 0, v21
	v_ashrrev_i32_e32 v34, 31, v34
	v_lshlrev_b32_e32 v33, 25, v16
	v_ashrrev_i32_e32 v18, 31, v18
	v_lshlrev_b32_e32 v21, 24, v16
	s_wait_alu 0xfffd
	v_xor_b32_e32 v17, vcc_lo, v17
	v_cmp_gt_i32_e32 vcc_lo, 0, v19
	v_not_b32_e32 v19, v20
	s_wait_alu 0xf1ff
	v_xor_b32_e32 v34, s1, v34
	v_cmp_gt_i32_e64 s1, 0, v20
	v_and_b32_e32 v17, exec_lo, v17
	v_not_b32_e32 v20, v22
	v_ashrrev_i32_e32 v19, 31, v19
	s_wait_alu 0xfffd
	v_xor_b32_e32 v18, vcc_lo, v18
	v_cmp_gt_i32_e32 vcc_lo, 0, v22
	v_and_b32_e32 v17, v17, v34
	v_not_b32_e32 v22, v23
	v_ashrrev_i32_e32 v20, 31, v20
	s_wait_alu 0xf1ff
	v_xor_b32_e32 v19, s1, v19
	v_cmp_gt_i32_e64 s1, 0, v23
	v_and_b32_e32 v17, v17, v18
	v_not_b32_e32 v18, v33
	v_ashrrev_i32_e32 v22, 31, v22
	s_wait_alu 0xfffd
	v_xor_b32_e32 v20, vcc_lo, v20
	v_cmp_gt_i32_e32 vcc_lo, 0, v33
	v_and_b32_e32 v17, v17, v19
	v_not_b32_e32 v19, v21
	v_ashrrev_i32_e32 v18, 31, v18
	s_wait_alu 0xf1ff
	v_xor_b32_e32 v22, s1, v22
	v_lshlrev_b32_e32 v16, 5, v16
	v_and_b32_e32 v17, v17, v20
	v_cmp_gt_i32_e64 s1, 0, v21
	v_ashrrev_i32_e32 v19, 31, v19
	s_wait_alu 0xfffd
	v_xor_b32_e32 v18, vcc_lo, v18
	v_add_nc_u32_e32 v47, v24, v16
	v_and_b32_e32 v17, v17, v22
	s_wait_alu 0xf1ff
	v_xor_b32_e32 v16, s1, v19
	ds_load_b32 v39, v47 offset:32
	v_and_b32_e32 v17, v17, v18
	; wave barrier
	s_delay_alu instid0(VALU_DEP_1) | instskip(NEXT) | instid1(VALU_DEP_1)
	v_and_b32_e32 v16, v17, v16
	v_mbcnt_lo_u32_b32 v40, v16, 0
	v_cmp_ne_u32_e64 s1, 0, v16
	s_delay_alu instid0(VALU_DEP_2)
	v_cmp_eq_u32_e32 vcc_lo, 0, v40
	s_and_b32 s10, s1, vcc_lo
	s_wait_alu 0xfffe
	s_and_saveexec_b32 s1, s10
	s_cbranch_execz .LBB171_90
; %bb.89:
	s_wait_dscnt 0x0
	v_bcnt_u32_b32 v16, v16, v39
	ds_store_b32 v47, v16 offset:32
.LBB171_90:
	s_wait_alu 0xfffe
	s_or_b32 exec_lo, exec_lo, s1
	v_and_b32_e32 v16, 0xffff, v27
	; wave barrier
	s_delay_alu instid0(VALU_DEP_1) | instskip(NEXT) | instid1(VALU_DEP_1)
	v_and_b32_e32 v16, s9, v16
	v_and_b32_e32 v17, 1, v16
	v_lshlrev_b32_e32 v18, 30, v16
	v_lshlrev_b32_e32 v19, 29, v16
	;; [unrolled: 1-line block ×4, first 2 shown]
	v_add_co_u32 v17, s1, v17, -1
	s_wait_alu 0xf1ff
	v_cndmask_b32_e64 v21, 0, 1, s1
	v_not_b32_e32 v34, v18
	v_cmp_gt_i32_e64 s1, 0, v18
	v_not_b32_e32 v18, v19
	v_lshlrev_b32_e32 v23, 26, v16
	v_cmp_ne_u32_e32 vcc_lo, 0, v21
	v_ashrrev_i32_e32 v34, 31, v34
	v_lshlrev_b32_e32 v33, 25, v16
	v_ashrrev_i32_e32 v18, 31, v18
	v_lshlrev_b32_e32 v21, 24, v16
	s_wait_alu 0xfffd
	v_xor_b32_e32 v17, vcc_lo, v17
	v_cmp_gt_i32_e32 vcc_lo, 0, v19
	v_not_b32_e32 v19, v20
	s_wait_alu 0xf1ff
	v_xor_b32_e32 v34, s1, v34
	v_cmp_gt_i32_e64 s1, 0, v20
	v_and_b32_e32 v17, exec_lo, v17
	v_not_b32_e32 v20, v22
	v_ashrrev_i32_e32 v19, 31, v19
	s_wait_alu 0xfffd
	v_xor_b32_e32 v18, vcc_lo, v18
	v_cmp_gt_i32_e32 vcc_lo, 0, v22
	v_and_b32_e32 v17, v17, v34
	v_not_b32_e32 v22, v23
	v_ashrrev_i32_e32 v20, 31, v20
	s_wait_alu 0xf1ff
	v_xor_b32_e32 v19, s1, v19
	v_cmp_gt_i32_e64 s1, 0, v23
	v_and_b32_e32 v17, v17, v18
	v_not_b32_e32 v18, v33
	v_ashrrev_i32_e32 v22, 31, v22
	s_wait_alu 0xfffd
	v_xor_b32_e32 v20, vcc_lo, v20
	v_cmp_gt_i32_e32 vcc_lo, 0, v33
	v_and_b32_e32 v17, v17, v19
	v_not_b32_e32 v19, v21
	v_ashrrev_i32_e32 v18, 31, v18
	s_wait_alu 0xf1ff
	v_xor_b32_e32 v22, s1, v22
	v_lshlrev_b32_e32 v16, 5, v16
	v_and_b32_e32 v17, v17, v20
	v_cmp_gt_i32_e64 s1, 0, v21
	v_ashrrev_i32_e32 v19, 31, v19
	s_wait_alu 0xfffd
	v_xor_b32_e32 v18, vcc_lo, v18
	v_add_nc_u32_e32 v50, v24, v16
	v_and_b32_e32 v17, v17, v22
	s_wait_alu 0xf1ff
	v_xor_b32_e32 v16, s1, v19
	ds_load_b32 v48, v50 offset:32
	v_and_b32_e32 v17, v17, v18
	; wave barrier
	s_delay_alu instid0(VALU_DEP_1) | instskip(NEXT) | instid1(VALU_DEP_1)
	v_and_b32_e32 v16, v17, v16
	v_mbcnt_lo_u32_b32 v49, v16, 0
	v_cmp_ne_u32_e64 s1, 0, v16
	s_delay_alu instid0(VALU_DEP_2)
	v_cmp_eq_u32_e32 vcc_lo, 0, v49
	s_and_b32 s10, s1, vcc_lo
	s_wait_alu 0xfffe
	s_and_saveexec_b32 s1, s10
	s_cbranch_execz .LBB171_92
; %bb.91:
	s_wait_dscnt 0x0
	v_bcnt_u32_b32 v16, v16, v48
	ds_store_b32 v50, v16 offset:32
.LBB171_92:
	s_wait_alu 0xfffe
	s_or_b32 exec_lo, exec_lo, s1
	v_and_b32_e32 v16, 0xffff, v28
	; wave barrier
	s_delay_alu instid0(VALU_DEP_1) | instskip(NEXT) | instid1(VALU_DEP_1)
	v_and_b32_e32 v16, s9, v16
	v_and_b32_e32 v17, 1, v16
	v_lshlrev_b32_e32 v18, 30, v16
	v_lshlrev_b32_e32 v19, 29, v16
	;; [unrolled: 1-line block ×4, first 2 shown]
	v_add_co_u32 v17, s1, v17, -1
	s_wait_alu 0xf1ff
	v_cndmask_b32_e64 v21, 0, 1, s1
	v_not_b32_e32 v34, v18
	v_cmp_gt_i32_e64 s1, 0, v18
	v_not_b32_e32 v18, v19
	v_lshlrev_b32_e32 v23, 26, v16
	v_cmp_ne_u32_e32 vcc_lo, 0, v21
	v_ashrrev_i32_e32 v34, 31, v34
	v_lshlrev_b32_e32 v33, 25, v16
	v_ashrrev_i32_e32 v18, 31, v18
	v_lshlrev_b32_e32 v21, 24, v16
	s_wait_alu 0xfffd
	v_xor_b32_e32 v17, vcc_lo, v17
	v_cmp_gt_i32_e32 vcc_lo, 0, v19
	v_not_b32_e32 v19, v20
	s_wait_alu 0xf1ff
	v_xor_b32_e32 v34, s1, v34
	v_cmp_gt_i32_e64 s1, 0, v20
	v_and_b32_e32 v17, exec_lo, v17
	v_not_b32_e32 v20, v22
	v_ashrrev_i32_e32 v19, 31, v19
	s_wait_alu 0xfffd
	v_xor_b32_e32 v18, vcc_lo, v18
	v_cmp_gt_i32_e32 vcc_lo, 0, v22
	v_and_b32_e32 v17, v17, v34
	v_not_b32_e32 v22, v23
	v_ashrrev_i32_e32 v20, 31, v20
	s_wait_alu 0xf1ff
	v_xor_b32_e32 v19, s1, v19
	v_cmp_gt_i32_e64 s1, 0, v23
	v_and_b32_e32 v17, v17, v18
	v_not_b32_e32 v18, v33
	v_ashrrev_i32_e32 v22, 31, v22
	s_wait_alu 0xfffd
	v_xor_b32_e32 v20, vcc_lo, v20
	v_cmp_gt_i32_e32 vcc_lo, 0, v33
	v_and_b32_e32 v17, v17, v19
	v_not_b32_e32 v19, v21
	v_ashrrev_i32_e32 v18, 31, v18
	s_wait_alu 0xf1ff
	v_xor_b32_e32 v22, s1, v22
	v_lshlrev_b32_e32 v16, 5, v16
	v_and_b32_e32 v17, v17, v20
	v_cmp_gt_i32_e64 s1, 0, v21
	v_ashrrev_i32_e32 v19, 31, v19
	s_wait_alu 0xfffd
	v_xor_b32_e32 v18, vcc_lo, v18
	v_add_nc_u32_e32 v75, v24, v16
	v_and_b32_e32 v17, v17, v22
	s_wait_alu 0xf1ff
	v_xor_b32_e32 v16, s1, v19
	ds_load_b32 v73, v75 offset:32
	v_and_b32_e32 v17, v17, v18
	; wave barrier
	s_delay_alu instid0(VALU_DEP_1) | instskip(NEXT) | instid1(VALU_DEP_1)
	v_and_b32_e32 v16, v17, v16
	v_mbcnt_lo_u32_b32 v74, v16, 0
	v_cmp_ne_u32_e64 s1, 0, v16
	s_delay_alu instid0(VALU_DEP_2)
	v_cmp_eq_u32_e32 vcc_lo, 0, v74
	s_and_b32 s10, s1, vcc_lo
	s_wait_alu 0xfffe
	s_and_saveexec_b32 s1, s10
	s_cbranch_execz .LBB171_94
; %bb.93:
	s_wait_dscnt 0x0
	v_bcnt_u32_b32 v16, v16, v73
	ds_store_b32 v75, v16 offset:32
.LBB171_94:
	s_wait_alu 0xfffe
	s_or_b32 exec_lo, exec_lo, s1
	v_and_b32_e32 v16, 0xffff, v29
	; wave barrier
	s_delay_alu instid0(VALU_DEP_1) | instskip(NEXT) | instid1(VALU_DEP_1)
	v_and_b32_e32 v16, s9, v16
	v_and_b32_e32 v17, 1, v16
	v_lshlrev_b32_e32 v18, 30, v16
	v_lshlrev_b32_e32 v19, 29, v16
	;; [unrolled: 1-line block ×4, first 2 shown]
	v_add_co_u32 v17, s1, v17, -1
	s_wait_alu 0xf1ff
	v_cndmask_b32_e64 v21, 0, 1, s1
	v_not_b32_e32 v34, v18
	v_cmp_gt_i32_e64 s1, 0, v18
	v_not_b32_e32 v18, v19
	v_lshlrev_b32_e32 v23, 26, v16
	v_cmp_ne_u32_e32 vcc_lo, 0, v21
	v_ashrrev_i32_e32 v34, 31, v34
	v_lshlrev_b32_e32 v33, 25, v16
	v_ashrrev_i32_e32 v18, 31, v18
	v_lshlrev_b32_e32 v21, 24, v16
	s_wait_alu 0xfffd
	v_xor_b32_e32 v17, vcc_lo, v17
	v_cmp_gt_i32_e32 vcc_lo, 0, v19
	v_not_b32_e32 v19, v20
	s_wait_alu 0xf1ff
	v_xor_b32_e32 v34, s1, v34
	v_cmp_gt_i32_e64 s1, 0, v20
	v_and_b32_e32 v17, exec_lo, v17
	v_not_b32_e32 v20, v22
	v_ashrrev_i32_e32 v19, 31, v19
	s_wait_alu 0xfffd
	v_xor_b32_e32 v18, vcc_lo, v18
	v_cmp_gt_i32_e32 vcc_lo, 0, v22
	v_and_b32_e32 v17, v17, v34
	v_not_b32_e32 v22, v23
	v_ashrrev_i32_e32 v20, 31, v20
	s_wait_alu 0xf1ff
	v_xor_b32_e32 v19, s1, v19
	v_cmp_gt_i32_e64 s1, 0, v23
	v_and_b32_e32 v17, v17, v18
	v_not_b32_e32 v18, v33
	v_ashrrev_i32_e32 v22, 31, v22
	s_wait_alu 0xfffd
	v_xor_b32_e32 v20, vcc_lo, v20
	v_cmp_gt_i32_e32 vcc_lo, 0, v33
	v_and_b32_e32 v17, v17, v19
	v_not_b32_e32 v19, v21
	v_ashrrev_i32_e32 v18, 31, v18
	s_wait_alu 0xf1ff
	v_xor_b32_e32 v22, s1, v22
	v_lshlrev_b32_e32 v16, 5, v16
	v_and_b32_e32 v17, v17, v20
	v_cmp_gt_i32_e64 s1, 0, v21
	v_ashrrev_i32_e32 v19, 31, v19
	s_wait_alu 0xfffd
	v_xor_b32_e32 v18, vcc_lo, v18
	v_add_nc_u32_e32 v78, v24, v16
	v_and_b32_e32 v17, v17, v22
	s_wait_alu 0xf1ff
	v_xor_b32_e32 v16, s1, v19
	ds_load_b32 v76, v78 offset:32
	v_and_b32_e32 v17, v17, v18
	; wave barrier
	s_delay_alu instid0(VALU_DEP_1) | instskip(NEXT) | instid1(VALU_DEP_1)
	v_and_b32_e32 v16, v17, v16
	v_mbcnt_lo_u32_b32 v77, v16, 0
	v_cmp_ne_u32_e64 s1, 0, v16
	s_delay_alu instid0(VALU_DEP_2)
	v_cmp_eq_u32_e32 vcc_lo, 0, v77
	s_and_b32 s10, s1, vcc_lo
	s_wait_alu 0xfffe
	s_and_saveexec_b32 s1, s10
	s_cbranch_execz .LBB171_96
; %bb.95:
	s_wait_dscnt 0x0
	v_bcnt_u32_b32 v16, v16, v76
	ds_store_b32 v78, v16 offset:32
.LBB171_96:
	s_wait_alu 0xfffe
	s_or_b32 exec_lo, exec_lo, s1
	v_and_b32_e32 v16, 0xffff, v30
	; wave barrier
	s_delay_alu instid0(VALU_DEP_1) | instskip(NEXT) | instid1(VALU_DEP_1)
	v_and_b32_e32 v16, s9, v16
	v_and_b32_e32 v17, 1, v16
	v_lshlrev_b32_e32 v18, 30, v16
	v_lshlrev_b32_e32 v19, 29, v16
	;; [unrolled: 1-line block ×4, first 2 shown]
	v_add_co_u32 v17, s1, v17, -1
	s_wait_alu 0xf1ff
	v_cndmask_b32_e64 v21, 0, 1, s1
	v_not_b32_e32 v34, v18
	v_cmp_gt_i32_e64 s1, 0, v18
	v_not_b32_e32 v18, v19
	v_lshlrev_b32_e32 v23, 26, v16
	v_cmp_ne_u32_e32 vcc_lo, 0, v21
	v_ashrrev_i32_e32 v34, 31, v34
	v_lshlrev_b32_e32 v33, 25, v16
	v_ashrrev_i32_e32 v18, 31, v18
	v_lshlrev_b32_e32 v21, 24, v16
	s_wait_alu 0xfffd
	v_xor_b32_e32 v17, vcc_lo, v17
	v_cmp_gt_i32_e32 vcc_lo, 0, v19
	v_not_b32_e32 v19, v20
	s_wait_alu 0xf1ff
	v_xor_b32_e32 v34, s1, v34
	v_cmp_gt_i32_e64 s1, 0, v20
	v_and_b32_e32 v17, exec_lo, v17
	v_not_b32_e32 v20, v22
	v_ashrrev_i32_e32 v19, 31, v19
	s_wait_alu 0xfffd
	v_xor_b32_e32 v18, vcc_lo, v18
	v_cmp_gt_i32_e32 vcc_lo, 0, v22
	v_and_b32_e32 v17, v17, v34
	v_not_b32_e32 v22, v23
	v_ashrrev_i32_e32 v20, 31, v20
	s_wait_alu 0xf1ff
	v_xor_b32_e32 v19, s1, v19
	v_cmp_gt_i32_e64 s1, 0, v23
	v_and_b32_e32 v17, v17, v18
	v_not_b32_e32 v18, v33
	v_ashrrev_i32_e32 v22, 31, v22
	s_wait_alu 0xfffd
	v_xor_b32_e32 v20, vcc_lo, v20
	v_cmp_gt_i32_e32 vcc_lo, 0, v33
	v_and_b32_e32 v17, v17, v19
	v_not_b32_e32 v19, v21
	v_ashrrev_i32_e32 v18, 31, v18
	s_wait_alu 0xf1ff
	v_xor_b32_e32 v22, s1, v22
	v_lshlrev_b32_e32 v16, 5, v16
	v_and_b32_e32 v17, v17, v20
	v_cmp_gt_i32_e64 s1, 0, v21
	v_ashrrev_i32_e32 v19, 31, v19
	s_wait_alu 0xfffd
	v_xor_b32_e32 v18, vcc_lo, v18
	v_add_nc_u32_e32 v81, v24, v16
	v_and_b32_e32 v17, v17, v22
	s_wait_alu 0xf1ff
	v_xor_b32_e32 v16, s1, v19
	ds_load_b32 v79, v81 offset:32
	v_and_b32_e32 v17, v17, v18
	; wave barrier
	s_delay_alu instid0(VALU_DEP_1) | instskip(NEXT) | instid1(VALU_DEP_1)
	v_and_b32_e32 v16, v17, v16
	v_mbcnt_lo_u32_b32 v80, v16, 0
	v_cmp_ne_u32_e64 s1, 0, v16
	s_delay_alu instid0(VALU_DEP_2)
	v_cmp_eq_u32_e32 vcc_lo, 0, v80
	s_and_b32 s10, s1, vcc_lo
	s_wait_alu 0xfffe
	s_and_saveexec_b32 s1, s10
	s_cbranch_execz .LBB171_98
; %bb.97:
	s_wait_dscnt 0x0
	v_bcnt_u32_b32 v16, v16, v79
	ds_store_b32 v81, v16 offset:32
.LBB171_98:
	s_wait_alu 0xfffe
	s_or_b32 exec_lo, exec_lo, s1
	v_and_b32_e32 v16, 0xffff, v31
	; wave barrier
	s_delay_alu instid0(VALU_DEP_1) | instskip(NEXT) | instid1(VALU_DEP_1)
	v_and_b32_e32 v16, s9, v16
	v_and_b32_e32 v17, 1, v16
	v_lshlrev_b32_e32 v18, 30, v16
	v_lshlrev_b32_e32 v19, 29, v16
	v_lshlrev_b32_e32 v20, 28, v16
	v_lshlrev_b32_e32 v22, 27, v16
	v_add_co_u32 v17, s1, v17, -1
	s_wait_alu 0xf1ff
	v_cndmask_b32_e64 v21, 0, 1, s1
	v_not_b32_e32 v34, v18
	v_cmp_gt_i32_e64 s1, 0, v18
	v_not_b32_e32 v18, v19
	v_lshlrev_b32_e32 v23, 26, v16
	v_cmp_ne_u32_e32 vcc_lo, 0, v21
	v_ashrrev_i32_e32 v34, 31, v34
	v_lshlrev_b32_e32 v33, 25, v16
	v_ashrrev_i32_e32 v18, 31, v18
	v_lshlrev_b32_e32 v21, 24, v16
	s_wait_alu 0xfffd
	v_xor_b32_e32 v17, vcc_lo, v17
	v_cmp_gt_i32_e32 vcc_lo, 0, v19
	v_not_b32_e32 v19, v20
	s_wait_alu 0xf1ff
	v_xor_b32_e32 v34, s1, v34
	v_cmp_gt_i32_e64 s1, 0, v20
	v_and_b32_e32 v17, exec_lo, v17
	v_not_b32_e32 v20, v22
	v_ashrrev_i32_e32 v19, 31, v19
	s_wait_alu 0xfffd
	v_xor_b32_e32 v18, vcc_lo, v18
	v_cmp_gt_i32_e32 vcc_lo, 0, v22
	v_and_b32_e32 v17, v17, v34
	v_not_b32_e32 v22, v23
	v_ashrrev_i32_e32 v20, 31, v20
	s_wait_alu 0xf1ff
	v_xor_b32_e32 v19, s1, v19
	v_cmp_gt_i32_e64 s1, 0, v23
	v_and_b32_e32 v17, v17, v18
	v_not_b32_e32 v18, v33
	v_ashrrev_i32_e32 v22, 31, v22
	s_wait_alu 0xfffd
	v_xor_b32_e32 v20, vcc_lo, v20
	v_cmp_gt_i32_e32 vcc_lo, 0, v33
	v_and_b32_e32 v17, v17, v19
	v_not_b32_e32 v19, v21
	v_ashrrev_i32_e32 v18, 31, v18
	s_wait_alu 0xf1ff
	v_xor_b32_e32 v22, s1, v22
	v_lshlrev_b32_e32 v16, 5, v16
	v_and_b32_e32 v17, v17, v20
	v_cmp_gt_i32_e64 s1, 0, v21
	v_ashrrev_i32_e32 v19, 31, v19
	s_wait_alu 0xfffd
	v_xor_b32_e32 v18, vcc_lo, v18
	v_add_nc_u32_e32 v84, v24, v16
	v_and_b32_e32 v17, v17, v22
	s_wait_alu 0xf1ff
	v_xor_b32_e32 v16, s1, v19
	ds_load_b32 v82, v84 offset:32
	v_and_b32_e32 v17, v17, v18
	; wave barrier
	s_delay_alu instid0(VALU_DEP_1) | instskip(NEXT) | instid1(VALU_DEP_1)
	v_and_b32_e32 v16, v17, v16
	v_mbcnt_lo_u32_b32 v83, v16, 0
	v_cmp_ne_u32_e64 s1, 0, v16
	s_delay_alu instid0(VALU_DEP_2)
	v_cmp_eq_u32_e32 vcc_lo, 0, v83
	s_and_b32 s10, s1, vcc_lo
	s_wait_alu 0xfffe
	s_and_saveexec_b32 s1, s10
	s_cbranch_execz .LBB171_100
; %bb.99:
	s_wait_dscnt 0x0
	v_bcnt_u32_b32 v16, v16, v82
	ds_store_b32 v84, v16 offset:32
.LBB171_100:
	s_wait_alu 0xfffe
	s_or_b32 exec_lo, exec_lo, s1
	v_and_b32_e32 v16, 0xffff, v32
	; wave barrier
	s_delay_alu instid0(VALU_DEP_1) | instskip(NEXT) | instid1(VALU_DEP_1)
	v_and_b32_e32 v16, s9, v16
	v_and_b32_e32 v17, 1, v16
	v_lshlrev_b32_e32 v18, 30, v16
	v_lshlrev_b32_e32 v19, 29, v16
	;; [unrolled: 1-line block ×4, first 2 shown]
	v_add_co_u32 v17, s1, v17, -1
	s_wait_alu 0xf1ff
	v_cndmask_b32_e64 v21, 0, 1, s1
	v_not_b32_e32 v34, v18
	v_cmp_gt_i32_e64 s1, 0, v18
	v_not_b32_e32 v18, v19
	v_lshlrev_b32_e32 v23, 26, v16
	v_cmp_ne_u32_e32 vcc_lo, 0, v21
	v_ashrrev_i32_e32 v34, 31, v34
	v_lshlrev_b32_e32 v33, 25, v16
	v_ashrrev_i32_e32 v18, 31, v18
	v_lshlrev_b32_e32 v21, 24, v16
	s_wait_alu 0xfffd
	v_xor_b32_e32 v17, vcc_lo, v17
	v_cmp_gt_i32_e32 vcc_lo, 0, v19
	v_not_b32_e32 v19, v20
	s_wait_alu 0xf1ff
	v_xor_b32_e32 v34, s1, v34
	v_cmp_gt_i32_e64 s1, 0, v20
	v_and_b32_e32 v17, exec_lo, v17
	v_not_b32_e32 v20, v22
	v_ashrrev_i32_e32 v19, 31, v19
	s_wait_alu 0xfffd
	v_xor_b32_e32 v18, vcc_lo, v18
	v_cmp_gt_i32_e32 vcc_lo, 0, v22
	v_and_b32_e32 v17, v17, v34
	v_not_b32_e32 v22, v23
	v_ashrrev_i32_e32 v20, 31, v20
	s_wait_alu 0xf1ff
	v_xor_b32_e32 v19, s1, v19
	v_cmp_gt_i32_e64 s1, 0, v23
	v_and_b32_e32 v17, v17, v18
	v_not_b32_e32 v18, v33
	v_ashrrev_i32_e32 v22, 31, v22
	s_wait_alu 0xfffd
	v_xor_b32_e32 v20, vcc_lo, v20
	v_cmp_gt_i32_e32 vcc_lo, 0, v33
	v_and_b32_e32 v17, v17, v19
	v_not_b32_e32 v19, v21
	v_ashrrev_i32_e32 v18, 31, v18
	s_wait_alu 0xf1ff
	v_xor_b32_e32 v22, s1, v22
	v_lshlrev_b32_e32 v16, 5, v16
	v_and_b32_e32 v17, v17, v20
	v_cmp_gt_i32_e64 s1, 0, v21
	v_ashrrev_i32_e32 v19, 31, v19
	s_wait_alu 0xfffd
	v_xor_b32_e32 v18, vcc_lo, v18
	v_add_nc_u32_e32 v87, v24, v16
	v_and_b32_e32 v17, v17, v22
	v_min_u32_e32 v33, 0xe0, v72
	s_wait_alu 0xf1ff
	v_xor_b32_e32 v16, s1, v19
	ds_load_b32 v85, v87 offset:32
	v_and_b32_e32 v17, v17, v18
	; wave barrier
	s_delay_alu instid0(VALU_DEP_1) | instskip(NEXT) | instid1(VALU_DEP_1)
	v_and_b32_e32 v16, v17, v16
	v_mbcnt_lo_u32_b32 v86, v16, 0
	v_cmp_ne_u32_e64 s1, 0, v16
	s_delay_alu instid0(VALU_DEP_2)
	v_cmp_eq_u32_e32 vcc_lo, 0, v86
	s_and_b32 s9, s1, vcc_lo
	s_wait_alu 0xfffe
	s_and_saveexec_b32 s1, s9
	s_cbranch_execz .LBB171_102
; %bb.101:
	s_wait_dscnt 0x0
	v_bcnt_u32_b32 v16, v16, v85
	ds_store_b32 v87, v16 offset:32
.LBB171_102:
	s_wait_alu 0xfffe
	s_or_b32 exec_lo, exec_lo, s1
	; wave barrier
	s_wait_loadcnt_dscnt 0x0
	s_barrier_signal -1
	s_barrier_wait -1
	global_inv scope:SCOPE_SE
	ds_load_b128 v[20:23], v67 offset:32
	ds_load_b128 v[16:19], v67 offset:48
	v_and_b32_e32 v36, 16, v70
	v_or_b32_e32 v33, 31, v33
	s_delay_alu instid0(VALU_DEP_2) | instskip(NEXT) | instid1(VALU_DEP_2)
	v_cmp_eq_u32_e64 s17, 0, v36
	v_cmp_eq_u32_e64 s15, v46, v33
	s_wait_dscnt 0x1
	v_add_nc_u32_e32 v34, v21, v20
	s_delay_alu instid0(VALU_DEP_1) | instskip(SKIP_1) | instid1(VALU_DEP_1)
	v_add3_u32 v34, v34, v22, v23
	s_wait_dscnt 0x0
	v_add3_u32 v34, v34, v16, v17
	s_delay_alu instid0(VALU_DEP_1) | instskip(SKIP_1) | instid1(VALU_DEP_2)
	v_add3_u32 v19, v34, v18, v19
	v_and_b32_e32 v34, 15, v70
	v_mov_b32_dpp v35, v19 row_shr:1 row_mask:0xf bank_mask:0xf
	s_delay_alu instid0(VALU_DEP_2)
	v_cmp_eq_u32_e64 s9, 0, v34
	v_cmp_lt_u32_e64 s11, 1, v34
	v_cmp_lt_u32_e64 s12, 3, v34
	;; [unrolled: 1-line block ×3, first 2 shown]
	s_wait_alu 0xf1ff
	v_cndmask_b32_e64 v35, v35, 0, s9
	s_delay_alu instid0(VALU_DEP_1) | instskip(NEXT) | instid1(VALU_DEP_1)
	v_add_nc_u32_e32 v19, v35, v19
	v_mov_b32_dpp v35, v19 row_shr:2 row_mask:0xf bank_mask:0xf
	s_delay_alu instid0(VALU_DEP_1) | instskip(NEXT) | instid1(VALU_DEP_1)
	v_cndmask_b32_e64 v35, 0, v35, s11
	v_add_nc_u32_e32 v19, v19, v35
	s_delay_alu instid0(VALU_DEP_1) | instskip(NEXT) | instid1(VALU_DEP_1)
	v_mov_b32_dpp v35, v19 row_shr:4 row_mask:0xf bank_mask:0xf
	v_cndmask_b32_e64 v35, 0, v35, s12
	s_delay_alu instid0(VALU_DEP_1) | instskip(NEXT) | instid1(VALU_DEP_1)
	v_add_nc_u32_e32 v19, v19, v35
	v_mov_b32_dpp v35, v19 row_shr:8 row_mask:0xf bank_mask:0xf
	s_delay_alu instid0(VALU_DEP_1) | instskip(NEXT) | instid1(VALU_DEP_1)
	v_cndmask_b32_e64 v34, 0, v35, s14
	v_add_nc_u32_e32 v35, v19, v34
	v_bfe_i32 v34, v70, 4, 1
	ds_swizzle_b32 v19, v35 offset:swizzle(BROADCAST,32,15)
	s_wait_dscnt 0x0
	v_and_b32_e32 v72, v34, v19
	v_mul_i32_i24_e32 v19, 0xffffffe4, v46
	v_lshlrev_b32_e32 v34, 2, v69
	s_delay_alu instid0(VALU_DEP_3)
	v_add_nc_u32_e32 v36, v35, v72
	s_and_saveexec_b32 s1, s15
; %bb.103:
	ds_store_b32 v34, v36
; %bb.104:
	s_wait_alu 0xfffe
	s_or_b32 exec_lo, exec_lo, s1
	v_and_b32_e32 v33, 7, v70
	v_cmp_gt_u32_e64 s16, 8, v46
	s_wait_loadcnt_dscnt 0x0
	s_barrier_signal -1
	s_barrier_wait -1
	v_cmp_eq_u32_e64 s13, 0, v33
	v_cmp_lt_u32_e64 s10, 1, v33
	v_cmp_lt_u32_e32 vcc_lo, 3, v33
	v_add_nc_u32_e32 v33, v67, v19
	global_inv scope:SCOPE_SE
	s_and_saveexec_b32 s1, s16
	s_cbranch_execz .LBB171_106
; %bb.105:
	ds_load_b32 v19, v33
	s_wait_dscnt 0x0
	v_mov_b32_dpp v35, v19 row_shr:1 row_mask:0xf bank_mask:0xf
	s_wait_alu 0xf1ff
	s_delay_alu instid0(VALU_DEP_1) | instskip(NEXT) | instid1(VALU_DEP_1)
	v_cndmask_b32_e64 v35, v35, 0, s13
	v_add_nc_u32_e32 v19, v35, v19
	s_delay_alu instid0(VALU_DEP_1) | instskip(NEXT) | instid1(VALU_DEP_1)
	v_mov_b32_dpp v35, v19 row_shr:2 row_mask:0xf bank_mask:0xf
	v_cndmask_b32_e64 v35, 0, v35, s10
	s_delay_alu instid0(VALU_DEP_1) | instskip(NEXT) | instid1(VALU_DEP_1)
	v_add_nc_u32_e32 v19, v19, v35
	v_mov_b32_dpp v35, v19 row_shr:4 row_mask:0xf bank_mask:0xf
	s_wait_alu 0xfffd
	s_delay_alu instid0(VALU_DEP_1) | instskip(NEXT) | instid1(VALU_DEP_1)
	v_cndmask_b32_e32 v35, 0, v35, vcc_lo
	v_add_nc_u32_e32 v19, v19, v35
	ds_store_b32 v33, v19
.LBB171_106:
	s_wait_alu 0xfffe
	s_or_b32 exec_lo, exec_lo, s1
	v_sub_co_u32 v69, s1, v70, 1
	v_mul_u32_u24_e32 v19, 6, v71
	v_cmp_lt_u32_e64 s18, 31, v46
	v_add_nc_u32_e32 v35, -4, v34
	v_mov_b32_e32 v71, 0
	s_wait_loadcnt_dscnt 0x0
	s_barrier_signal -1
	s_barrier_wait -1
	global_inv scope:SCOPE_SE
	s_and_saveexec_b32 s19, s18
; %bb.107:
	ds_load_b32 v71, v35
; %bb.108:
	s_or_b32 exec_lo, exec_lo, s19
	v_cmp_gt_i32_e64 s19, 0, v69
	s_mov_b32 s24, 0
	s_min_u32 s20, s20, 8
	s_mov_b32 s25, s24
	s_mov_b32 s26, s24
	v_cndmask_b32_e64 v69, v69, v70, s19
	s_mov_b32 s27, s24
	s_wait_dscnt 0x0
	v_add_nc_u32_e32 v70, v71, v36
	v_cmp_eq_u32_e64 s19, 0, v46
	s_wait_alu 0xfffe
	s_lshl_b32 s20, -1, s20
	v_lshlrev_b32_e32 v36, 2, v69
	s_wait_alu 0xfffe
	s_not_b32 s23, s20
	ds_bpermute_b32 v69, v36, v70
	s_wait_dscnt 0x0
	v_cndmask_b32_e64 v69, v69, v71, s1
	s_delay_alu instid0(VALU_DEP_1) | instskip(NEXT) | instid1(VALU_DEP_1)
	v_cndmask_b32_e64 v69, v69, 0, s19
	v_add_nc_u32_e32 v70, v69, v20
	s_delay_alu instid0(VALU_DEP_1) | instskip(NEXT) | instid1(VALU_DEP_1)
	v_add_nc_u32_e32 v71, v70, v21
	v_add_nc_u32_e32 v72, v71, v22
	s_delay_alu instid0(VALU_DEP_1) | instskip(NEXT) | instid1(VALU_DEP_1)
	v_add_nc_u32_e32 v20, v72, v23
	;; [unrolled: 3-line block ×3, first 2 shown]
	v_add_nc_u32_e32 v23, v22, v18
	ds_store_b128 v67, v[69:72] offset:32
	ds_store_b128 v67, v[20:23] offset:48
	s_wait_loadcnt_dscnt 0x0
	s_barrier_signal -1
	s_barrier_wait -1
	global_inv scope:SCOPE_SE
	ds_load_b32 v16, v38 offset:32
	ds_load_b32 v17, v47 offset:32
	;; [unrolled: 1-line block ×8, first 2 shown]
	v_add_nc_u32_e32 v47, v68, v19
	s_wait_loadcnt_dscnt 0x0
	s_barrier_signal -1
	s_barrier_wait -1
	global_inv scope:SCOPE_SE
	v_add_nc_u32_e32 v37, v16, v37
	v_add3_u32 v39, v40, v39, v17
	v_add3_u32 v40, v49, v48, v18
	;; [unrolled: 1-line block ×7, first 2 shown]
	v_lshlrev_b32_e32 v16, 1, v37
	v_lshlrev_b32_e32 v17, 1, v39
	;; [unrolled: 1-line block ×8, first 2 shown]
	ds_store_b16 v16, v25
	ds_store_b16 v17, v26
	;; [unrolled: 1-line block ×8, first 2 shown]
	s_wait_loadcnt_dscnt 0x0
	s_barrier_signal -1
	s_barrier_wait -1
	global_inv scope:SCOPE_SE
	ds_load_u16 v25, v68
	ds_load_u16 v26, v68 offset:64
	ds_load_u16 v27, v68 offset:128
	;; [unrolled: 1-line block ×7, first 2 shown]
	v_mad_co_u64_u32 v[37:38], null, v37, 6, v[16:17]
	v_mad_co_u64_u32 v[16:17], null, v39, 6, v[17:18]
	;; [unrolled: 1-line block ×3, first 2 shown]
	s_wait_loadcnt_dscnt 0x0
	s_barrier_signal -1
	s_barrier_wait -1
	global_inv scope:SCOPE_SE
	v_mad_co_u64_u32 v[18:19], null, v48, 6, v[19:20]
	v_lshrrev_b16 v38, 8, v25
	ds_store_b64 v37, v[4:5]
	v_mad_co_u64_u32 v[19:20], null, v49, 6, v[20:21]
	v_mad_co_u64_u32 v[20:21], null, v50, 6, v[21:22]
	v_and_b32_e32 v4, 0xffff, v38
	v_mad_co_u64_u32 v[21:22], null, v69, 6, v[22:23]
	v_mad_co_u64_u32 v[22:23], null, v70, 6, v[23:24]
	s_wait_alu 0xfffe
	s_delay_alu instid0(VALU_DEP_3)
	v_and_b32_e32 v23, s23, v4
	ds_store_b64 v16, v[6:7]
	ds_store_b64 v17, v[0:1]
	ds_store_b64 v18, v[2:3]
	ds_store_b64 v19, v[12:13]
	ds_store_b64 v20, v[14:15]
	ds_store_b64 v21, v[8:9]
	ds_store_b64 v22, v[10:11]
	v_and_b32_e32 v0, 1, v23
	v_lshlrev_b32_e32 v1, 30, v23
	v_lshlrev_b32_e32 v2, 29, v23
	;; [unrolled: 1-line block ×4, first 2 shown]
	v_add_co_u32 v0, s20, v0, -1
	s_wait_alu 0xf1ff
	v_cndmask_b32_e64 v4, 0, 1, s20
	v_not_b32_e32 v8, v1
	v_cmp_gt_i32_e64 s21, 0, v1
	v_not_b32_e32 v1, v2
	v_lshlrev_b32_e32 v6, 26, v23
	v_cmp_ne_u32_e64 s20, 0, v4
	v_ashrrev_i32_e32 v8, 31, v8
	v_lshlrev_b32_e32 v7, 25, v23
	v_ashrrev_i32_e32 v1, 31, v1
	v_lshlrev_b32_e32 v4, 24, v23
	s_wait_alu 0xf1ff
	v_xor_b32_e32 v0, s20, v0
	v_cmp_gt_i32_e64 s20, 0, v2
	v_not_b32_e32 v2, v3
	v_xor_b32_e32 v8, s21, v8
	v_cmp_gt_i32_e64 s21, 0, v3
	v_and_b32_e32 v0, exec_lo, v0
	v_not_b32_e32 v3, v5
	v_ashrrev_i32_e32 v2, 31, v2
	s_wait_alu 0xf1ff
	v_xor_b32_e32 v1, s20, v1
	v_cmp_gt_i32_e64 s20, 0, v5
	v_and_b32_e32 v0, v0, v8
	v_not_b32_e32 v5, v6
	v_ashrrev_i32_e32 v3, 31, v3
	v_xor_b32_e32 v2, s21, v2
	v_cmp_gt_i32_e64 s21, 0, v6
	v_and_b32_e32 v0, v0, v1
	v_not_b32_e32 v1, v7
	v_ashrrev_i32_e32 v5, 31, v5
	s_wait_alu 0xf1ff
	v_xor_b32_e32 v3, s20, v3
	v_cmp_gt_i32_e64 s20, 0, v7
	v_and_b32_e32 v0, v0, v2
	v_not_b32_e32 v2, v4
	v_ashrrev_i32_e32 v1, 31, v1
	v_xor_b32_e32 v5, s21, v5
	v_cmp_gt_i32_e64 s21, 0, v4
	v_and_b32_e32 v0, v0, v3
	v_ashrrev_i32_e32 v2, 31, v2
	s_wait_alu 0xf1ff
	v_xor_b32_e32 v1, s20, v1
	s_wait_loadcnt_dscnt 0x0
	s_barrier_signal -1
	v_and_b32_e32 v0, v0, v5
	v_xor_b32_e32 v16, s21, v2
	s_barrier_wait -1
	global_inv scope:SCOPE_SE
	ds_load_2addr_b64 v[4:7], v47 offset1:32
	v_and_b32_e32 v21, v0, v1
	ds_load_2addr_b64 v[12:15], v47 offset0:64 offset1:96
	ds_load_2addr_b64 v[8:11], v47 offset0:128 offset1:160
	;; [unrolled: 1-line block ×3, first 2 shown]
	v_dual_mov_b32 v17, s24 :: v_dual_mov_b32 v18, s25
	v_dual_mov_b32 v19, s26 :: v_dual_and_b32 v16, v21, v16
	v_mov_b32_e32 v20, s27
	v_lshl_add_u32 v38, v23, 5, v24
	s_wait_loadcnt_dscnt 0x0
	s_barrier_signal -1
	v_mbcnt_lo_u32_b32 v37, v16, 0
	v_cmp_ne_u32_e64 s21, 0, v16
	s_barrier_wait -1
	global_inv scope:SCOPE_SE
	ds_store_b128 v67, v[17:20] offset:32
	ds_store_b128 v67, v[17:20] offset:48
	v_cmp_eq_u32_e64 s20, 0, v37
	s_wait_loadcnt_dscnt 0x0
	s_barrier_signal -1
	s_barrier_wait -1
	global_inv scope:SCOPE_SE
	s_and_b32 s21, s21, s20
	; wave barrier
	s_wait_alu 0xfffe
	s_and_saveexec_b32 s20, s21
; %bb.109:
	v_bcnt_u32_b32 v16, v16, 0
	ds_store_b32 v38, v16 offset:32
; %bb.110:
	s_wait_alu 0xfffe
	s_or_b32 exec_lo, exec_lo, s20
	v_lshrrev_b16 v16, 8, v26
	; wave barrier
	s_delay_alu instid0(VALU_DEP_1) | instskip(NEXT) | instid1(VALU_DEP_1)
	v_and_b32_e32 v16, s23, v16
	v_and_b32_e32 v17, 1, v16
	v_lshlrev_b32_e32 v18, 30, v16
	v_lshlrev_b32_e32 v19, 29, v16
	;; [unrolled: 1-line block ×4, first 2 shown]
	v_add_co_u32 v17, s20, v17, -1
	s_wait_alu 0xf1ff
	v_cndmask_b32_e64 v21, 0, 1, s20
	v_not_b32_e32 v40, v18
	v_cmp_gt_i32_e64 s21, 0, v18
	v_not_b32_e32 v18, v19
	v_lshlrev_b32_e32 v23, 26, v16
	v_cmp_ne_u32_e64 s20, 0, v21
	v_ashrrev_i32_e32 v40, 31, v40
	v_lshlrev_b32_e32 v39, 25, v16
	v_ashrrev_i32_e32 v18, 31, v18
	v_lshlrev_b32_e32 v21, 24, v16
	s_wait_alu 0xf1ff
	v_xor_b32_e32 v17, s20, v17
	v_cmp_gt_i32_e64 s20, 0, v19
	v_not_b32_e32 v19, v20
	v_xor_b32_e32 v40, s21, v40
	v_cmp_gt_i32_e64 s21, 0, v20
	v_and_b32_e32 v17, exec_lo, v17
	v_not_b32_e32 v20, v22
	v_ashrrev_i32_e32 v19, 31, v19
	s_wait_alu 0xf1ff
	v_xor_b32_e32 v18, s20, v18
	v_cmp_gt_i32_e64 s20, 0, v22
	v_and_b32_e32 v17, v17, v40
	v_not_b32_e32 v22, v23
	v_ashrrev_i32_e32 v20, 31, v20
	v_xor_b32_e32 v19, s21, v19
	v_cmp_gt_i32_e64 s21, 0, v23
	v_and_b32_e32 v17, v17, v18
	v_not_b32_e32 v18, v39
	v_ashrrev_i32_e32 v22, 31, v22
	s_wait_alu 0xf1ff
	v_xor_b32_e32 v20, s20, v20
	v_cmp_gt_i32_e64 s20, 0, v39
	v_and_b32_e32 v17, v17, v19
	v_not_b32_e32 v19, v21
	v_ashrrev_i32_e32 v18, 31, v18
	v_xor_b32_e32 v22, s21, v22
	v_cmp_gt_i32_e64 s21, 0, v21
	v_and_b32_e32 v17, v17, v20
	v_ashrrev_i32_e32 v19, 31, v19
	s_wait_alu 0xf1ff
	v_xor_b32_e32 v18, s20, v18
	v_lshl_add_u32 v47, v16, 5, v24
	v_and_b32_e32 v17, v17, v22
	v_xor_b32_e32 v16, s21, v19
	ds_load_b32 v39, v47 offset:32
	v_and_b32_e32 v17, v17, v18
	; wave barrier
	s_delay_alu instid0(VALU_DEP_1) | instskip(NEXT) | instid1(VALU_DEP_1)
	v_and_b32_e32 v16, v17, v16
	v_mbcnt_lo_u32_b32 v40, v16, 0
	v_cmp_ne_u32_e64 s21, 0, v16
	s_delay_alu instid0(VALU_DEP_2)
	v_cmp_eq_u32_e64 s20, 0, v40
	s_and_b32 s21, s21, s20
	s_wait_alu 0xfffe
	s_and_saveexec_b32 s20, s21
	s_cbranch_execz .LBB171_112
; %bb.111:
	s_wait_dscnt 0x0
	v_bcnt_u32_b32 v16, v16, v39
	ds_store_b32 v47, v16 offset:32
.LBB171_112:
	s_wait_alu 0xfffe
	s_or_b32 exec_lo, exec_lo, s20
	v_lshrrev_b16 v16, 8, v27
	; wave barrier
	s_delay_alu instid0(VALU_DEP_1) | instskip(NEXT) | instid1(VALU_DEP_1)
	v_and_b32_e32 v16, s23, v16
	v_and_b32_e32 v17, 1, v16
	v_lshlrev_b32_e32 v18, 30, v16
	v_lshlrev_b32_e32 v19, 29, v16
	;; [unrolled: 1-line block ×4, first 2 shown]
	v_add_co_u32 v17, s20, v17, -1
	s_wait_alu 0xf1ff
	v_cndmask_b32_e64 v21, 0, 1, s20
	v_not_b32_e32 v49, v18
	v_cmp_gt_i32_e64 s21, 0, v18
	v_not_b32_e32 v18, v19
	v_lshlrev_b32_e32 v23, 26, v16
	v_cmp_ne_u32_e64 s20, 0, v21
	v_ashrrev_i32_e32 v49, 31, v49
	v_lshlrev_b32_e32 v48, 25, v16
	v_ashrrev_i32_e32 v18, 31, v18
	v_lshlrev_b32_e32 v21, 24, v16
	s_wait_alu 0xf1ff
	v_xor_b32_e32 v17, s20, v17
	v_cmp_gt_i32_e64 s20, 0, v19
	v_not_b32_e32 v19, v20
	v_xor_b32_e32 v49, s21, v49
	v_cmp_gt_i32_e64 s21, 0, v20
	v_and_b32_e32 v17, exec_lo, v17
	v_not_b32_e32 v20, v22
	v_ashrrev_i32_e32 v19, 31, v19
	s_wait_alu 0xf1ff
	v_xor_b32_e32 v18, s20, v18
	v_cmp_gt_i32_e64 s20, 0, v22
	v_and_b32_e32 v17, v17, v49
	v_not_b32_e32 v22, v23
	v_ashrrev_i32_e32 v20, 31, v20
	v_xor_b32_e32 v19, s21, v19
	v_cmp_gt_i32_e64 s21, 0, v23
	v_and_b32_e32 v17, v17, v18
	v_not_b32_e32 v18, v48
	v_ashrrev_i32_e32 v22, 31, v22
	s_wait_alu 0xf1ff
	v_xor_b32_e32 v20, s20, v20
	v_cmp_gt_i32_e64 s20, 0, v48
	v_and_b32_e32 v17, v17, v19
	v_not_b32_e32 v19, v21
	v_ashrrev_i32_e32 v18, 31, v18
	v_xor_b32_e32 v22, s21, v22
	v_cmp_gt_i32_e64 s21, 0, v21
	v_and_b32_e32 v17, v17, v20
	v_ashrrev_i32_e32 v19, 31, v19
	s_wait_alu 0xf1ff
	v_xor_b32_e32 v18, s20, v18
	v_lshl_add_u32 v50, v16, 5, v24
	v_and_b32_e32 v17, v17, v22
	v_xor_b32_e32 v16, s21, v19
	ds_load_b32 v48, v50 offset:32
	v_and_b32_e32 v17, v17, v18
	; wave barrier
	s_delay_alu instid0(VALU_DEP_1) | instskip(NEXT) | instid1(VALU_DEP_1)
	v_and_b32_e32 v16, v17, v16
	v_mbcnt_lo_u32_b32 v49, v16, 0
	v_cmp_ne_u32_e64 s21, 0, v16
	s_delay_alu instid0(VALU_DEP_2)
	v_cmp_eq_u32_e64 s20, 0, v49
	s_and_b32 s21, s21, s20
	s_wait_alu 0xfffe
	s_and_saveexec_b32 s20, s21
	s_cbranch_execz .LBB171_114
; %bb.113:
	s_wait_dscnt 0x0
	v_bcnt_u32_b32 v16, v16, v48
	ds_store_b32 v50, v16 offset:32
.LBB171_114:
	s_wait_alu 0xfffe
	s_or_b32 exec_lo, exec_lo, s20
	v_lshrrev_b16 v16, 8, v28
	; wave barrier
	s_delay_alu instid0(VALU_DEP_1) | instskip(NEXT) | instid1(VALU_DEP_1)
	v_and_b32_e32 v16, s23, v16
	v_and_b32_e32 v17, 1, v16
	v_lshlrev_b32_e32 v18, 30, v16
	v_lshlrev_b32_e32 v19, 29, v16
	;; [unrolled: 1-line block ×4, first 2 shown]
	v_add_co_u32 v17, s20, v17, -1
	s_wait_alu 0xf1ff
	v_cndmask_b32_e64 v21, 0, 1, s20
	v_not_b32_e32 v69, v18
	v_cmp_gt_i32_e64 s21, 0, v18
	v_not_b32_e32 v18, v19
	v_lshlrev_b32_e32 v23, 26, v16
	v_cmp_ne_u32_e64 s20, 0, v21
	v_ashrrev_i32_e32 v69, 31, v69
	v_lshlrev_b32_e32 v68, 25, v16
	v_ashrrev_i32_e32 v18, 31, v18
	v_lshlrev_b32_e32 v21, 24, v16
	s_wait_alu 0xf1ff
	v_xor_b32_e32 v17, s20, v17
	v_cmp_gt_i32_e64 s20, 0, v19
	v_not_b32_e32 v19, v20
	v_xor_b32_e32 v69, s21, v69
	v_cmp_gt_i32_e64 s21, 0, v20
	v_and_b32_e32 v17, exec_lo, v17
	v_not_b32_e32 v20, v22
	v_ashrrev_i32_e32 v19, 31, v19
	s_wait_alu 0xf1ff
	v_xor_b32_e32 v18, s20, v18
	v_cmp_gt_i32_e64 s20, 0, v22
	v_and_b32_e32 v17, v17, v69
	v_not_b32_e32 v22, v23
	v_ashrrev_i32_e32 v20, 31, v20
	v_xor_b32_e32 v19, s21, v19
	v_cmp_gt_i32_e64 s21, 0, v23
	v_and_b32_e32 v17, v17, v18
	v_not_b32_e32 v18, v68
	v_ashrrev_i32_e32 v22, 31, v22
	s_wait_alu 0xf1ff
	v_xor_b32_e32 v20, s20, v20
	v_cmp_gt_i32_e64 s20, 0, v68
	v_and_b32_e32 v17, v17, v19
	v_not_b32_e32 v19, v21
	v_ashrrev_i32_e32 v18, 31, v18
	v_xor_b32_e32 v22, s21, v22
	v_cmp_gt_i32_e64 s21, 0, v21
	v_and_b32_e32 v17, v17, v20
	v_ashrrev_i32_e32 v19, 31, v19
	s_wait_alu 0xf1ff
	v_xor_b32_e32 v18, s20, v18
	v_lshl_add_u32 v70, v16, 5, v24
	v_and_b32_e32 v17, v17, v22
	v_xor_b32_e32 v16, s21, v19
	ds_load_b32 v68, v70 offset:32
	v_and_b32_e32 v17, v17, v18
	; wave barrier
	s_delay_alu instid0(VALU_DEP_1) | instskip(NEXT) | instid1(VALU_DEP_1)
	v_and_b32_e32 v16, v17, v16
	v_mbcnt_lo_u32_b32 v69, v16, 0
	v_cmp_ne_u32_e64 s21, 0, v16
	s_delay_alu instid0(VALU_DEP_2)
	v_cmp_eq_u32_e64 s20, 0, v69
	s_and_b32 s21, s21, s20
	s_wait_alu 0xfffe
	s_and_saveexec_b32 s20, s21
	s_cbranch_execz .LBB171_116
; %bb.115:
	s_wait_dscnt 0x0
	v_bcnt_u32_b32 v16, v16, v68
	ds_store_b32 v70, v16 offset:32
.LBB171_116:
	s_wait_alu 0xfffe
	s_or_b32 exec_lo, exec_lo, s20
	v_lshrrev_b16 v16, 8, v29
	; wave barrier
	s_delay_alu instid0(VALU_DEP_1) | instskip(NEXT) | instid1(VALU_DEP_1)
	v_and_b32_e32 v16, s23, v16
	v_and_b32_e32 v17, 1, v16
	v_lshlrev_b32_e32 v18, 30, v16
	v_lshlrev_b32_e32 v19, 29, v16
	;; [unrolled: 1-line block ×4, first 2 shown]
	v_add_co_u32 v17, s20, v17, -1
	s_wait_alu 0xf1ff
	v_cndmask_b32_e64 v21, 0, 1, s20
	v_not_b32_e32 v72, v18
	v_cmp_gt_i32_e64 s21, 0, v18
	v_not_b32_e32 v18, v19
	v_lshlrev_b32_e32 v23, 26, v16
	v_cmp_ne_u32_e64 s20, 0, v21
	v_ashrrev_i32_e32 v72, 31, v72
	v_lshlrev_b32_e32 v71, 25, v16
	v_ashrrev_i32_e32 v18, 31, v18
	v_lshlrev_b32_e32 v21, 24, v16
	s_wait_alu 0xf1ff
	v_xor_b32_e32 v17, s20, v17
	v_cmp_gt_i32_e64 s20, 0, v19
	v_not_b32_e32 v19, v20
	v_xor_b32_e32 v72, s21, v72
	v_cmp_gt_i32_e64 s21, 0, v20
	v_and_b32_e32 v17, exec_lo, v17
	v_not_b32_e32 v20, v22
	v_ashrrev_i32_e32 v19, 31, v19
	s_wait_alu 0xf1ff
	v_xor_b32_e32 v18, s20, v18
	v_cmp_gt_i32_e64 s20, 0, v22
	v_and_b32_e32 v17, v17, v72
	v_not_b32_e32 v22, v23
	v_ashrrev_i32_e32 v20, 31, v20
	v_xor_b32_e32 v19, s21, v19
	v_cmp_gt_i32_e64 s21, 0, v23
	v_and_b32_e32 v17, v17, v18
	v_not_b32_e32 v18, v71
	v_ashrrev_i32_e32 v22, 31, v22
	s_wait_alu 0xf1ff
	v_xor_b32_e32 v20, s20, v20
	v_cmp_gt_i32_e64 s20, 0, v71
	v_and_b32_e32 v17, v17, v19
	v_not_b32_e32 v19, v21
	v_ashrrev_i32_e32 v18, 31, v18
	v_xor_b32_e32 v22, s21, v22
	v_cmp_gt_i32_e64 s21, 0, v21
	v_and_b32_e32 v17, v17, v20
	v_ashrrev_i32_e32 v19, 31, v19
	s_wait_alu 0xf1ff
	v_xor_b32_e32 v18, s20, v18
	v_lshl_add_u32 v73, v16, 5, v24
	v_and_b32_e32 v17, v17, v22
	v_xor_b32_e32 v16, s21, v19
	ds_load_b32 v71, v73 offset:32
	v_and_b32_e32 v17, v17, v18
	; wave barrier
	s_delay_alu instid0(VALU_DEP_1) | instskip(NEXT) | instid1(VALU_DEP_1)
	v_and_b32_e32 v16, v17, v16
	v_mbcnt_lo_u32_b32 v72, v16, 0
	v_cmp_ne_u32_e64 s21, 0, v16
	s_delay_alu instid0(VALU_DEP_2)
	v_cmp_eq_u32_e64 s20, 0, v72
	s_and_b32 s21, s21, s20
	s_wait_alu 0xfffe
	s_and_saveexec_b32 s20, s21
	s_cbranch_execz .LBB171_118
; %bb.117:
	s_wait_dscnt 0x0
	v_bcnt_u32_b32 v16, v16, v71
	ds_store_b32 v73, v16 offset:32
.LBB171_118:
	s_wait_alu 0xfffe
	s_or_b32 exec_lo, exec_lo, s20
	v_lshrrev_b16 v16, 8, v30
	; wave barrier
	s_delay_alu instid0(VALU_DEP_1) | instskip(NEXT) | instid1(VALU_DEP_1)
	v_and_b32_e32 v16, s23, v16
	v_and_b32_e32 v17, 1, v16
	v_lshlrev_b32_e32 v18, 30, v16
	v_lshlrev_b32_e32 v19, 29, v16
	;; [unrolled: 1-line block ×4, first 2 shown]
	v_add_co_u32 v17, s20, v17, -1
	s_wait_alu 0xf1ff
	v_cndmask_b32_e64 v21, 0, 1, s20
	v_not_b32_e32 v75, v18
	v_cmp_gt_i32_e64 s21, 0, v18
	v_not_b32_e32 v18, v19
	v_lshlrev_b32_e32 v23, 26, v16
	v_cmp_ne_u32_e64 s20, 0, v21
	v_ashrrev_i32_e32 v75, 31, v75
	v_lshlrev_b32_e32 v74, 25, v16
	v_ashrrev_i32_e32 v18, 31, v18
	v_lshlrev_b32_e32 v21, 24, v16
	s_wait_alu 0xf1ff
	v_xor_b32_e32 v17, s20, v17
	v_cmp_gt_i32_e64 s20, 0, v19
	v_not_b32_e32 v19, v20
	v_xor_b32_e32 v75, s21, v75
	v_cmp_gt_i32_e64 s21, 0, v20
	v_and_b32_e32 v17, exec_lo, v17
	v_not_b32_e32 v20, v22
	v_ashrrev_i32_e32 v19, 31, v19
	s_wait_alu 0xf1ff
	v_xor_b32_e32 v18, s20, v18
	v_cmp_gt_i32_e64 s20, 0, v22
	v_and_b32_e32 v17, v17, v75
	v_not_b32_e32 v22, v23
	v_ashrrev_i32_e32 v20, 31, v20
	v_xor_b32_e32 v19, s21, v19
	v_cmp_gt_i32_e64 s21, 0, v23
	v_and_b32_e32 v17, v17, v18
	v_not_b32_e32 v18, v74
	v_ashrrev_i32_e32 v22, 31, v22
	s_wait_alu 0xf1ff
	v_xor_b32_e32 v20, s20, v20
	v_cmp_gt_i32_e64 s20, 0, v74
	v_and_b32_e32 v17, v17, v19
	v_not_b32_e32 v19, v21
	v_ashrrev_i32_e32 v18, 31, v18
	v_xor_b32_e32 v22, s21, v22
	v_cmp_gt_i32_e64 s21, 0, v21
	v_and_b32_e32 v17, v17, v20
	v_ashrrev_i32_e32 v19, 31, v19
	s_wait_alu 0xf1ff
	v_xor_b32_e32 v18, s20, v18
	v_lshl_add_u32 v76, v16, 5, v24
	v_and_b32_e32 v17, v17, v22
	v_xor_b32_e32 v16, s21, v19
	ds_load_b32 v74, v76 offset:32
	v_and_b32_e32 v17, v17, v18
	; wave barrier
	s_delay_alu instid0(VALU_DEP_1) | instskip(NEXT) | instid1(VALU_DEP_1)
	v_and_b32_e32 v16, v17, v16
	v_mbcnt_lo_u32_b32 v75, v16, 0
	v_cmp_ne_u32_e64 s21, 0, v16
	s_delay_alu instid0(VALU_DEP_2)
	v_cmp_eq_u32_e64 s20, 0, v75
	s_and_b32 s21, s21, s20
	s_wait_alu 0xfffe
	s_and_saveexec_b32 s20, s21
	s_cbranch_execz .LBB171_120
; %bb.119:
	s_wait_dscnt 0x0
	v_bcnt_u32_b32 v16, v16, v74
	ds_store_b32 v76, v16 offset:32
.LBB171_120:
	s_wait_alu 0xfffe
	s_or_b32 exec_lo, exec_lo, s20
	v_lshrrev_b16 v16, 8, v31
	; wave barrier
	s_delay_alu instid0(VALU_DEP_1) | instskip(NEXT) | instid1(VALU_DEP_1)
	v_and_b32_e32 v16, s23, v16
	v_and_b32_e32 v17, 1, v16
	v_lshlrev_b32_e32 v18, 30, v16
	v_lshlrev_b32_e32 v19, 29, v16
	;; [unrolled: 1-line block ×4, first 2 shown]
	v_add_co_u32 v17, s20, v17, -1
	s_wait_alu 0xf1ff
	v_cndmask_b32_e64 v21, 0, 1, s20
	v_not_b32_e32 v78, v18
	v_cmp_gt_i32_e64 s21, 0, v18
	v_not_b32_e32 v18, v19
	v_lshlrev_b32_e32 v23, 26, v16
	v_cmp_ne_u32_e64 s20, 0, v21
	v_ashrrev_i32_e32 v78, 31, v78
	v_lshlrev_b32_e32 v77, 25, v16
	v_ashrrev_i32_e32 v18, 31, v18
	v_lshlrev_b32_e32 v21, 24, v16
	s_wait_alu 0xf1ff
	v_xor_b32_e32 v17, s20, v17
	v_cmp_gt_i32_e64 s20, 0, v19
	v_not_b32_e32 v19, v20
	v_xor_b32_e32 v78, s21, v78
	v_cmp_gt_i32_e64 s21, 0, v20
	v_and_b32_e32 v17, exec_lo, v17
	v_not_b32_e32 v20, v22
	v_ashrrev_i32_e32 v19, 31, v19
	s_wait_alu 0xf1ff
	v_xor_b32_e32 v18, s20, v18
	v_cmp_gt_i32_e64 s20, 0, v22
	v_and_b32_e32 v17, v17, v78
	v_not_b32_e32 v22, v23
	v_ashrrev_i32_e32 v20, 31, v20
	v_xor_b32_e32 v19, s21, v19
	v_cmp_gt_i32_e64 s21, 0, v23
	v_and_b32_e32 v17, v17, v18
	v_not_b32_e32 v18, v77
	v_ashrrev_i32_e32 v22, 31, v22
	s_wait_alu 0xf1ff
	v_xor_b32_e32 v20, s20, v20
	v_cmp_gt_i32_e64 s20, 0, v77
	v_and_b32_e32 v17, v17, v19
	v_not_b32_e32 v19, v21
	v_ashrrev_i32_e32 v18, 31, v18
	v_xor_b32_e32 v22, s21, v22
	v_cmp_gt_i32_e64 s21, 0, v21
	v_and_b32_e32 v17, v17, v20
	v_ashrrev_i32_e32 v19, 31, v19
	s_wait_alu 0xf1ff
	v_xor_b32_e32 v18, s20, v18
	v_lshl_add_u32 v79, v16, 5, v24
	v_and_b32_e32 v17, v17, v22
	v_xor_b32_e32 v16, s21, v19
	ds_load_b32 v77, v79 offset:32
	v_and_b32_e32 v17, v17, v18
	; wave barrier
	s_delay_alu instid0(VALU_DEP_1) | instskip(NEXT) | instid1(VALU_DEP_1)
	v_and_b32_e32 v16, v17, v16
	v_mbcnt_lo_u32_b32 v78, v16, 0
	v_cmp_ne_u32_e64 s21, 0, v16
	s_delay_alu instid0(VALU_DEP_2)
	v_cmp_eq_u32_e64 s20, 0, v78
	s_and_b32 s21, s21, s20
	s_wait_alu 0xfffe
	s_and_saveexec_b32 s20, s21
	s_cbranch_execz .LBB171_122
; %bb.121:
	s_wait_dscnt 0x0
	v_bcnt_u32_b32 v16, v16, v77
	ds_store_b32 v79, v16 offset:32
.LBB171_122:
	s_wait_alu 0xfffe
	s_or_b32 exec_lo, exec_lo, s20
	v_lshrrev_b16 v16, 8, v32
	; wave barrier
	s_delay_alu instid0(VALU_DEP_1) | instskip(NEXT) | instid1(VALU_DEP_1)
	v_and_b32_e32 v16, s23, v16
	v_and_b32_e32 v17, 1, v16
	v_lshlrev_b32_e32 v18, 30, v16
	v_lshlrev_b32_e32 v19, 29, v16
	;; [unrolled: 1-line block ×4, first 2 shown]
	v_add_co_u32 v17, s20, v17, -1
	s_wait_alu 0xf1ff
	v_cndmask_b32_e64 v21, 0, 1, s20
	v_not_b32_e32 v81, v18
	v_cmp_gt_i32_e64 s21, 0, v18
	v_not_b32_e32 v18, v19
	v_lshlrev_b32_e32 v23, 26, v16
	v_cmp_ne_u32_e64 s20, 0, v21
	v_ashrrev_i32_e32 v81, 31, v81
	v_lshlrev_b32_e32 v80, 25, v16
	v_ashrrev_i32_e32 v18, 31, v18
	v_lshlrev_b32_e32 v21, 24, v16
	s_wait_alu 0xf1ff
	v_xor_b32_e32 v17, s20, v17
	v_cmp_gt_i32_e64 s20, 0, v19
	v_not_b32_e32 v19, v20
	v_xor_b32_e32 v81, s21, v81
	v_cmp_gt_i32_e64 s21, 0, v20
	v_and_b32_e32 v17, exec_lo, v17
	v_not_b32_e32 v20, v22
	v_ashrrev_i32_e32 v19, 31, v19
	s_wait_alu 0xf1ff
	v_xor_b32_e32 v18, s20, v18
	v_cmp_gt_i32_e64 s20, 0, v22
	v_and_b32_e32 v17, v17, v81
	v_not_b32_e32 v22, v23
	v_ashrrev_i32_e32 v20, 31, v20
	v_xor_b32_e32 v19, s21, v19
	v_cmp_gt_i32_e64 s21, 0, v23
	v_and_b32_e32 v17, v17, v18
	v_not_b32_e32 v18, v80
	v_ashrrev_i32_e32 v22, 31, v22
	s_wait_alu 0xf1ff
	v_xor_b32_e32 v20, s20, v20
	v_cmp_gt_i32_e64 s20, 0, v80
	v_and_b32_e32 v17, v17, v19
	v_not_b32_e32 v19, v21
	v_ashrrev_i32_e32 v18, 31, v18
	v_xor_b32_e32 v22, s21, v22
	v_cmp_gt_i32_e64 s21, 0, v21
	v_and_b32_e32 v17, v17, v20
	v_ashrrev_i32_e32 v19, 31, v19
	s_wait_alu 0xf1ff
	v_xor_b32_e32 v18, s20, v18
	v_lshl_add_u32 v81, v16, 5, v24
	v_and_b32_e32 v17, v17, v22
	v_xor_b32_e32 v16, s21, v19
	ds_load_b32 v24, v81 offset:32
	v_and_b32_e32 v17, v17, v18
	; wave barrier
	s_delay_alu instid0(VALU_DEP_1) | instskip(NEXT) | instid1(VALU_DEP_1)
	v_and_b32_e32 v16, v17, v16
	v_mbcnt_lo_u32_b32 v80, v16, 0
	v_cmp_ne_u32_e64 s21, 0, v16
	s_delay_alu instid0(VALU_DEP_2)
	v_cmp_eq_u32_e64 s20, 0, v80
	s_and_b32 s21, s21, s20
	s_wait_alu 0xfffe
	s_and_saveexec_b32 s20, s21
	s_cbranch_execz .LBB171_124
; %bb.123:
	s_wait_dscnt 0x0
	v_bcnt_u32_b32 v16, v16, v24
	ds_store_b32 v81, v16 offset:32
.LBB171_124:
	s_wait_alu 0xfffe
	s_or_b32 exec_lo, exec_lo, s20
	; wave barrier
	s_wait_loadcnt_dscnt 0x0
	s_barrier_signal -1
	s_barrier_wait -1
	global_inv scope:SCOPE_SE
	ds_load_b128 v[20:23], v67 offset:32
	ds_load_b128 v[16:19], v67 offset:48
	s_wait_dscnt 0x1
	v_add_nc_u32_e32 v82, v21, v20
	s_delay_alu instid0(VALU_DEP_1) | instskip(SKIP_1) | instid1(VALU_DEP_1)
	v_add3_u32 v82, v82, v22, v23
	s_wait_dscnt 0x0
	v_add3_u32 v82, v82, v16, v17
	s_delay_alu instid0(VALU_DEP_1) | instskip(NEXT) | instid1(VALU_DEP_1)
	v_add3_u32 v19, v82, v18, v19
	v_mov_b32_dpp v82, v19 row_shr:1 row_mask:0xf bank_mask:0xf
	s_delay_alu instid0(VALU_DEP_1) | instskip(NEXT) | instid1(VALU_DEP_1)
	v_cndmask_b32_e64 v82, v82, 0, s9
	v_add_nc_u32_e32 v19, v82, v19
	s_delay_alu instid0(VALU_DEP_1) | instskip(NEXT) | instid1(VALU_DEP_1)
	v_mov_b32_dpp v82, v19 row_shr:2 row_mask:0xf bank_mask:0xf
	v_cndmask_b32_e64 v82, 0, v82, s11
	s_delay_alu instid0(VALU_DEP_1) | instskip(NEXT) | instid1(VALU_DEP_1)
	v_add_nc_u32_e32 v19, v19, v82
	v_mov_b32_dpp v82, v19 row_shr:4 row_mask:0xf bank_mask:0xf
	s_delay_alu instid0(VALU_DEP_1) | instskip(NEXT) | instid1(VALU_DEP_1)
	v_cndmask_b32_e64 v82, 0, v82, s12
	v_add_nc_u32_e32 v19, v19, v82
	s_delay_alu instid0(VALU_DEP_1) | instskip(NEXT) | instid1(VALU_DEP_1)
	v_mov_b32_dpp v82, v19 row_shr:8 row_mask:0xf bank_mask:0xf
	v_cndmask_b32_e64 v82, 0, v82, s14
	s_delay_alu instid0(VALU_DEP_1) | instskip(SKIP_3) | instid1(VALU_DEP_1)
	v_add_nc_u32_e32 v19, v19, v82
	ds_swizzle_b32 v82, v19 offset:swizzle(BROADCAST,32,15)
	s_wait_dscnt 0x0
	v_cndmask_b32_e64 v82, v82, 0, s17
	v_add_nc_u32_e32 v19, v19, v82
	s_and_saveexec_b32 s9, s15
; %bb.125:
	ds_store_b32 v34, v19
; %bb.126:
	s_wait_alu 0xfffe
	s_or_b32 exec_lo, exec_lo, s9
	s_wait_loadcnt_dscnt 0x0
	s_barrier_signal -1
	s_barrier_wait -1
	global_inv scope:SCOPE_SE
	s_and_saveexec_b32 s9, s16
	s_cbranch_execz .LBB171_128
; %bb.127:
	ds_load_b32 v34, v33
	s_wait_dscnt 0x0
	v_mov_b32_dpp v82, v34 row_shr:1 row_mask:0xf bank_mask:0xf
	s_delay_alu instid0(VALU_DEP_1) | instskip(NEXT) | instid1(VALU_DEP_1)
	v_cndmask_b32_e64 v82, v82, 0, s13
	v_add_nc_u32_e32 v34, v82, v34
	s_delay_alu instid0(VALU_DEP_1) | instskip(NEXT) | instid1(VALU_DEP_1)
	v_mov_b32_dpp v82, v34 row_shr:2 row_mask:0xf bank_mask:0xf
	v_cndmask_b32_e64 v82, 0, v82, s10
	s_delay_alu instid0(VALU_DEP_1) | instskip(NEXT) | instid1(VALU_DEP_1)
	v_add_nc_u32_e32 v34, v34, v82
	v_mov_b32_dpp v82, v34 row_shr:4 row_mask:0xf bank_mask:0xf
	s_wait_alu 0xfffd
	s_delay_alu instid0(VALU_DEP_1) | instskip(NEXT) | instid1(VALU_DEP_1)
	v_cndmask_b32_e32 v82, 0, v82, vcc_lo
	v_add_nc_u32_e32 v34, v34, v82
	ds_store_b32 v33, v34
.LBB171_128:
	s_wait_alu 0xfffe
	s_or_b32 exec_lo, exec_lo, s9
	v_mov_b32_e32 v33, 0
	s_wait_loadcnt_dscnt 0x0
	s_barrier_signal -1
	s_barrier_wait -1
	global_inv scope:SCOPE_SE
	s_and_saveexec_b32 s9, s18
; %bb.129:
	ds_load_b32 v33, v35
; %bb.130:
	s_wait_alu 0xfffe
	s_or_b32 exec_lo, exec_lo, s9
	s_wait_dscnt 0x0
	v_add_nc_u32_e32 v19, v33, v19
	ds_bpermute_b32 v19, v36, v19
	s_wait_dscnt 0x0
	v_cndmask_b32_e64 v19, v19, v33, s1
	s_delay_alu instid0(VALU_DEP_1) | instskip(NEXT) | instid1(VALU_DEP_1)
	v_cndmask_b32_e64 v19, v19, 0, s19
	v_add_nc_u32_e32 v20, v19, v20
	s_delay_alu instid0(VALU_DEP_1) | instskip(NEXT) | instid1(VALU_DEP_1)
	v_add_nc_u32_e32 v21, v20, v21
	v_add_nc_u32_e32 v22, v21, v22
	s_delay_alu instid0(VALU_DEP_1) | instskip(NEXT) | instid1(VALU_DEP_1)
	v_add_nc_u32_e32 v33, v22, v23
	v_add_nc_u32_e32 v34, v33, v16
	s_delay_alu instid0(VALU_DEP_1) | instskip(NEXT) | instid1(VALU_DEP_1)
	v_add_nc_u32_e32 v35, v34, v17
	v_add_nc_u32_e32 v36, v35, v18
	ds_store_b128 v67, v[19:22] offset:32
	ds_store_b128 v67, v[33:36] offset:48
	s_wait_loadcnt_dscnt 0x0
	s_barrier_signal -1
	s_barrier_wait -1
	global_inv scope:SCOPE_SE
	ds_load_b32 v16, v81 offset:32
	ds_load_b32 v17, v79 offset:32
	;; [unrolled: 1-line block ×8, first 2 shown]
	v_lshlrev_b32_e32 v33, 1, v66
	s_wait_loadcnt_dscnt 0x0
	s_barrier_signal -1
	s_barrier_wait -1
	global_inv scope:SCOPE_SE
	v_mad_u32_u24 v38, v46, 48, v33
	v_add3_u32 v34, v80, v24, v16
	v_add3_u32 v35, v78, v77, v17
	;; [unrolled: 1-line block ×3, first 2 shown]
	v_add_nc_u32_e32 v24, v19, v37
	v_add3_u32 v37, v40, v39, v20
	v_add3_u32 v39, v49, v48, v21
	;; [unrolled: 1-line block ×4, first 2 shown]
	v_lshlrev_b32_e32 v16, 1, v24
	v_lshlrev_b32_e32 v17, 1, v37
	;; [unrolled: 1-line block ×8, first 2 shown]
	ds_store_b16 v16, v25
	ds_store_b16 v17, v26
	;; [unrolled: 1-line block ×8, first 2 shown]
	v_mad_co_u64_u32 v[24:25], null, v24, 6, v[16:17]
	v_mad_co_u64_u32 v[16:17], null, v37, 6, v[17:18]
	;; [unrolled: 1-line block ×8, first 2 shown]
	s_wait_loadcnt_dscnt 0x0
	s_barrier_signal -1
	s_barrier_wait -1
	global_inv scope:SCOPE_SE
	ds_load_b128 v[33:36], v33
	s_wait_loadcnt_dscnt 0x0
	s_barrier_signal -1
	s_barrier_wait -1
	global_inv scope:SCOPE_SE
	ds_store_b64 v24, v[4:5]
	ds_store_b64 v16, v[6:7]
	;; [unrolled: 1-line block ×8, first 2 shown]
	s_wait_loadcnt_dscnt 0x0
	s_barrier_signal -1
	s_barrier_wait -1
	global_inv scope:SCOPE_SE
	ds_load_b128 v[29:32], v38
	ds_load_b128 v[25:28], v38 offset:16
	ds_load_b128 v[21:24], v38 offset:32
	;; [unrolled: 1-line block ×3, first 2 shown]
	v_xor_b32_e32 v0, 0x7fff7fff, v33
	v_xor_b32_e32 v34, 0x7fff7fff, v34
	;; [unrolled: 1-line block ×4, first 2 shown]
.LBB171_131:
	s_wait_loadcnt_dscnt 0x0
	s_barrier_signal -1
	s_barrier_wait -1
	global_inv scope:SCOPE_SE
	ds_store_2addr_b32 v58, v0, v34 offset1:1
	ds_store_2addr_b32 v58, v33, v35 offset0:2 offset1:3
	s_wait_loadcnt_dscnt 0x0
	s_barrier_signal -1
	s_barrier_wait -1
	global_inv scope:SCOPE_SE
	ds_load_u16 v8, v45 offset:512
	ds_load_u16 v7, v52 offset:1024
	;; [unrolled: 1-line block ×7, first 2 shown]
	v_mov_b32_e32 v45, 0
	s_delay_alu instid0(VALU_DEP_1) | instskip(NEXT) | instid1(VALU_DEP_1)
	v_lshlrev_b64_e32 v[0:1], 1, v[44:45]
	v_add_co_u32 v0, vcc_lo, s30, v0
	s_wait_alu 0xfffd
	s_delay_alu instid0(VALU_DEP_2)
	v_add_co_ci_u32_e64 v1, null, s31, v1, vcc_lo
	s_and_saveexec_b32 s1, s2
	s_cbranch_execnz .LBB171_150
; %bb.132:
	s_wait_alu 0xfffe
	s_or_b32 exec_lo, exec_lo, s1
	s_and_saveexec_b32 s1, s3
	s_cbranch_execnz .LBB171_151
.LBB171_133:
	s_wait_alu 0xfffe
	s_or_b32 exec_lo, exec_lo, s1
	s_and_saveexec_b32 s1, s4
	s_cbranch_execnz .LBB171_152
.LBB171_134:
	s_wait_alu 0xfffe
	s_or_b32 exec_lo, exec_lo, s1
	s_and_saveexec_b32 s1, s5
	s_cbranch_execnz .LBB171_153
.LBB171_135:
	s_wait_alu 0xfffe
	s_or_b32 exec_lo, exec_lo, s1
	s_and_saveexec_b32 s1, s6
	s_cbranch_execnz .LBB171_154
.LBB171_136:
	s_wait_alu 0xfffe
	s_or_b32 exec_lo, exec_lo, s1
	s_and_saveexec_b32 s1, s7
	s_cbranch_execnz .LBB171_155
.LBB171_137:
	s_wait_alu 0xfffe
	s_or_b32 exec_lo, exec_lo, s1
	s_and_saveexec_b32 s1, s8
	s_cbranch_execnz .LBB171_156
.LBB171_138:
	s_wait_alu 0xfffe
	s_or_b32 exec_lo, exec_lo, s1
	s_and_saveexec_b32 s1, s0
	s_cbranch_execz .LBB171_140
.LBB171_139:
	s_mul_i32 s10, s22, 0x700
	s_mov_b32 s11, 0
	s_wait_alu 0xfffe
	s_lshl_b64 s[10:11], s[10:11], 1
	s_wait_alu 0xfffe
	v_add_co_u32 v0, vcc_lo, v0, s10
	s_wait_alu 0xfffd
	v_add_co_ci_u32_e64 v1, null, s11, v1, vcc_lo
	s_wait_dscnt 0x0
	global_store_b16 v[0:1], v2, off
.LBB171_140:
	s_wait_alu 0xfffe
	s_or_b32 exec_lo, exec_lo, s1
	s_wait_storecnt 0x0
	s_wait_loadcnt_dscnt 0x0
	s_barrier_signal -1
	s_barrier_wait -1
	global_inv scope:SCOPE_SE
	ds_store_2addr_b64 v65, v[29:30], v[31:32] offset1:1
	ds_store_2addr_b64 v65, v[25:26], v[27:28] offset0:2 offset1:3
	ds_store_2addr_b64 v65, v[21:22], v[23:24] offset0:4 offset1:5
	;; [unrolled: 1-line block ×3, first 2 shown]
	s_wait_loadcnt_dscnt 0x0
	s_barrier_signal -1
	s_barrier_wait -1
	global_inv scope:SCOPE_SE
	ds_load_b64 v[14:15], v60 offset:2048
	ds_load_b64 v[12:13], v61 offset:4096
	;; [unrolled: 1-line block ×7, first 2 shown]
	v_mov_b32_e32 v42, 0
	s_delay_alu instid0(VALU_DEP_1) | instskip(NEXT) | instid1(VALU_DEP_1)
	v_lshlrev_b64_e32 v[2:3], 3, v[41:42]
	v_add_co_u32 v2, vcc_lo, s34, v2
	s_wait_alu 0xfffd
	s_delay_alu instid0(VALU_DEP_2)
	v_add_co_ci_u32_e64 v3, null, s35, v3, vcc_lo
	s_and_saveexec_b32 s1, s2
	s_cbranch_execnz .LBB171_157
; %bb.141:
	s_wait_alu 0xfffe
	s_or_b32 exec_lo, exec_lo, s1
	s_and_saveexec_b32 s1, s3
	s_cbranch_execnz .LBB171_158
.LBB171_142:
	s_wait_alu 0xfffe
	s_or_b32 exec_lo, exec_lo, s1
	s_and_saveexec_b32 s1, s4
	s_cbranch_execnz .LBB171_159
.LBB171_143:
	s_wait_alu 0xfffe
	s_or_b32 exec_lo, exec_lo, s1
	s_and_saveexec_b32 s1, s5
	s_cbranch_execnz .LBB171_160
.LBB171_144:
	s_wait_alu 0xfffe
	s_or_b32 exec_lo, exec_lo, s1
	s_and_saveexec_b32 s1, s6
	s_cbranch_execnz .LBB171_161
.LBB171_145:
	s_wait_alu 0xfffe
	s_or_b32 exec_lo, exec_lo, s1
	s_and_saveexec_b32 s1, s7
	s_cbranch_execnz .LBB171_162
.LBB171_146:
	s_wait_alu 0xfffe
	s_or_b32 exec_lo, exec_lo, s1
	s_and_saveexec_b32 s1, s8
	s_cbranch_execnz .LBB171_163
.LBB171_147:
	s_wait_alu 0xfffe
	s_or_b32 exec_lo, exec_lo, s1
	s_and_saveexec_b32 s1, s0
	s_cbranch_execz .LBB171_149
.LBB171_148:
	s_mul_i32 s0, s28, 0x700
	s_mov_b32 s1, 0
	s_wait_alu 0xfffe
	s_lshl_b64 s[0:1], s[0:1], 3
	s_wait_alu 0xfffe
	v_add_co_u32 v2, vcc_lo, v2, s0
	s_wait_alu 0xfffd
	v_add_co_ci_u32_e64 v3, null, s1, v3, vcc_lo
	s_wait_dscnt 0x0
	global_store_b64 v[2:3], v[0:1], off
.LBB171_149:
	s_nop 0
	s_sendmsg sendmsg(MSG_DEALLOC_VGPRS)
	s_endpgm
.LBB171_150:
	ds_load_u16 v9, v51
	s_wait_dscnt 0x0
	global_store_b16 v[0:1], v9, off
	s_wait_alu 0xfffe
	s_or_b32 exec_lo, exec_lo, s1
	s_and_saveexec_b32 s1, s3
	s_cbranch_execz .LBB171_133
.LBB171_151:
	s_lshl_b32 s10, s22, 8
	s_mov_b32 s11, 0
	s_wait_alu 0xfffe
	s_lshl_b64 s[10:11], s[10:11], 1
	s_wait_alu 0xfffe
	v_add_co_u32 v9, vcc_lo, v0, s10
	s_wait_alu 0xfffd
	v_add_co_ci_u32_e64 v10, null, s11, v1, vcc_lo
	s_wait_dscnt 0x6
	global_store_b16 v[9:10], v8, off
	s_or_b32 exec_lo, exec_lo, s1
	s_and_saveexec_b32 s1, s4
	s_cbranch_execz .LBB171_134
.LBB171_152:
	s_lshl_b32 s10, s22, 9
	s_mov_b32 s11, 0
	s_wait_alu 0xfffe
	s_lshl_b64 s[10:11], s[10:11], 1
	s_wait_dscnt 0x6
	s_wait_alu 0xfffe
	v_add_co_u32 v8, vcc_lo, v0, s10
	s_wait_alu 0xfffd
	v_add_co_ci_u32_e64 v9, null, s11, v1, vcc_lo
	s_wait_dscnt 0x5
	global_store_b16 v[8:9], v7, off
	s_or_b32 exec_lo, exec_lo, s1
	s_and_saveexec_b32 s1, s5
	s_cbranch_execz .LBB171_135
.LBB171_153:
	s_mul_i32 s10, s22, 0x300
	s_mov_b32 s11, 0
	s_wait_alu 0xfffe
	s_lshl_b64 s[10:11], s[10:11], 1
	s_wait_dscnt 0x5
	s_wait_alu 0xfffe
	v_add_co_u32 v7, vcc_lo, v0, s10
	s_wait_alu 0xfffd
	v_add_co_ci_u32_e64 v8, null, s11, v1, vcc_lo
	s_wait_dscnt 0x4
	global_store_b16 v[7:8], v6, off
	s_or_b32 exec_lo, exec_lo, s1
	s_and_saveexec_b32 s1, s6
	s_cbranch_execz .LBB171_136
.LBB171_154:
	s_lshl_b32 s10, s22, 10
	s_mov_b32 s11, 0
	s_wait_alu 0xfffe
	s_lshl_b64 s[10:11], s[10:11], 1
	s_wait_dscnt 0x4
	s_wait_alu 0xfffe
	v_add_co_u32 v6, vcc_lo, v0, s10
	s_wait_alu 0xfffd
	v_add_co_ci_u32_e64 v7, null, s11, v1, vcc_lo
	s_wait_dscnt 0x3
	global_store_b16 v[6:7], v5, off
	s_or_b32 exec_lo, exec_lo, s1
	s_and_saveexec_b32 s1, s7
	s_cbranch_execz .LBB171_137
.LBB171_155:
	s_mul_i32 s10, s22, 0x500
	s_mov_b32 s11, 0
	s_wait_alu 0xfffe
	s_lshl_b64 s[10:11], s[10:11], 1
	s_wait_dscnt 0x3
	s_wait_alu 0xfffe
	v_add_co_u32 v5, vcc_lo, v0, s10
	s_wait_alu 0xfffd
	v_add_co_ci_u32_e64 v6, null, s11, v1, vcc_lo
	s_wait_dscnt 0x2
	global_store_b16 v[5:6], v4, off
	s_or_b32 exec_lo, exec_lo, s1
	s_and_saveexec_b32 s1, s8
	s_cbranch_execz .LBB171_138
.LBB171_156:
	s_mul_i32 s10, s22, 0x600
	s_mov_b32 s11, 0
	s_wait_alu 0xfffe
	s_lshl_b64 s[10:11], s[10:11], 1
	s_wait_dscnt 0x2
	s_wait_alu 0xfffe
	v_add_co_u32 v4, vcc_lo, v0, s10
	s_wait_alu 0xfffd
	v_add_co_ci_u32_e64 v5, null, s11, v1, vcc_lo
	s_wait_dscnt 0x1
	global_store_b16 v[4:5], v3, off
	s_or_b32 exec_lo, exec_lo, s1
	s_and_saveexec_b32 s1, s0
	s_cbranch_execnz .LBB171_139
	s_branch .LBB171_140
.LBB171_157:
	ds_load_b64 v[16:17], v59
	s_wait_dscnt 0x0
	global_store_b64 v[2:3], v[16:17], off
	s_wait_alu 0xfffe
	s_or_b32 exec_lo, exec_lo, s1
	s_and_saveexec_b32 s1, s3
	s_cbranch_execz .LBB171_142
.LBB171_158:
	s_lshl_b32 s2, s28, 8
	s_mov_b32 s3, 0
	s_wait_alu 0xfffe
	s_lshl_b64 s[2:3], s[2:3], 3
	s_wait_alu 0xfffe
	v_add_co_u32 v16, vcc_lo, v2, s2
	s_wait_alu 0xfffd
	v_add_co_ci_u32_e64 v17, null, s3, v3, vcc_lo
	s_wait_dscnt 0x6
	global_store_b64 v[16:17], v[14:15], off
	s_or_b32 exec_lo, exec_lo, s1
	s_and_saveexec_b32 s1, s4
	s_cbranch_execz .LBB171_143
.LBB171_159:
	s_lshl_b32 s2, s28, 9
	s_mov_b32 s3, 0
	s_wait_alu 0xfffe
	s_lshl_b64 s[2:3], s[2:3], 3
	s_wait_dscnt 0x6
	s_wait_alu 0xfffe
	v_add_co_u32 v14, vcc_lo, v2, s2
	s_wait_alu 0xfffd
	v_add_co_ci_u32_e64 v15, null, s3, v3, vcc_lo
	s_wait_dscnt 0x5
	global_store_b64 v[14:15], v[12:13], off
	s_or_b32 exec_lo, exec_lo, s1
	s_and_saveexec_b32 s1, s5
	s_cbranch_execz .LBB171_144
.LBB171_160:
	s_mul_i32 s2, s28, 0x300
	s_mov_b32 s3, 0
	s_wait_alu 0xfffe
	s_lshl_b64 s[2:3], s[2:3], 3
	s_wait_dscnt 0x5
	s_wait_alu 0xfffe
	v_add_co_u32 v12, vcc_lo, v2, s2
	s_wait_alu 0xfffd
	v_add_co_ci_u32_e64 v13, null, s3, v3, vcc_lo
	s_wait_dscnt 0x4
	global_store_b64 v[12:13], v[10:11], off
	s_or_b32 exec_lo, exec_lo, s1
	s_and_saveexec_b32 s1, s6
	s_cbranch_execz .LBB171_145
.LBB171_161:
	s_lshl_b32 s2, s28, 10
	s_mov_b32 s3, 0
	s_wait_alu 0xfffe
	s_lshl_b64 s[2:3], s[2:3], 3
	s_wait_dscnt 0x4
	s_wait_alu 0xfffe
	v_add_co_u32 v10, vcc_lo, v2, s2
	s_wait_alu 0xfffd
	v_add_co_ci_u32_e64 v11, null, s3, v3, vcc_lo
	s_wait_dscnt 0x3
	global_store_b64 v[10:11], v[8:9], off
	s_or_b32 exec_lo, exec_lo, s1
	s_and_saveexec_b32 s1, s7
	s_cbranch_execz .LBB171_146
.LBB171_162:
	s_mul_i32 s2, s28, 0x500
	s_mov_b32 s3, 0
	s_wait_alu 0xfffe
	s_lshl_b64 s[2:3], s[2:3], 3
	s_wait_dscnt 0x3
	s_wait_alu 0xfffe
	v_add_co_u32 v8, vcc_lo, v2, s2
	s_wait_alu 0xfffd
	v_add_co_ci_u32_e64 v9, null, s3, v3, vcc_lo
	s_wait_dscnt 0x2
	global_store_b64 v[8:9], v[6:7], off
	s_or_b32 exec_lo, exec_lo, s1
	s_and_saveexec_b32 s1, s8
	s_cbranch_execz .LBB171_147
.LBB171_163:
	s_mul_i32 s2, s28, 0x600
	s_mov_b32 s3, 0
	s_wait_alu 0xfffe
	s_lshl_b64 s[2:3], s[2:3], 3
	s_wait_dscnt 0x2
	s_wait_alu 0xfffe
	v_add_co_u32 v6, vcc_lo, v2, s2
	s_wait_alu 0xfffd
	v_add_co_ci_u32_e64 v7, null, s3, v3, vcc_lo
	s_wait_dscnt 0x1
	global_store_b64 v[6:7], v[4:5], off
	s_or_b32 exec_lo, exec_lo, s1
	s_and_saveexec_b32 s1, s0
	s_cbranch_execnz .LBB171_148
	s_branch .LBB171_149
	.section	.rodata,"a",@progbits
	.p2align	6, 0x0
	.amdhsa_kernel _ZN2at6native18radixSortKVInPlaceILin1ELin1ELi256ELi8EsljEEvNS_4cuda6detail10TensorInfoIT3_T5_EES6_S6_S6_NS4_IT4_S6_EES6_b
		.amdhsa_group_segment_fixed_size 16896
		.amdhsa_private_segment_fixed_size 0
		.amdhsa_kernarg_size 712
		.amdhsa_user_sgpr_count 2
		.amdhsa_user_sgpr_dispatch_ptr 0
		.amdhsa_user_sgpr_queue_ptr 0
		.amdhsa_user_sgpr_kernarg_segment_ptr 1
		.amdhsa_user_sgpr_dispatch_id 0
		.amdhsa_user_sgpr_private_segment_size 0
		.amdhsa_wavefront_size32 1
		.amdhsa_uses_dynamic_stack 0
		.amdhsa_enable_private_segment 0
		.amdhsa_system_sgpr_workgroup_id_x 1
		.amdhsa_system_sgpr_workgroup_id_y 1
		.amdhsa_system_sgpr_workgroup_id_z 1
		.amdhsa_system_sgpr_workgroup_info 0
		.amdhsa_system_vgpr_workitem_id 2
		.amdhsa_next_free_vgpr 117
		.amdhsa_next_free_sgpr 38
		.amdhsa_reserve_vcc 1
		.amdhsa_float_round_mode_32 0
		.amdhsa_float_round_mode_16_64 0
		.amdhsa_float_denorm_mode_32 3
		.amdhsa_float_denorm_mode_16_64 3
		.amdhsa_fp16_overflow 0
		.amdhsa_workgroup_processor_mode 1
		.amdhsa_memory_ordered 1
		.amdhsa_forward_progress 1
		.amdhsa_inst_pref_size 170
		.amdhsa_round_robin_scheduling 0
		.amdhsa_exception_fp_ieee_invalid_op 0
		.amdhsa_exception_fp_denorm_src 0
		.amdhsa_exception_fp_ieee_div_zero 0
		.amdhsa_exception_fp_ieee_overflow 0
		.amdhsa_exception_fp_ieee_underflow 0
		.amdhsa_exception_fp_ieee_inexact 0
		.amdhsa_exception_int_div_zero 0
	.end_amdhsa_kernel
	.section	.text._ZN2at6native18radixSortKVInPlaceILin1ELin1ELi256ELi8EsljEEvNS_4cuda6detail10TensorInfoIT3_T5_EES6_S6_S6_NS4_IT4_S6_EES6_b,"axG",@progbits,_ZN2at6native18radixSortKVInPlaceILin1ELin1ELi256ELi8EsljEEvNS_4cuda6detail10TensorInfoIT3_T5_EES6_S6_S6_NS4_IT4_S6_EES6_b,comdat
.Lfunc_end171:
	.size	_ZN2at6native18radixSortKVInPlaceILin1ELin1ELi256ELi8EsljEEvNS_4cuda6detail10TensorInfoIT3_T5_EES6_S6_S6_NS4_IT4_S6_EES6_b, .Lfunc_end171-_ZN2at6native18radixSortKVInPlaceILin1ELin1ELi256ELi8EsljEEvNS_4cuda6detail10TensorInfoIT3_T5_EES6_S6_S6_NS4_IT4_S6_EES6_b
                                        ; -- End function
	.set _ZN2at6native18radixSortKVInPlaceILin1ELin1ELi256ELi8EsljEEvNS_4cuda6detail10TensorInfoIT3_T5_EES6_S6_S6_NS4_IT4_S6_EES6_b.num_vgpr, 117
	.set _ZN2at6native18radixSortKVInPlaceILin1ELin1ELi256ELi8EsljEEvNS_4cuda6detail10TensorInfoIT3_T5_EES6_S6_S6_NS4_IT4_S6_EES6_b.num_agpr, 0
	.set _ZN2at6native18radixSortKVInPlaceILin1ELin1ELi256ELi8EsljEEvNS_4cuda6detail10TensorInfoIT3_T5_EES6_S6_S6_NS4_IT4_S6_EES6_b.numbered_sgpr, 38
	.set _ZN2at6native18radixSortKVInPlaceILin1ELin1ELi256ELi8EsljEEvNS_4cuda6detail10TensorInfoIT3_T5_EES6_S6_S6_NS4_IT4_S6_EES6_b.num_named_barrier, 0
	.set _ZN2at6native18radixSortKVInPlaceILin1ELin1ELi256ELi8EsljEEvNS_4cuda6detail10TensorInfoIT3_T5_EES6_S6_S6_NS4_IT4_S6_EES6_b.private_seg_size, 0
	.set _ZN2at6native18radixSortKVInPlaceILin1ELin1ELi256ELi8EsljEEvNS_4cuda6detail10TensorInfoIT3_T5_EES6_S6_S6_NS4_IT4_S6_EES6_b.uses_vcc, 1
	.set _ZN2at6native18radixSortKVInPlaceILin1ELin1ELi256ELi8EsljEEvNS_4cuda6detail10TensorInfoIT3_T5_EES6_S6_S6_NS4_IT4_S6_EES6_b.uses_flat_scratch, 0
	.set _ZN2at6native18radixSortKVInPlaceILin1ELin1ELi256ELi8EsljEEvNS_4cuda6detail10TensorInfoIT3_T5_EES6_S6_S6_NS4_IT4_S6_EES6_b.has_dyn_sized_stack, 0
	.set _ZN2at6native18radixSortKVInPlaceILin1ELin1ELi256ELi8EsljEEvNS_4cuda6detail10TensorInfoIT3_T5_EES6_S6_S6_NS4_IT4_S6_EES6_b.has_recursion, 0
	.set _ZN2at6native18radixSortKVInPlaceILin1ELin1ELi256ELi8EsljEEvNS_4cuda6detail10TensorInfoIT3_T5_EES6_S6_S6_NS4_IT4_S6_EES6_b.has_indirect_call, 0
	.section	.AMDGPU.csdata,"",@progbits
; Kernel info:
; codeLenInByte = 21712
; TotalNumSgprs: 40
; NumVgprs: 117
; ScratchSize: 0
; MemoryBound: 0
; FloatMode: 240
; IeeeMode: 1
; LDSByteSize: 16896 bytes/workgroup (compile time only)
; SGPRBlocks: 0
; VGPRBlocks: 14
; NumSGPRsForWavesPerEU: 40
; NumVGPRsForWavesPerEU: 117
; Occupancy: 12
; WaveLimiterHint : 1
; COMPUTE_PGM_RSRC2:SCRATCH_EN: 0
; COMPUTE_PGM_RSRC2:USER_SGPR: 2
; COMPUTE_PGM_RSRC2:TRAP_HANDLER: 0
; COMPUTE_PGM_RSRC2:TGID_X_EN: 1
; COMPUTE_PGM_RSRC2:TGID_Y_EN: 1
; COMPUTE_PGM_RSRC2:TGID_Z_EN: 1
; COMPUTE_PGM_RSRC2:TIDIG_COMP_CNT: 2
	.section	.text._ZN2at6native18radixSortKVInPlaceILin1ELin1ELi128ELi8EsljEEvNS_4cuda6detail10TensorInfoIT3_T5_EES6_S6_S6_NS4_IT4_S6_EES6_b,"axG",@progbits,_ZN2at6native18radixSortKVInPlaceILin1ELin1ELi128ELi8EsljEEvNS_4cuda6detail10TensorInfoIT3_T5_EES6_S6_S6_NS4_IT4_S6_EES6_b,comdat
	.protected	_ZN2at6native18radixSortKVInPlaceILin1ELin1ELi128ELi8EsljEEvNS_4cuda6detail10TensorInfoIT3_T5_EES6_S6_S6_NS4_IT4_S6_EES6_b ; -- Begin function _ZN2at6native18radixSortKVInPlaceILin1ELin1ELi128ELi8EsljEEvNS_4cuda6detail10TensorInfoIT3_T5_EES6_S6_S6_NS4_IT4_S6_EES6_b
	.globl	_ZN2at6native18radixSortKVInPlaceILin1ELin1ELi128ELi8EsljEEvNS_4cuda6detail10TensorInfoIT3_T5_EES6_S6_S6_NS4_IT4_S6_EES6_b
	.p2align	8
	.type	_ZN2at6native18radixSortKVInPlaceILin1ELin1ELi128ELi8EsljEEvNS_4cuda6detail10TensorInfoIT3_T5_EES6_S6_S6_NS4_IT4_S6_EES6_b,@function
_ZN2at6native18radixSortKVInPlaceILin1ELin1ELi128ELi8EsljEEvNS_4cuda6detail10TensorInfoIT3_T5_EES6_S6_S6_NS4_IT4_S6_EES6_b: ; @_ZN2at6native18radixSortKVInPlaceILin1ELin1ELi128ELi8EsljEEvNS_4cuda6detail10TensorInfoIT3_T5_EES6_S6_S6_NS4_IT4_S6_EES6_b
; %bb.0:
	s_clause 0x1
	s_load_b64 s[2:3], s[0:1], 0x1c8
	s_load_b96 s[20:22], s[0:1], 0xd8
	s_lshr_b32 s4, ttmp7, 16
	s_wait_kmcnt 0x0
	s_mul_i32 s3, s3, s4
	s_and_b32 s4, ttmp7, 0xffff
	s_delay_alu instid0(SALU_CYCLE_1) | instskip(NEXT) | instid1(SALU_CYCLE_1)
	s_add_co_i32 s3, s3, s4
	s_mul_i32 s2, s3, s2
	s_delay_alu instid0(SALU_CYCLE_1) | instskip(NEXT) | instid1(SALU_CYCLE_1)
	s_add_co_i32 s13, s2, ttmp9
	s_cmp_ge_u32 s13, s20
	s_cbranch_scc1 .LBB172_149
; %bb.1:
	s_load_b32 s4, s[0:1], 0xd0
	s_mov_b32 s3, 0
	s_mov_b32 s2, s13
	s_wait_kmcnt 0x0
	s_cmp_lt_i32 s4, 2
	s_cbranch_scc1 .LBB172_4
; %bb.2:
	s_add_co_i32 s2, s4, -1
	s_delay_alu instid0(SALU_CYCLE_1)
	s_lshl_b64 s[6:7], s[2:3], 2
	s_mov_b32 s2, s13
	s_add_nc_u64 s[8:9], s[0:1], s[6:7]
	s_add_co_i32 s6, s4, 1
	s_add_nc_u64 s[4:5], s[8:9], 8
.LBB172_3:                              ; =>This Inner Loop Header: Depth=1
	s_clause 0x1
	s_load_b32 s7, s[4:5], 0x0
	s_load_b32 s8, s[4:5], 0x64
	s_mov_b32 s11, s2
	s_add_nc_u64 s[4:5], s[4:5], -4
	s_wait_kmcnt 0x0
	s_cvt_f32_u32 s9, s7
	s_sub_co_i32 s10, 0, s7
	s_wait_alu 0xfffe
	s_delay_alu instid0(SALU_CYCLE_1) | instskip(NEXT) | instid1(TRANS32_DEP_1)
	v_rcp_iflag_f32_e32 v1, s9
	v_readfirstlane_b32 s9, v1
	s_mul_f32 s9, s9, 0x4f7ffffe
	s_wait_alu 0xfffe
	s_delay_alu instid0(SALU_CYCLE_2) | instskip(SKIP_1) | instid1(SALU_CYCLE_2)
	s_cvt_u32_f32 s9, s9
	s_wait_alu 0xfffe
	s_mul_i32 s10, s10, s9
	s_delay_alu instid0(SALU_CYCLE_1) | instskip(NEXT) | instid1(SALU_CYCLE_1)
	s_mul_hi_u32 s10, s9, s10
	s_add_co_i32 s9, s9, s10
	s_wait_alu 0xfffe
	s_mul_hi_u32 s2, s2, s9
	s_delay_alu instid0(SALU_CYCLE_1)
	s_mul_i32 s9, s2, s7
	s_add_co_i32 s10, s2, 1
	s_wait_alu 0xfffe
	s_sub_co_i32 s9, s11, s9
	s_wait_alu 0xfffe
	s_sub_co_i32 s12, s9, s7
	s_cmp_ge_u32 s9, s7
	s_cselect_b32 s2, s10, s2
	s_cselect_b32 s9, s12, s9
	s_add_co_i32 s10, s2, 1
	s_wait_alu 0xfffe
	s_cmp_ge_u32 s9, s7
	s_cselect_b32 s2, s10, s2
	s_add_co_i32 s6, s6, -1
	s_mul_i32 s7, s2, s7
	s_delay_alu instid0(SALU_CYCLE_1) | instskip(NEXT) | instid1(SALU_CYCLE_1)
	s_sub_co_i32 s7, s11, s7
	s_mul_i32 s7, s8, s7
	s_delay_alu instid0(SALU_CYCLE_1)
	s_add_co_i32 s3, s7, s3
	s_cmp_gt_u32 s6, 2
	s_cbranch_scc1 .LBB172_3
.LBB172_4:
	s_load_b32 s4, s[0:1], 0x1b8
	s_add_nc_u64 s[36:37], s[0:1], 0x1c8
	s_mov_b32 s9, 0
	s_wait_kmcnt 0x0
	s_cmp_lt_i32 s4, 2
	s_cbranch_scc1 .LBB172_7
; %bb.5:
	s_add_co_i32 s8, s4, -1
	s_wait_alu 0xfffe
	s_lshl_b64 s[6:7], s[8:9], 2
	s_delay_alu instid0(SALU_CYCLE_1)
	s_add_nc_u64 s[10:11], s[0:1], s[6:7]
	s_add_co_i32 s6, s4, 1
	s_add_nc_u64 s[4:5], s[10:11], 0xf0
.LBB172_6:                              ; =>This Inner Loop Header: Depth=1
	s_clause 0x1
	s_load_b32 s7, s[4:5], 0x0
	s_load_b32 s8, s[4:5], 0x64
	s_mov_b32 s12, s13
	s_add_nc_u64 s[4:5], s[4:5], -4
	s_wait_kmcnt 0x0
	s_cvt_f32_u32 s10, s7
	s_sub_co_i32 s11, 0, s7
	s_wait_alu 0xfffe
	s_delay_alu instid0(SALU_CYCLE_1) | instskip(NEXT) | instid1(TRANS32_DEP_1)
	v_rcp_iflag_f32_e32 v1, s10
	v_readfirstlane_b32 s10, v1
	s_mul_f32 s10, s10, 0x4f7ffffe
	s_wait_alu 0xfffe
	s_delay_alu instid0(SALU_CYCLE_2) | instskip(SKIP_1) | instid1(SALU_CYCLE_2)
	s_cvt_u32_f32 s10, s10
	s_wait_alu 0xfffe
	s_mul_i32 s11, s11, s10
	s_wait_alu 0xfffe
	s_mul_hi_u32 s11, s10, s11
	s_wait_alu 0xfffe
	s_add_co_i32 s10, s10, s11
	s_wait_alu 0xfffe
	s_mul_hi_u32 s10, s13, s10
	s_wait_alu 0xfffe
	s_mul_i32 s11, s10, s7
	s_wait_alu 0xfffe
	s_sub_co_i32 s11, s13, s11
	s_add_co_i32 s13, s10, 1
	s_wait_alu 0xfffe
	s_sub_co_i32 s14, s11, s7
	s_cmp_ge_u32 s11, s7
	s_cselect_b32 s10, s13, s10
	s_cselect_b32 s11, s14, s11
	s_wait_alu 0xfffe
	s_add_co_i32 s13, s10, 1
	s_cmp_ge_u32 s11, s7
	s_cselect_b32 s13, s13, s10
	s_add_co_i32 s6, s6, -1
	s_mul_i32 s7, s13, s7
	s_delay_alu instid0(SALU_CYCLE_1) | instskip(NEXT) | instid1(SALU_CYCLE_1)
	s_sub_co_i32 s7, s12, s7
	s_mul_i32 s7, s8, s7
	s_delay_alu instid0(SALU_CYCLE_1)
	s_add_co_i32 s9, s7, s9
	s_cmp_gt_u32 s6, 2
	s_cbranch_scc1 .LBB172_6
.LBB172_7:
	s_clause 0x2
	s_load_b32 s4, s[0:1], 0x6c
	s_load_b64 s[28:29], s[0:1], 0x1c0
	s_load_b64 s[10:11], s[0:1], 0x0
	s_mov_b32 s15, 0
	s_wait_kmcnt 0x0
	s_mul_i32 s2, s4, s2
	s_delay_alu instid0(SALU_CYCLE_1) | instskip(SKIP_3) | instid1(SALU_CYCLE_1)
	s_add_co_i32 s14, s2, s3
	s_bitcmp1_b32 s29, 0
	s_mov_b32 s2, 0x8000
	s_cselect_b32 s12, -1, 0
	s_and_b32 s3, s12, exec_lo
	s_cselect_b32 s3, s2, 0x7fff
	s_delay_alu instid0(SALU_CYCLE_1)
	s_pack_ll_b32_b16 s4, s3, s3
	v_mov_b32_e32 v5, s3
	s_mov_b32 s5, s4
	s_mov_b32 s6, s4
	;; [unrolled: 1-line block ×3, first 2 shown]
	v_dual_mov_b32 v1, s4 :: v_dual_and_b32 v46, 0x3ff, v0
	v_dual_mov_b32 v2, s5 :: v_dual_mov_b32 v3, s6
	v_mov_b32_e32 v4, s7
	s_delay_alu instid0(VALU_DEP_3)
	v_mul_lo_u32 v44, s22, v46
	v_cmp_gt_u32_e64 s2, s21, v46
	s_lshl_b64 s[6:7], s[14:15], 1
	s_wait_alu 0xfffe
	s_add_nc_u64 s[30:31], s[10:11], s[6:7]
	s_and_saveexec_b32 s3, s2
	s_cbranch_execz .LBB172_9
; %bb.8:
	v_mov_b32_e32 v45, 0
	v_dual_mov_b32 v3, s4 :: v_dual_mov_b32 v4, s4
	s_delay_alu instid0(VALU_DEP_2) | instskip(NEXT) | instid1(VALU_DEP_1)
	v_lshlrev_b64_e32 v[1:2], 1, v[44:45]
	v_add_co_u32 v1, vcc_lo, s30, v1
	s_delay_alu instid0(VALU_DEP_1)
	v_add_co_ci_u32_e64 v2, null, s31, v2, vcc_lo
	global_load_u16 v5, v[1:2], off
	v_mov_b32_e32 v2, s4
	s_wait_loadcnt 0x0
	v_bfi_b32 v1, 0xffff, v5, s4
.LBB172_9:
	s_wait_alu 0xfffe
	s_or_b32 exec_lo, exec_lo, s3
	v_add_nc_u32_e32 v15, 0x80, v46
	s_delay_alu instid0(VALU_DEP_1)
	v_cmp_gt_u32_e64 s3, s21, v15
	s_and_saveexec_b32 s4, s3
	s_cbranch_execz .LBB172_11
; %bb.10:
	v_mul_lo_u32 v6, s22, v15
	v_mov_b32_e32 v7, 0
	s_delay_alu instid0(VALU_DEP_1) | instskip(NEXT) | instid1(VALU_DEP_1)
	v_lshlrev_b64_e32 v[6:7], 1, v[6:7]
	v_add_co_u32 v6, vcc_lo, s30, v6
	s_wait_alu 0xfffd
	s_delay_alu instid0(VALU_DEP_2)
	v_add_co_ci_u32_e64 v7, null, s31, v7, vcc_lo
	global_load_d16_hi_b16 v1, v[6:7], off
.LBB172_11:
	s_wait_alu 0xfffe
	s_or_b32 exec_lo, exec_lo, s4
	v_add_nc_u32_e32 v16, 0x100, v46
	s_delay_alu instid0(VALU_DEP_1)
	v_cmp_gt_u32_e64 s4, s21, v16
	s_and_saveexec_b32 s5, s4
	s_cbranch_execz .LBB172_13
; %bb.12:
	v_mul_lo_u32 v6, s22, v16
	v_mov_b32_e32 v7, 0
	s_delay_alu instid0(VALU_DEP_1) | instskip(NEXT) | instid1(VALU_DEP_1)
	v_lshlrev_b64_e32 v[6:7], 1, v[6:7]
	v_add_co_u32 v6, vcc_lo, s30, v6
	s_wait_alu 0xfffd
	s_delay_alu instid0(VALU_DEP_2)
	v_add_co_ci_u32_e64 v7, null, s31, v7, vcc_lo
	global_load_d16_b16 v2, v[6:7], off
.LBB172_13:
	s_wait_alu 0xfffe
	s_or_b32 exec_lo, exec_lo, s5
	v_add_nc_u32_e32 v17, 0x180, v46
	s_delay_alu instid0(VALU_DEP_1)
	v_cmp_gt_u32_e64 s5, s21, v17
	s_and_saveexec_b32 s6, s5
	s_cbranch_execz .LBB172_15
; %bb.14:
	v_mul_lo_u32 v6, s22, v17
	v_mov_b32_e32 v7, 0
	s_delay_alu instid0(VALU_DEP_1) | instskip(NEXT) | instid1(VALU_DEP_1)
	v_lshlrev_b64_e32 v[6:7], 1, v[6:7]
	v_add_co_u32 v6, vcc_lo, s30, v6
	s_wait_alu 0xfffd
	s_delay_alu instid0(VALU_DEP_2)
	v_add_co_ci_u32_e64 v7, null, s31, v7, vcc_lo
	s_wait_loadcnt 0x0
	global_load_d16_hi_b16 v2, v[6:7], off
.LBB172_15:
	s_wait_alu 0xfffe
	s_or_b32 exec_lo, exec_lo, s6
	v_add_nc_u32_e32 v18, 0x200, v46
	s_delay_alu instid0(VALU_DEP_1)
	v_cmp_gt_u32_e64 s6, s21, v18
	s_and_saveexec_b32 s7, s6
	s_cbranch_execz .LBB172_17
; %bb.16:
	v_mul_lo_u32 v6, s22, v18
	v_mov_b32_e32 v7, 0
	s_delay_alu instid0(VALU_DEP_1) | instskip(NEXT) | instid1(VALU_DEP_1)
	v_lshlrev_b64_e32 v[6:7], 1, v[6:7]
	v_add_co_u32 v6, vcc_lo, s30, v6
	s_wait_alu 0xfffd
	s_delay_alu instid0(VALU_DEP_2)
	v_add_co_ci_u32_e64 v7, null, s31, v7, vcc_lo
	global_load_d16_b16 v3, v[6:7], off
.LBB172_17:
	s_wait_alu 0xfffe
	s_or_b32 exec_lo, exec_lo, s7
	v_add_nc_u32_e32 v19, 0x280, v46
	s_delay_alu instid0(VALU_DEP_1)
	v_cmp_gt_u32_e64 s7, s21, v19
	s_and_saveexec_b32 s8, s7
	s_cbranch_execz .LBB172_19
; %bb.18:
	v_mul_lo_u32 v6, s22, v19
	v_mov_b32_e32 v7, 0
	s_delay_alu instid0(VALU_DEP_1) | instskip(NEXT) | instid1(VALU_DEP_1)
	v_lshlrev_b64_e32 v[6:7], 1, v[6:7]
	v_add_co_u32 v6, vcc_lo, s30, v6
	s_wait_alu 0xfffd
	s_delay_alu instid0(VALU_DEP_2)
	v_add_co_ci_u32_e64 v7, null, s31, v7, vcc_lo
	s_wait_loadcnt 0x0
	global_load_d16_hi_b16 v3, v[6:7], off
.LBB172_19:
	s_wait_alu 0xfffe
	s_or_b32 exec_lo, exec_lo, s8
	v_add_nc_u32_e32 v20, 0x300, v46
	s_delay_alu instid0(VALU_DEP_1)
	v_cmp_gt_u32_e64 s8, s21, v20
	s_and_saveexec_b32 s10, s8
	s_cbranch_execz .LBB172_21
; %bb.20:
	v_mul_lo_u32 v6, s22, v20
	v_mov_b32_e32 v7, 0
	s_delay_alu instid0(VALU_DEP_1) | instskip(NEXT) | instid1(VALU_DEP_1)
	v_lshlrev_b64_e32 v[6:7], 1, v[6:7]
	v_add_co_u32 v6, vcc_lo, s30, v6
	s_wait_alu 0xfffd
	s_delay_alu instid0(VALU_DEP_2)
	v_add_co_ci_u32_e64 v7, null, s31, v7, vcc_lo
	global_load_d16_b16 v4, v[6:7], off
.LBB172_21:
	s_wait_alu 0xfffe
	s_or_b32 exec_lo, exec_lo, s10
	s_clause 0x1
	s_load_b32 s14, s[0:1], 0x154
	s_load_b64 s[10:11], s[0:1], 0xe8
	v_add_nc_u32_e32 v21, 0x380, v46
	s_delay_alu instid0(VALU_DEP_1)
	v_cmp_gt_u32_e64 s0, s21, v21
	s_and_saveexec_b32 s1, s0
	s_cbranch_execz .LBB172_23
; %bb.22:
	v_mul_lo_u32 v6, s22, v21
	v_mov_b32_e32 v7, 0
	s_delay_alu instid0(VALU_DEP_1) | instskip(NEXT) | instid1(VALU_DEP_1)
	v_lshlrev_b64_e32 v[6:7], 1, v[6:7]
	v_add_co_u32 v6, vcc_lo, s30, v6
	s_wait_alu 0xfffd
	s_delay_alu instid0(VALU_DEP_2)
	v_add_co_ci_u32_e64 v7, null, s31, v7, vcc_lo
	s_wait_loadcnt 0x0
	global_load_d16_hi_b16 v4, v[6:7], off
.LBB172_23:
	s_or_b32 exec_lo, exec_lo, s1
	v_lshrrev_b32_e32 v6, 4, v46
	v_lshrrev_b32_e32 v7, 4, v15
	;; [unrolled: 1-line block ×3, first 2 shown]
	v_dual_mov_b32 v42, 0 :: v_dual_lshlrev_b32 v9, 1, v46
	s_delay_alu instid0(VALU_DEP_4) | instskip(NEXT) | instid1(VALU_DEP_4)
	v_and_b32_e32 v6, 60, v6
	v_and_b32_e32 v7, 0x7c, v7
	s_delay_alu instid0(VALU_DEP_4)
	v_and_b32_e32 v8, 0x7c, v8
	v_lshrrev_b32_e32 v10, 4, v17
	v_lshrrev_b32_e32 v11, 4, v21
	v_mov_b32_e32 v43, v42
	v_add_nc_u32_e32 v51, v6, v9
	v_dual_mov_b32 v12, v42 :: v_dual_add_nc_u32 v45, v7, v9
	v_add_nc_u32_e32 v52, v8, v9
	v_and_b32_e32 v6, 0x7c, v10
	v_lshrrev_b32_e32 v7, 4, v18
	v_lshrrev_b32_e32 v8, 4, v19
	;; [unrolled: 1-line block ×3, first 2 shown]
	s_wait_kmcnt 0x0
	s_mul_i32 s1, s14, s13
	v_add_nc_u32_e32 v53, v6, v9
	v_and_b32_e32 v6, 0x7c, v7
	v_and_b32_e32 v7, 0x7c, v8
	;; [unrolled: 1-line block ×4, first 2 shown]
	v_lshrrev_b32_e32 v11, 1, v46
	v_dual_mov_b32 v13, 0 :: v_dual_add_nc_u32 v54, v6, v9
	v_add_nc_u32_e32 v55, v7, v9
	v_add_nc_u32_e32 v56, v8, v9
	s_delay_alu instid0(VALU_DEP_4) | instskip(SKIP_2) | instid1(VALU_DEP_3)
	v_dual_mov_b32 v11, v42 :: v_dual_and_b32 v6, 0x1fc, v11
	v_mov_b32_e32 v7, v42
	v_dual_mov_b32 v14, 0 :: v_dual_add_nc_u32 v57, v10, v9
	v_lshl_add_u32 v58, v46, 4, v6
	ds_store_b16 v51, v5
	s_wait_loadcnt 0x0
	ds_store_b16_d16_hi v45, v1 offset:256
	ds_store_b16 v52, v2 offset:512
	ds_store_b16_d16_hi v53, v2 offset:768
	ds_store_b16 v54, v3 offset:1024
	;; [unrolled: 2-line block ×3, first 2 shown]
	ds_store_b16_d16_hi v57, v4 offset:1792
	s_wait_dscnt 0x0
	s_barrier_signal -1
	s_barrier_wait -1
	global_inv scope:SCOPE_SE
	ds_load_2addr_b32 v[49:50], v58 offset1:1
	ds_load_2addr_b32 v[47:48], v58 offset0:2 offset1:3
	v_mul_lo_u32 v41, s28, v46
	s_add_co_i32 s14, s1, s9
	v_dual_mov_b32 v9, v42 :: v_dual_mov_b32 v10, v42
	v_dual_mov_b32 v1, v42 :: v_dual_mov_b32 v2, v42
	v_dual_mov_b32 v3, v42 :: v_dual_mov_b32 v4, v42
	v_dual_mov_b32 v5, v42 :: v_dual_mov_b32 v6, v42
	v_mov_b32_e32 v8, v42
	s_lshl_b64 s[14:15], s[14:15], 3
	s_wait_loadcnt_dscnt 0x0
	s_add_nc_u64 s[34:35], s[10:11], s[14:15]
	s_barrier_signal -1
	s_barrier_wait -1
	global_inv scope:SCOPE_SE
	s_and_saveexec_b32 s1, s2
	s_cbranch_execnz .LBB172_79
; %bb.24:
	s_or_b32 exec_lo, exec_lo, s1
	s_and_saveexec_b32 s1, s3
	s_cbranch_execnz .LBB172_80
.LBB172_25:
	s_or_b32 exec_lo, exec_lo, s1
	s_and_saveexec_b32 s1, s4
	s_cbranch_execnz .LBB172_81
.LBB172_26:
	s_or_b32 exec_lo, exec_lo, s1
	s_and_saveexec_b32 s1, s5
	s_cbranch_execnz .LBB172_82
.LBB172_27:
	s_or_b32 exec_lo, exec_lo, s1
	s_and_saveexec_b32 s1, s6
	s_cbranch_execnz .LBB172_83
.LBB172_28:
	s_or_b32 exec_lo, exec_lo, s1
	s_and_saveexec_b32 s1, s7
	s_cbranch_execnz .LBB172_84
.LBB172_29:
	s_or_b32 exec_lo, exec_lo, s1
	s_and_saveexec_b32 s1, s8
	s_cbranch_execz .LBB172_31
.LBB172_30:
	v_mul_lo_u32 v5, s28, v20
	v_mov_b32_e32 v6, 0
	s_delay_alu instid0(VALU_DEP_1) | instskip(NEXT) | instid1(VALU_DEP_1)
	v_lshlrev_b64_e32 v[5:6], 3, v[5:6]
	v_add_co_u32 v5, vcc_lo, s34, v5
	s_wait_alu 0xfffd
	s_delay_alu instid0(VALU_DEP_2)
	v_add_co_ci_u32_e64 v6, null, s35, v6, vcc_lo
	global_load_b64 v[5:6], v[5:6], off
.LBB172_31:
	s_or_b32 exec_lo, exec_lo, s1
	v_lshrrev_b32_e32 v69, 5, v46
	v_lshrrev_b32_e32 v25, 5, v15
	;; [unrolled: 1-line block ×8, first 2 shown]
	v_lshlrev_b32_e32 v66, 3, v46
	v_lshrrev_b32_e32 v15, 2, v46
	s_xor_b32 s1, s12, -1
	s_and_saveexec_b32 s9, s0
	s_cbranch_execz .LBB172_33
; %bb.32:
	v_mul_lo_u32 v7, s28, v21
	v_mov_b32_e32 v8, 0
	s_delay_alu instid0(VALU_DEP_1) | instskip(NEXT) | instid1(VALU_DEP_1)
	v_lshlrev_b64_e32 v[7:8], 3, v[7:8]
	v_add_co_u32 v7, vcc_lo, s34, v7
	s_wait_alu 0xfffd
	s_delay_alu instid0(VALU_DEP_2)
	v_add_co_ci_u32_e64 v8, null, s35, v8, vcc_lo
	global_load_b64 v[7:8], v[7:8], off
.LBB172_33:
	s_wait_alu 0xfffe
	s_or_b32 exec_lo, exec_lo, s9
	v_lshl_add_u32 v59, v69, 3, v66
	v_lshl_add_u32 v60, v25, 3, v66
	;; [unrolled: 1-line block ×5, first 2 shown]
	s_wait_loadcnt 0x0
	ds_store_b64 v59, v[13:14]
	ds_store_b64 v60, v[42:43] offset:1024
	ds_store_b64 v61, v[9:10] offset:2048
	;; [unrolled: 1-line block ×3, first 2 shown]
	v_lshlrev_b32_e32 v9, 3, v66
	v_lshl_add_u32 v42, v22, 3, v66
	v_lshl_add_u32 v43, v18, 3, v66
	;; [unrolled: 1-line block ×3, first 2 shown]
	ds_store_b64 v42, v[1:2] offset:4096
	ds_store_b64 v43, v[3:4] offset:5120
	;; [unrolled: 1-line block ×4, first 2 shown]
	v_lshl_add_u32 v65, v15, 3, v9
	s_wait_dscnt 0x0
	s_barrier_signal -1
	s_barrier_wait -1
	global_inv scope:SCOPE_SE
	ds_load_2addr_b64 v[5:8], v65 offset1:1
	ds_load_2addr_b64 v[1:4], v65 offset0:2 offset1:3
	v_mbcnt_lo_u32_b32 v70, -1, 0
	v_and_b32_e32 v17, 0x1f00, v66
	ds_load_2addr_b64 v[13:16], v65 offset0:4 offset1:5
	ds_load_2addr_b64 v[9:12], v65 offset0:6 offset1:7
	v_and_b32_e32 v72, 0x3e0, v46
	v_bfe_u32 v73, v0, 10, 10
	v_bfe_u32 v74, v0, 20, 10
	v_or_b32_e32 v71, v70, v17
	v_lshlrev_b32_e32 v67, 2, v66
	v_or_b32_e32 v18, v70, v72
	s_mov_b32 s12, 0
	s_and_b32 vcc_lo, exec_lo, s1
	v_lshlrev_b32_e32 v68, 1, v71
	s_mov_b32 s1, -1
	v_lshlrev_b32_e32 v76, 3, v18
	v_lshlrev_b32_e32 v77, 4, v18
	s_wait_loadcnt_dscnt 0x0
	v_mad_u32_u24 v75, v71, 6, v68
	s_barrier_signal -1
	s_barrier_wait -1
	global_inv scope:SCOPE_SE
	s_wait_alu 0xfffe
	s_cbranch_vccz .LBB172_85
; %bb.34:
	v_xor_b32_e32 v17, 0x80008000, v49
	v_xor_b32_e32 v18, 0x80008000, v50
	;; [unrolled: 1-line block ×4, first 2 shown]
	s_getpc_b64 s[10:11]
	s_wait_alu 0xfffe
	s_sext_i32_i16 s11, s11
	s_add_co_u32 s10, s10, _ZN7rocprim17ROCPRIM_400000_NS16block_radix_sortIsLj128ELj8ElLj1ELj1ELj0ELNS0_26block_radix_rank_algorithmE1ELNS0_18block_padding_hintE2ELNS0_4arch9wavefront6targetE0EE19radix_bits_per_passE@rel32@lo+12
	s_wait_alu 0xfffe
	s_add_co_ci_u32 s11, s11, _ZN7rocprim17ROCPRIM_400000_NS16block_radix_sortIsLj128ELj8ElLj1ELj1ELj0ELNS0_26block_radix_rank_algorithmE1ELNS0_18block_padding_hintE2ELNS0_4arch9wavefront6targetE0EE19radix_bits_per_passE@rel32@hi+24
	s_mov_b32 s13, s12
	s_load_b32 s19, s[10:11], 0x0
	s_mov_b32 s14, s12
	ds_store_b128 v77, v[17:20]
	; wave barrier
	ds_load_u16 v78, v68
	s_mov_b32 s15, s12
	v_lshlrev_b32_e32 v0, 3, v76
	ds_load_u16 v79, v68 offset:64
	ds_load_u16 v80, v68 offset:128
	;; [unrolled: 1-line block ×7, first 2 shown]
	s_wait_loadcnt_dscnt 0x0
	s_barrier_signal -1
	s_barrier_wait -1
	global_inv scope:SCOPE_SE
	ds_store_b128 v0, v[5:8]
	ds_store_b128 v0, v[1:4] offset:16
	ds_store_b128 v0, v[13:16] offset:32
	;; [unrolled: 1-line block ×3, first 2 shown]
	; wave barrier
	s_wait_kmcnt 0x0
	s_min_u32 s1, s19, 16
	s_delay_alu instid0(SALU_CYCLE_1) | instskip(NEXT) | instid1(SALU_CYCLE_1)
	s_lshl_b32 s1, -1, s1
	s_not_b32 s9, s1
	v_and_b32_e32 v17, 0xffff, v78
	s_wait_alu 0xfffe
	s_delay_alu instid0(VALU_DEP_1)
	v_and_b32_e32 v40, s9, v17
	ds_load_2addr_b64 v[21:24], v75 offset1:32
	ds_load_2addr_b64 v[17:20], v75 offset0:64 offset1:96
	ds_load_2addr_b64 v[29:32], v75 offset0:128 offset1:160
	;; [unrolled: 1-line block ×3, first 2 shown]
	s_wait_loadcnt_dscnt 0x0
	s_barrier_signal -1
	v_and_b32_e32 v0, 1, v40
	v_lshlrev_b32_e32 v33, 30, v40
	v_lshlrev_b32_e32 v36, 28, v40
	;; [unrolled: 1-line block ×3, first 2 shown]
	s_barrier_wait -1
	v_add_co_u32 v0, s1, v0, -1
	s_delay_alu instid0(VALU_DEP_1)
	v_cndmask_b32_e64 v34, 0, 1, s1
	v_not_b32_e32 v35, v33
	v_cmp_gt_i32_e64 s1, 0, v33
	global_inv scope:SCOPE_SE
	v_cmp_ne_u32_e32 vcc_lo, 0, v34
	v_lshlrev_b32_e32 v34, 29, v40
	v_ashrrev_i32_e32 v33, 31, v35
	s_wait_alu 0xfffd
	v_xor_b32_e32 v0, vcc_lo, v0
	s_delay_alu instid0(VALU_DEP_3)
	v_not_b32_e32 v35, v34
	v_cmp_gt_i32_e32 vcc_lo, 0, v34
	s_wait_alu 0xf1ff
	v_xor_b32_e32 v33, s1, v33
	s_load_b32 s1, s[36:37], 0xc
	v_and_b32_e32 v0, exec_lo, v0
	v_ashrrev_i32_e32 v34, 31, v35
	v_not_b32_e32 v35, v36
	s_delay_alu instid0(VALU_DEP_3) | instskip(NEXT) | instid1(VALU_DEP_3)
	v_and_b32_e32 v0, v0, v33
	v_xor_b32_e32 v33, vcc_lo, v34
	v_cmp_gt_i32_e32 vcc_lo, 0, v36
	s_delay_alu instid0(VALU_DEP_4) | instskip(SKIP_1) | instid1(VALU_DEP_4)
	v_ashrrev_i32_e32 v34, 31, v35
	v_not_b32_e32 v35, v37
	v_and_b32_e32 v0, v0, v33
	v_lshlrev_b32_e32 v33, 26, v40
	s_wait_alu 0xfffd
	v_xor_b32_e32 v34, vcc_lo, v34
	v_cmp_gt_i32_e32 vcc_lo, 0, v37
	v_ashrrev_i32_e32 v35, 31, v35
	v_not_b32_e32 v36, v33
	s_delay_alu instid0(VALU_DEP_4)
	v_and_b32_e32 v0, v0, v34
	v_lshlrev_b32_e32 v34, 25, v40
	s_wait_alu 0xfffd
	v_xor_b32_e32 v35, vcc_lo, v35
	v_cmp_gt_i32_e32 vcc_lo, 0, v33
	v_ashrrev_i32_e32 v33, 31, v36
	s_wait_kmcnt 0x0
	s_lshr_b32 s10, s1, 16
	v_not_b32_e32 v36, v34
	v_and_b32_e32 v0, v0, v35
	v_lshlrev_b32_e32 v35, 24, v40
	s_wait_alu 0xfffd
	v_xor_b32_e32 v33, vcc_lo, v33
	v_cmp_gt_i32_e32 vcc_lo, 0, v34
	v_ashrrev_i32_e32 v34, 31, v36
	s_wait_alu 0xfffe
	v_mad_u32_u24 v37, v74, s10, v73
	v_not_b32_e32 v36, v35
	v_and_b32_e32 v0, v0, v33
	s_and_b32 s1, s1, 0xffff
	s_wait_alu 0xfffd
	v_xor_b32_e32 v33, vcc_lo, v34
	v_cmp_gt_i32_e32 vcc_lo, 0, v35
	v_ashrrev_i32_e32 v34, 31, v36
	s_wait_alu 0xfffe
	v_mad_co_u64_u32 v[38:39], null, v37, s1, v[46:47]
	v_and_b32_e32 v0, v0, v33
	s_wait_alu 0xfffd
	v_xor_b32_e32 v33, vcc_lo, v34
	v_dual_mov_b32 v37, s15 :: v_dual_mov_b32 v36, s14
	v_dual_mov_b32 v35, s13 :: v_dual_mov_b32 v34, s12
	s_delay_alu instid0(VALU_DEP_3)
	v_and_b32_e32 v33, v0, v33
	v_lshrrev_b32_e32 v0, 5, v38
	ds_store_b128 v67, v[34:37] offset:16
	ds_store_b128 v67, v[34:37] offset:32
	v_mbcnt_lo_u32_b32 v90, v33, 0
	v_lshlrev_b32_e32 v0, 2, v0
	v_lshlrev_b32_e32 v34, 4, v40
	v_cmp_ne_u32_e64 s1, 0, v33
	s_wait_loadcnt_dscnt 0x0
	v_cmp_eq_u32_e32 vcc_lo, 0, v90
	s_barrier_signal -1
	v_add_nc_u32_e32 v91, v0, v34
	s_barrier_wait -1
	global_inv scope:SCOPE_SE
	s_and_b32 s10, s1, vcc_lo
	; wave barrier
	s_wait_alu 0xfffe
	s_and_saveexec_b32 s1, s10
; %bb.35:
	v_bcnt_u32_b32 v33, v33, 0
	ds_store_b32 v91, v33 offset:16
; %bb.36:
	s_wait_alu 0xfffe
	s_or_b32 exec_lo, exec_lo, s1
	v_and_b32_e32 v33, 0xffff, v79
	; wave barrier
	s_delay_alu instid0(VALU_DEP_1) | instskip(NEXT) | instid1(VALU_DEP_1)
	v_and_b32_e32 v33, s9, v33
	v_and_b32_e32 v34, 1, v33
	v_lshlrev_b32_e32 v35, 30, v33
	v_lshlrev_b32_e32 v36, 29, v33
	;; [unrolled: 1-line block ×4, first 2 shown]
	v_add_co_u32 v34, s1, v34, -1
	s_wait_alu 0xf1ff
	v_cndmask_b32_e64 v38, 0, 1, s1
	v_not_b32_e32 v87, v35
	v_cmp_gt_i32_e64 s1, 0, v35
	v_not_b32_e32 v35, v36
	v_lshlrev_b32_e32 v40, 26, v33
	v_cmp_ne_u32_e32 vcc_lo, 0, v38
	v_ashrrev_i32_e32 v87, 31, v87
	v_lshlrev_b32_e32 v86, 25, v33
	v_ashrrev_i32_e32 v35, 31, v35
	v_lshlrev_b32_e32 v38, 24, v33
	s_wait_alu 0xfffd
	v_xor_b32_e32 v34, vcc_lo, v34
	v_cmp_gt_i32_e32 vcc_lo, 0, v36
	v_not_b32_e32 v36, v37
	s_wait_alu 0xf1ff
	v_xor_b32_e32 v87, s1, v87
	v_cmp_gt_i32_e64 s1, 0, v37
	v_and_b32_e32 v34, exec_lo, v34
	v_not_b32_e32 v37, v39
	v_ashrrev_i32_e32 v36, 31, v36
	s_wait_alu 0xfffd
	v_xor_b32_e32 v35, vcc_lo, v35
	v_cmp_gt_i32_e32 vcc_lo, 0, v39
	v_and_b32_e32 v34, v34, v87
	v_not_b32_e32 v39, v40
	v_ashrrev_i32_e32 v37, 31, v37
	s_wait_alu 0xf1ff
	v_xor_b32_e32 v36, s1, v36
	v_cmp_gt_i32_e64 s1, 0, v40
	v_and_b32_e32 v34, v34, v35
	v_not_b32_e32 v35, v86
	v_ashrrev_i32_e32 v39, 31, v39
	s_wait_alu 0xfffd
	v_xor_b32_e32 v37, vcc_lo, v37
	v_cmp_gt_i32_e32 vcc_lo, 0, v86
	v_and_b32_e32 v34, v34, v36
	v_not_b32_e32 v36, v38
	v_ashrrev_i32_e32 v35, 31, v35
	s_wait_alu 0xf1ff
	v_xor_b32_e32 v39, s1, v39
	v_lshlrev_b32_e32 v33, 4, v33
	v_and_b32_e32 v34, v34, v37
	v_cmp_gt_i32_e64 s1, 0, v38
	v_ashrrev_i32_e32 v36, 31, v36
	s_wait_alu 0xfffd
	v_xor_b32_e32 v35, vcc_lo, v35
	v_add_nc_u32_e32 v94, v0, v33
	v_and_b32_e32 v34, v34, v39
	s_wait_alu 0xf1ff
	v_xor_b32_e32 v33, s1, v36
	ds_load_b32 v92, v94 offset:16
	v_and_b32_e32 v34, v34, v35
	; wave barrier
	s_delay_alu instid0(VALU_DEP_1) | instskip(NEXT) | instid1(VALU_DEP_1)
	v_and_b32_e32 v33, v34, v33
	v_mbcnt_lo_u32_b32 v93, v33, 0
	v_cmp_ne_u32_e64 s1, 0, v33
	s_delay_alu instid0(VALU_DEP_2)
	v_cmp_eq_u32_e32 vcc_lo, 0, v93
	s_and_b32 s10, s1, vcc_lo
	s_wait_alu 0xfffe
	s_and_saveexec_b32 s1, s10
	s_cbranch_execz .LBB172_38
; %bb.37:
	s_wait_dscnt 0x0
	v_bcnt_u32_b32 v33, v33, v92
	ds_store_b32 v94, v33 offset:16
.LBB172_38:
	s_wait_alu 0xfffe
	s_or_b32 exec_lo, exec_lo, s1
	v_and_b32_e32 v33, 0xffff, v80
	; wave barrier
	s_delay_alu instid0(VALU_DEP_1) | instskip(NEXT) | instid1(VALU_DEP_1)
	v_and_b32_e32 v33, s9, v33
	v_and_b32_e32 v34, 1, v33
	v_lshlrev_b32_e32 v35, 30, v33
	v_lshlrev_b32_e32 v36, 29, v33
	;; [unrolled: 1-line block ×4, first 2 shown]
	v_add_co_u32 v34, s1, v34, -1
	s_wait_alu 0xf1ff
	v_cndmask_b32_e64 v38, 0, 1, s1
	v_not_b32_e32 v87, v35
	v_cmp_gt_i32_e64 s1, 0, v35
	v_not_b32_e32 v35, v36
	v_lshlrev_b32_e32 v40, 26, v33
	v_cmp_ne_u32_e32 vcc_lo, 0, v38
	v_ashrrev_i32_e32 v87, 31, v87
	v_lshlrev_b32_e32 v86, 25, v33
	v_ashrrev_i32_e32 v35, 31, v35
	v_lshlrev_b32_e32 v38, 24, v33
	s_wait_alu 0xfffd
	v_xor_b32_e32 v34, vcc_lo, v34
	v_cmp_gt_i32_e32 vcc_lo, 0, v36
	v_not_b32_e32 v36, v37
	s_wait_alu 0xf1ff
	v_xor_b32_e32 v87, s1, v87
	v_cmp_gt_i32_e64 s1, 0, v37
	v_and_b32_e32 v34, exec_lo, v34
	v_not_b32_e32 v37, v39
	v_ashrrev_i32_e32 v36, 31, v36
	s_wait_alu 0xfffd
	v_xor_b32_e32 v35, vcc_lo, v35
	v_cmp_gt_i32_e32 vcc_lo, 0, v39
	v_and_b32_e32 v34, v34, v87
	v_not_b32_e32 v39, v40
	v_ashrrev_i32_e32 v37, 31, v37
	s_wait_alu 0xf1ff
	v_xor_b32_e32 v36, s1, v36
	v_cmp_gt_i32_e64 s1, 0, v40
	v_and_b32_e32 v34, v34, v35
	v_not_b32_e32 v35, v86
	v_ashrrev_i32_e32 v39, 31, v39
	s_wait_alu 0xfffd
	v_xor_b32_e32 v37, vcc_lo, v37
	v_cmp_gt_i32_e32 vcc_lo, 0, v86
	v_and_b32_e32 v34, v34, v36
	v_not_b32_e32 v36, v38
	v_ashrrev_i32_e32 v35, 31, v35
	s_wait_alu 0xf1ff
	v_xor_b32_e32 v39, s1, v39
	v_lshlrev_b32_e32 v33, 4, v33
	v_and_b32_e32 v34, v34, v37
	v_cmp_gt_i32_e64 s1, 0, v38
	v_ashrrev_i32_e32 v36, 31, v36
	s_wait_alu 0xfffd
	v_xor_b32_e32 v35, vcc_lo, v35
	v_add_nc_u32_e32 v97, v0, v33
	v_and_b32_e32 v34, v34, v39
	s_wait_alu 0xf1ff
	v_xor_b32_e32 v33, s1, v36
	ds_load_b32 v95, v97 offset:16
	v_and_b32_e32 v34, v34, v35
	; wave barrier
	s_delay_alu instid0(VALU_DEP_1) | instskip(NEXT) | instid1(VALU_DEP_1)
	v_and_b32_e32 v33, v34, v33
	v_mbcnt_lo_u32_b32 v96, v33, 0
	v_cmp_ne_u32_e64 s1, 0, v33
	s_delay_alu instid0(VALU_DEP_2)
	v_cmp_eq_u32_e32 vcc_lo, 0, v96
	s_and_b32 s10, s1, vcc_lo
	s_wait_alu 0xfffe
	s_and_saveexec_b32 s1, s10
	s_cbranch_execz .LBB172_40
; %bb.39:
	s_wait_dscnt 0x0
	v_bcnt_u32_b32 v33, v33, v95
	ds_store_b32 v97, v33 offset:16
.LBB172_40:
	s_wait_alu 0xfffe
	s_or_b32 exec_lo, exec_lo, s1
	v_and_b32_e32 v33, 0xffff, v81
	; wave barrier
	s_delay_alu instid0(VALU_DEP_1) | instskip(NEXT) | instid1(VALU_DEP_1)
	v_and_b32_e32 v33, s9, v33
	v_and_b32_e32 v34, 1, v33
	v_lshlrev_b32_e32 v35, 30, v33
	v_lshlrev_b32_e32 v36, 29, v33
	;; [unrolled: 1-line block ×4, first 2 shown]
	v_add_co_u32 v34, s1, v34, -1
	s_wait_alu 0xf1ff
	v_cndmask_b32_e64 v38, 0, 1, s1
	v_not_b32_e32 v87, v35
	v_cmp_gt_i32_e64 s1, 0, v35
	v_not_b32_e32 v35, v36
	v_lshlrev_b32_e32 v40, 26, v33
	v_cmp_ne_u32_e32 vcc_lo, 0, v38
	v_ashrrev_i32_e32 v87, 31, v87
	v_lshlrev_b32_e32 v86, 25, v33
	v_ashrrev_i32_e32 v35, 31, v35
	v_lshlrev_b32_e32 v38, 24, v33
	s_wait_alu 0xfffd
	v_xor_b32_e32 v34, vcc_lo, v34
	v_cmp_gt_i32_e32 vcc_lo, 0, v36
	v_not_b32_e32 v36, v37
	s_wait_alu 0xf1ff
	v_xor_b32_e32 v87, s1, v87
	v_cmp_gt_i32_e64 s1, 0, v37
	v_and_b32_e32 v34, exec_lo, v34
	v_not_b32_e32 v37, v39
	v_ashrrev_i32_e32 v36, 31, v36
	s_wait_alu 0xfffd
	v_xor_b32_e32 v35, vcc_lo, v35
	v_cmp_gt_i32_e32 vcc_lo, 0, v39
	v_and_b32_e32 v34, v34, v87
	v_not_b32_e32 v39, v40
	v_ashrrev_i32_e32 v37, 31, v37
	s_wait_alu 0xf1ff
	v_xor_b32_e32 v36, s1, v36
	v_cmp_gt_i32_e64 s1, 0, v40
	v_and_b32_e32 v34, v34, v35
	v_not_b32_e32 v35, v86
	v_ashrrev_i32_e32 v39, 31, v39
	s_wait_alu 0xfffd
	v_xor_b32_e32 v37, vcc_lo, v37
	v_cmp_gt_i32_e32 vcc_lo, 0, v86
	v_and_b32_e32 v34, v34, v36
	v_not_b32_e32 v36, v38
	v_ashrrev_i32_e32 v35, 31, v35
	s_wait_alu 0xf1ff
	v_xor_b32_e32 v39, s1, v39
	v_lshlrev_b32_e32 v33, 4, v33
	v_and_b32_e32 v34, v34, v37
	v_cmp_gt_i32_e64 s1, 0, v38
	v_ashrrev_i32_e32 v36, 31, v36
	s_wait_alu 0xfffd
	v_xor_b32_e32 v35, vcc_lo, v35
	v_add_nc_u32_e32 v100, v0, v33
	v_and_b32_e32 v34, v34, v39
	s_wait_alu 0xf1ff
	v_xor_b32_e32 v33, s1, v36
	ds_load_b32 v98, v100 offset:16
	v_and_b32_e32 v34, v34, v35
	; wave barrier
	s_delay_alu instid0(VALU_DEP_1) | instskip(NEXT) | instid1(VALU_DEP_1)
	v_and_b32_e32 v33, v34, v33
	v_mbcnt_lo_u32_b32 v99, v33, 0
	v_cmp_ne_u32_e64 s1, 0, v33
	s_delay_alu instid0(VALU_DEP_2)
	v_cmp_eq_u32_e32 vcc_lo, 0, v99
	s_and_b32 s10, s1, vcc_lo
	s_wait_alu 0xfffe
	s_and_saveexec_b32 s1, s10
	s_cbranch_execz .LBB172_42
; %bb.41:
	s_wait_dscnt 0x0
	v_bcnt_u32_b32 v33, v33, v98
	ds_store_b32 v100, v33 offset:16
.LBB172_42:
	s_wait_alu 0xfffe
	s_or_b32 exec_lo, exec_lo, s1
	v_and_b32_e32 v33, 0xffff, v82
	; wave barrier
	s_delay_alu instid0(VALU_DEP_1) | instskip(NEXT) | instid1(VALU_DEP_1)
	v_and_b32_e32 v33, s9, v33
	v_and_b32_e32 v34, 1, v33
	v_lshlrev_b32_e32 v35, 30, v33
	v_lshlrev_b32_e32 v36, 29, v33
	;; [unrolled: 1-line block ×4, first 2 shown]
	v_add_co_u32 v34, s1, v34, -1
	s_wait_alu 0xf1ff
	v_cndmask_b32_e64 v38, 0, 1, s1
	v_not_b32_e32 v87, v35
	v_cmp_gt_i32_e64 s1, 0, v35
	v_not_b32_e32 v35, v36
	v_lshlrev_b32_e32 v40, 26, v33
	v_cmp_ne_u32_e32 vcc_lo, 0, v38
	v_ashrrev_i32_e32 v87, 31, v87
	v_lshlrev_b32_e32 v86, 25, v33
	v_ashrrev_i32_e32 v35, 31, v35
	v_lshlrev_b32_e32 v38, 24, v33
	s_wait_alu 0xfffd
	v_xor_b32_e32 v34, vcc_lo, v34
	v_cmp_gt_i32_e32 vcc_lo, 0, v36
	v_not_b32_e32 v36, v37
	s_wait_alu 0xf1ff
	v_xor_b32_e32 v87, s1, v87
	v_cmp_gt_i32_e64 s1, 0, v37
	v_and_b32_e32 v34, exec_lo, v34
	v_not_b32_e32 v37, v39
	v_ashrrev_i32_e32 v36, 31, v36
	s_wait_alu 0xfffd
	v_xor_b32_e32 v35, vcc_lo, v35
	v_cmp_gt_i32_e32 vcc_lo, 0, v39
	v_and_b32_e32 v34, v34, v87
	v_not_b32_e32 v39, v40
	v_ashrrev_i32_e32 v37, 31, v37
	s_wait_alu 0xf1ff
	v_xor_b32_e32 v36, s1, v36
	v_cmp_gt_i32_e64 s1, 0, v40
	v_and_b32_e32 v34, v34, v35
	v_not_b32_e32 v35, v86
	v_ashrrev_i32_e32 v39, 31, v39
	s_wait_alu 0xfffd
	v_xor_b32_e32 v37, vcc_lo, v37
	v_cmp_gt_i32_e32 vcc_lo, 0, v86
	v_and_b32_e32 v34, v34, v36
	v_not_b32_e32 v36, v38
	v_ashrrev_i32_e32 v35, 31, v35
	s_wait_alu 0xf1ff
	v_xor_b32_e32 v39, s1, v39
	v_lshlrev_b32_e32 v33, 4, v33
	v_and_b32_e32 v34, v34, v37
	v_cmp_gt_i32_e64 s1, 0, v38
	v_ashrrev_i32_e32 v36, 31, v36
	s_wait_alu 0xfffd
	v_xor_b32_e32 v35, vcc_lo, v35
	v_add_nc_u32_e32 v103, v0, v33
	v_and_b32_e32 v34, v34, v39
	s_wait_alu 0xf1ff
	v_xor_b32_e32 v33, s1, v36
	ds_load_b32 v101, v103 offset:16
	v_and_b32_e32 v34, v34, v35
	; wave barrier
	s_delay_alu instid0(VALU_DEP_1) | instskip(NEXT) | instid1(VALU_DEP_1)
	v_and_b32_e32 v33, v34, v33
	v_mbcnt_lo_u32_b32 v102, v33, 0
	v_cmp_ne_u32_e64 s1, 0, v33
	s_delay_alu instid0(VALU_DEP_2)
	v_cmp_eq_u32_e32 vcc_lo, 0, v102
	s_and_b32 s10, s1, vcc_lo
	s_wait_alu 0xfffe
	s_and_saveexec_b32 s1, s10
	s_cbranch_execz .LBB172_44
; %bb.43:
	s_wait_dscnt 0x0
	v_bcnt_u32_b32 v33, v33, v101
	ds_store_b32 v103, v33 offset:16
.LBB172_44:
	s_wait_alu 0xfffe
	s_or_b32 exec_lo, exec_lo, s1
	v_and_b32_e32 v33, 0xffff, v83
	; wave barrier
	s_delay_alu instid0(VALU_DEP_1) | instskip(NEXT) | instid1(VALU_DEP_1)
	v_and_b32_e32 v33, s9, v33
	v_and_b32_e32 v34, 1, v33
	v_lshlrev_b32_e32 v35, 30, v33
	v_lshlrev_b32_e32 v36, 29, v33
	;; [unrolled: 1-line block ×4, first 2 shown]
	v_add_co_u32 v34, s1, v34, -1
	s_wait_alu 0xf1ff
	v_cndmask_b32_e64 v38, 0, 1, s1
	v_not_b32_e32 v87, v35
	v_cmp_gt_i32_e64 s1, 0, v35
	v_not_b32_e32 v35, v36
	v_lshlrev_b32_e32 v40, 26, v33
	v_cmp_ne_u32_e32 vcc_lo, 0, v38
	v_ashrrev_i32_e32 v87, 31, v87
	v_lshlrev_b32_e32 v86, 25, v33
	v_ashrrev_i32_e32 v35, 31, v35
	v_lshlrev_b32_e32 v38, 24, v33
	s_wait_alu 0xfffd
	v_xor_b32_e32 v34, vcc_lo, v34
	v_cmp_gt_i32_e32 vcc_lo, 0, v36
	v_not_b32_e32 v36, v37
	s_wait_alu 0xf1ff
	v_xor_b32_e32 v87, s1, v87
	v_cmp_gt_i32_e64 s1, 0, v37
	v_and_b32_e32 v34, exec_lo, v34
	v_not_b32_e32 v37, v39
	v_ashrrev_i32_e32 v36, 31, v36
	s_wait_alu 0xfffd
	v_xor_b32_e32 v35, vcc_lo, v35
	v_cmp_gt_i32_e32 vcc_lo, 0, v39
	v_and_b32_e32 v34, v34, v87
	v_not_b32_e32 v39, v40
	v_ashrrev_i32_e32 v37, 31, v37
	s_wait_alu 0xf1ff
	v_xor_b32_e32 v36, s1, v36
	v_cmp_gt_i32_e64 s1, 0, v40
	v_and_b32_e32 v34, v34, v35
	v_not_b32_e32 v35, v86
	v_ashrrev_i32_e32 v39, 31, v39
	s_wait_alu 0xfffd
	v_xor_b32_e32 v37, vcc_lo, v37
	v_cmp_gt_i32_e32 vcc_lo, 0, v86
	v_and_b32_e32 v34, v34, v36
	v_not_b32_e32 v36, v38
	v_ashrrev_i32_e32 v35, 31, v35
	s_wait_alu 0xf1ff
	v_xor_b32_e32 v39, s1, v39
	v_lshlrev_b32_e32 v33, 4, v33
	v_and_b32_e32 v34, v34, v37
	v_cmp_gt_i32_e64 s1, 0, v38
	v_ashrrev_i32_e32 v36, 31, v36
	s_wait_alu 0xfffd
	v_xor_b32_e32 v35, vcc_lo, v35
	v_add_nc_u32_e32 v106, v0, v33
	v_and_b32_e32 v34, v34, v39
	s_wait_alu 0xf1ff
	v_xor_b32_e32 v33, s1, v36
	ds_load_b32 v104, v106 offset:16
	v_and_b32_e32 v34, v34, v35
	; wave barrier
	s_delay_alu instid0(VALU_DEP_1) | instskip(NEXT) | instid1(VALU_DEP_1)
	v_and_b32_e32 v33, v34, v33
	v_mbcnt_lo_u32_b32 v105, v33, 0
	v_cmp_ne_u32_e64 s1, 0, v33
	s_delay_alu instid0(VALU_DEP_2)
	v_cmp_eq_u32_e32 vcc_lo, 0, v105
	s_and_b32 s10, s1, vcc_lo
	s_wait_alu 0xfffe
	s_and_saveexec_b32 s1, s10
	s_cbranch_execz .LBB172_46
; %bb.45:
	s_wait_dscnt 0x0
	v_bcnt_u32_b32 v33, v33, v104
	ds_store_b32 v106, v33 offset:16
.LBB172_46:
	s_wait_alu 0xfffe
	s_or_b32 exec_lo, exec_lo, s1
	v_and_b32_e32 v33, 0xffff, v84
	; wave barrier
	s_delay_alu instid0(VALU_DEP_1) | instskip(NEXT) | instid1(VALU_DEP_1)
	v_and_b32_e32 v33, s9, v33
	v_and_b32_e32 v34, 1, v33
	v_lshlrev_b32_e32 v35, 30, v33
	v_lshlrev_b32_e32 v36, 29, v33
	;; [unrolled: 1-line block ×4, first 2 shown]
	v_add_co_u32 v34, s1, v34, -1
	s_wait_alu 0xf1ff
	v_cndmask_b32_e64 v38, 0, 1, s1
	v_not_b32_e32 v87, v35
	v_cmp_gt_i32_e64 s1, 0, v35
	v_not_b32_e32 v35, v36
	v_lshlrev_b32_e32 v40, 26, v33
	v_cmp_ne_u32_e32 vcc_lo, 0, v38
	v_ashrrev_i32_e32 v87, 31, v87
	v_lshlrev_b32_e32 v86, 25, v33
	v_ashrrev_i32_e32 v35, 31, v35
	v_lshlrev_b32_e32 v38, 24, v33
	s_wait_alu 0xfffd
	v_xor_b32_e32 v34, vcc_lo, v34
	v_cmp_gt_i32_e32 vcc_lo, 0, v36
	v_not_b32_e32 v36, v37
	s_wait_alu 0xf1ff
	v_xor_b32_e32 v87, s1, v87
	v_cmp_gt_i32_e64 s1, 0, v37
	v_and_b32_e32 v34, exec_lo, v34
	v_not_b32_e32 v37, v39
	v_ashrrev_i32_e32 v36, 31, v36
	s_wait_alu 0xfffd
	v_xor_b32_e32 v35, vcc_lo, v35
	v_cmp_gt_i32_e32 vcc_lo, 0, v39
	v_and_b32_e32 v34, v34, v87
	v_not_b32_e32 v39, v40
	v_ashrrev_i32_e32 v37, 31, v37
	s_wait_alu 0xf1ff
	v_xor_b32_e32 v36, s1, v36
	v_cmp_gt_i32_e64 s1, 0, v40
	v_and_b32_e32 v34, v34, v35
	v_not_b32_e32 v35, v86
	v_ashrrev_i32_e32 v39, 31, v39
	s_wait_alu 0xfffd
	v_xor_b32_e32 v37, vcc_lo, v37
	v_cmp_gt_i32_e32 vcc_lo, 0, v86
	v_and_b32_e32 v34, v34, v36
	v_not_b32_e32 v36, v38
	v_ashrrev_i32_e32 v35, 31, v35
	s_wait_alu 0xf1ff
	v_xor_b32_e32 v39, s1, v39
	v_lshlrev_b32_e32 v33, 4, v33
	v_and_b32_e32 v34, v34, v37
	v_cmp_gt_i32_e64 s1, 0, v38
	v_ashrrev_i32_e32 v36, 31, v36
	s_wait_alu 0xfffd
	v_xor_b32_e32 v35, vcc_lo, v35
	v_add_nc_u32_e32 v109, v0, v33
	v_and_b32_e32 v34, v34, v39
	s_wait_alu 0xf1ff
	v_xor_b32_e32 v33, s1, v36
	ds_load_b32 v107, v109 offset:16
	v_and_b32_e32 v34, v34, v35
	; wave barrier
	s_delay_alu instid0(VALU_DEP_1) | instskip(NEXT) | instid1(VALU_DEP_1)
	v_and_b32_e32 v33, v34, v33
	v_mbcnt_lo_u32_b32 v108, v33, 0
	v_cmp_ne_u32_e64 s1, 0, v33
	s_delay_alu instid0(VALU_DEP_2)
	v_cmp_eq_u32_e32 vcc_lo, 0, v108
	s_and_b32 s10, s1, vcc_lo
	s_wait_alu 0xfffe
	s_and_saveexec_b32 s1, s10
	s_cbranch_execz .LBB172_48
; %bb.47:
	s_wait_dscnt 0x0
	v_bcnt_u32_b32 v33, v33, v107
	ds_store_b32 v109, v33 offset:16
.LBB172_48:
	s_wait_alu 0xfffe
	s_or_b32 exec_lo, exec_lo, s1
	v_and_b32_e32 v33, 0xffff, v85
	; wave barrier
	s_delay_alu instid0(VALU_DEP_1) | instskip(NEXT) | instid1(VALU_DEP_1)
	v_and_b32_e32 v33, s9, v33
	v_and_b32_e32 v34, 1, v33
	v_lshlrev_b32_e32 v35, 30, v33
	v_lshlrev_b32_e32 v36, 29, v33
	;; [unrolled: 1-line block ×4, first 2 shown]
	v_add_co_u32 v34, s1, v34, -1
	s_wait_alu 0xf1ff
	v_cndmask_b32_e64 v38, 0, 1, s1
	v_not_b32_e32 v87, v35
	v_cmp_gt_i32_e64 s1, 0, v35
	v_not_b32_e32 v35, v36
	v_lshlrev_b32_e32 v40, 26, v33
	v_cmp_ne_u32_e32 vcc_lo, 0, v38
	v_ashrrev_i32_e32 v87, 31, v87
	v_lshlrev_b32_e32 v86, 25, v33
	v_ashrrev_i32_e32 v35, 31, v35
	v_lshlrev_b32_e32 v38, 24, v33
	s_wait_alu 0xfffd
	v_xor_b32_e32 v34, vcc_lo, v34
	v_cmp_gt_i32_e32 vcc_lo, 0, v36
	v_not_b32_e32 v36, v37
	s_wait_alu 0xf1ff
	v_xor_b32_e32 v87, s1, v87
	v_cmp_gt_i32_e64 s1, 0, v37
	v_and_b32_e32 v34, exec_lo, v34
	v_not_b32_e32 v37, v39
	v_ashrrev_i32_e32 v36, 31, v36
	s_wait_alu 0xfffd
	v_xor_b32_e32 v35, vcc_lo, v35
	v_cmp_gt_i32_e32 vcc_lo, 0, v39
	v_and_b32_e32 v34, v34, v87
	v_not_b32_e32 v39, v40
	v_ashrrev_i32_e32 v37, 31, v37
	s_wait_alu 0xf1ff
	v_xor_b32_e32 v36, s1, v36
	v_cmp_gt_i32_e64 s1, 0, v40
	v_and_b32_e32 v34, v34, v35
	v_not_b32_e32 v35, v86
	v_ashrrev_i32_e32 v39, 31, v39
	s_wait_alu 0xfffd
	v_xor_b32_e32 v37, vcc_lo, v37
	v_cmp_gt_i32_e32 vcc_lo, 0, v86
	v_and_b32_e32 v34, v34, v36
	v_not_b32_e32 v36, v38
	v_ashrrev_i32_e32 v35, 31, v35
	s_wait_alu 0xf1ff
	v_xor_b32_e32 v39, s1, v39
	v_lshlrev_b32_e32 v33, 4, v33
	v_and_b32_e32 v34, v34, v37
	v_cmp_gt_i32_e64 s1, 0, v38
	v_ashrrev_i32_e32 v36, 31, v36
	s_wait_alu 0xfffd
	v_xor_b32_e32 v35, vcc_lo, v35
	v_add_nc_u32_e32 v112, v0, v33
	v_and_b32_e32 v34, v34, v39
	v_min_u32_e32 v86, 0x60, v72
	s_wait_alu 0xf1ff
	v_xor_b32_e32 v33, s1, v36
	ds_load_b32 v110, v112 offset:16
	v_and_b32_e32 v34, v34, v35
	; wave barrier
	s_delay_alu instid0(VALU_DEP_1) | instskip(NEXT) | instid1(VALU_DEP_1)
	v_and_b32_e32 v33, v34, v33
	v_mbcnt_lo_u32_b32 v111, v33, 0
	v_cmp_ne_u32_e64 s1, 0, v33
	s_delay_alu instid0(VALU_DEP_2)
	v_cmp_eq_u32_e32 vcc_lo, 0, v111
	s_and_b32 s9, s1, vcc_lo
	s_wait_alu 0xfffe
	s_and_saveexec_b32 s1, s9
	s_cbranch_execz .LBB172_50
; %bb.49:
	s_wait_dscnt 0x0
	v_bcnt_u32_b32 v33, v33, v110
	ds_store_b32 v112, v33 offset:16
.LBB172_50:
	s_wait_alu 0xfffe
	s_or_b32 exec_lo, exec_lo, s1
	; wave barrier
	s_wait_loadcnt_dscnt 0x0
	s_barrier_signal -1
	s_barrier_wait -1
	global_inv scope:SCOPE_SE
	ds_load_b128 v[37:40], v67 offset:16
	ds_load_b128 v[33:36], v67 offset:32
	v_and_b32_e32 v89, 16, v70
	v_or_b32_e32 v86, 31, v86
	s_delay_alu instid0(VALU_DEP_2) | instskip(NEXT) | instid1(VALU_DEP_2)
	v_cmp_eq_u32_e64 s16, 0, v89
	v_cmp_eq_u32_e64 s14, v46, v86
	v_lshlrev_b32_e32 v86, 2, v69
	s_wait_dscnt 0x1
	v_add_nc_u32_e32 v87, v38, v37
	s_delay_alu instid0(VALU_DEP_1) | instskip(SKIP_1) | instid1(VALU_DEP_1)
	v_add3_u32 v87, v87, v39, v40
	s_wait_dscnt 0x0
	v_add3_u32 v87, v87, v33, v34
	s_delay_alu instid0(VALU_DEP_1) | instskip(SKIP_1) | instid1(VALU_DEP_2)
	v_add3_u32 v36, v87, v35, v36
	v_and_b32_e32 v87, 15, v70
	v_mov_b32_dpp v88, v36 row_shr:1 row_mask:0xf bank_mask:0xf
	s_delay_alu instid0(VALU_DEP_2)
	v_cmp_eq_u32_e64 s1, 0, v87
	v_cmp_lt_u32_e64 s10, 1, v87
	v_cmp_lt_u32_e64 s11, 3, v87
	;; [unrolled: 1-line block ×3, first 2 shown]
	s_wait_alu 0xf1ff
	v_cndmask_b32_e64 v88, v88, 0, s1
	s_delay_alu instid0(VALU_DEP_1) | instskip(NEXT) | instid1(VALU_DEP_1)
	v_add_nc_u32_e32 v36, v88, v36
	v_mov_b32_dpp v88, v36 row_shr:2 row_mask:0xf bank_mask:0xf
	s_delay_alu instid0(VALU_DEP_1) | instskip(NEXT) | instid1(VALU_DEP_1)
	v_cndmask_b32_e64 v88, 0, v88, s10
	v_add_nc_u32_e32 v36, v36, v88
	s_delay_alu instid0(VALU_DEP_1) | instskip(NEXT) | instid1(VALU_DEP_1)
	v_mov_b32_dpp v88, v36 row_shr:4 row_mask:0xf bank_mask:0xf
	v_cndmask_b32_e64 v88, 0, v88, s11
	s_delay_alu instid0(VALU_DEP_1) | instskip(NEXT) | instid1(VALU_DEP_1)
	v_add_nc_u32_e32 v36, v36, v88
	v_mov_b32_dpp v88, v36 row_shr:8 row_mask:0xf bank_mask:0xf
	s_delay_alu instid0(VALU_DEP_1) | instskip(SKIP_1) | instid1(VALU_DEP_2)
	v_cndmask_b32_e64 v87, 0, v88, s13
	v_bfe_i32 v88, v70, 4, 1
	v_add_nc_u32_e32 v87, v36, v87
	ds_swizzle_b32 v36, v87 offset:swizzle(BROADCAST,32,15)
	s_wait_dscnt 0x0
	v_and_b32_e32 v88, v88, v36
	v_mul_i32_i24_e32 v36, 0xffffffe4, v46
	s_delay_alu instid0(VALU_DEP_2)
	v_add_nc_u32_e32 v89, v87, v88
	s_and_saveexec_b32 s9, s14
; %bb.51:
	ds_store_b32 v86, v89
; %bb.52:
	s_wait_alu 0xfffe
	s_or_b32 exec_lo, exec_lo, s9
	v_and_b32_e32 v87, 3, v70
	v_cmp_gt_u32_e64 s15, 4, v46
	s_wait_loadcnt_dscnt 0x0
	s_barrier_signal -1
	s_barrier_wait -1
	v_cmp_eq_u32_e64 s12, 0, v87
	v_cmp_lt_u32_e64 s9, 1, v87
	v_add_nc_u32_e32 v87, v67, v36
	global_inv scope:SCOPE_SE
	s_and_saveexec_b32 s17, s15
	s_cbranch_execz .LBB172_54
; %bb.53:
	ds_load_b32 v36, v87
	s_wait_dscnt 0x0
	v_mov_b32_dpp v88, v36 row_shr:1 row_mask:0xf bank_mask:0xf
	s_delay_alu instid0(VALU_DEP_1) | instskip(NEXT) | instid1(VALU_DEP_1)
	v_cndmask_b32_e64 v88, v88, 0, s12
	v_add_nc_u32_e32 v36, v88, v36
	s_delay_alu instid0(VALU_DEP_1) | instskip(NEXT) | instid1(VALU_DEP_1)
	v_mov_b32_dpp v88, v36 row_shr:2 row_mask:0xf bank_mask:0xf
	v_cndmask_b32_e64 v88, 0, v88, s9
	s_delay_alu instid0(VALU_DEP_1)
	v_add_nc_u32_e32 v36, v36, v88
	ds_store_b32 v87, v36
.LBB172_54:
	s_or_b32 exec_lo, exec_lo, s17
	v_sub_co_u32 v113, vcc_lo, v70, 1
	v_mul_u32_u24_e32 v36, 6, v71
	v_cmp_lt_u32_e64 s17, 31, v46
	v_add_nc_u32_e32 v88, -4, v86
	v_mov_b32_e32 v114, 0
	s_wait_loadcnt_dscnt 0x0
	s_barrier_signal -1
	s_barrier_wait -1
	global_inv scope:SCOPE_SE
	s_and_saveexec_b32 s18, s17
; %bb.55:
	ds_load_b32 v114, v88
; %bb.56:
	s_or_b32 exec_lo, exec_lo, s18
	v_cmp_gt_i32_e64 s18, 0, v113
	s_mov_b32 s24, 0
	s_min_u32 s19, s19, 8
	s_mov_b32 s25, s24
	s_mov_b32 s26, s24
	v_cndmask_b32_e64 v113, v113, v70, s18
	s_mov_b32 s27, s24
	s_wait_dscnt 0x0
	v_add_nc_u32_e32 v115, v114, v89
	v_cmp_eq_u32_e64 s18, 0, v46
	s_lshl_b32 s19, -1, s19
	v_lshlrev_b32_e32 v89, 2, v113
	s_wait_alu 0xfffe
	s_not_b32 s21, s19
	ds_bpermute_b32 v113, v89, v115
	s_wait_dscnt 0x0
	s_wait_alu 0xfffd
	v_cndmask_b32_e32 v113, v113, v114, vcc_lo
	s_delay_alu instid0(VALU_DEP_1) | instskip(NEXT) | instid1(VALU_DEP_1)
	v_cndmask_b32_e64 v113, v113, 0, s18
	v_add_nc_u32_e32 v114, v113, v37
	s_delay_alu instid0(VALU_DEP_1) | instskip(NEXT) | instid1(VALU_DEP_1)
	v_add_nc_u32_e32 v115, v114, v38
	v_add_nc_u32_e32 v116, v115, v39
	s_delay_alu instid0(VALU_DEP_1) | instskip(NEXT) | instid1(VALU_DEP_1)
	v_add_nc_u32_e32 v37, v116, v40
	;; [unrolled: 3-line block ×3, first 2 shown]
	v_add_nc_u32_e32 v40, v39, v35
	ds_store_b128 v67, v[113:116] offset:16
	ds_store_b128 v67, v[37:40] offset:32
	s_wait_loadcnt_dscnt 0x0
	s_barrier_signal -1
	s_barrier_wait -1
	global_inv scope:SCOPE_SE
	ds_load_b32 v33, v91 offset:16
	ds_load_b32 v34, v94 offset:16
	;; [unrolled: 1-line block ×8, first 2 shown]
	v_add_nc_u32_e32 v94, v68, v36
	s_wait_loadcnt_dscnt 0x0
	s_barrier_signal -1
	s_barrier_wait -1
	global_inv scope:SCOPE_SE
	v_add_nc_u32_e32 v90, v33, v90
	v_add3_u32 v92, v93, v92, v34
	v_add3_u32 v93, v96, v95, v35
	;; [unrolled: 1-line block ×7, first 2 shown]
	v_lshlrev_b32_e32 v33, 1, v90
	v_lshlrev_b32_e32 v34, 1, v92
	;; [unrolled: 1-line block ×8, first 2 shown]
	ds_store_b16 v33, v78
	ds_store_b16 v34, v79
	;; [unrolled: 1-line block ×8, first 2 shown]
	s_wait_loadcnt_dscnt 0x0
	s_barrier_signal -1
	s_barrier_wait -1
	global_inv scope:SCOPE_SE
	ds_load_u16 v78, v68
	ds_load_u16 v79, v68 offset:64
	ds_load_u16 v80, v68 offset:128
	;; [unrolled: 1-line block ×7, first 2 shown]
	v_mad_co_u64_u32 v[90:91], null, v90, 6, v[33:34]
	v_mad_co_u64_u32 v[33:34], null, v92, 6, v[34:35]
	;; [unrolled: 1-line block ×3, first 2 shown]
	s_wait_loadcnt_dscnt 0x0
	s_barrier_signal -1
	s_barrier_wait -1
	global_inv scope:SCOPE_SE
	v_mad_co_u64_u32 v[35:36], null, v95, 6, v[36:37]
	v_lshrrev_b16 v91, 8, v78
	ds_store_b64 v90, v[21:22]
	v_mad_co_u64_u32 v[36:37], null, v96, 6, v[37:38]
	v_mad_co_u64_u32 v[37:38], null, v97, 6, v[38:39]
	v_and_b32_e32 v21, 0xffff, v91
	v_mad_co_u64_u32 v[38:39], null, v98, 6, v[39:40]
	v_mad_co_u64_u32 v[39:40], null, v99, 6, v[40:41]
	s_wait_alu 0xfffe
	s_delay_alu instid0(VALU_DEP_3)
	v_and_b32_e32 v40, s21, v21
	ds_store_b64 v33, v[23:24]
	ds_store_b64 v34, v[17:18]
	;; [unrolled: 1-line block ×7, first 2 shown]
	v_and_b32_e32 v17, 1, v40
	v_lshlrev_b32_e32 v18, 30, v40
	v_lshlrev_b32_e32 v19, 29, v40
	;; [unrolled: 1-line block ×4, first 2 shown]
	v_add_co_u32 v17, s19, v17, -1
	s_wait_alu 0xf1ff
	v_cndmask_b32_e64 v21, 0, 1, s19
	v_not_b32_e32 v25, v18
	v_cmp_gt_i32_e64 s20, 0, v18
	v_not_b32_e32 v18, v19
	v_lshlrev_b32_e32 v23, 26, v40
	v_cmp_ne_u32_e64 s19, 0, v21
	v_ashrrev_i32_e32 v25, 31, v25
	v_lshlrev_b32_e32 v24, 25, v40
	v_ashrrev_i32_e32 v18, 31, v18
	v_lshlrev_b32_e32 v21, 24, v40
	s_wait_alu 0xf1ff
	v_xor_b32_e32 v17, s19, v17
	v_cmp_gt_i32_e64 s19, 0, v19
	v_not_b32_e32 v19, v20
	v_xor_b32_e32 v25, s20, v25
	v_cmp_gt_i32_e64 s20, 0, v20
	v_and_b32_e32 v17, exec_lo, v17
	v_not_b32_e32 v20, v22
	v_ashrrev_i32_e32 v19, 31, v19
	s_wait_alu 0xf1ff
	v_xor_b32_e32 v18, s19, v18
	v_cmp_gt_i32_e64 s19, 0, v22
	v_and_b32_e32 v17, v17, v25
	v_not_b32_e32 v22, v23
	v_ashrrev_i32_e32 v20, 31, v20
	v_xor_b32_e32 v19, s20, v19
	v_cmp_gt_i32_e64 s20, 0, v23
	v_and_b32_e32 v17, v17, v18
	v_not_b32_e32 v18, v24
	v_ashrrev_i32_e32 v22, 31, v22
	s_wait_alu 0xf1ff
	v_xor_b32_e32 v20, s19, v20
	v_cmp_gt_i32_e64 s19, 0, v24
	v_and_b32_e32 v17, v17, v19
	v_not_b32_e32 v19, v21
	v_ashrrev_i32_e32 v18, 31, v18
	v_xor_b32_e32 v22, s20, v22
	v_cmp_gt_i32_e64 s20, 0, v21
	v_and_b32_e32 v17, v17, v20
	v_ashrrev_i32_e32 v19, 31, v19
	s_wait_alu 0xf1ff
	v_xor_b32_e32 v18, s19, v18
	s_wait_loadcnt_dscnt 0x0
	s_barrier_signal -1
	v_and_b32_e32 v17, v17, v22
	v_xor_b32_e32 v33, s20, v19
	s_barrier_wait -1
	global_inv scope:SCOPE_SE
	ds_load_2addr_b64 v[21:24], v94 offset1:32
	v_and_b32_e32 v38, v17, v18
	ds_load_2addr_b64 v[29:32], v94 offset0:64 offset1:96
	ds_load_2addr_b64 v[25:28], v94 offset0:128 offset1:160
	;; [unrolled: 1-line block ×3, first 2 shown]
	v_dual_mov_b32 v37, s27 :: v_dual_mov_b32 v36, s26
	v_mov_b32_e32 v35, s25
	v_dual_mov_b32 v34, s24 :: v_dual_and_b32 v33, v38, v33
	v_lshl_add_u32 v91, v40, 4, v0
	s_wait_loadcnt_dscnt 0x0
	s_barrier_signal -1
	s_delay_alu instid0(VALU_DEP_2)
	v_mbcnt_lo_u32_b32 v90, v33, 0
	v_cmp_ne_u32_e64 s20, 0, v33
	s_barrier_wait -1
	global_inv scope:SCOPE_SE
	ds_store_b128 v67, v[34:37] offset:16
	ds_store_b128 v67, v[34:37] offset:32
	v_cmp_eq_u32_e64 s19, 0, v90
	s_wait_loadcnt_dscnt 0x0
	s_barrier_signal -1
	s_barrier_wait -1
	global_inv scope:SCOPE_SE
	s_and_b32 s20, s20, s19
	; wave barrier
	s_wait_alu 0xfffe
	s_and_saveexec_b32 s19, s20
; %bb.57:
	v_bcnt_u32_b32 v33, v33, 0
	ds_store_b32 v91, v33 offset:16
; %bb.58:
	s_wait_alu 0xfffe
	s_or_b32 exec_lo, exec_lo, s19
	v_lshrrev_b16 v33, 8, v79
	; wave barrier
	s_delay_alu instid0(VALU_DEP_1) | instskip(NEXT) | instid1(VALU_DEP_1)
	v_and_b32_e32 v33, s21, v33
	v_and_b32_e32 v34, 1, v33
	v_lshlrev_b32_e32 v35, 30, v33
	v_lshlrev_b32_e32 v36, 29, v33
	;; [unrolled: 1-line block ×4, first 2 shown]
	v_add_co_u32 v34, s19, v34, -1
	s_wait_alu 0xf1ff
	v_cndmask_b32_e64 v38, 0, 1, s19
	v_not_b32_e32 v93, v35
	v_cmp_gt_i32_e64 s20, 0, v35
	v_not_b32_e32 v35, v36
	v_lshlrev_b32_e32 v40, 26, v33
	v_cmp_ne_u32_e64 s19, 0, v38
	v_ashrrev_i32_e32 v93, 31, v93
	v_lshlrev_b32_e32 v92, 25, v33
	v_ashrrev_i32_e32 v35, 31, v35
	v_lshlrev_b32_e32 v38, 24, v33
	s_wait_alu 0xf1ff
	v_xor_b32_e32 v34, s19, v34
	v_cmp_gt_i32_e64 s19, 0, v36
	v_not_b32_e32 v36, v37
	v_xor_b32_e32 v93, s20, v93
	v_cmp_gt_i32_e64 s20, 0, v37
	v_and_b32_e32 v34, exec_lo, v34
	v_not_b32_e32 v37, v39
	v_ashrrev_i32_e32 v36, 31, v36
	s_wait_alu 0xf1ff
	v_xor_b32_e32 v35, s19, v35
	v_cmp_gt_i32_e64 s19, 0, v39
	v_and_b32_e32 v34, v34, v93
	v_not_b32_e32 v39, v40
	v_ashrrev_i32_e32 v37, 31, v37
	v_xor_b32_e32 v36, s20, v36
	v_cmp_gt_i32_e64 s20, 0, v40
	v_and_b32_e32 v34, v34, v35
	v_not_b32_e32 v35, v92
	v_ashrrev_i32_e32 v39, 31, v39
	s_wait_alu 0xf1ff
	v_xor_b32_e32 v37, s19, v37
	v_cmp_gt_i32_e64 s19, 0, v92
	v_and_b32_e32 v34, v34, v36
	v_not_b32_e32 v36, v38
	v_ashrrev_i32_e32 v35, 31, v35
	v_xor_b32_e32 v39, s20, v39
	v_cmp_gt_i32_e64 s20, 0, v38
	v_and_b32_e32 v34, v34, v37
	v_ashrrev_i32_e32 v36, 31, v36
	s_wait_alu 0xf1ff
	v_xor_b32_e32 v35, s19, v35
	v_lshl_add_u32 v94, v33, 4, v0
	v_and_b32_e32 v34, v34, v39
	v_xor_b32_e32 v33, s20, v36
	ds_load_b32 v92, v94 offset:16
	v_and_b32_e32 v34, v34, v35
	; wave barrier
	s_delay_alu instid0(VALU_DEP_1) | instskip(NEXT) | instid1(VALU_DEP_1)
	v_and_b32_e32 v33, v34, v33
	v_mbcnt_lo_u32_b32 v93, v33, 0
	v_cmp_ne_u32_e64 s20, 0, v33
	s_delay_alu instid0(VALU_DEP_2)
	v_cmp_eq_u32_e64 s19, 0, v93
	s_and_b32 s20, s20, s19
	s_wait_alu 0xfffe
	s_and_saveexec_b32 s19, s20
	s_cbranch_execz .LBB172_60
; %bb.59:
	s_wait_dscnt 0x0
	v_bcnt_u32_b32 v33, v33, v92
	ds_store_b32 v94, v33 offset:16
.LBB172_60:
	s_wait_alu 0xfffe
	s_or_b32 exec_lo, exec_lo, s19
	v_lshrrev_b16 v33, 8, v80
	; wave barrier
	s_delay_alu instid0(VALU_DEP_1) | instskip(NEXT) | instid1(VALU_DEP_1)
	v_and_b32_e32 v33, s21, v33
	v_and_b32_e32 v34, 1, v33
	v_lshlrev_b32_e32 v35, 30, v33
	v_lshlrev_b32_e32 v36, 29, v33
	v_lshlrev_b32_e32 v37, 28, v33
	v_lshlrev_b32_e32 v39, 27, v33
	v_add_co_u32 v34, s19, v34, -1
	s_wait_alu 0xf1ff
	v_cndmask_b32_e64 v38, 0, 1, s19
	v_not_b32_e32 v96, v35
	v_cmp_gt_i32_e64 s20, 0, v35
	v_not_b32_e32 v35, v36
	v_lshlrev_b32_e32 v40, 26, v33
	v_cmp_ne_u32_e64 s19, 0, v38
	v_ashrrev_i32_e32 v96, 31, v96
	v_lshlrev_b32_e32 v95, 25, v33
	v_ashrrev_i32_e32 v35, 31, v35
	v_lshlrev_b32_e32 v38, 24, v33
	s_wait_alu 0xf1ff
	v_xor_b32_e32 v34, s19, v34
	v_cmp_gt_i32_e64 s19, 0, v36
	v_not_b32_e32 v36, v37
	v_xor_b32_e32 v96, s20, v96
	v_cmp_gt_i32_e64 s20, 0, v37
	v_and_b32_e32 v34, exec_lo, v34
	v_not_b32_e32 v37, v39
	v_ashrrev_i32_e32 v36, 31, v36
	s_wait_alu 0xf1ff
	v_xor_b32_e32 v35, s19, v35
	v_cmp_gt_i32_e64 s19, 0, v39
	v_and_b32_e32 v34, v34, v96
	v_not_b32_e32 v39, v40
	v_ashrrev_i32_e32 v37, 31, v37
	v_xor_b32_e32 v36, s20, v36
	v_cmp_gt_i32_e64 s20, 0, v40
	v_and_b32_e32 v34, v34, v35
	v_not_b32_e32 v35, v95
	v_ashrrev_i32_e32 v39, 31, v39
	s_wait_alu 0xf1ff
	v_xor_b32_e32 v37, s19, v37
	v_cmp_gt_i32_e64 s19, 0, v95
	v_and_b32_e32 v34, v34, v36
	v_not_b32_e32 v36, v38
	v_ashrrev_i32_e32 v35, 31, v35
	v_xor_b32_e32 v39, s20, v39
	v_cmp_gt_i32_e64 s20, 0, v38
	v_and_b32_e32 v34, v34, v37
	v_ashrrev_i32_e32 v36, 31, v36
	s_wait_alu 0xf1ff
	v_xor_b32_e32 v35, s19, v35
	v_lshl_add_u32 v97, v33, 4, v0
	v_and_b32_e32 v34, v34, v39
	v_xor_b32_e32 v33, s20, v36
	ds_load_b32 v95, v97 offset:16
	v_and_b32_e32 v34, v34, v35
	; wave barrier
	s_delay_alu instid0(VALU_DEP_1) | instskip(NEXT) | instid1(VALU_DEP_1)
	v_and_b32_e32 v33, v34, v33
	v_mbcnt_lo_u32_b32 v96, v33, 0
	v_cmp_ne_u32_e64 s20, 0, v33
	s_delay_alu instid0(VALU_DEP_2)
	v_cmp_eq_u32_e64 s19, 0, v96
	s_and_b32 s20, s20, s19
	s_wait_alu 0xfffe
	s_and_saveexec_b32 s19, s20
	s_cbranch_execz .LBB172_62
; %bb.61:
	s_wait_dscnt 0x0
	v_bcnt_u32_b32 v33, v33, v95
	ds_store_b32 v97, v33 offset:16
.LBB172_62:
	s_wait_alu 0xfffe
	s_or_b32 exec_lo, exec_lo, s19
	v_lshrrev_b16 v33, 8, v81
	; wave barrier
	s_delay_alu instid0(VALU_DEP_1) | instskip(NEXT) | instid1(VALU_DEP_1)
	v_and_b32_e32 v33, s21, v33
	v_and_b32_e32 v34, 1, v33
	v_lshlrev_b32_e32 v35, 30, v33
	v_lshlrev_b32_e32 v36, 29, v33
	;; [unrolled: 1-line block ×4, first 2 shown]
	v_add_co_u32 v34, s19, v34, -1
	s_wait_alu 0xf1ff
	v_cndmask_b32_e64 v38, 0, 1, s19
	v_not_b32_e32 v99, v35
	v_cmp_gt_i32_e64 s20, 0, v35
	v_not_b32_e32 v35, v36
	v_lshlrev_b32_e32 v40, 26, v33
	v_cmp_ne_u32_e64 s19, 0, v38
	v_ashrrev_i32_e32 v99, 31, v99
	v_lshlrev_b32_e32 v98, 25, v33
	v_ashrrev_i32_e32 v35, 31, v35
	v_lshlrev_b32_e32 v38, 24, v33
	s_wait_alu 0xf1ff
	v_xor_b32_e32 v34, s19, v34
	v_cmp_gt_i32_e64 s19, 0, v36
	v_not_b32_e32 v36, v37
	v_xor_b32_e32 v99, s20, v99
	v_cmp_gt_i32_e64 s20, 0, v37
	v_and_b32_e32 v34, exec_lo, v34
	v_not_b32_e32 v37, v39
	v_ashrrev_i32_e32 v36, 31, v36
	s_wait_alu 0xf1ff
	v_xor_b32_e32 v35, s19, v35
	v_cmp_gt_i32_e64 s19, 0, v39
	v_and_b32_e32 v34, v34, v99
	v_not_b32_e32 v39, v40
	v_ashrrev_i32_e32 v37, 31, v37
	v_xor_b32_e32 v36, s20, v36
	v_cmp_gt_i32_e64 s20, 0, v40
	v_and_b32_e32 v34, v34, v35
	v_not_b32_e32 v35, v98
	v_ashrrev_i32_e32 v39, 31, v39
	s_wait_alu 0xf1ff
	v_xor_b32_e32 v37, s19, v37
	v_cmp_gt_i32_e64 s19, 0, v98
	v_and_b32_e32 v34, v34, v36
	v_not_b32_e32 v36, v38
	v_ashrrev_i32_e32 v35, 31, v35
	v_xor_b32_e32 v39, s20, v39
	v_cmp_gt_i32_e64 s20, 0, v38
	v_and_b32_e32 v34, v34, v37
	v_ashrrev_i32_e32 v36, 31, v36
	s_wait_alu 0xf1ff
	v_xor_b32_e32 v35, s19, v35
	v_lshl_add_u32 v100, v33, 4, v0
	v_and_b32_e32 v34, v34, v39
	v_xor_b32_e32 v33, s20, v36
	ds_load_b32 v98, v100 offset:16
	v_and_b32_e32 v34, v34, v35
	; wave barrier
	s_delay_alu instid0(VALU_DEP_1) | instskip(NEXT) | instid1(VALU_DEP_1)
	v_and_b32_e32 v33, v34, v33
	v_mbcnt_lo_u32_b32 v99, v33, 0
	v_cmp_ne_u32_e64 s20, 0, v33
	s_delay_alu instid0(VALU_DEP_2)
	v_cmp_eq_u32_e64 s19, 0, v99
	s_and_b32 s20, s20, s19
	s_wait_alu 0xfffe
	s_and_saveexec_b32 s19, s20
	s_cbranch_execz .LBB172_64
; %bb.63:
	s_wait_dscnt 0x0
	v_bcnt_u32_b32 v33, v33, v98
	ds_store_b32 v100, v33 offset:16
.LBB172_64:
	s_wait_alu 0xfffe
	s_or_b32 exec_lo, exec_lo, s19
	v_lshrrev_b16 v33, 8, v82
	; wave barrier
	s_delay_alu instid0(VALU_DEP_1) | instskip(NEXT) | instid1(VALU_DEP_1)
	v_and_b32_e32 v33, s21, v33
	v_and_b32_e32 v34, 1, v33
	v_lshlrev_b32_e32 v35, 30, v33
	v_lshlrev_b32_e32 v36, 29, v33
	;; [unrolled: 1-line block ×4, first 2 shown]
	v_add_co_u32 v34, s19, v34, -1
	s_wait_alu 0xf1ff
	v_cndmask_b32_e64 v38, 0, 1, s19
	v_not_b32_e32 v102, v35
	v_cmp_gt_i32_e64 s20, 0, v35
	v_not_b32_e32 v35, v36
	v_lshlrev_b32_e32 v40, 26, v33
	v_cmp_ne_u32_e64 s19, 0, v38
	v_ashrrev_i32_e32 v102, 31, v102
	v_lshlrev_b32_e32 v101, 25, v33
	v_ashrrev_i32_e32 v35, 31, v35
	v_lshlrev_b32_e32 v38, 24, v33
	s_wait_alu 0xf1ff
	v_xor_b32_e32 v34, s19, v34
	v_cmp_gt_i32_e64 s19, 0, v36
	v_not_b32_e32 v36, v37
	v_xor_b32_e32 v102, s20, v102
	v_cmp_gt_i32_e64 s20, 0, v37
	v_and_b32_e32 v34, exec_lo, v34
	v_not_b32_e32 v37, v39
	v_ashrrev_i32_e32 v36, 31, v36
	s_wait_alu 0xf1ff
	v_xor_b32_e32 v35, s19, v35
	v_cmp_gt_i32_e64 s19, 0, v39
	v_and_b32_e32 v34, v34, v102
	v_not_b32_e32 v39, v40
	v_ashrrev_i32_e32 v37, 31, v37
	v_xor_b32_e32 v36, s20, v36
	v_cmp_gt_i32_e64 s20, 0, v40
	v_and_b32_e32 v34, v34, v35
	v_not_b32_e32 v35, v101
	v_ashrrev_i32_e32 v39, 31, v39
	s_wait_alu 0xf1ff
	v_xor_b32_e32 v37, s19, v37
	v_cmp_gt_i32_e64 s19, 0, v101
	v_and_b32_e32 v34, v34, v36
	v_not_b32_e32 v36, v38
	v_ashrrev_i32_e32 v35, 31, v35
	v_xor_b32_e32 v39, s20, v39
	v_cmp_gt_i32_e64 s20, 0, v38
	v_and_b32_e32 v34, v34, v37
	v_ashrrev_i32_e32 v36, 31, v36
	s_wait_alu 0xf1ff
	v_xor_b32_e32 v35, s19, v35
	v_lshl_add_u32 v103, v33, 4, v0
	v_and_b32_e32 v34, v34, v39
	v_xor_b32_e32 v33, s20, v36
	ds_load_b32 v101, v103 offset:16
	v_and_b32_e32 v34, v34, v35
	; wave barrier
	s_delay_alu instid0(VALU_DEP_1) | instskip(NEXT) | instid1(VALU_DEP_1)
	v_and_b32_e32 v33, v34, v33
	v_mbcnt_lo_u32_b32 v102, v33, 0
	v_cmp_ne_u32_e64 s20, 0, v33
	s_delay_alu instid0(VALU_DEP_2)
	v_cmp_eq_u32_e64 s19, 0, v102
	s_and_b32 s20, s20, s19
	s_wait_alu 0xfffe
	s_and_saveexec_b32 s19, s20
	s_cbranch_execz .LBB172_66
; %bb.65:
	s_wait_dscnt 0x0
	v_bcnt_u32_b32 v33, v33, v101
	ds_store_b32 v103, v33 offset:16
.LBB172_66:
	s_wait_alu 0xfffe
	s_or_b32 exec_lo, exec_lo, s19
	v_lshrrev_b16 v33, 8, v83
	; wave barrier
	s_delay_alu instid0(VALU_DEP_1) | instskip(NEXT) | instid1(VALU_DEP_1)
	v_and_b32_e32 v33, s21, v33
	v_and_b32_e32 v34, 1, v33
	v_lshlrev_b32_e32 v35, 30, v33
	v_lshlrev_b32_e32 v36, 29, v33
	;; [unrolled: 1-line block ×4, first 2 shown]
	v_add_co_u32 v34, s19, v34, -1
	s_wait_alu 0xf1ff
	v_cndmask_b32_e64 v38, 0, 1, s19
	v_not_b32_e32 v105, v35
	v_cmp_gt_i32_e64 s20, 0, v35
	v_not_b32_e32 v35, v36
	v_lshlrev_b32_e32 v40, 26, v33
	v_cmp_ne_u32_e64 s19, 0, v38
	v_ashrrev_i32_e32 v105, 31, v105
	v_lshlrev_b32_e32 v104, 25, v33
	v_ashrrev_i32_e32 v35, 31, v35
	v_lshlrev_b32_e32 v38, 24, v33
	s_wait_alu 0xf1ff
	v_xor_b32_e32 v34, s19, v34
	v_cmp_gt_i32_e64 s19, 0, v36
	v_not_b32_e32 v36, v37
	v_xor_b32_e32 v105, s20, v105
	v_cmp_gt_i32_e64 s20, 0, v37
	v_and_b32_e32 v34, exec_lo, v34
	v_not_b32_e32 v37, v39
	v_ashrrev_i32_e32 v36, 31, v36
	s_wait_alu 0xf1ff
	v_xor_b32_e32 v35, s19, v35
	v_cmp_gt_i32_e64 s19, 0, v39
	v_and_b32_e32 v34, v34, v105
	v_not_b32_e32 v39, v40
	v_ashrrev_i32_e32 v37, 31, v37
	v_xor_b32_e32 v36, s20, v36
	v_cmp_gt_i32_e64 s20, 0, v40
	v_and_b32_e32 v34, v34, v35
	v_not_b32_e32 v35, v104
	v_ashrrev_i32_e32 v39, 31, v39
	s_wait_alu 0xf1ff
	v_xor_b32_e32 v37, s19, v37
	v_cmp_gt_i32_e64 s19, 0, v104
	v_and_b32_e32 v34, v34, v36
	v_not_b32_e32 v36, v38
	v_ashrrev_i32_e32 v35, 31, v35
	v_xor_b32_e32 v39, s20, v39
	v_cmp_gt_i32_e64 s20, 0, v38
	v_and_b32_e32 v34, v34, v37
	v_ashrrev_i32_e32 v36, 31, v36
	s_wait_alu 0xf1ff
	v_xor_b32_e32 v35, s19, v35
	v_lshl_add_u32 v106, v33, 4, v0
	v_and_b32_e32 v34, v34, v39
	v_xor_b32_e32 v33, s20, v36
	ds_load_b32 v104, v106 offset:16
	v_and_b32_e32 v34, v34, v35
	; wave barrier
	s_delay_alu instid0(VALU_DEP_1) | instskip(NEXT) | instid1(VALU_DEP_1)
	v_and_b32_e32 v33, v34, v33
	v_mbcnt_lo_u32_b32 v105, v33, 0
	v_cmp_ne_u32_e64 s20, 0, v33
	s_delay_alu instid0(VALU_DEP_2)
	v_cmp_eq_u32_e64 s19, 0, v105
	s_and_b32 s20, s20, s19
	s_wait_alu 0xfffe
	s_and_saveexec_b32 s19, s20
	s_cbranch_execz .LBB172_68
; %bb.67:
	s_wait_dscnt 0x0
	v_bcnt_u32_b32 v33, v33, v104
	ds_store_b32 v106, v33 offset:16
.LBB172_68:
	s_wait_alu 0xfffe
	s_or_b32 exec_lo, exec_lo, s19
	v_lshrrev_b16 v33, 8, v84
	; wave barrier
	s_delay_alu instid0(VALU_DEP_1) | instskip(NEXT) | instid1(VALU_DEP_1)
	v_and_b32_e32 v33, s21, v33
	v_and_b32_e32 v34, 1, v33
	v_lshlrev_b32_e32 v35, 30, v33
	v_lshlrev_b32_e32 v36, 29, v33
	;; [unrolled: 1-line block ×4, first 2 shown]
	v_add_co_u32 v34, s19, v34, -1
	s_wait_alu 0xf1ff
	v_cndmask_b32_e64 v38, 0, 1, s19
	v_not_b32_e32 v108, v35
	v_cmp_gt_i32_e64 s20, 0, v35
	v_not_b32_e32 v35, v36
	v_lshlrev_b32_e32 v40, 26, v33
	v_cmp_ne_u32_e64 s19, 0, v38
	v_ashrrev_i32_e32 v108, 31, v108
	v_lshlrev_b32_e32 v107, 25, v33
	v_ashrrev_i32_e32 v35, 31, v35
	v_lshlrev_b32_e32 v38, 24, v33
	s_wait_alu 0xf1ff
	v_xor_b32_e32 v34, s19, v34
	v_cmp_gt_i32_e64 s19, 0, v36
	v_not_b32_e32 v36, v37
	v_xor_b32_e32 v108, s20, v108
	v_cmp_gt_i32_e64 s20, 0, v37
	v_and_b32_e32 v34, exec_lo, v34
	v_not_b32_e32 v37, v39
	v_ashrrev_i32_e32 v36, 31, v36
	s_wait_alu 0xf1ff
	v_xor_b32_e32 v35, s19, v35
	v_cmp_gt_i32_e64 s19, 0, v39
	v_and_b32_e32 v34, v34, v108
	v_not_b32_e32 v39, v40
	v_ashrrev_i32_e32 v37, 31, v37
	v_xor_b32_e32 v36, s20, v36
	v_cmp_gt_i32_e64 s20, 0, v40
	v_and_b32_e32 v34, v34, v35
	v_not_b32_e32 v35, v107
	v_ashrrev_i32_e32 v39, 31, v39
	s_wait_alu 0xf1ff
	v_xor_b32_e32 v37, s19, v37
	v_cmp_gt_i32_e64 s19, 0, v107
	v_and_b32_e32 v34, v34, v36
	v_not_b32_e32 v36, v38
	v_ashrrev_i32_e32 v35, 31, v35
	v_xor_b32_e32 v39, s20, v39
	v_cmp_gt_i32_e64 s20, 0, v38
	v_and_b32_e32 v34, v34, v37
	v_ashrrev_i32_e32 v36, 31, v36
	s_wait_alu 0xf1ff
	v_xor_b32_e32 v35, s19, v35
	v_lshl_add_u32 v109, v33, 4, v0
	v_and_b32_e32 v34, v34, v39
	v_xor_b32_e32 v33, s20, v36
	ds_load_b32 v107, v109 offset:16
	v_and_b32_e32 v34, v34, v35
	; wave barrier
	s_delay_alu instid0(VALU_DEP_1) | instskip(NEXT) | instid1(VALU_DEP_1)
	v_and_b32_e32 v33, v34, v33
	v_mbcnt_lo_u32_b32 v108, v33, 0
	v_cmp_ne_u32_e64 s20, 0, v33
	s_delay_alu instid0(VALU_DEP_2)
	v_cmp_eq_u32_e64 s19, 0, v108
	s_and_b32 s20, s20, s19
	s_wait_alu 0xfffe
	s_and_saveexec_b32 s19, s20
	s_cbranch_execz .LBB172_70
; %bb.69:
	s_wait_dscnt 0x0
	v_bcnt_u32_b32 v33, v33, v107
	ds_store_b32 v109, v33 offset:16
.LBB172_70:
	s_wait_alu 0xfffe
	s_or_b32 exec_lo, exec_lo, s19
	v_lshrrev_b16 v33, 8, v85
	; wave barrier
	s_delay_alu instid0(VALU_DEP_1) | instskip(NEXT) | instid1(VALU_DEP_1)
	v_and_b32_e32 v33, s21, v33
	v_and_b32_e32 v34, 1, v33
	v_lshlrev_b32_e32 v35, 30, v33
	v_lshlrev_b32_e32 v36, 29, v33
	;; [unrolled: 1-line block ×4, first 2 shown]
	v_add_co_u32 v34, s19, v34, -1
	s_wait_alu 0xf1ff
	v_cndmask_b32_e64 v38, 0, 1, s19
	v_not_b32_e32 v111, v35
	v_cmp_gt_i32_e64 s20, 0, v35
	v_not_b32_e32 v35, v36
	v_lshlrev_b32_e32 v40, 26, v33
	v_cmp_ne_u32_e64 s19, 0, v38
	v_ashrrev_i32_e32 v111, 31, v111
	v_lshlrev_b32_e32 v110, 25, v33
	v_ashrrev_i32_e32 v35, 31, v35
	v_lshlrev_b32_e32 v38, 24, v33
	s_wait_alu 0xf1ff
	v_xor_b32_e32 v34, s19, v34
	v_cmp_gt_i32_e64 s19, 0, v36
	v_not_b32_e32 v36, v37
	v_xor_b32_e32 v111, s20, v111
	v_cmp_gt_i32_e64 s20, 0, v37
	v_and_b32_e32 v34, exec_lo, v34
	v_not_b32_e32 v37, v39
	v_ashrrev_i32_e32 v36, 31, v36
	s_wait_alu 0xf1ff
	v_xor_b32_e32 v35, s19, v35
	v_cmp_gt_i32_e64 s19, 0, v39
	v_and_b32_e32 v34, v34, v111
	v_not_b32_e32 v39, v40
	v_ashrrev_i32_e32 v37, 31, v37
	v_xor_b32_e32 v36, s20, v36
	v_cmp_gt_i32_e64 s20, 0, v40
	v_and_b32_e32 v34, v34, v35
	v_not_b32_e32 v35, v110
	v_ashrrev_i32_e32 v39, 31, v39
	s_wait_alu 0xf1ff
	v_xor_b32_e32 v37, s19, v37
	v_cmp_gt_i32_e64 s19, 0, v110
	v_and_b32_e32 v34, v34, v36
	v_not_b32_e32 v36, v38
	v_ashrrev_i32_e32 v35, 31, v35
	v_xor_b32_e32 v39, s20, v39
	v_cmp_gt_i32_e64 s20, 0, v38
	v_and_b32_e32 v34, v34, v37
	v_ashrrev_i32_e32 v36, 31, v36
	s_wait_alu 0xf1ff
	v_xor_b32_e32 v35, s19, v35
	v_lshl_add_u32 v111, v33, 4, v0
	v_and_b32_e32 v34, v34, v39
	v_xor_b32_e32 v33, s20, v36
	ds_load_b32 v0, v111 offset:16
	v_and_b32_e32 v34, v34, v35
	; wave barrier
	s_delay_alu instid0(VALU_DEP_1) | instskip(NEXT) | instid1(VALU_DEP_1)
	v_and_b32_e32 v33, v34, v33
	v_mbcnt_lo_u32_b32 v110, v33, 0
	v_cmp_ne_u32_e64 s20, 0, v33
	s_delay_alu instid0(VALU_DEP_2)
	v_cmp_eq_u32_e64 s19, 0, v110
	s_and_b32 s20, s20, s19
	s_wait_alu 0xfffe
	s_and_saveexec_b32 s19, s20
	s_cbranch_execz .LBB172_72
; %bb.71:
	s_wait_dscnt 0x0
	v_bcnt_u32_b32 v33, v33, v0
	ds_store_b32 v111, v33 offset:16
.LBB172_72:
	s_wait_alu 0xfffe
	s_or_b32 exec_lo, exec_lo, s19
	; wave barrier
	s_wait_loadcnt_dscnt 0x0
	s_barrier_signal -1
	s_barrier_wait -1
	global_inv scope:SCOPE_SE
	ds_load_b128 v[37:40], v67 offset:16
	ds_load_b128 v[33:36], v67 offset:32
	s_wait_dscnt 0x1
	v_add_nc_u32_e32 v112, v38, v37
	s_delay_alu instid0(VALU_DEP_1) | instskip(SKIP_1) | instid1(VALU_DEP_1)
	v_add3_u32 v112, v112, v39, v40
	s_wait_dscnt 0x0
	v_add3_u32 v112, v112, v33, v34
	s_delay_alu instid0(VALU_DEP_1) | instskip(NEXT) | instid1(VALU_DEP_1)
	v_add3_u32 v36, v112, v35, v36
	v_mov_b32_dpp v112, v36 row_shr:1 row_mask:0xf bank_mask:0xf
	s_delay_alu instid0(VALU_DEP_1) | instskip(NEXT) | instid1(VALU_DEP_1)
	v_cndmask_b32_e64 v112, v112, 0, s1
	v_add_nc_u32_e32 v36, v112, v36
	s_delay_alu instid0(VALU_DEP_1) | instskip(NEXT) | instid1(VALU_DEP_1)
	v_mov_b32_dpp v112, v36 row_shr:2 row_mask:0xf bank_mask:0xf
	v_cndmask_b32_e64 v112, 0, v112, s10
	s_delay_alu instid0(VALU_DEP_1) | instskip(NEXT) | instid1(VALU_DEP_1)
	v_add_nc_u32_e32 v36, v36, v112
	v_mov_b32_dpp v112, v36 row_shr:4 row_mask:0xf bank_mask:0xf
	s_delay_alu instid0(VALU_DEP_1) | instskip(NEXT) | instid1(VALU_DEP_1)
	v_cndmask_b32_e64 v112, 0, v112, s11
	v_add_nc_u32_e32 v36, v36, v112
	s_delay_alu instid0(VALU_DEP_1) | instskip(NEXT) | instid1(VALU_DEP_1)
	v_mov_b32_dpp v112, v36 row_shr:8 row_mask:0xf bank_mask:0xf
	v_cndmask_b32_e64 v112, 0, v112, s13
	s_delay_alu instid0(VALU_DEP_1) | instskip(SKIP_3) | instid1(VALU_DEP_1)
	v_add_nc_u32_e32 v36, v36, v112
	ds_swizzle_b32 v112, v36 offset:swizzle(BROADCAST,32,15)
	s_wait_dscnt 0x0
	v_cndmask_b32_e64 v112, v112, 0, s16
	v_add_nc_u32_e32 v36, v36, v112
	s_and_saveexec_b32 s1, s14
; %bb.73:
	ds_store_b32 v86, v36
; %bb.74:
	s_wait_alu 0xfffe
	s_or_b32 exec_lo, exec_lo, s1
	s_wait_loadcnt_dscnt 0x0
	s_barrier_signal -1
	s_barrier_wait -1
	global_inv scope:SCOPE_SE
	s_and_saveexec_b32 s1, s15
	s_cbranch_execz .LBB172_76
; %bb.75:
	ds_load_b32 v86, v87
	s_wait_dscnt 0x0
	v_mov_b32_dpp v112, v86 row_shr:1 row_mask:0xf bank_mask:0xf
	s_delay_alu instid0(VALU_DEP_1) | instskip(NEXT) | instid1(VALU_DEP_1)
	v_cndmask_b32_e64 v112, v112, 0, s12
	v_add_nc_u32_e32 v86, v112, v86
	s_delay_alu instid0(VALU_DEP_1) | instskip(NEXT) | instid1(VALU_DEP_1)
	v_mov_b32_dpp v112, v86 row_shr:2 row_mask:0xf bank_mask:0xf
	v_cndmask_b32_e64 v112, 0, v112, s9
	s_delay_alu instid0(VALU_DEP_1)
	v_add_nc_u32_e32 v86, v86, v112
	ds_store_b32 v87, v86
.LBB172_76:
	s_wait_alu 0xfffe
	s_or_b32 exec_lo, exec_lo, s1
	v_mov_b32_e32 v86, 0
	s_wait_loadcnt_dscnt 0x0
	s_barrier_signal -1
	s_barrier_wait -1
	global_inv scope:SCOPE_SE
	s_and_saveexec_b32 s1, s17
; %bb.77:
	ds_load_b32 v86, v88
; %bb.78:
	s_wait_alu 0xfffe
	s_or_b32 exec_lo, exec_lo, s1
	s_wait_dscnt 0x0
	v_add_nc_u32_e32 v36, v86, v36
	ds_bpermute_b32 v36, v89, v36
	s_wait_dscnt 0x0
	v_cndmask_b32_e32 v36, v36, v86, vcc_lo
	s_delay_alu instid0(VALU_DEP_1) | instskip(NEXT) | instid1(VALU_DEP_1)
	v_cndmask_b32_e64 v36, v36, 0, s18
	v_add_nc_u32_e32 v37, v36, v37
	s_delay_alu instid0(VALU_DEP_1) | instskip(NEXT) | instid1(VALU_DEP_1)
	v_add_nc_u32_e32 v38, v37, v38
	v_add_nc_u32_e32 v39, v38, v39
	s_delay_alu instid0(VALU_DEP_1) | instskip(NEXT) | instid1(VALU_DEP_1)
	v_add_nc_u32_e32 v86, v39, v40
	;; [unrolled: 3-line block ×3, first 2 shown]
	v_add_nc_u32_e32 v89, v88, v35
	ds_store_b128 v67, v[36:39] offset:16
	ds_store_b128 v67, v[86:89] offset:32
	s_wait_loadcnt_dscnt 0x0
	s_barrier_signal -1
	s_barrier_wait -1
	global_inv scope:SCOPE_SE
	ds_load_b32 v33, v111 offset:16
	ds_load_b32 v34, v109 offset:16
	;; [unrolled: 1-line block ×8, first 2 shown]
	v_lshlrev_b32_e32 v86, 1, v66
	s_wait_loadcnt_dscnt 0x0
	s_barrier_signal -1
	s_barrier_wait -1
	global_inv scope:SCOPE_SE
	v_mad_u32_u24 v87, v46, 48, v86
	v_add3_u32 v88, v110, v0, v33
	v_add3_u32 v89, v108, v107, v34
	;; [unrolled: 1-line block ×3, first 2 shown]
	v_add_nc_u32_e32 v90, v36, v90
	v_add3_u32 v92, v93, v92, v37
	v_add3_u32 v93, v96, v95, v38
	;; [unrolled: 1-line block ×4, first 2 shown]
	v_lshlrev_b32_e32 v0, 1, v90
	v_lshlrev_b32_e32 v33, 1, v92
	;; [unrolled: 1-line block ×8, first 2 shown]
	ds_store_b16 v0, v78
	ds_store_b16 v33, v79
	;; [unrolled: 1-line block ×8, first 2 shown]
	v_mad_co_u64_u32 v[78:79], null, v90, 6, v[0:1]
	v_mad_co_u64_u32 v[79:80], null, v92, 6, v[33:34]
	;; [unrolled: 1-line block ×5, first 2 shown]
	s_wait_loadcnt_dscnt 0x0
	s_barrier_signal -1
	s_barrier_wait -1
	global_inv scope:SCOPE_SE
	v_mad_co_u64_u32 v[83:84], null, v91, 6, v[37:38]
	ds_load_b128 v[33:36], v86
	v_mad_co_u64_u32 v[37:38], null, v89, 6, v[38:39]
	v_mad_co_u64_u32 v[38:39], null, v88, 6, v[39:40]
	s_wait_loadcnt_dscnt 0x0
	s_barrier_signal -1
	s_barrier_wait -1
	global_inv scope:SCOPE_SE
	ds_store_b64 v78, v[21:22]
	ds_store_b64 v79, v[23:24]
	;; [unrolled: 1-line block ×8, first 2 shown]
	s_wait_loadcnt_dscnt 0x0
	s_barrier_signal -1
	s_barrier_wait -1
	global_inv scope:SCOPE_SE
	ds_load_b128 v[29:32], v87
	ds_load_b128 v[25:28], v87 offset:16
	ds_load_b128 v[21:24], v87 offset:32
	;; [unrolled: 1-line block ×3, first 2 shown]
	v_xor_b32_e32 v0, 0x80008000, v33
	v_xor_b32_e32 v34, 0x80008000, v34
	;; [unrolled: 1-line block ×4, first 2 shown]
	s_branch .LBB172_131
.LBB172_79:
	v_lshlrev_b64_e32 v[1:2], 3, v[41:42]
	v_dual_mov_b32 v43, v42 :: v_dual_mov_b32 v10, v42
	v_dual_mov_b32 v9, v42 :: v_dual_mov_b32 v12, v42
	v_mov_b32_e32 v11, v42
	s_delay_alu instid0(VALU_DEP_4)
	v_add_co_u32 v1, vcc_lo, s34, v1
	s_wait_alu 0xfffd
	v_add_co_ci_u32_e64 v2, null, s35, v2, vcc_lo
	v_dual_mov_b32 v3, v42 :: v_dual_mov_b32 v6, v42
	v_dual_mov_b32 v5, v42 :: v_dual_mov_b32 v8, v42
	global_load_b64 v[13:14], v[1:2], off
	v_dual_mov_b32 v1, v42 :: v_dual_mov_b32 v4, v42
	v_dual_mov_b32 v2, v42 :: v_dual_mov_b32 v7, v42
	s_or_b32 exec_lo, exec_lo, s1
	s_and_saveexec_b32 s1, s3
	s_cbranch_execz .LBB172_25
.LBB172_80:
	v_mul_lo_u32 v22, s28, v15
	v_mov_b32_e32 v23, 0
	s_delay_alu instid0(VALU_DEP_1) | instskip(NEXT) | instid1(VALU_DEP_1)
	v_lshlrev_b64_e32 v[22:23], 3, v[22:23]
	v_add_co_u32 v22, vcc_lo, s34, v22
	s_wait_alu 0xfffd
	s_delay_alu instid0(VALU_DEP_2)
	v_add_co_ci_u32_e64 v23, null, s35, v23, vcc_lo
	global_load_b64 v[42:43], v[22:23], off
	s_or_b32 exec_lo, exec_lo, s1
	s_and_saveexec_b32 s1, s4
	s_cbranch_execz .LBB172_26
.LBB172_81:
	v_mul_lo_u32 v9, s28, v16
	v_mov_b32_e32 v10, 0
	s_delay_alu instid0(VALU_DEP_1) | instskip(NEXT) | instid1(VALU_DEP_1)
	v_lshlrev_b64_e32 v[9:10], 3, v[9:10]
	v_add_co_u32 v9, vcc_lo, s34, v9
	s_wait_alu 0xfffd
	s_delay_alu instid0(VALU_DEP_2)
	v_add_co_ci_u32_e64 v10, null, s35, v10, vcc_lo
	global_load_b64 v[9:10], v[9:10], off
	s_or_b32 exec_lo, exec_lo, s1
	s_and_saveexec_b32 s1, s5
	s_cbranch_execz .LBB172_27
.LBB172_82:
	v_mul_lo_u32 v11, s28, v17
	v_mov_b32_e32 v12, 0
	s_delay_alu instid0(VALU_DEP_1) | instskip(NEXT) | instid1(VALU_DEP_1)
	v_lshlrev_b64_e32 v[11:12], 3, v[11:12]
	v_add_co_u32 v11, vcc_lo, s34, v11
	s_wait_alu 0xfffd
	s_delay_alu instid0(VALU_DEP_2)
	v_add_co_ci_u32_e64 v12, null, s35, v12, vcc_lo
	global_load_b64 v[11:12], v[11:12], off
	s_or_b32 exec_lo, exec_lo, s1
	s_and_saveexec_b32 s1, s6
	s_cbranch_execz .LBB172_28
.LBB172_83:
	v_mul_lo_u32 v1, s28, v18
	v_mov_b32_e32 v2, 0
	s_delay_alu instid0(VALU_DEP_1) | instskip(NEXT) | instid1(VALU_DEP_1)
	v_lshlrev_b64_e32 v[1:2], 3, v[1:2]
	v_add_co_u32 v1, vcc_lo, s34, v1
	s_wait_alu 0xfffd
	s_delay_alu instid0(VALU_DEP_2)
	v_add_co_ci_u32_e64 v2, null, s35, v2, vcc_lo
	global_load_b64 v[1:2], v[1:2], off
	s_or_b32 exec_lo, exec_lo, s1
	s_and_saveexec_b32 s1, s7
	s_cbranch_execz .LBB172_29
.LBB172_84:
	v_mul_lo_u32 v3, s28, v19
	v_mov_b32_e32 v4, 0
	s_delay_alu instid0(VALU_DEP_1) | instskip(NEXT) | instid1(VALU_DEP_1)
	v_lshlrev_b64_e32 v[3:4], 3, v[3:4]
	v_add_co_u32 v3, vcc_lo, s34, v3
	s_wait_alu 0xfffd
	s_delay_alu instid0(VALU_DEP_2)
	v_add_co_ci_u32_e64 v4, null, s35, v4, vcc_lo
	global_load_b64 v[3:4], v[3:4], off
	s_or_b32 exec_lo, exec_lo, s1
	s_and_saveexec_b32 s1, s8
	s_cbranch_execnz .LBB172_30
	s_branch .LBB172_31
.LBB172_85:
                                        ; implicit-def: $vgpr33
                                        ; implicit-def: $vgpr34
                                        ; implicit-def: $vgpr0
                                        ; implicit-def: $vgpr19_vgpr20
                                        ; implicit-def: $vgpr23_vgpr24
                                        ; implicit-def: $vgpr27_vgpr28
                                        ; implicit-def: $vgpr31_vgpr32
                                        ; implicit-def: $vgpr35
	s_and_b32 vcc_lo, exec_lo, s1
	s_wait_alu 0xfffe
	s_cbranch_vccz .LBB172_131
; %bb.86:
	s_wait_dscnt 0x0
	v_xor_b32_e32 v17, 0x7fff7fff, v49
	v_xor_b32_e32 v18, 0x7fff7fff, v50
	;; [unrolled: 1-line block ×4, first 2 shown]
	s_getpc_b64 s[10:11]
	s_wait_alu 0xfffe
	s_sext_i32_i16 s11, s11
	s_add_co_u32 s10, s10, _ZN7rocprim17ROCPRIM_400000_NS16block_radix_sortIsLj128ELj8ElLj1ELj1ELj0ELNS0_26block_radix_rank_algorithmE1ELNS0_18block_padding_hintE2ELNS0_4arch9wavefront6targetE0EE19radix_bits_per_passE@rel32@lo+12
	s_wait_alu 0xfffe
	s_add_co_ci_u32 s11, s11, _ZN7rocprim17ROCPRIM_400000_NS16block_radix_sortIsLj128ELj8ElLj1ELj1ELj0ELNS0_26block_radix_rank_algorithmE1ELNS0_18block_padding_hintE2ELNS0_4arch9wavefront6targetE0EE19radix_bits_per_passE@rel32@hi+24
	s_mov_b32 s12, 0
	s_load_b32 s19, s[10:11], 0x0
	s_mov_b32 s13, s12
	ds_store_b128 v77, v[17:20]
	; wave barrier
	ds_load_u16 v25, v68
	s_mov_b32 s14, s12
	s_mov_b32 s15, s12
	v_mad_u32_u24 v0, v76, 6, v77
	ds_load_u16 v26, v68 offset:64
	ds_load_u16 v27, v68 offset:128
	;; [unrolled: 1-line block ×7, first 2 shown]
	s_wait_loadcnt_dscnt 0x0
	s_barrier_signal -1
	s_barrier_wait -1
	global_inv scope:SCOPE_SE
	ds_store_b128 v0, v[5:8]
	ds_store_b128 v0, v[1:4] offset:16
	ds_store_b128 v0, v[13:16] offset:32
	;; [unrolled: 1-line block ×3, first 2 shown]
	; wave barrier
	ds_load_2addr_b64 v[4:7], v75 offset1:32
	ds_load_2addr_b64 v[0:3], v75 offset0:64 offset1:96
	ds_load_2addr_b64 v[12:15], v75 offset0:128 offset1:160
	;; [unrolled: 1-line block ×3, first 2 shown]
	s_wait_kmcnt 0x0
	s_min_u32 s1, s19, 16
	s_wait_loadcnt_dscnt 0x0
	s_lshl_b32 s1, -1, s1
	s_barrier_signal -1
	s_not_b32 s9, s1
	v_and_b32_e32 v17, 0xffff, v25
	s_barrier_wait -1
	global_inv scope:SCOPE_SE
	s_load_b32 s10, s[36:37], 0xc
	v_and_b32_e32 v23, s9, v17
	s_delay_alu instid0(VALU_DEP_1) | instskip(SKIP_3) | instid1(VALU_DEP_4)
	v_and_b32_e32 v16, 1, v23
	v_lshlrev_b32_e32 v17, 30, v23
	v_lshlrev_b32_e32 v20, 28, v23
	;; [unrolled: 1-line block ×3, first 2 shown]
	v_add_co_u32 v16, s1, v16, -1
	s_delay_alu instid0(VALU_DEP_1) | instskip(SKIP_2) | instid1(VALU_DEP_3)
	v_cndmask_b32_e64 v18, 0, 1, s1
	v_not_b32_e32 v19, v17
	v_cmp_gt_i32_e64 s1, 0, v17
	v_cmp_ne_u32_e32 vcc_lo, 0, v18
	v_lshlrev_b32_e32 v18, 29, v23
	s_delay_alu instid0(VALU_DEP_4) | instskip(SKIP_2) | instid1(VALU_DEP_3)
	v_ashrrev_i32_e32 v17, 31, v19
	s_wait_alu 0xfffd
	v_xor_b32_e32 v16, vcc_lo, v16
	v_not_b32_e32 v19, v18
	s_wait_alu 0xf1ff
	v_xor_b32_e32 v17, s1, v17
	v_cmp_gt_i32_e32 vcc_lo, 0, v18
	s_wait_kmcnt 0x0
	s_lshr_b32 s1, s10, 16
	v_and_b32_e32 v16, exec_lo, v16
	v_ashrrev_i32_e32 v18, 31, v19
	v_not_b32_e32 v19, v20
	s_and_b32 s10, s10, 0xffff
	s_delay_alu instid0(VALU_DEP_3)
	v_and_b32_e32 v16, v16, v17
	s_wait_alu 0xfffd
	v_xor_b32_e32 v17, vcc_lo, v18
	v_cmp_gt_i32_e32 vcc_lo, 0, v20
	v_ashrrev_i32_e32 v18, 31, v19
	v_not_b32_e32 v19, v21
	s_delay_alu instid0(VALU_DEP_4)
	v_and_b32_e32 v16, v16, v17
	v_lshlrev_b32_e32 v17, 26, v23
	s_wait_alu 0xfffd
	v_xor_b32_e32 v18, vcc_lo, v18
	v_cmp_gt_i32_e32 vcc_lo, 0, v21
	v_ashrrev_i32_e32 v19, 31, v19
	v_not_b32_e32 v20, v17
	s_delay_alu instid0(VALU_DEP_4)
	v_and_b32_e32 v16, v16, v18
	v_lshlrev_b32_e32 v18, 25, v23
	;; [unrolled: 8-line block ×3, first 2 shown]
	s_wait_alu 0xfffd
	v_xor_b32_e32 v17, vcc_lo, v17
	v_cmp_gt_i32_e32 vcc_lo, 0, v18
	v_ashrrev_i32_e32 v18, 31, v20
	s_wait_alu 0xfffe
	v_mad_u32_u24 v20, v74, s1, v73
	v_not_b32_e32 v21, v19
	v_and_b32_e32 v16, v16, v17
	s_wait_alu 0xfffd
	v_xor_b32_e32 v17, vcc_lo, v18
	v_cmp_gt_i32_e32 vcc_lo, 0, v19
	v_ashrrev_i32_e32 v18, 31, v21
	v_mad_co_u64_u32 v[21:22], null, v20, s10, v[46:47]
	s_delay_alu instid0(VALU_DEP_4) | instskip(SKIP_1) | instid1(VALU_DEP_3)
	v_and_b32_e32 v16, v16, v17
	s_wait_alu 0xfffd
	v_xor_b32_e32 v22, vcc_lo, v18
	v_dual_mov_b32 v20, s15 :: v_dual_mov_b32 v19, s14
	v_dual_mov_b32 v18, s13 :: v_dual_mov_b32 v17, s12
	s_delay_alu instid0(VALU_DEP_3)
	v_and_b32_e32 v16, v16, v22
	v_lshrrev_b32_e32 v21, 5, v21
	ds_store_b128 v67, v[17:20] offset:16
	ds_store_b128 v67, v[17:20] offset:32
	v_mbcnt_lo_u32_b32 v37, v16, 0
	v_lshlrev_b32_e32 v24, 2, v21
	v_lshlrev_b32_e32 v17, 4, v23
	v_cmp_ne_u32_e64 s1, 0, v16
	s_wait_loadcnt_dscnt 0x0
	v_cmp_eq_u32_e32 vcc_lo, 0, v37
	s_barrier_signal -1
	v_add_nc_u32_e32 v38, v24, v17
	s_barrier_wait -1
	global_inv scope:SCOPE_SE
	s_and_b32 s10, s1, vcc_lo
	; wave barrier
	s_wait_alu 0xfffe
	s_and_saveexec_b32 s1, s10
; %bb.87:
	v_bcnt_u32_b32 v16, v16, 0
	ds_store_b32 v38, v16 offset:16
; %bb.88:
	s_wait_alu 0xfffe
	s_or_b32 exec_lo, exec_lo, s1
	v_and_b32_e32 v16, 0xffff, v26
	; wave barrier
	s_delay_alu instid0(VALU_DEP_1) | instskip(NEXT) | instid1(VALU_DEP_1)
	v_and_b32_e32 v16, s9, v16
	v_and_b32_e32 v17, 1, v16
	v_lshlrev_b32_e32 v18, 30, v16
	v_lshlrev_b32_e32 v19, 29, v16
	v_lshlrev_b32_e32 v20, 28, v16
	v_lshlrev_b32_e32 v22, 27, v16
	v_add_co_u32 v17, s1, v17, -1
	s_wait_alu 0xf1ff
	v_cndmask_b32_e64 v21, 0, 1, s1
	v_not_b32_e32 v34, v18
	v_cmp_gt_i32_e64 s1, 0, v18
	v_not_b32_e32 v18, v19
	v_lshlrev_b32_e32 v23, 26, v16
	v_cmp_ne_u32_e32 vcc_lo, 0, v21
	v_ashrrev_i32_e32 v34, 31, v34
	v_lshlrev_b32_e32 v33, 25, v16
	v_ashrrev_i32_e32 v18, 31, v18
	v_lshlrev_b32_e32 v21, 24, v16
	s_wait_alu 0xfffd
	v_xor_b32_e32 v17, vcc_lo, v17
	v_cmp_gt_i32_e32 vcc_lo, 0, v19
	v_not_b32_e32 v19, v20
	s_wait_alu 0xf1ff
	v_xor_b32_e32 v34, s1, v34
	v_cmp_gt_i32_e64 s1, 0, v20
	v_and_b32_e32 v17, exec_lo, v17
	v_not_b32_e32 v20, v22
	v_ashrrev_i32_e32 v19, 31, v19
	s_wait_alu 0xfffd
	v_xor_b32_e32 v18, vcc_lo, v18
	v_cmp_gt_i32_e32 vcc_lo, 0, v22
	v_and_b32_e32 v17, v17, v34
	v_not_b32_e32 v22, v23
	v_ashrrev_i32_e32 v20, 31, v20
	s_wait_alu 0xf1ff
	v_xor_b32_e32 v19, s1, v19
	v_cmp_gt_i32_e64 s1, 0, v23
	v_and_b32_e32 v17, v17, v18
	v_not_b32_e32 v18, v33
	v_ashrrev_i32_e32 v22, 31, v22
	s_wait_alu 0xfffd
	v_xor_b32_e32 v20, vcc_lo, v20
	v_cmp_gt_i32_e32 vcc_lo, 0, v33
	v_and_b32_e32 v17, v17, v19
	v_not_b32_e32 v19, v21
	v_ashrrev_i32_e32 v18, 31, v18
	s_wait_alu 0xf1ff
	v_xor_b32_e32 v22, s1, v22
	v_lshlrev_b32_e32 v16, 4, v16
	v_and_b32_e32 v17, v17, v20
	v_cmp_gt_i32_e64 s1, 0, v21
	v_ashrrev_i32_e32 v19, 31, v19
	s_wait_alu 0xfffd
	v_xor_b32_e32 v18, vcc_lo, v18
	v_add_nc_u32_e32 v47, v24, v16
	v_and_b32_e32 v17, v17, v22
	s_wait_alu 0xf1ff
	v_xor_b32_e32 v16, s1, v19
	ds_load_b32 v39, v47 offset:16
	v_and_b32_e32 v17, v17, v18
	; wave barrier
	s_delay_alu instid0(VALU_DEP_1) | instskip(NEXT) | instid1(VALU_DEP_1)
	v_and_b32_e32 v16, v17, v16
	v_mbcnt_lo_u32_b32 v40, v16, 0
	v_cmp_ne_u32_e64 s1, 0, v16
	s_delay_alu instid0(VALU_DEP_2)
	v_cmp_eq_u32_e32 vcc_lo, 0, v40
	s_and_b32 s10, s1, vcc_lo
	s_wait_alu 0xfffe
	s_and_saveexec_b32 s1, s10
	s_cbranch_execz .LBB172_90
; %bb.89:
	s_wait_dscnt 0x0
	v_bcnt_u32_b32 v16, v16, v39
	ds_store_b32 v47, v16 offset:16
.LBB172_90:
	s_wait_alu 0xfffe
	s_or_b32 exec_lo, exec_lo, s1
	v_and_b32_e32 v16, 0xffff, v27
	; wave barrier
	s_delay_alu instid0(VALU_DEP_1) | instskip(NEXT) | instid1(VALU_DEP_1)
	v_and_b32_e32 v16, s9, v16
	v_and_b32_e32 v17, 1, v16
	v_lshlrev_b32_e32 v18, 30, v16
	v_lshlrev_b32_e32 v19, 29, v16
	;; [unrolled: 1-line block ×4, first 2 shown]
	v_add_co_u32 v17, s1, v17, -1
	s_wait_alu 0xf1ff
	v_cndmask_b32_e64 v21, 0, 1, s1
	v_not_b32_e32 v34, v18
	v_cmp_gt_i32_e64 s1, 0, v18
	v_not_b32_e32 v18, v19
	v_lshlrev_b32_e32 v23, 26, v16
	v_cmp_ne_u32_e32 vcc_lo, 0, v21
	v_ashrrev_i32_e32 v34, 31, v34
	v_lshlrev_b32_e32 v33, 25, v16
	v_ashrrev_i32_e32 v18, 31, v18
	v_lshlrev_b32_e32 v21, 24, v16
	s_wait_alu 0xfffd
	v_xor_b32_e32 v17, vcc_lo, v17
	v_cmp_gt_i32_e32 vcc_lo, 0, v19
	v_not_b32_e32 v19, v20
	s_wait_alu 0xf1ff
	v_xor_b32_e32 v34, s1, v34
	v_cmp_gt_i32_e64 s1, 0, v20
	v_and_b32_e32 v17, exec_lo, v17
	v_not_b32_e32 v20, v22
	v_ashrrev_i32_e32 v19, 31, v19
	s_wait_alu 0xfffd
	v_xor_b32_e32 v18, vcc_lo, v18
	v_cmp_gt_i32_e32 vcc_lo, 0, v22
	v_and_b32_e32 v17, v17, v34
	v_not_b32_e32 v22, v23
	v_ashrrev_i32_e32 v20, 31, v20
	s_wait_alu 0xf1ff
	v_xor_b32_e32 v19, s1, v19
	v_cmp_gt_i32_e64 s1, 0, v23
	v_and_b32_e32 v17, v17, v18
	v_not_b32_e32 v18, v33
	v_ashrrev_i32_e32 v22, 31, v22
	s_wait_alu 0xfffd
	v_xor_b32_e32 v20, vcc_lo, v20
	v_cmp_gt_i32_e32 vcc_lo, 0, v33
	v_and_b32_e32 v17, v17, v19
	v_not_b32_e32 v19, v21
	v_ashrrev_i32_e32 v18, 31, v18
	s_wait_alu 0xf1ff
	v_xor_b32_e32 v22, s1, v22
	v_lshlrev_b32_e32 v16, 4, v16
	v_and_b32_e32 v17, v17, v20
	v_cmp_gt_i32_e64 s1, 0, v21
	v_ashrrev_i32_e32 v19, 31, v19
	s_wait_alu 0xfffd
	v_xor_b32_e32 v18, vcc_lo, v18
	v_add_nc_u32_e32 v50, v24, v16
	v_and_b32_e32 v17, v17, v22
	s_wait_alu 0xf1ff
	v_xor_b32_e32 v16, s1, v19
	ds_load_b32 v48, v50 offset:16
	v_and_b32_e32 v17, v17, v18
	; wave barrier
	s_delay_alu instid0(VALU_DEP_1) | instskip(NEXT) | instid1(VALU_DEP_1)
	v_and_b32_e32 v16, v17, v16
	v_mbcnt_lo_u32_b32 v49, v16, 0
	v_cmp_ne_u32_e64 s1, 0, v16
	s_delay_alu instid0(VALU_DEP_2)
	v_cmp_eq_u32_e32 vcc_lo, 0, v49
	s_and_b32 s10, s1, vcc_lo
	s_wait_alu 0xfffe
	s_and_saveexec_b32 s1, s10
	s_cbranch_execz .LBB172_92
; %bb.91:
	s_wait_dscnt 0x0
	v_bcnt_u32_b32 v16, v16, v48
	ds_store_b32 v50, v16 offset:16
.LBB172_92:
	s_wait_alu 0xfffe
	s_or_b32 exec_lo, exec_lo, s1
	v_and_b32_e32 v16, 0xffff, v28
	; wave barrier
	s_delay_alu instid0(VALU_DEP_1) | instskip(NEXT) | instid1(VALU_DEP_1)
	v_and_b32_e32 v16, s9, v16
	v_and_b32_e32 v17, 1, v16
	v_lshlrev_b32_e32 v18, 30, v16
	v_lshlrev_b32_e32 v19, 29, v16
	v_lshlrev_b32_e32 v20, 28, v16
	v_lshlrev_b32_e32 v22, 27, v16
	v_add_co_u32 v17, s1, v17, -1
	s_wait_alu 0xf1ff
	v_cndmask_b32_e64 v21, 0, 1, s1
	v_not_b32_e32 v34, v18
	v_cmp_gt_i32_e64 s1, 0, v18
	v_not_b32_e32 v18, v19
	v_lshlrev_b32_e32 v23, 26, v16
	v_cmp_ne_u32_e32 vcc_lo, 0, v21
	v_ashrrev_i32_e32 v34, 31, v34
	v_lshlrev_b32_e32 v33, 25, v16
	v_ashrrev_i32_e32 v18, 31, v18
	v_lshlrev_b32_e32 v21, 24, v16
	s_wait_alu 0xfffd
	v_xor_b32_e32 v17, vcc_lo, v17
	v_cmp_gt_i32_e32 vcc_lo, 0, v19
	v_not_b32_e32 v19, v20
	s_wait_alu 0xf1ff
	v_xor_b32_e32 v34, s1, v34
	v_cmp_gt_i32_e64 s1, 0, v20
	v_and_b32_e32 v17, exec_lo, v17
	v_not_b32_e32 v20, v22
	v_ashrrev_i32_e32 v19, 31, v19
	s_wait_alu 0xfffd
	v_xor_b32_e32 v18, vcc_lo, v18
	v_cmp_gt_i32_e32 vcc_lo, 0, v22
	v_and_b32_e32 v17, v17, v34
	v_not_b32_e32 v22, v23
	v_ashrrev_i32_e32 v20, 31, v20
	s_wait_alu 0xf1ff
	v_xor_b32_e32 v19, s1, v19
	v_cmp_gt_i32_e64 s1, 0, v23
	v_and_b32_e32 v17, v17, v18
	v_not_b32_e32 v18, v33
	v_ashrrev_i32_e32 v22, 31, v22
	s_wait_alu 0xfffd
	v_xor_b32_e32 v20, vcc_lo, v20
	v_cmp_gt_i32_e32 vcc_lo, 0, v33
	v_and_b32_e32 v17, v17, v19
	v_not_b32_e32 v19, v21
	v_ashrrev_i32_e32 v18, 31, v18
	s_wait_alu 0xf1ff
	v_xor_b32_e32 v22, s1, v22
	v_lshlrev_b32_e32 v16, 4, v16
	v_and_b32_e32 v17, v17, v20
	v_cmp_gt_i32_e64 s1, 0, v21
	v_ashrrev_i32_e32 v19, 31, v19
	s_wait_alu 0xfffd
	v_xor_b32_e32 v18, vcc_lo, v18
	v_add_nc_u32_e32 v75, v24, v16
	v_and_b32_e32 v17, v17, v22
	s_wait_alu 0xf1ff
	v_xor_b32_e32 v16, s1, v19
	ds_load_b32 v73, v75 offset:16
	v_and_b32_e32 v17, v17, v18
	; wave barrier
	s_delay_alu instid0(VALU_DEP_1) | instskip(NEXT) | instid1(VALU_DEP_1)
	v_and_b32_e32 v16, v17, v16
	v_mbcnt_lo_u32_b32 v74, v16, 0
	v_cmp_ne_u32_e64 s1, 0, v16
	s_delay_alu instid0(VALU_DEP_2)
	v_cmp_eq_u32_e32 vcc_lo, 0, v74
	s_and_b32 s10, s1, vcc_lo
	s_wait_alu 0xfffe
	s_and_saveexec_b32 s1, s10
	s_cbranch_execz .LBB172_94
; %bb.93:
	s_wait_dscnt 0x0
	v_bcnt_u32_b32 v16, v16, v73
	ds_store_b32 v75, v16 offset:16
.LBB172_94:
	s_wait_alu 0xfffe
	s_or_b32 exec_lo, exec_lo, s1
	v_and_b32_e32 v16, 0xffff, v29
	; wave barrier
	s_delay_alu instid0(VALU_DEP_1) | instskip(NEXT) | instid1(VALU_DEP_1)
	v_and_b32_e32 v16, s9, v16
	v_and_b32_e32 v17, 1, v16
	v_lshlrev_b32_e32 v18, 30, v16
	v_lshlrev_b32_e32 v19, 29, v16
	;; [unrolled: 1-line block ×4, first 2 shown]
	v_add_co_u32 v17, s1, v17, -1
	s_wait_alu 0xf1ff
	v_cndmask_b32_e64 v21, 0, 1, s1
	v_not_b32_e32 v34, v18
	v_cmp_gt_i32_e64 s1, 0, v18
	v_not_b32_e32 v18, v19
	v_lshlrev_b32_e32 v23, 26, v16
	v_cmp_ne_u32_e32 vcc_lo, 0, v21
	v_ashrrev_i32_e32 v34, 31, v34
	v_lshlrev_b32_e32 v33, 25, v16
	v_ashrrev_i32_e32 v18, 31, v18
	v_lshlrev_b32_e32 v21, 24, v16
	s_wait_alu 0xfffd
	v_xor_b32_e32 v17, vcc_lo, v17
	v_cmp_gt_i32_e32 vcc_lo, 0, v19
	v_not_b32_e32 v19, v20
	s_wait_alu 0xf1ff
	v_xor_b32_e32 v34, s1, v34
	v_cmp_gt_i32_e64 s1, 0, v20
	v_and_b32_e32 v17, exec_lo, v17
	v_not_b32_e32 v20, v22
	v_ashrrev_i32_e32 v19, 31, v19
	s_wait_alu 0xfffd
	v_xor_b32_e32 v18, vcc_lo, v18
	v_cmp_gt_i32_e32 vcc_lo, 0, v22
	v_and_b32_e32 v17, v17, v34
	v_not_b32_e32 v22, v23
	v_ashrrev_i32_e32 v20, 31, v20
	s_wait_alu 0xf1ff
	v_xor_b32_e32 v19, s1, v19
	v_cmp_gt_i32_e64 s1, 0, v23
	v_and_b32_e32 v17, v17, v18
	v_not_b32_e32 v18, v33
	v_ashrrev_i32_e32 v22, 31, v22
	s_wait_alu 0xfffd
	v_xor_b32_e32 v20, vcc_lo, v20
	v_cmp_gt_i32_e32 vcc_lo, 0, v33
	v_and_b32_e32 v17, v17, v19
	v_not_b32_e32 v19, v21
	v_ashrrev_i32_e32 v18, 31, v18
	s_wait_alu 0xf1ff
	v_xor_b32_e32 v22, s1, v22
	v_lshlrev_b32_e32 v16, 4, v16
	v_and_b32_e32 v17, v17, v20
	v_cmp_gt_i32_e64 s1, 0, v21
	v_ashrrev_i32_e32 v19, 31, v19
	s_wait_alu 0xfffd
	v_xor_b32_e32 v18, vcc_lo, v18
	v_add_nc_u32_e32 v78, v24, v16
	v_and_b32_e32 v17, v17, v22
	s_wait_alu 0xf1ff
	v_xor_b32_e32 v16, s1, v19
	ds_load_b32 v76, v78 offset:16
	v_and_b32_e32 v17, v17, v18
	; wave barrier
	s_delay_alu instid0(VALU_DEP_1) | instskip(NEXT) | instid1(VALU_DEP_1)
	v_and_b32_e32 v16, v17, v16
	v_mbcnt_lo_u32_b32 v77, v16, 0
	v_cmp_ne_u32_e64 s1, 0, v16
	s_delay_alu instid0(VALU_DEP_2)
	v_cmp_eq_u32_e32 vcc_lo, 0, v77
	s_and_b32 s10, s1, vcc_lo
	s_wait_alu 0xfffe
	s_and_saveexec_b32 s1, s10
	s_cbranch_execz .LBB172_96
; %bb.95:
	s_wait_dscnt 0x0
	v_bcnt_u32_b32 v16, v16, v76
	ds_store_b32 v78, v16 offset:16
.LBB172_96:
	s_wait_alu 0xfffe
	s_or_b32 exec_lo, exec_lo, s1
	v_and_b32_e32 v16, 0xffff, v30
	; wave barrier
	s_delay_alu instid0(VALU_DEP_1) | instskip(NEXT) | instid1(VALU_DEP_1)
	v_and_b32_e32 v16, s9, v16
	v_and_b32_e32 v17, 1, v16
	v_lshlrev_b32_e32 v18, 30, v16
	v_lshlrev_b32_e32 v19, 29, v16
	;; [unrolled: 1-line block ×4, first 2 shown]
	v_add_co_u32 v17, s1, v17, -1
	s_wait_alu 0xf1ff
	v_cndmask_b32_e64 v21, 0, 1, s1
	v_not_b32_e32 v34, v18
	v_cmp_gt_i32_e64 s1, 0, v18
	v_not_b32_e32 v18, v19
	v_lshlrev_b32_e32 v23, 26, v16
	v_cmp_ne_u32_e32 vcc_lo, 0, v21
	v_ashrrev_i32_e32 v34, 31, v34
	v_lshlrev_b32_e32 v33, 25, v16
	v_ashrrev_i32_e32 v18, 31, v18
	v_lshlrev_b32_e32 v21, 24, v16
	s_wait_alu 0xfffd
	v_xor_b32_e32 v17, vcc_lo, v17
	v_cmp_gt_i32_e32 vcc_lo, 0, v19
	v_not_b32_e32 v19, v20
	s_wait_alu 0xf1ff
	v_xor_b32_e32 v34, s1, v34
	v_cmp_gt_i32_e64 s1, 0, v20
	v_and_b32_e32 v17, exec_lo, v17
	v_not_b32_e32 v20, v22
	v_ashrrev_i32_e32 v19, 31, v19
	s_wait_alu 0xfffd
	v_xor_b32_e32 v18, vcc_lo, v18
	v_cmp_gt_i32_e32 vcc_lo, 0, v22
	v_and_b32_e32 v17, v17, v34
	v_not_b32_e32 v22, v23
	v_ashrrev_i32_e32 v20, 31, v20
	s_wait_alu 0xf1ff
	v_xor_b32_e32 v19, s1, v19
	v_cmp_gt_i32_e64 s1, 0, v23
	v_and_b32_e32 v17, v17, v18
	v_not_b32_e32 v18, v33
	v_ashrrev_i32_e32 v22, 31, v22
	s_wait_alu 0xfffd
	v_xor_b32_e32 v20, vcc_lo, v20
	v_cmp_gt_i32_e32 vcc_lo, 0, v33
	v_and_b32_e32 v17, v17, v19
	v_not_b32_e32 v19, v21
	v_ashrrev_i32_e32 v18, 31, v18
	s_wait_alu 0xf1ff
	v_xor_b32_e32 v22, s1, v22
	v_lshlrev_b32_e32 v16, 4, v16
	v_and_b32_e32 v17, v17, v20
	v_cmp_gt_i32_e64 s1, 0, v21
	v_ashrrev_i32_e32 v19, 31, v19
	s_wait_alu 0xfffd
	v_xor_b32_e32 v18, vcc_lo, v18
	v_add_nc_u32_e32 v81, v24, v16
	v_and_b32_e32 v17, v17, v22
	s_wait_alu 0xf1ff
	v_xor_b32_e32 v16, s1, v19
	ds_load_b32 v79, v81 offset:16
	v_and_b32_e32 v17, v17, v18
	; wave barrier
	s_delay_alu instid0(VALU_DEP_1) | instskip(NEXT) | instid1(VALU_DEP_1)
	v_and_b32_e32 v16, v17, v16
	v_mbcnt_lo_u32_b32 v80, v16, 0
	v_cmp_ne_u32_e64 s1, 0, v16
	s_delay_alu instid0(VALU_DEP_2)
	v_cmp_eq_u32_e32 vcc_lo, 0, v80
	s_and_b32 s10, s1, vcc_lo
	s_wait_alu 0xfffe
	s_and_saveexec_b32 s1, s10
	s_cbranch_execz .LBB172_98
; %bb.97:
	s_wait_dscnt 0x0
	v_bcnt_u32_b32 v16, v16, v79
	ds_store_b32 v81, v16 offset:16
.LBB172_98:
	s_wait_alu 0xfffe
	s_or_b32 exec_lo, exec_lo, s1
	v_and_b32_e32 v16, 0xffff, v31
	; wave barrier
	s_delay_alu instid0(VALU_DEP_1) | instskip(NEXT) | instid1(VALU_DEP_1)
	v_and_b32_e32 v16, s9, v16
	v_and_b32_e32 v17, 1, v16
	v_lshlrev_b32_e32 v18, 30, v16
	v_lshlrev_b32_e32 v19, 29, v16
	;; [unrolled: 1-line block ×4, first 2 shown]
	v_add_co_u32 v17, s1, v17, -1
	s_wait_alu 0xf1ff
	v_cndmask_b32_e64 v21, 0, 1, s1
	v_not_b32_e32 v34, v18
	v_cmp_gt_i32_e64 s1, 0, v18
	v_not_b32_e32 v18, v19
	v_lshlrev_b32_e32 v23, 26, v16
	v_cmp_ne_u32_e32 vcc_lo, 0, v21
	v_ashrrev_i32_e32 v34, 31, v34
	v_lshlrev_b32_e32 v33, 25, v16
	v_ashrrev_i32_e32 v18, 31, v18
	v_lshlrev_b32_e32 v21, 24, v16
	s_wait_alu 0xfffd
	v_xor_b32_e32 v17, vcc_lo, v17
	v_cmp_gt_i32_e32 vcc_lo, 0, v19
	v_not_b32_e32 v19, v20
	s_wait_alu 0xf1ff
	v_xor_b32_e32 v34, s1, v34
	v_cmp_gt_i32_e64 s1, 0, v20
	v_and_b32_e32 v17, exec_lo, v17
	v_not_b32_e32 v20, v22
	v_ashrrev_i32_e32 v19, 31, v19
	s_wait_alu 0xfffd
	v_xor_b32_e32 v18, vcc_lo, v18
	v_cmp_gt_i32_e32 vcc_lo, 0, v22
	v_and_b32_e32 v17, v17, v34
	v_not_b32_e32 v22, v23
	v_ashrrev_i32_e32 v20, 31, v20
	s_wait_alu 0xf1ff
	v_xor_b32_e32 v19, s1, v19
	v_cmp_gt_i32_e64 s1, 0, v23
	v_and_b32_e32 v17, v17, v18
	v_not_b32_e32 v18, v33
	v_ashrrev_i32_e32 v22, 31, v22
	s_wait_alu 0xfffd
	v_xor_b32_e32 v20, vcc_lo, v20
	v_cmp_gt_i32_e32 vcc_lo, 0, v33
	v_and_b32_e32 v17, v17, v19
	v_not_b32_e32 v19, v21
	v_ashrrev_i32_e32 v18, 31, v18
	s_wait_alu 0xf1ff
	v_xor_b32_e32 v22, s1, v22
	v_lshlrev_b32_e32 v16, 4, v16
	v_and_b32_e32 v17, v17, v20
	v_cmp_gt_i32_e64 s1, 0, v21
	v_ashrrev_i32_e32 v19, 31, v19
	s_wait_alu 0xfffd
	v_xor_b32_e32 v18, vcc_lo, v18
	v_add_nc_u32_e32 v84, v24, v16
	v_and_b32_e32 v17, v17, v22
	s_wait_alu 0xf1ff
	v_xor_b32_e32 v16, s1, v19
	ds_load_b32 v82, v84 offset:16
	v_and_b32_e32 v17, v17, v18
	; wave barrier
	s_delay_alu instid0(VALU_DEP_1) | instskip(NEXT) | instid1(VALU_DEP_1)
	v_and_b32_e32 v16, v17, v16
	v_mbcnt_lo_u32_b32 v83, v16, 0
	v_cmp_ne_u32_e64 s1, 0, v16
	s_delay_alu instid0(VALU_DEP_2)
	v_cmp_eq_u32_e32 vcc_lo, 0, v83
	s_and_b32 s10, s1, vcc_lo
	s_wait_alu 0xfffe
	s_and_saveexec_b32 s1, s10
	s_cbranch_execz .LBB172_100
; %bb.99:
	s_wait_dscnt 0x0
	v_bcnt_u32_b32 v16, v16, v82
	ds_store_b32 v84, v16 offset:16
.LBB172_100:
	s_wait_alu 0xfffe
	s_or_b32 exec_lo, exec_lo, s1
	v_and_b32_e32 v16, 0xffff, v32
	; wave barrier
	s_delay_alu instid0(VALU_DEP_1) | instskip(NEXT) | instid1(VALU_DEP_1)
	v_and_b32_e32 v16, s9, v16
	v_and_b32_e32 v17, 1, v16
	v_lshlrev_b32_e32 v18, 30, v16
	v_lshlrev_b32_e32 v19, 29, v16
	;; [unrolled: 1-line block ×4, first 2 shown]
	v_add_co_u32 v17, s1, v17, -1
	s_wait_alu 0xf1ff
	v_cndmask_b32_e64 v21, 0, 1, s1
	v_not_b32_e32 v34, v18
	v_cmp_gt_i32_e64 s1, 0, v18
	v_not_b32_e32 v18, v19
	v_lshlrev_b32_e32 v23, 26, v16
	v_cmp_ne_u32_e32 vcc_lo, 0, v21
	v_ashrrev_i32_e32 v34, 31, v34
	v_lshlrev_b32_e32 v33, 25, v16
	v_ashrrev_i32_e32 v18, 31, v18
	v_lshlrev_b32_e32 v21, 24, v16
	s_wait_alu 0xfffd
	v_xor_b32_e32 v17, vcc_lo, v17
	v_cmp_gt_i32_e32 vcc_lo, 0, v19
	v_not_b32_e32 v19, v20
	s_wait_alu 0xf1ff
	v_xor_b32_e32 v34, s1, v34
	v_cmp_gt_i32_e64 s1, 0, v20
	v_and_b32_e32 v17, exec_lo, v17
	v_not_b32_e32 v20, v22
	v_ashrrev_i32_e32 v19, 31, v19
	s_wait_alu 0xfffd
	v_xor_b32_e32 v18, vcc_lo, v18
	v_cmp_gt_i32_e32 vcc_lo, 0, v22
	v_and_b32_e32 v17, v17, v34
	v_not_b32_e32 v22, v23
	v_ashrrev_i32_e32 v20, 31, v20
	s_wait_alu 0xf1ff
	v_xor_b32_e32 v19, s1, v19
	v_cmp_gt_i32_e64 s1, 0, v23
	v_and_b32_e32 v17, v17, v18
	v_not_b32_e32 v18, v33
	v_ashrrev_i32_e32 v22, 31, v22
	s_wait_alu 0xfffd
	v_xor_b32_e32 v20, vcc_lo, v20
	v_cmp_gt_i32_e32 vcc_lo, 0, v33
	v_and_b32_e32 v17, v17, v19
	v_not_b32_e32 v19, v21
	v_ashrrev_i32_e32 v18, 31, v18
	s_wait_alu 0xf1ff
	v_xor_b32_e32 v22, s1, v22
	v_lshlrev_b32_e32 v16, 4, v16
	v_and_b32_e32 v17, v17, v20
	v_cmp_gt_i32_e64 s1, 0, v21
	v_ashrrev_i32_e32 v19, 31, v19
	s_wait_alu 0xfffd
	v_xor_b32_e32 v18, vcc_lo, v18
	v_add_nc_u32_e32 v87, v24, v16
	v_and_b32_e32 v17, v17, v22
	v_min_u32_e32 v33, 0x60, v72
	s_wait_alu 0xf1ff
	v_xor_b32_e32 v16, s1, v19
	ds_load_b32 v85, v87 offset:16
	v_and_b32_e32 v17, v17, v18
	; wave barrier
	s_delay_alu instid0(VALU_DEP_1) | instskip(NEXT) | instid1(VALU_DEP_1)
	v_and_b32_e32 v16, v17, v16
	v_mbcnt_lo_u32_b32 v86, v16, 0
	v_cmp_ne_u32_e64 s1, 0, v16
	s_delay_alu instid0(VALU_DEP_2)
	v_cmp_eq_u32_e32 vcc_lo, 0, v86
	s_and_b32 s9, s1, vcc_lo
	s_wait_alu 0xfffe
	s_and_saveexec_b32 s1, s9
	s_cbranch_execz .LBB172_102
; %bb.101:
	s_wait_dscnt 0x0
	v_bcnt_u32_b32 v16, v16, v85
	ds_store_b32 v87, v16 offset:16
.LBB172_102:
	s_wait_alu 0xfffe
	s_or_b32 exec_lo, exec_lo, s1
	; wave barrier
	s_wait_loadcnt_dscnt 0x0
	s_barrier_signal -1
	s_barrier_wait -1
	global_inv scope:SCOPE_SE
	ds_load_b128 v[20:23], v67 offset:16
	ds_load_b128 v[16:19], v67 offset:32
	v_and_b32_e32 v36, 16, v70
	v_or_b32_e32 v33, 31, v33
	s_delay_alu instid0(VALU_DEP_2) | instskip(NEXT) | instid1(VALU_DEP_2)
	v_cmp_eq_u32_e64 s16, 0, v36
	v_cmp_eq_u32_e64 s14, v46, v33
	v_lshlrev_b32_e32 v33, 2, v69
	s_wait_dscnt 0x1
	v_add_nc_u32_e32 v34, v21, v20
	s_delay_alu instid0(VALU_DEP_1) | instskip(SKIP_1) | instid1(VALU_DEP_1)
	v_add3_u32 v34, v34, v22, v23
	s_wait_dscnt 0x0
	v_add3_u32 v34, v34, v16, v17
	s_delay_alu instid0(VALU_DEP_1) | instskip(SKIP_1) | instid1(VALU_DEP_2)
	v_add3_u32 v19, v34, v18, v19
	v_and_b32_e32 v34, 15, v70
	v_mov_b32_dpp v35, v19 row_shr:1 row_mask:0xf bank_mask:0xf
	s_delay_alu instid0(VALU_DEP_2)
	v_cmp_eq_u32_e64 s1, 0, v34
	v_cmp_lt_u32_e64 s10, 1, v34
	v_cmp_lt_u32_e64 s11, 3, v34
	;; [unrolled: 1-line block ×3, first 2 shown]
	s_wait_alu 0xf1ff
	v_cndmask_b32_e64 v35, v35, 0, s1
	s_delay_alu instid0(VALU_DEP_1) | instskip(NEXT) | instid1(VALU_DEP_1)
	v_add_nc_u32_e32 v19, v35, v19
	v_mov_b32_dpp v35, v19 row_shr:2 row_mask:0xf bank_mask:0xf
	s_delay_alu instid0(VALU_DEP_1) | instskip(NEXT) | instid1(VALU_DEP_1)
	v_cndmask_b32_e64 v35, 0, v35, s10
	v_add_nc_u32_e32 v19, v19, v35
	s_delay_alu instid0(VALU_DEP_1) | instskip(NEXT) | instid1(VALU_DEP_1)
	v_mov_b32_dpp v35, v19 row_shr:4 row_mask:0xf bank_mask:0xf
	v_cndmask_b32_e64 v35, 0, v35, s11
	s_delay_alu instid0(VALU_DEP_1) | instskip(NEXT) | instid1(VALU_DEP_1)
	v_add_nc_u32_e32 v19, v19, v35
	v_mov_b32_dpp v35, v19 row_shr:8 row_mask:0xf bank_mask:0xf
	s_delay_alu instid0(VALU_DEP_1) | instskip(SKIP_1) | instid1(VALU_DEP_2)
	v_cndmask_b32_e64 v34, 0, v35, s13
	v_bfe_i32 v35, v70, 4, 1
	v_add_nc_u32_e32 v34, v19, v34
	ds_swizzle_b32 v19, v34 offset:swizzle(BROADCAST,32,15)
	s_wait_dscnt 0x0
	v_and_b32_e32 v35, v35, v19
	v_mul_i32_i24_e32 v19, 0xffffffe4, v46
	s_delay_alu instid0(VALU_DEP_2)
	v_add_nc_u32_e32 v36, v34, v35
	s_and_saveexec_b32 s9, s14
; %bb.103:
	ds_store_b32 v33, v36
; %bb.104:
	s_wait_alu 0xfffe
	s_or_b32 exec_lo, exec_lo, s9
	v_and_b32_e32 v34, 3, v70
	v_cmp_gt_u32_e64 s15, 4, v46
	s_wait_loadcnt_dscnt 0x0
	s_barrier_signal -1
	s_barrier_wait -1
	v_cmp_eq_u32_e64 s12, 0, v34
	v_cmp_lt_u32_e64 s9, 1, v34
	v_add_nc_u32_e32 v34, v67, v19
	global_inv scope:SCOPE_SE
	s_and_saveexec_b32 s17, s15
	s_cbranch_execz .LBB172_106
; %bb.105:
	ds_load_b32 v19, v34
	s_wait_dscnt 0x0
	v_mov_b32_dpp v35, v19 row_shr:1 row_mask:0xf bank_mask:0xf
	s_delay_alu instid0(VALU_DEP_1) | instskip(NEXT) | instid1(VALU_DEP_1)
	v_cndmask_b32_e64 v35, v35, 0, s12
	v_add_nc_u32_e32 v19, v35, v19
	s_delay_alu instid0(VALU_DEP_1) | instskip(NEXT) | instid1(VALU_DEP_1)
	v_mov_b32_dpp v35, v19 row_shr:2 row_mask:0xf bank_mask:0xf
	v_cndmask_b32_e64 v35, 0, v35, s9
	s_delay_alu instid0(VALU_DEP_1)
	v_add_nc_u32_e32 v19, v19, v35
	ds_store_b32 v34, v19
.LBB172_106:
	s_or_b32 exec_lo, exec_lo, s17
	v_sub_co_u32 v69, vcc_lo, v70, 1
	v_mul_u32_u24_e32 v19, 6, v71
	v_cmp_lt_u32_e64 s17, 31, v46
	v_add_nc_u32_e32 v35, -4, v33
	v_mov_b32_e32 v71, 0
	s_wait_loadcnt_dscnt 0x0
	s_barrier_signal -1
	s_barrier_wait -1
	global_inv scope:SCOPE_SE
	s_and_saveexec_b32 s18, s17
; %bb.107:
	ds_load_b32 v71, v35
; %bb.108:
	s_or_b32 exec_lo, exec_lo, s18
	v_cmp_gt_i32_e64 s18, 0, v69
	s_mov_b32 s24, 0
	s_min_u32 s19, s19, 8
	s_mov_b32 s25, s24
	s_mov_b32 s26, s24
	v_cndmask_b32_e64 v69, v69, v70, s18
	s_wait_dscnt 0x0
	v_add_nc_u32_e32 v70, v71, v36
	s_mov_b32 s27, s24
	v_cmp_eq_u32_e64 s18, 0, v46
	s_lshl_b32 s19, -1, s19
	v_lshlrev_b32_e32 v36, 2, v69
	s_wait_alu 0xfffe
	s_not_b32 s21, s19
	ds_bpermute_b32 v69, v36, v70
	s_wait_dscnt 0x0
	s_wait_alu 0xfffd
	v_cndmask_b32_e32 v69, v69, v71, vcc_lo
	s_delay_alu instid0(VALU_DEP_1) | instskip(NEXT) | instid1(VALU_DEP_1)
	v_cndmask_b32_e64 v69, v69, 0, s18
	v_add_nc_u32_e32 v70, v69, v20
	s_delay_alu instid0(VALU_DEP_1) | instskip(NEXT) | instid1(VALU_DEP_1)
	v_add_nc_u32_e32 v71, v70, v21
	v_add_nc_u32_e32 v72, v71, v22
	s_delay_alu instid0(VALU_DEP_1) | instskip(NEXT) | instid1(VALU_DEP_1)
	v_add_nc_u32_e32 v20, v72, v23
	;; [unrolled: 3-line block ×3, first 2 shown]
	v_add_nc_u32_e32 v23, v22, v18
	ds_store_b128 v67, v[69:72] offset:16
	ds_store_b128 v67, v[20:23] offset:32
	s_wait_loadcnt_dscnt 0x0
	s_barrier_signal -1
	s_barrier_wait -1
	global_inv scope:SCOPE_SE
	ds_load_b32 v16, v38 offset:16
	ds_load_b32 v17, v47 offset:16
	;; [unrolled: 1-line block ×8, first 2 shown]
	v_add_nc_u32_e32 v47, v68, v19
	s_wait_loadcnt_dscnt 0x0
	s_barrier_signal -1
	s_barrier_wait -1
	global_inv scope:SCOPE_SE
	v_add_nc_u32_e32 v37, v16, v37
	v_add3_u32 v39, v40, v39, v17
	v_add3_u32 v40, v49, v48, v18
	;; [unrolled: 1-line block ×7, first 2 shown]
	v_lshlrev_b32_e32 v16, 1, v37
	v_lshlrev_b32_e32 v17, 1, v39
	;; [unrolled: 1-line block ×8, first 2 shown]
	ds_store_b16 v16, v25
	ds_store_b16 v17, v26
	ds_store_b16 v18, v27
	ds_store_b16 v19, v28
	ds_store_b16 v20, v29
	ds_store_b16 v21, v30
	ds_store_b16 v22, v31
	ds_store_b16 v23, v32
	s_wait_loadcnt_dscnt 0x0
	s_barrier_signal -1
	s_barrier_wait -1
	global_inv scope:SCOPE_SE
	ds_load_u16 v25, v68
	ds_load_u16 v26, v68 offset:64
	ds_load_u16 v27, v68 offset:128
	;; [unrolled: 1-line block ×7, first 2 shown]
	v_mad_co_u64_u32 v[37:38], null, v37, 6, v[16:17]
	v_mad_co_u64_u32 v[16:17], null, v39, 6, v[17:18]
	;; [unrolled: 1-line block ×3, first 2 shown]
	s_wait_loadcnt_dscnt 0x0
	s_barrier_signal -1
	s_barrier_wait -1
	global_inv scope:SCOPE_SE
	v_mad_co_u64_u32 v[18:19], null, v48, 6, v[19:20]
	v_lshrrev_b16 v38, 8, v25
	ds_store_b64 v37, v[4:5]
	v_mad_co_u64_u32 v[19:20], null, v49, 6, v[20:21]
	v_mad_co_u64_u32 v[20:21], null, v50, 6, v[21:22]
	v_and_b32_e32 v4, 0xffff, v38
	v_mad_co_u64_u32 v[21:22], null, v69, 6, v[22:23]
	v_mad_co_u64_u32 v[22:23], null, v70, 6, v[23:24]
	s_wait_alu 0xfffe
	s_delay_alu instid0(VALU_DEP_3)
	v_and_b32_e32 v23, s21, v4
	ds_store_b64 v16, v[6:7]
	ds_store_b64 v17, v[0:1]
	;; [unrolled: 1-line block ×7, first 2 shown]
	v_and_b32_e32 v0, 1, v23
	v_lshlrev_b32_e32 v1, 30, v23
	v_lshlrev_b32_e32 v2, 29, v23
	;; [unrolled: 1-line block ×4, first 2 shown]
	v_add_co_u32 v0, s19, v0, -1
	s_wait_alu 0xf1ff
	v_cndmask_b32_e64 v4, 0, 1, s19
	v_not_b32_e32 v8, v1
	v_cmp_gt_i32_e64 s20, 0, v1
	v_not_b32_e32 v1, v2
	v_lshlrev_b32_e32 v6, 26, v23
	v_cmp_ne_u32_e64 s19, 0, v4
	v_ashrrev_i32_e32 v8, 31, v8
	v_lshlrev_b32_e32 v7, 25, v23
	v_ashrrev_i32_e32 v1, 31, v1
	v_lshlrev_b32_e32 v4, 24, v23
	s_wait_alu 0xf1ff
	v_xor_b32_e32 v0, s19, v0
	v_cmp_gt_i32_e64 s19, 0, v2
	v_not_b32_e32 v2, v3
	v_xor_b32_e32 v8, s20, v8
	v_cmp_gt_i32_e64 s20, 0, v3
	v_and_b32_e32 v0, exec_lo, v0
	v_not_b32_e32 v3, v5
	v_ashrrev_i32_e32 v2, 31, v2
	s_wait_alu 0xf1ff
	v_xor_b32_e32 v1, s19, v1
	v_cmp_gt_i32_e64 s19, 0, v5
	v_and_b32_e32 v0, v0, v8
	v_not_b32_e32 v5, v6
	v_ashrrev_i32_e32 v3, 31, v3
	v_xor_b32_e32 v2, s20, v2
	v_cmp_gt_i32_e64 s20, 0, v6
	v_and_b32_e32 v0, v0, v1
	v_not_b32_e32 v1, v7
	v_ashrrev_i32_e32 v5, 31, v5
	s_wait_alu 0xf1ff
	v_xor_b32_e32 v3, s19, v3
	v_cmp_gt_i32_e64 s19, 0, v7
	v_and_b32_e32 v0, v0, v2
	v_not_b32_e32 v2, v4
	v_ashrrev_i32_e32 v1, 31, v1
	v_xor_b32_e32 v5, s20, v5
	v_cmp_gt_i32_e64 s20, 0, v4
	v_and_b32_e32 v0, v0, v3
	v_ashrrev_i32_e32 v2, 31, v2
	s_wait_alu 0xf1ff
	v_xor_b32_e32 v1, s19, v1
	s_wait_loadcnt_dscnt 0x0
	s_barrier_signal -1
	v_and_b32_e32 v0, v0, v5
	v_xor_b32_e32 v16, s20, v2
	s_barrier_wait -1
	global_inv scope:SCOPE_SE
	ds_load_2addr_b64 v[4:7], v47 offset1:32
	v_and_b32_e32 v21, v0, v1
	ds_load_2addr_b64 v[12:15], v47 offset0:64 offset1:96
	ds_load_2addr_b64 v[8:11], v47 offset0:128 offset1:160
	;; [unrolled: 1-line block ×3, first 2 shown]
	v_dual_mov_b32 v17, s24 :: v_dual_mov_b32 v18, s25
	v_dual_mov_b32 v19, s26 :: v_dual_and_b32 v16, v21, v16
	v_mov_b32_e32 v20, s27
	v_lshl_add_u32 v38, v23, 4, v24
	s_wait_loadcnt_dscnt 0x0
	s_barrier_signal -1
	v_mbcnt_lo_u32_b32 v37, v16, 0
	v_cmp_ne_u32_e64 s20, 0, v16
	s_barrier_wait -1
	global_inv scope:SCOPE_SE
	ds_store_b128 v67, v[17:20] offset:16
	ds_store_b128 v67, v[17:20] offset:32
	v_cmp_eq_u32_e64 s19, 0, v37
	s_wait_loadcnt_dscnt 0x0
	s_barrier_signal -1
	s_barrier_wait -1
	global_inv scope:SCOPE_SE
	s_and_b32 s20, s20, s19
	; wave barrier
	s_wait_alu 0xfffe
	s_and_saveexec_b32 s19, s20
; %bb.109:
	v_bcnt_u32_b32 v16, v16, 0
	ds_store_b32 v38, v16 offset:16
; %bb.110:
	s_wait_alu 0xfffe
	s_or_b32 exec_lo, exec_lo, s19
	v_lshrrev_b16 v16, 8, v26
	; wave barrier
	s_delay_alu instid0(VALU_DEP_1) | instskip(NEXT) | instid1(VALU_DEP_1)
	v_and_b32_e32 v16, s21, v16
	v_and_b32_e32 v17, 1, v16
	v_lshlrev_b32_e32 v18, 30, v16
	v_lshlrev_b32_e32 v19, 29, v16
	;; [unrolled: 1-line block ×4, first 2 shown]
	v_add_co_u32 v17, s19, v17, -1
	s_wait_alu 0xf1ff
	v_cndmask_b32_e64 v21, 0, 1, s19
	v_not_b32_e32 v40, v18
	v_cmp_gt_i32_e64 s20, 0, v18
	v_not_b32_e32 v18, v19
	v_lshlrev_b32_e32 v23, 26, v16
	v_cmp_ne_u32_e64 s19, 0, v21
	v_ashrrev_i32_e32 v40, 31, v40
	v_lshlrev_b32_e32 v39, 25, v16
	v_ashrrev_i32_e32 v18, 31, v18
	v_lshlrev_b32_e32 v21, 24, v16
	s_wait_alu 0xf1ff
	v_xor_b32_e32 v17, s19, v17
	v_cmp_gt_i32_e64 s19, 0, v19
	v_not_b32_e32 v19, v20
	v_xor_b32_e32 v40, s20, v40
	v_cmp_gt_i32_e64 s20, 0, v20
	v_and_b32_e32 v17, exec_lo, v17
	v_not_b32_e32 v20, v22
	v_ashrrev_i32_e32 v19, 31, v19
	s_wait_alu 0xf1ff
	v_xor_b32_e32 v18, s19, v18
	v_cmp_gt_i32_e64 s19, 0, v22
	v_and_b32_e32 v17, v17, v40
	v_not_b32_e32 v22, v23
	v_ashrrev_i32_e32 v20, 31, v20
	v_xor_b32_e32 v19, s20, v19
	v_cmp_gt_i32_e64 s20, 0, v23
	v_and_b32_e32 v17, v17, v18
	v_not_b32_e32 v18, v39
	v_ashrrev_i32_e32 v22, 31, v22
	s_wait_alu 0xf1ff
	v_xor_b32_e32 v20, s19, v20
	v_cmp_gt_i32_e64 s19, 0, v39
	v_and_b32_e32 v17, v17, v19
	v_not_b32_e32 v19, v21
	v_ashrrev_i32_e32 v18, 31, v18
	v_xor_b32_e32 v22, s20, v22
	v_cmp_gt_i32_e64 s20, 0, v21
	v_and_b32_e32 v17, v17, v20
	v_ashrrev_i32_e32 v19, 31, v19
	s_wait_alu 0xf1ff
	v_xor_b32_e32 v18, s19, v18
	v_lshl_add_u32 v47, v16, 4, v24
	v_and_b32_e32 v17, v17, v22
	v_xor_b32_e32 v16, s20, v19
	ds_load_b32 v39, v47 offset:16
	v_and_b32_e32 v17, v17, v18
	; wave barrier
	s_delay_alu instid0(VALU_DEP_1) | instskip(NEXT) | instid1(VALU_DEP_1)
	v_and_b32_e32 v16, v17, v16
	v_mbcnt_lo_u32_b32 v40, v16, 0
	v_cmp_ne_u32_e64 s20, 0, v16
	s_delay_alu instid0(VALU_DEP_2)
	v_cmp_eq_u32_e64 s19, 0, v40
	s_and_b32 s20, s20, s19
	s_wait_alu 0xfffe
	s_and_saveexec_b32 s19, s20
	s_cbranch_execz .LBB172_112
; %bb.111:
	s_wait_dscnt 0x0
	v_bcnt_u32_b32 v16, v16, v39
	ds_store_b32 v47, v16 offset:16
.LBB172_112:
	s_wait_alu 0xfffe
	s_or_b32 exec_lo, exec_lo, s19
	v_lshrrev_b16 v16, 8, v27
	; wave barrier
	s_delay_alu instid0(VALU_DEP_1) | instskip(NEXT) | instid1(VALU_DEP_1)
	v_and_b32_e32 v16, s21, v16
	v_and_b32_e32 v17, 1, v16
	v_lshlrev_b32_e32 v18, 30, v16
	v_lshlrev_b32_e32 v19, 29, v16
	;; [unrolled: 1-line block ×4, first 2 shown]
	v_add_co_u32 v17, s19, v17, -1
	s_wait_alu 0xf1ff
	v_cndmask_b32_e64 v21, 0, 1, s19
	v_not_b32_e32 v49, v18
	v_cmp_gt_i32_e64 s20, 0, v18
	v_not_b32_e32 v18, v19
	v_lshlrev_b32_e32 v23, 26, v16
	v_cmp_ne_u32_e64 s19, 0, v21
	v_ashrrev_i32_e32 v49, 31, v49
	v_lshlrev_b32_e32 v48, 25, v16
	v_ashrrev_i32_e32 v18, 31, v18
	v_lshlrev_b32_e32 v21, 24, v16
	s_wait_alu 0xf1ff
	v_xor_b32_e32 v17, s19, v17
	v_cmp_gt_i32_e64 s19, 0, v19
	v_not_b32_e32 v19, v20
	v_xor_b32_e32 v49, s20, v49
	v_cmp_gt_i32_e64 s20, 0, v20
	v_and_b32_e32 v17, exec_lo, v17
	v_not_b32_e32 v20, v22
	v_ashrrev_i32_e32 v19, 31, v19
	s_wait_alu 0xf1ff
	v_xor_b32_e32 v18, s19, v18
	v_cmp_gt_i32_e64 s19, 0, v22
	v_and_b32_e32 v17, v17, v49
	v_not_b32_e32 v22, v23
	v_ashrrev_i32_e32 v20, 31, v20
	v_xor_b32_e32 v19, s20, v19
	v_cmp_gt_i32_e64 s20, 0, v23
	v_and_b32_e32 v17, v17, v18
	v_not_b32_e32 v18, v48
	v_ashrrev_i32_e32 v22, 31, v22
	s_wait_alu 0xf1ff
	v_xor_b32_e32 v20, s19, v20
	v_cmp_gt_i32_e64 s19, 0, v48
	v_and_b32_e32 v17, v17, v19
	v_not_b32_e32 v19, v21
	v_ashrrev_i32_e32 v18, 31, v18
	v_xor_b32_e32 v22, s20, v22
	v_cmp_gt_i32_e64 s20, 0, v21
	v_and_b32_e32 v17, v17, v20
	v_ashrrev_i32_e32 v19, 31, v19
	s_wait_alu 0xf1ff
	v_xor_b32_e32 v18, s19, v18
	v_lshl_add_u32 v50, v16, 4, v24
	v_and_b32_e32 v17, v17, v22
	v_xor_b32_e32 v16, s20, v19
	ds_load_b32 v48, v50 offset:16
	v_and_b32_e32 v17, v17, v18
	; wave barrier
	s_delay_alu instid0(VALU_DEP_1) | instskip(NEXT) | instid1(VALU_DEP_1)
	v_and_b32_e32 v16, v17, v16
	v_mbcnt_lo_u32_b32 v49, v16, 0
	v_cmp_ne_u32_e64 s20, 0, v16
	s_delay_alu instid0(VALU_DEP_2)
	v_cmp_eq_u32_e64 s19, 0, v49
	s_and_b32 s20, s20, s19
	s_wait_alu 0xfffe
	s_and_saveexec_b32 s19, s20
	s_cbranch_execz .LBB172_114
; %bb.113:
	s_wait_dscnt 0x0
	v_bcnt_u32_b32 v16, v16, v48
	ds_store_b32 v50, v16 offset:16
.LBB172_114:
	s_wait_alu 0xfffe
	s_or_b32 exec_lo, exec_lo, s19
	v_lshrrev_b16 v16, 8, v28
	; wave barrier
	s_delay_alu instid0(VALU_DEP_1) | instskip(NEXT) | instid1(VALU_DEP_1)
	v_and_b32_e32 v16, s21, v16
	v_and_b32_e32 v17, 1, v16
	v_lshlrev_b32_e32 v18, 30, v16
	v_lshlrev_b32_e32 v19, 29, v16
	v_lshlrev_b32_e32 v20, 28, v16
	v_lshlrev_b32_e32 v22, 27, v16
	v_add_co_u32 v17, s19, v17, -1
	s_wait_alu 0xf1ff
	v_cndmask_b32_e64 v21, 0, 1, s19
	v_not_b32_e32 v69, v18
	v_cmp_gt_i32_e64 s20, 0, v18
	v_not_b32_e32 v18, v19
	v_lshlrev_b32_e32 v23, 26, v16
	v_cmp_ne_u32_e64 s19, 0, v21
	v_ashrrev_i32_e32 v69, 31, v69
	v_lshlrev_b32_e32 v68, 25, v16
	v_ashrrev_i32_e32 v18, 31, v18
	v_lshlrev_b32_e32 v21, 24, v16
	s_wait_alu 0xf1ff
	v_xor_b32_e32 v17, s19, v17
	v_cmp_gt_i32_e64 s19, 0, v19
	v_not_b32_e32 v19, v20
	v_xor_b32_e32 v69, s20, v69
	v_cmp_gt_i32_e64 s20, 0, v20
	v_and_b32_e32 v17, exec_lo, v17
	v_not_b32_e32 v20, v22
	v_ashrrev_i32_e32 v19, 31, v19
	s_wait_alu 0xf1ff
	v_xor_b32_e32 v18, s19, v18
	v_cmp_gt_i32_e64 s19, 0, v22
	v_and_b32_e32 v17, v17, v69
	v_not_b32_e32 v22, v23
	v_ashrrev_i32_e32 v20, 31, v20
	v_xor_b32_e32 v19, s20, v19
	v_cmp_gt_i32_e64 s20, 0, v23
	v_and_b32_e32 v17, v17, v18
	v_not_b32_e32 v18, v68
	v_ashrrev_i32_e32 v22, 31, v22
	s_wait_alu 0xf1ff
	v_xor_b32_e32 v20, s19, v20
	v_cmp_gt_i32_e64 s19, 0, v68
	v_and_b32_e32 v17, v17, v19
	v_not_b32_e32 v19, v21
	v_ashrrev_i32_e32 v18, 31, v18
	v_xor_b32_e32 v22, s20, v22
	v_cmp_gt_i32_e64 s20, 0, v21
	v_and_b32_e32 v17, v17, v20
	v_ashrrev_i32_e32 v19, 31, v19
	s_wait_alu 0xf1ff
	v_xor_b32_e32 v18, s19, v18
	v_lshl_add_u32 v70, v16, 4, v24
	v_and_b32_e32 v17, v17, v22
	v_xor_b32_e32 v16, s20, v19
	ds_load_b32 v68, v70 offset:16
	v_and_b32_e32 v17, v17, v18
	; wave barrier
	s_delay_alu instid0(VALU_DEP_1) | instskip(NEXT) | instid1(VALU_DEP_1)
	v_and_b32_e32 v16, v17, v16
	v_mbcnt_lo_u32_b32 v69, v16, 0
	v_cmp_ne_u32_e64 s20, 0, v16
	s_delay_alu instid0(VALU_DEP_2)
	v_cmp_eq_u32_e64 s19, 0, v69
	s_and_b32 s20, s20, s19
	s_wait_alu 0xfffe
	s_and_saveexec_b32 s19, s20
	s_cbranch_execz .LBB172_116
; %bb.115:
	s_wait_dscnt 0x0
	v_bcnt_u32_b32 v16, v16, v68
	ds_store_b32 v70, v16 offset:16
.LBB172_116:
	s_wait_alu 0xfffe
	s_or_b32 exec_lo, exec_lo, s19
	v_lshrrev_b16 v16, 8, v29
	; wave barrier
	s_delay_alu instid0(VALU_DEP_1) | instskip(NEXT) | instid1(VALU_DEP_1)
	v_and_b32_e32 v16, s21, v16
	v_and_b32_e32 v17, 1, v16
	v_lshlrev_b32_e32 v18, 30, v16
	v_lshlrev_b32_e32 v19, 29, v16
	;; [unrolled: 1-line block ×4, first 2 shown]
	v_add_co_u32 v17, s19, v17, -1
	s_wait_alu 0xf1ff
	v_cndmask_b32_e64 v21, 0, 1, s19
	v_not_b32_e32 v72, v18
	v_cmp_gt_i32_e64 s20, 0, v18
	v_not_b32_e32 v18, v19
	v_lshlrev_b32_e32 v23, 26, v16
	v_cmp_ne_u32_e64 s19, 0, v21
	v_ashrrev_i32_e32 v72, 31, v72
	v_lshlrev_b32_e32 v71, 25, v16
	v_ashrrev_i32_e32 v18, 31, v18
	v_lshlrev_b32_e32 v21, 24, v16
	s_wait_alu 0xf1ff
	v_xor_b32_e32 v17, s19, v17
	v_cmp_gt_i32_e64 s19, 0, v19
	v_not_b32_e32 v19, v20
	v_xor_b32_e32 v72, s20, v72
	v_cmp_gt_i32_e64 s20, 0, v20
	v_and_b32_e32 v17, exec_lo, v17
	v_not_b32_e32 v20, v22
	v_ashrrev_i32_e32 v19, 31, v19
	s_wait_alu 0xf1ff
	v_xor_b32_e32 v18, s19, v18
	v_cmp_gt_i32_e64 s19, 0, v22
	v_and_b32_e32 v17, v17, v72
	v_not_b32_e32 v22, v23
	v_ashrrev_i32_e32 v20, 31, v20
	v_xor_b32_e32 v19, s20, v19
	v_cmp_gt_i32_e64 s20, 0, v23
	v_and_b32_e32 v17, v17, v18
	v_not_b32_e32 v18, v71
	v_ashrrev_i32_e32 v22, 31, v22
	s_wait_alu 0xf1ff
	v_xor_b32_e32 v20, s19, v20
	v_cmp_gt_i32_e64 s19, 0, v71
	v_and_b32_e32 v17, v17, v19
	v_not_b32_e32 v19, v21
	v_ashrrev_i32_e32 v18, 31, v18
	v_xor_b32_e32 v22, s20, v22
	v_cmp_gt_i32_e64 s20, 0, v21
	v_and_b32_e32 v17, v17, v20
	v_ashrrev_i32_e32 v19, 31, v19
	s_wait_alu 0xf1ff
	v_xor_b32_e32 v18, s19, v18
	v_lshl_add_u32 v73, v16, 4, v24
	v_and_b32_e32 v17, v17, v22
	v_xor_b32_e32 v16, s20, v19
	ds_load_b32 v71, v73 offset:16
	v_and_b32_e32 v17, v17, v18
	; wave barrier
	s_delay_alu instid0(VALU_DEP_1) | instskip(NEXT) | instid1(VALU_DEP_1)
	v_and_b32_e32 v16, v17, v16
	v_mbcnt_lo_u32_b32 v72, v16, 0
	v_cmp_ne_u32_e64 s20, 0, v16
	s_delay_alu instid0(VALU_DEP_2)
	v_cmp_eq_u32_e64 s19, 0, v72
	s_and_b32 s20, s20, s19
	s_wait_alu 0xfffe
	s_and_saveexec_b32 s19, s20
	s_cbranch_execz .LBB172_118
; %bb.117:
	s_wait_dscnt 0x0
	v_bcnt_u32_b32 v16, v16, v71
	ds_store_b32 v73, v16 offset:16
.LBB172_118:
	s_wait_alu 0xfffe
	s_or_b32 exec_lo, exec_lo, s19
	v_lshrrev_b16 v16, 8, v30
	; wave barrier
	s_delay_alu instid0(VALU_DEP_1) | instskip(NEXT) | instid1(VALU_DEP_1)
	v_and_b32_e32 v16, s21, v16
	v_and_b32_e32 v17, 1, v16
	v_lshlrev_b32_e32 v18, 30, v16
	v_lshlrev_b32_e32 v19, 29, v16
	;; [unrolled: 1-line block ×4, first 2 shown]
	v_add_co_u32 v17, s19, v17, -1
	s_wait_alu 0xf1ff
	v_cndmask_b32_e64 v21, 0, 1, s19
	v_not_b32_e32 v75, v18
	v_cmp_gt_i32_e64 s20, 0, v18
	v_not_b32_e32 v18, v19
	v_lshlrev_b32_e32 v23, 26, v16
	v_cmp_ne_u32_e64 s19, 0, v21
	v_ashrrev_i32_e32 v75, 31, v75
	v_lshlrev_b32_e32 v74, 25, v16
	v_ashrrev_i32_e32 v18, 31, v18
	v_lshlrev_b32_e32 v21, 24, v16
	s_wait_alu 0xf1ff
	v_xor_b32_e32 v17, s19, v17
	v_cmp_gt_i32_e64 s19, 0, v19
	v_not_b32_e32 v19, v20
	v_xor_b32_e32 v75, s20, v75
	v_cmp_gt_i32_e64 s20, 0, v20
	v_and_b32_e32 v17, exec_lo, v17
	v_not_b32_e32 v20, v22
	v_ashrrev_i32_e32 v19, 31, v19
	s_wait_alu 0xf1ff
	v_xor_b32_e32 v18, s19, v18
	v_cmp_gt_i32_e64 s19, 0, v22
	v_and_b32_e32 v17, v17, v75
	v_not_b32_e32 v22, v23
	v_ashrrev_i32_e32 v20, 31, v20
	v_xor_b32_e32 v19, s20, v19
	v_cmp_gt_i32_e64 s20, 0, v23
	v_and_b32_e32 v17, v17, v18
	v_not_b32_e32 v18, v74
	v_ashrrev_i32_e32 v22, 31, v22
	s_wait_alu 0xf1ff
	v_xor_b32_e32 v20, s19, v20
	v_cmp_gt_i32_e64 s19, 0, v74
	v_and_b32_e32 v17, v17, v19
	v_not_b32_e32 v19, v21
	v_ashrrev_i32_e32 v18, 31, v18
	v_xor_b32_e32 v22, s20, v22
	v_cmp_gt_i32_e64 s20, 0, v21
	v_and_b32_e32 v17, v17, v20
	v_ashrrev_i32_e32 v19, 31, v19
	s_wait_alu 0xf1ff
	v_xor_b32_e32 v18, s19, v18
	v_lshl_add_u32 v76, v16, 4, v24
	v_and_b32_e32 v17, v17, v22
	v_xor_b32_e32 v16, s20, v19
	ds_load_b32 v74, v76 offset:16
	v_and_b32_e32 v17, v17, v18
	; wave barrier
	s_delay_alu instid0(VALU_DEP_1) | instskip(NEXT) | instid1(VALU_DEP_1)
	v_and_b32_e32 v16, v17, v16
	v_mbcnt_lo_u32_b32 v75, v16, 0
	v_cmp_ne_u32_e64 s20, 0, v16
	s_delay_alu instid0(VALU_DEP_2)
	v_cmp_eq_u32_e64 s19, 0, v75
	s_and_b32 s20, s20, s19
	s_wait_alu 0xfffe
	s_and_saveexec_b32 s19, s20
	s_cbranch_execz .LBB172_120
; %bb.119:
	s_wait_dscnt 0x0
	v_bcnt_u32_b32 v16, v16, v74
	ds_store_b32 v76, v16 offset:16
.LBB172_120:
	s_wait_alu 0xfffe
	s_or_b32 exec_lo, exec_lo, s19
	v_lshrrev_b16 v16, 8, v31
	; wave barrier
	s_delay_alu instid0(VALU_DEP_1) | instskip(NEXT) | instid1(VALU_DEP_1)
	v_and_b32_e32 v16, s21, v16
	v_and_b32_e32 v17, 1, v16
	v_lshlrev_b32_e32 v18, 30, v16
	v_lshlrev_b32_e32 v19, 29, v16
	;; [unrolled: 1-line block ×4, first 2 shown]
	v_add_co_u32 v17, s19, v17, -1
	s_wait_alu 0xf1ff
	v_cndmask_b32_e64 v21, 0, 1, s19
	v_not_b32_e32 v78, v18
	v_cmp_gt_i32_e64 s20, 0, v18
	v_not_b32_e32 v18, v19
	v_lshlrev_b32_e32 v23, 26, v16
	v_cmp_ne_u32_e64 s19, 0, v21
	v_ashrrev_i32_e32 v78, 31, v78
	v_lshlrev_b32_e32 v77, 25, v16
	v_ashrrev_i32_e32 v18, 31, v18
	v_lshlrev_b32_e32 v21, 24, v16
	s_wait_alu 0xf1ff
	v_xor_b32_e32 v17, s19, v17
	v_cmp_gt_i32_e64 s19, 0, v19
	v_not_b32_e32 v19, v20
	v_xor_b32_e32 v78, s20, v78
	v_cmp_gt_i32_e64 s20, 0, v20
	v_and_b32_e32 v17, exec_lo, v17
	v_not_b32_e32 v20, v22
	v_ashrrev_i32_e32 v19, 31, v19
	s_wait_alu 0xf1ff
	v_xor_b32_e32 v18, s19, v18
	v_cmp_gt_i32_e64 s19, 0, v22
	v_and_b32_e32 v17, v17, v78
	v_not_b32_e32 v22, v23
	v_ashrrev_i32_e32 v20, 31, v20
	v_xor_b32_e32 v19, s20, v19
	v_cmp_gt_i32_e64 s20, 0, v23
	v_and_b32_e32 v17, v17, v18
	v_not_b32_e32 v18, v77
	v_ashrrev_i32_e32 v22, 31, v22
	s_wait_alu 0xf1ff
	v_xor_b32_e32 v20, s19, v20
	v_cmp_gt_i32_e64 s19, 0, v77
	v_and_b32_e32 v17, v17, v19
	v_not_b32_e32 v19, v21
	v_ashrrev_i32_e32 v18, 31, v18
	v_xor_b32_e32 v22, s20, v22
	v_cmp_gt_i32_e64 s20, 0, v21
	v_and_b32_e32 v17, v17, v20
	v_ashrrev_i32_e32 v19, 31, v19
	s_wait_alu 0xf1ff
	v_xor_b32_e32 v18, s19, v18
	v_lshl_add_u32 v79, v16, 4, v24
	v_and_b32_e32 v17, v17, v22
	v_xor_b32_e32 v16, s20, v19
	ds_load_b32 v77, v79 offset:16
	v_and_b32_e32 v17, v17, v18
	; wave barrier
	s_delay_alu instid0(VALU_DEP_1) | instskip(NEXT) | instid1(VALU_DEP_1)
	v_and_b32_e32 v16, v17, v16
	v_mbcnt_lo_u32_b32 v78, v16, 0
	v_cmp_ne_u32_e64 s20, 0, v16
	s_delay_alu instid0(VALU_DEP_2)
	v_cmp_eq_u32_e64 s19, 0, v78
	s_and_b32 s20, s20, s19
	s_wait_alu 0xfffe
	s_and_saveexec_b32 s19, s20
	s_cbranch_execz .LBB172_122
; %bb.121:
	s_wait_dscnt 0x0
	v_bcnt_u32_b32 v16, v16, v77
	ds_store_b32 v79, v16 offset:16
.LBB172_122:
	s_wait_alu 0xfffe
	s_or_b32 exec_lo, exec_lo, s19
	v_lshrrev_b16 v16, 8, v32
	; wave barrier
	s_delay_alu instid0(VALU_DEP_1) | instskip(NEXT) | instid1(VALU_DEP_1)
	v_and_b32_e32 v16, s21, v16
	v_and_b32_e32 v17, 1, v16
	v_lshlrev_b32_e32 v18, 30, v16
	v_lshlrev_b32_e32 v19, 29, v16
	;; [unrolled: 1-line block ×4, first 2 shown]
	v_add_co_u32 v17, s19, v17, -1
	s_wait_alu 0xf1ff
	v_cndmask_b32_e64 v21, 0, 1, s19
	v_not_b32_e32 v81, v18
	v_cmp_gt_i32_e64 s20, 0, v18
	v_not_b32_e32 v18, v19
	v_lshlrev_b32_e32 v23, 26, v16
	v_cmp_ne_u32_e64 s19, 0, v21
	v_ashrrev_i32_e32 v81, 31, v81
	v_lshlrev_b32_e32 v80, 25, v16
	v_ashrrev_i32_e32 v18, 31, v18
	v_lshlrev_b32_e32 v21, 24, v16
	s_wait_alu 0xf1ff
	v_xor_b32_e32 v17, s19, v17
	v_cmp_gt_i32_e64 s19, 0, v19
	v_not_b32_e32 v19, v20
	v_xor_b32_e32 v81, s20, v81
	v_cmp_gt_i32_e64 s20, 0, v20
	v_and_b32_e32 v17, exec_lo, v17
	v_not_b32_e32 v20, v22
	v_ashrrev_i32_e32 v19, 31, v19
	s_wait_alu 0xf1ff
	v_xor_b32_e32 v18, s19, v18
	v_cmp_gt_i32_e64 s19, 0, v22
	v_and_b32_e32 v17, v17, v81
	v_not_b32_e32 v22, v23
	v_ashrrev_i32_e32 v20, 31, v20
	v_xor_b32_e32 v19, s20, v19
	v_cmp_gt_i32_e64 s20, 0, v23
	v_and_b32_e32 v17, v17, v18
	v_not_b32_e32 v18, v80
	v_ashrrev_i32_e32 v22, 31, v22
	s_wait_alu 0xf1ff
	v_xor_b32_e32 v20, s19, v20
	v_cmp_gt_i32_e64 s19, 0, v80
	v_and_b32_e32 v17, v17, v19
	v_not_b32_e32 v19, v21
	v_ashrrev_i32_e32 v18, 31, v18
	v_xor_b32_e32 v22, s20, v22
	v_cmp_gt_i32_e64 s20, 0, v21
	v_and_b32_e32 v17, v17, v20
	v_ashrrev_i32_e32 v19, 31, v19
	s_wait_alu 0xf1ff
	v_xor_b32_e32 v18, s19, v18
	v_lshl_add_u32 v81, v16, 4, v24
	v_and_b32_e32 v17, v17, v22
	v_xor_b32_e32 v16, s20, v19
	ds_load_b32 v24, v81 offset:16
	v_and_b32_e32 v17, v17, v18
	; wave barrier
	s_delay_alu instid0(VALU_DEP_1) | instskip(NEXT) | instid1(VALU_DEP_1)
	v_and_b32_e32 v16, v17, v16
	v_mbcnt_lo_u32_b32 v80, v16, 0
	v_cmp_ne_u32_e64 s20, 0, v16
	s_delay_alu instid0(VALU_DEP_2)
	v_cmp_eq_u32_e64 s19, 0, v80
	s_and_b32 s20, s20, s19
	s_wait_alu 0xfffe
	s_and_saveexec_b32 s19, s20
	s_cbranch_execz .LBB172_124
; %bb.123:
	s_wait_dscnt 0x0
	v_bcnt_u32_b32 v16, v16, v24
	ds_store_b32 v81, v16 offset:16
.LBB172_124:
	s_wait_alu 0xfffe
	s_or_b32 exec_lo, exec_lo, s19
	; wave barrier
	s_wait_loadcnt_dscnt 0x0
	s_barrier_signal -1
	s_barrier_wait -1
	global_inv scope:SCOPE_SE
	ds_load_b128 v[20:23], v67 offset:16
	ds_load_b128 v[16:19], v67 offset:32
	s_wait_dscnt 0x1
	v_add_nc_u32_e32 v82, v21, v20
	s_delay_alu instid0(VALU_DEP_1) | instskip(SKIP_1) | instid1(VALU_DEP_1)
	v_add3_u32 v82, v82, v22, v23
	s_wait_dscnt 0x0
	v_add3_u32 v82, v82, v16, v17
	s_delay_alu instid0(VALU_DEP_1) | instskip(NEXT) | instid1(VALU_DEP_1)
	v_add3_u32 v19, v82, v18, v19
	v_mov_b32_dpp v82, v19 row_shr:1 row_mask:0xf bank_mask:0xf
	s_delay_alu instid0(VALU_DEP_1) | instskip(NEXT) | instid1(VALU_DEP_1)
	v_cndmask_b32_e64 v82, v82, 0, s1
	v_add_nc_u32_e32 v19, v82, v19
	s_delay_alu instid0(VALU_DEP_1) | instskip(NEXT) | instid1(VALU_DEP_1)
	v_mov_b32_dpp v82, v19 row_shr:2 row_mask:0xf bank_mask:0xf
	v_cndmask_b32_e64 v82, 0, v82, s10
	s_delay_alu instid0(VALU_DEP_1) | instskip(NEXT) | instid1(VALU_DEP_1)
	v_add_nc_u32_e32 v19, v19, v82
	v_mov_b32_dpp v82, v19 row_shr:4 row_mask:0xf bank_mask:0xf
	s_delay_alu instid0(VALU_DEP_1) | instskip(NEXT) | instid1(VALU_DEP_1)
	v_cndmask_b32_e64 v82, 0, v82, s11
	v_add_nc_u32_e32 v19, v19, v82
	s_delay_alu instid0(VALU_DEP_1) | instskip(NEXT) | instid1(VALU_DEP_1)
	v_mov_b32_dpp v82, v19 row_shr:8 row_mask:0xf bank_mask:0xf
	v_cndmask_b32_e64 v82, 0, v82, s13
	s_delay_alu instid0(VALU_DEP_1) | instskip(SKIP_3) | instid1(VALU_DEP_1)
	v_add_nc_u32_e32 v19, v19, v82
	ds_swizzle_b32 v82, v19 offset:swizzle(BROADCAST,32,15)
	s_wait_dscnt 0x0
	v_cndmask_b32_e64 v82, v82, 0, s16
	v_add_nc_u32_e32 v19, v19, v82
	s_and_saveexec_b32 s1, s14
; %bb.125:
	ds_store_b32 v33, v19
; %bb.126:
	s_wait_alu 0xfffe
	s_or_b32 exec_lo, exec_lo, s1
	s_wait_loadcnt_dscnt 0x0
	s_barrier_signal -1
	s_barrier_wait -1
	global_inv scope:SCOPE_SE
	s_and_saveexec_b32 s1, s15
	s_cbranch_execz .LBB172_128
; %bb.127:
	ds_load_b32 v33, v34
	s_wait_dscnt 0x0
	v_mov_b32_dpp v82, v33 row_shr:1 row_mask:0xf bank_mask:0xf
	s_delay_alu instid0(VALU_DEP_1) | instskip(NEXT) | instid1(VALU_DEP_1)
	v_cndmask_b32_e64 v82, v82, 0, s12
	v_add_nc_u32_e32 v33, v82, v33
	s_delay_alu instid0(VALU_DEP_1) | instskip(NEXT) | instid1(VALU_DEP_1)
	v_mov_b32_dpp v82, v33 row_shr:2 row_mask:0xf bank_mask:0xf
	v_cndmask_b32_e64 v82, 0, v82, s9
	s_delay_alu instid0(VALU_DEP_1)
	v_add_nc_u32_e32 v33, v33, v82
	ds_store_b32 v34, v33
.LBB172_128:
	s_wait_alu 0xfffe
	s_or_b32 exec_lo, exec_lo, s1
	v_mov_b32_e32 v33, 0
	s_wait_loadcnt_dscnt 0x0
	s_barrier_signal -1
	s_barrier_wait -1
	global_inv scope:SCOPE_SE
	s_and_saveexec_b32 s1, s17
; %bb.129:
	ds_load_b32 v33, v35
; %bb.130:
	s_wait_alu 0xfffe
	s_or_b32 exec_lo, exec_lo, s1
	s_wait_dscnt 0x0
	v_add_nc_u32_e32 v19, v33, v19
	ds_bpermute_b32 v19, v36, v19
	s_wait_dscnt 0x0
	v_cndmask_b32_e32 v19, v19, v33, vcc_lo
	s_delay_alu instid0(VALU_DEP_1) | instskip(NEXT) | instid1(VALU_DEP_1)
	v_cndmask_b32_e64 v19, v19, 0, s18
	v_add_nc_u32_e32 v20, v19, v20
	s_delay_alu instid0(VALU_DEP_1) | instskip(NEXT) | instid1(VALU_DEP_1)
	v_add_nc_u32_e32 v21, v20, v21
	v_add_nc_u32_e32 v22, v21, v22
	s_delay_alu instid0(VALU_DEP_1) | instskip(NEXT) | instid1(VALU_DEP_1)
	v_add_nc_u32_e32 v33, v22, v23
	;; [unrolled: 3-line block ×3, first 2 shown]
	v_add_nc_u32_e32 v36, v35, v18
	ds_store_b128 v67, v[19:22] offset:16
	ds_store_b128 v67, v[33:36] offset:32
	s_wait_loadcnt_dscnt 0x0
	s_barrier_signal -1
	s_barrier_wait -1
	global_inv scope:SCOPE_SE
	ds_load_b32 v16, v81 offset:16
	ds_load_b32 v17, v79 offset:16
	;; [unrolled: 1-line block ×8, first 2 shown]
	v_lshlrev_b32_e32 v33, 1, v66
	s_wait_loadcnt_dscnt 0x0
	s_barrier_signal -1
	s_barrier_wait -1
	global_inv scope:SCOPE_SE
	v_mad_u32_u24 v38, v46, 48, v33
	v_add3_u32 v34, v80, v24, v16
	v_add3_u32 v35, v78, v77, v17
	;; [unrolled: 1-line block ×3, first 2 shown]
	v_add_nc_u32_e32 v24, v19, v37
	v_add3_u32 v37, v40, v39, v20
	v_add3_u32 v39, v49, v48, v21
	;; [unrolled: 1-line block ×4, first 2 shown]
	v_lshlrev_b32_e32 v16, 1, v24
	v_lshlrev_b32_e32 v17, 1, v37
	;; [unrolled: 1-line block ×8, first 2 shown]
	ds_store_b16 v16, v25
	ds_store_b16 v17, v26
	;; [unrolled: 1-line block ×8, first 2 shown]
	v_mad_co_u64_u32 v[24:25], null, v24, 6, v[16:17]
	v_mad_co_u64_u32 v[16:17], null, v37, 6, v[17:18]
	;; [unrolled: 1-line block ×8, first 2 shown]
	s_wait_loadcnt_dscnt 0x0
	s_barrier_signal -1
	s_barrier_wait -1
	global_inv scope:SCOPE_SE
	ds_load_b128 v[33:36], v33
	s_wait_loadcnt_dscnt 0x0
	s_barrier_signal -1
	s_barrier_wait -1
	global_inv scope:SCOPE_SE
	ds_store_b64 v24, v[4:5]
	ds_store_b64 v16, v[6:7]
	;; [unrolled: 1-line block ×8, first 2 shown]
	s_wait_loadcnt_dscnt 0x0
	s_barrier_signal -1
	s_barrier_wait -1
	global_inv scope:SCOPE_SE
	ds_load_b128 v[29:32], v38
	ds_load_b128 v[25:28], v38 offset:16
	ds_load_b128 v[21:24], v38 offset:32
	;; [unrolled: 1-line block ×3, first 2 shown]
	v_xor_b32_e32 v0, 0x7fff7fff, v33
	v_xor_b32_e32 v34, 0x7fff7fff, v34
	;; [unrolled: 1-line block ×4, first 2 shown]
.LBB172_131:
	s_wait_loadcnt_dscnt 0x0
	s_barrier_signal -1
	s_barrier_wait -1
	global_inv scope:SCOPE_SE
	ds_store_2addr_b32 v58, v0, v34 offset1:1
	ds_store_2addr_b32 v58, v33, v35 offset0:2 offset1:3
	s_wait_loadcnt_dscnt 0x0
	s_barrier_signal -1
	s_barrier_wait -1
	global_inv scope:SCOPE_SE
	ds_load_u16 v8, v45 offset:256
	ds_load_u16 v7, v52 offset:512
	;; [unrolled: 1-line block ×7, first 2 shown]
	v_mov_b32_e32 v45, 0
	s_delay_alu instid0(VALU_DEP_1) | instskip(NEXT) | instid1(VALU_DEP_1)
	v_lshlrev_b64_e32 v[0:1], 1, v[44:45]
	v_add_co_u32 v0, vcc_lo, s30, v0
	s_wait_alu 0xfffd
	s_delay_alu instid0(VALU_DEP_2)
	v_add_co_ci_u32_e64 v1, null, s31, v1, vcc_lo
	s_and_saveexec_b32 s1, s2
	s_cbranch_execnz .LBB172_150
; %bb.132:
	s_wait_alu 0xfffe
	s_or_b32 exec_lo, exec_lo, s1
	s_and_saveexec_b32 s1, s3
	s_cbranch_execnz .LBB172_151
.LBB172_133:
	s_wait_alu 0xfffe
	s_or_b32 exec_lo, exec_lo, s1
	s_and_saveexec_b32 s1, s4
	s_cbranch_execnz .LBB172_152
.LBB172_134:
	s_wait_alu 0xfffe
	s_or_b32 exec_lo, exec_lo, s1
	s_and_saveexec_b32 s1, s5
	s_cbranch_execnz .LBB172_153
.LBB172_135:
	s_wait_alu 0xfffe
	s_or_b32 exec_lo, exec_lo, s1
	s_and_saveexec_b32 s1, s6
	s_cbranch_execnz .LBB172_154
.LBB172_136:
	s_wait_alu 0xfffe
	s_or_b32 exec_lo, exec_lo, s1
	s_and_saveexec_b32 s1, s7
	s_cbranch_execnz .LBB172_155
.LBB172_137:
	s_wait_alu 0xfffe
	s_or_b32 exec_lo, exec_lo, s1
	s_and_saveexec_b32 s1, s8
	s_cbranch_execnz .LBB172_156
.LBB172_138:
	s_wait_alu 0xfffe
	s_or_b32 exec_lo, exec_lo, s1
	s_and_saveexec_b32 s1, s0
	s_cbranch_execz .LBB172_140
.LBB172_139:
	s_mul_i32 s10, s22, 0x380
	s_mov_b32 s11, 0
	s_wait_alu 0xfffe
	s_lshl_b64 s[10:11], s[10:11], 1
	s_wait_alu 0xfffe
	v_add_co_u32 v0, vcc_lo, v0, s10
	s_wait_alu 0xfffd
	v_add_co_ci_u32_e64 v1, null, s11, v1, vcc_lo
	s_wait_dscnt 0x0
	global_store_b16 v[0:1], v2, off
.LBB172_140:
	s_wait_alu 0xfffe
	s_or_b32 exec_lo, exec_lo, s1
	s_wait_storecnt 0x0
	s_wait_loadcnt_dscnt 0x0
	s_barrier_signal -1
	s_barrier_wait -1
	global_inv scope:SCOPE_SE
	ds_store_2addr_b64 v65, v[29:30], v[31:32] offset1:1
	ds_store_2addr_b64 v65, v[25:26], v[27:28] offset0:2 offset1:3
	ds_store_2addr_b64 v65, v[21:22], v[23:24] offset0:4 offset1:5
	;; [unrolled: 1-line block ×3, first 2 shown]
	s_wait_loadcnt_dscnt 0x0
	s_barrier_signal -1
	s_barrier_wait -1
	global_inv scope:SCOPE_SE
	ds_load_b64 v[14:15], v60 offset:1024
	ds_load_b64 v[12:13], v61 offset:2048
	;; [unrolled: 1-line block ×7, first 2 shown]
	v_mov_b32_e32 v42, 0
	s_delay_alu instid0(VALU_DEP_1) | instskip(NEXT) | instid1(VALU_DEP_1)
	v_lshlrev_b64_e32 v[2:3], 3, v[41:42]
	v_add_co_u32 v2, vcc_lo, s34, v2
	s_wait_alu 0xfffd
	s_delay_alu instid0(VALU_DEP_2)
	v_add_co_ci_u32_e64 v3, null, s35, v3, vcc_lo
	s_and_saveexec_b32 s1, s2
	s_cbranch_execnz .LBB172_157
; %bb.141:
	s_wait_alu 0xfffe
	s_or_b32 exec_lo, exec_lo, s1
	s_and_saveexec_b32 s1, s3
	s_cbranch_execnz .LBB172_158
.LBB172_142:
	s_wait_alu 0xfffe
	s_or_b32 exec_lo, exec_lo, s1
	s_and_saveexec_b32 s1, s4
	s_cbranch_execnz .LBB172_159
.LBB172_143:
	s_wait_alu 0xfffe
	s_or_b32 exec_lo, exec_lo, s1
	s_and_saveexec_b32 s1, s5
	s_cbranch_execnz .LBB172_160
.LBB172_144:
	s_wait_alu 0xfffe
	s_or_b32 exec_lo, exec_lo, s1
	s_and_saveexec_b32 s1, s6
	s_cbranch_execnz .LBB172_161
.LBB172_145:
	s_wait_alu 0xfffe
	s_or_b32 exec_lo, exec_lo, s1
	s_and_saveexec_b32 s1, s7
	s_cbranch_execnz .LBB172_162
.LBB172_146:
	s_wait_alu 0xfffe
	s_or_b32 exec_lo, exec_lo, s1
	s_and_saveexec_b32 s1, s8
	s_cbranch_execnz .LBB172_163
.LBB172_147:
	s_wait_alu 0xfffe
	s_or_b32 exec_lo, exec_lo, s1
	s_and_saveexec_b32 s1, s0
	s_cbranch_execz .LBB172_149
.LBB172_148:
	s_mul_i32 s0, s28, 0x380
	s_mov_b32 s1, 0
	s_wait_alu 0xfffe
	s_lshl_b64 s[0:1], s[0:1], 3
	s_wait_alu 0xfffe
	v_add_co_u32 v2, vcc_lo, v2, s0
	s_wait_alu 0xfffd
	v_add_co_ci_u32_e64 v3, null, s1, v3, vcc_lo
	s_wait_dscnt 0x0
	global_store_b64 v[2:3], v[0:1], off
.LBB172_149:
	s_nop 0
	s_sendmsg sendmsg(MSG_DEALLOC_VGPRS)
	s_endpgm
.LBB172_150:
	ds_load_u16 v9, v51
	s_wait_dscnt 0x0
	global_store_b16 v[0:1], v9, off
	s_wait_alu 0xfffe
	s_or_b32 exec_lo, exec_lo, s1
	s_and_saveexec_b32 s1, s3
	s_cbranch_execz .LBB172_133
.LBB172_151:
	s_lshl_b32 s10, s22, 7
	s_mov_b32 s11, 0
	s_wait_alu 0xfffe
	s_lshl_b64 s[10:11], s[10:11], 1
	s_wait_alu 0xfffe
	v_add_co_u32 v9, vcc_lo, v0, s10
	s_wait_alu 0xfffd
	v_add_co_ci_u32_e64 v10, null, s11, v1, vcc_lo
	s_wait_dscnt 0x6
	global_store_b16 v[9:10], v8, off
	s_or_b32 exec_lo, exec_lo, s1
	s_and_saveexec_b32 s1, s4
	s_cbranch_execz .LBB172_134
.LBB172_152:
	s_lshl_b32 s10, s22, 8
	s_mov_b32 s11, 0
	s_wait_alu 0xfffe
	s_lshl_b64 s[10:11], s[10:11], 1
	s_wait_dscnt 0x6
	s_wait_alu 0xfffe
	v_add_co_u32 v8, vcc_lo, v0, s10
	s_wait_alu 0xfffd
	v_add_co_ci_u32_e64 v9, null, s11, v1, vcc_lo
	s_wait_dscnt 0x5
	global_store_b16 v[8:9], v7, off
	s_or_b32 exec_lo, exec_lo, s1
	s_and_saveexec_b32 s1, s5
	s_cbranch_execz .LBB172_135
.LBB172_153:
	s_mul_i32 s10, s22, 0x180
	s_mov_b32 s11, 0
	s_wait_alu 0xfffe
	s_lshl_b64 s[10:11], s[10:11], 1
	s_wait_dscnt 0x5
	s_wait_alu 0xfffe
	v_add_co_u32 v7, vcc_lo, v0, s10
	s_wait_alu 0xfffd
	v_add_co_ci_u32_e64 v8, null, s11, v1, vcc_lo
	s_wait_dscnt 0x4
	global_store_b16 v[7:8], v6, off
	s_or_b32 exec_lo, exec_lo, s1
	s_and_saveexec_b32 s1, s6
	s_cbranch_execz .LBB172_136
.LBB172_154:
	s_lshl_b32 s10, s22, 9
	s_mov_b32 s11, 0
	s_wait_alu 0xfffe
	s_lshl_b64 s[10:11], s[10:11], 1
	s_wait_dscnt 0x4
	s_wait_alu 0xfffe
	v_add_co_u32 v6, vcc_lo, v0, s10
	s_wait_alu 0xfffd
	v_add_co_ci_u32_e64 v7, null, s11, v1, vcc_lo
	s_wait_dscnt 0x3
	global_store_b16 v[6:7], v5, off
	s_or_b32 exec_lo, exec_lo, s1
	s_and_saveexec_b32 s1, s7
	s_cbranch_execz .LBB172_137
.LBB172_155:
	s_mul_i32 s10, s22, 0x280
	s_mov_b32 s11, 0
	s_wait_alu 0xfffe
	s_lshl_b64 s[10:11], s[10:11], 1
	s_wait_dscnt 0x3
	s_wait_alu 0xfffe
	v_add_co_u32 v5, vcc_lo, v0, s10
	s_wait_alu 0xfffd
	v_add_co_ci_u32_e64 v6, null, s11, v1, vcc_lo
	s_wait_dscnt 0x2
	global_store_b16 v[5:6], v4, off
	s_or_b32 exec_lo, exec_lo, s1
	s_and_saveexec_b32 s1, s8
	s_cbranch_execz .LBB172_138
.LBB172_156:
	s_mul_i32 s10, s22, 0x300
	s_mov_b32 s11, 0
	s_wait_alu 0xfffe
	s_lshl_b64 s[10:11], s[10:11], 1
	s_wait_dscnt 0x2
	s_wait_alu 0xfffe
	v_add_co_u32 v4, vcc_lo, v0, s10
	s_wait_alu 0xfffd
	v_add_co_ci_u32_e64 v5, null, s11, v1, vcc_lo
	s_wait_dscnt 0x1
	global_store_b16 v[4:5], v3, off
	s_or_b32 exec_lo, exec_lo, s1
	s_and_saveexec_b32 s1, s0
	s_cbranch_execnz .LBB172_139
	s_branch .LBB172_140
.LBB172_157:
	ds_load_b64 v[16:17], v59
	s_wait_dscnt 0x0
	global_store_b64 v[2:3], v[16:17], off
	s_wait_alu 0xfffe
	s_or_b32 exec_lo, exec_lo, s1
	s_and_saveexec_b32 s1, s3
	s_cbranch_execz .LBB172_142
.LBB172_158:
	s_lshl_b32 s2, s28, 7
	s_mov_b32 s3, 0
	s_wait_alu 0xfffe
	s_lshl_b64 s[2:3], s[2:3], 3
	s_wait_alu 0xfffe
	v_add_co_u32 v16, vcc_lo, v2, s2
	s_wait_alu 0xfffd
	v_add_co_ci_u32_e64 v17, null, s3, v3, vcc_lo
	s_wait_dscnt 0x6
	global_store_b64 v[16:17], v[14:15], off
	s_or_b32 exec_lo, exec_lo, s1
	s_and_saveexec_b32 s1, s4
	s_cbranch_execz .LBB172_143
.LBB172_159:
	s_lshl_b32 s2, s28, 8
	s_mov_b32 s3, 0
	s_wait_alu 0xfffe
	s_lshl_b64 s[2:3], s[2:3], 3
	s_wait_dscnt 0x6
	s_wait_alu 0xfffe
	v_add_co_u32 v14, vcc_lo, v2, s2
	s_wait_alu 0xfffd
	v_add_co_ci_u32_e64 v15, null, s3, v3, vcc_lo
	s_wait_dscnt 0x5
	global_store_b64 v[14:15], v[12:13], off
	s_or_b32 exec_lo, exec_lo, s1
	s_and_saveexec_b32 s1, s5
	s_cbranch_execz .LBB172_144
.LBB172_160:
	s_mul_i32 s2, s28, 0x180
	s_mov_b32 s3, 0
	s_wait_alu 0xfffe
	s_lshl_b64 s[2:3], s[2:3], 3
	s_wait_dscnt 0x5
	s_wait_alu 0xfffe
	v_add_co_u32 v12, vcc_lo, v2, s2
	s_wait_alu 0xfffd
	v_add_co_ci_u32_e64 v13, null, s3, v3, vcc_lo
	s_wait_dscnt 0x4
	global_store_b64 v[12:13], v[10:11], off
	s_or_b32 exec_lo, exec_lo, s1
	s_and_saveexec_b32 s1, s6
	s_cbranch_execz .LBB172_145
.LBB172_161:
	s_lshl_b32 s2, s28, 9
	s_mov_b32 s3, 0
	s_wait_alu 0xfffe
	s_lshl_b64 s[2:3], s[2:3], 3
	s_wait_dscnt 0x4
	s_wait_alu 0xfffe
	v_add_co_u32 v10, vcc_lo, v2, s2
	s_wait_alu 0xfffd
	v_add_co_ci_u32_e64 v11, null, s3, v3, vcc_lo
	s_wait_dscnt 0x3
	global_store_b64 v[10:11], v[8:9], off
	s_or_b32 exec_lo, exec_lo, s1
	s_and_saveexec_b32 s1, s7
	s_cbranch_execz .LBB172_146
.LBB172_162:
	s_mul_i32 s2, s28, 0x280
	s_mov_b32 s3, 0
	s_wait_alu 0xfffe
	s_lshl_b64 s[2:3], s[2:3], 3
	s_wait_dscnt 0x3
	s_wait_alu 0xfffe
	v_add_co_u32 v8, vcc_lo, v2, s2
	s_wait_alu 0xfffd
	v_add_co_ci_u32_e64 v9, null, s3, v3, vcc_lo
	s_wait_dscnt 0x2
	global_store_b64 v[8:9], v[6:7], off
	s_or_b32 exec_lo, exec_lo, s1
	s_and_saveexec_b32 s1, s8
	s_cbranch_execz .LBB172_147
.LBB172_163:
	s_mul_i32 s2, s28, 0x300
	s_mov_b32 s3, 0
	s_wait_alu 0xfffe
	s_lshl_b64 s[2:3], s[2:3], 3
	s_wait_dscnt 0x2
	s_wait_alu 0xfffe
	v_add_co_u32 v6, vcc_lo, v2, s2
	s_wait_alu 0xfffd
	v_add_co_ci_u32_e64 v7, null, s3, v3, vcc_lo
	s_wait_dscnt 0x1
	global_store_b64 v[6:7], v[4:5], off
	s_or_b32 exec_lo, exec_lo, s1
	s_and_saveexec_b32 s1, s0
	s_cbranch_execnz .LBB172_148
	s_branch .LBB172_149
	.section	.rodata,"a",@progbits
	.p2align	6, 0x0
	.amdhsa_kernel _ZN2at6native18radixSortKVInPlaceILin1ELin1ELi128ELi8EsljEEvNS_4cuda6detail10TensorInfoIT3_T5_EES6_S6_S6_NS4_IT4_S6_EES6_b
		.amdhsa_group_segment_fixed_size 8448
		.amdhsa_private_segment_fixed_size 0
		.amdhsa_kernarg_size 712
		.amdhsa_user_sgpr_count 2
		.amdhsa_user_sgpr_dispatch_ptr 0
		.amdhsa_user_sgpr_queue_ptr 0
		.amdhsa_user_sgpr_kernarg_segment_ptr 1
		.amdhsa_user_sgpr_dispatch_id 0
		.amdhsa_user_sgpr_private_segment_size 0
		.amdhsa_wavefront_size32 1
		.amdhsa_uses_dynamic_stack 0
		.amdhsa_enable_private_segment 0
		.amdhsa_system_sgpr_workgroup_id_x 1
		.amdhsa_system_sgpr_workgroup_id_y 1
		.amdhsa_system_sgpr_workgroup_id_z 1
		.amdhsa_system_sgpr_workgroup_info 0
		.amdhsa_system_vgpr_workitem_id 2
		.amdhsa_next_free_vgpr 117
		.amdhsa_next_free_sgpr 38
		.amdhsa_reserve_vcc 1
		.amdhsa_float_round_mode_32 0
		.amdhsa_float_round_mode_16_64 0
		.amdhsa_float_denorm_mode_32 3
		.amdhsa_float_denorm_mode_16_64 3
		.amdhsa_fp16_overflow 0
		.amdhsa_workgroup_processor_mode 1
		.amdhsa_memory_ordered 1
		.amdhsa_forward_progress 1
		.amdhsa_inst_pref_size 169
		.amdhsa_round_robin_scheduling 0
		.amdhsa_exception_fp_ieee_invalid_op 0
		.amdhsa_exception_fp_denorm_src 0
		.amdhsa_exception_fp_ieee_div_zero 0
		.amdhsa_exception_fp_ieee_overflow 0
		.amdhsa_exception_fp_ieee_underflow 0
		.amdhsa_exception_fp_ieee_inexact 0
		.amdhsa_exception_int_div_zero 0
	.end_amdhsa_kernel
	.section	.text._ZN2at6native18radixSortKVInPlaceILin1ELin1ELi128ELi8EsljEEvNS_4cuda6detail10TensorInfoIT3_T5_EES6_S6_S6_NS4_IT4_S6_EES6_b,"axG",@progbits,_ZN2at6native18radixSortKVInPlaceILin1ELin1ELi128ELi8EsljEEvNS_4cuda6detail10TensorInfoIT3_T5_EES6_S6_S6_NS4_IT4_S6_EES6_b,comdat
.Lfunc_end172:
	.size	_ZN2at6native18radixSortKVInPlaceILin1ELin1ELi128ELi8EsljEEvNS_4cuda6detail10TensorInfoIT3_T5_EES6_S6_S6_NS4_IT4_S6_EES6_b, .Lfunc_end172-_ZN2at6native18radixSortKVInPlaceILin1ELin1ELi128ELi8EsljEEvNS_4cuda6detail10TensorInfoIT3_T5_EES6_S6_S6_NS4_IT4_S6_EES6_b
                                        ; -- End function
	.set _ZN2at6native18radixSortKVInPlaceILin1ELin1ELi128ELi8EsljEEvNS_4cuda6detail10TensorInfoIT3_T5_EES6_S6_S6_NS4_IT4_S6_EES6_b.num_vgpr, 117
	.set _ZN2at6native18radixSortKVInPlaceILin1ELin1ELi128ELi8EsljEEvNS_4cuda6detail10TensorInfoIT3_T5_EES6_S6_S6_NS4_IT4_S6_EES6_b.num_agpr, 0
	.set _ZN2at6native18radixSortKVInPlaceILin1ELin1ELi128ELi8EsljEEvNS_4cuda6detail10TensorInfoIT3_T5_EES6_S6_S6_NS4_IT4_S6_EES6_b.numbered_sgpr, 38
	.set _ZN2at6native18radixSortKVInPlaceILin1ELin1ELi128ELi8EsljEEvNS_4cuda6detail10TensorInfoIT3_T5_EES6_S6_S6_NS4_IT4_S6_EES6_b.num_named_barrier, 0
	.set _ZN2at6native18radixSortKVInPlaceILin1ELin1ELi128ELi8EsljEEvNS_4cuda6detail10TensorInfoIT3_T5_EES6_S6_S6_NS4_IT4_S6_EES6_b.private_seg_size, 0
	.set _ZN2at6native18radixSortKVInPlaceILin1ELin1ELi128ELi8EsljEEvNS_4cuda6detail10TensorInfoIT3_T5_EES6_S6_S6_NS4_IT4_S6_EES6_b.uses_vcc, 1
	.set _ZN2at6native18radixSortKVInPlaceILin1ELin1ELi128ELi8EsljEEvNS_4cuda6detail10TensorInfoIT3_T5_EES6_S6_S6_NS4_IT4_S6_EES6_b.uses_flat_scratch, 0
	.set _ZN2at6native18radixSortKVInPlaceILin1ELin1ELi128ELi8EsljEEvNS_4cuda6detail10TensorInfoIT3_T5_EES6_S6_S6_NS4_IT4_S6_EES6_b.has_dyn_sized_stack, 0
	.set _ZN2at6native18radixSortKVInPlaceILin1ELin1ELi128ELi8EsljEEvNS_4cuda6detail10TensorInfoIT3_T5_EES6_S6_S6_NS4_IT4_S6_EES6_b.has_recursion, 0
	.set _ZN2at6native18radixSortKVInPlaceILin1ELin1ELi128ELi8EsljEEvNS_4cuda6detail10TensorInfoIT3_T5_EES6_S6_S6_NS4_IT4_S6_EES6_b.has_indirect_call, 0
	.section	.AMDGPU.csdata,"",@progbits
; Kernel info:
; codeLenInByte = 21576
; TotalNumSgprs: 40
; NumVgprs: 117
; ScratchSize: 0
; MemoryBound: 0
; FloatMode: 240
; IeeeMode: 1
; LDSByteSize: 8448 bytes/workgroup (compile time only)
; SGPRBlocks: 0
; VGPRBlocks: 14
; NumSGPRsForWavesPerEU: 40
; NumVGPRsForWavesPerEU: 117
; Occupancy: 12
; WaveLimiterHint : 1
; COMPUTE_PGM_RSRC2:SCRATCH_EN: 0
; COMPUTE_PGM_RSRC2:USER_SGPR: 2
; COMPUTE_PGM_RSRC2:TRAP_HANDLER: 0
; COMPUTE_PGM_RSRC2:TGID_X_EN: 1
; COMPUTE_PGM_RSRC2:TGID_Y_EN: 1
; COMPUTE_PGM_RSRC2:TGID_Z_EN: 1
; COMPUTE_PGM_RSRC2:TIDIG_COMP_CNT: 2
	.section	.text._ZN2at6native18radixSortKVInPlaceILin1ELin1ELi32ELi4EsljEEvNS_4cuda6detail10TensorInfoIT3_T5_EES6_S6_S6_NS4_IT4_S6_EES6_b,"axG",@progbits,_ZN2at6native18radixSortKVInPlaceILin1ELin1ELi32ELi4EsljEEvNS_4cuda6detail10TensorInfoIT3_T5_EES6_S6_S6_NS4_IT4_S6_EES6_b,comdat
	.protected	_ZN2at6native18radixSortKVInPlaceILin1ELin1ELi32ELi4EsljEEvNS_4cuda6detail10TensorInfoIT3_T5_EES6_S6_S6_NS4_IT4_S6_EES6_b ; -- Begin function _ZN2at6native18radixSortKVInPlaceILin1ELin1ELi32ELi4EsljEEvNS_4cuda6detail10TensorInfoIT3_T5_EES6_S6_S6_NS4_IT4_S6_EES6_b
	.globl	_ZN2at6native18radixSortKVInPlaceILin1ELin1ELi32ELi4EsljEEvNS_4cuda6detail10TensorInfoIT3_T5_EES6_S6_S6_NS4_IT4_S6_EES6_b
	.p2align	8
	.type	_ZN2at6native18radixSortKVInPlaceILin1ELin1ELi32ELi4EsljEEvNS_4cuda6detail10TensorInfoIT3_T5_EES6_S6_S6_NS4_IT4_S6_EES6_b,@function
_ZN2at6native18radixSortKVInPlaceILin1ELin1ELi32ELi4EsljEEvNS_4cuda6detail10TensorInfoIT3_T5_EES6_S6_S6_NS4_IT4_S6_EES6_b: ; @_ZN2at6native18radixSortKVInPlaceILin1ELin1ELi32ELi4EsljEEvNS_4cuda6detail10TensorInfoIT3_T5_EES6_S6_S6_NS4_IT4_S6_EES6_b
; %bb.0:
	s_clause 0x1
	s_load_b64 s[2:3], s[0:1], 0x1c8
	s_load_b96 s[12:14], s[0:1], 0xd8
	s_lshr_b32 s4, ttmp7, 16
	s_wait_kmcnt 0x0
	s_mul_i32 s3, s3, s4
	s_and_b32 s4, ttmp7, 0xffff
	s_delay_alu instid0(SALU_CYCLE_1) | instskip(NEXT) | instid1(SALU_CYCLE_1)
	s_add_co_i32 s3, s3, s4
	s_mul_i32 s2, s3, s2
	s_delay_alu instid0(SALU_CYCLE_1) | instskip(NEXT) | instid1(SALU_CYCLE_1)
	s_add_co_i32 s8, s2, ttmp9
	s_cmp_ge_u32 s8, s12
	s_cbranch_scc1 .LBB173_77
; %bb.1:
	s_load_b32 s4, s[0:1], 0xd0
	s_mov_b32 s3, 0
	s_mov_b32 s2, s8
	s_wait_kmcnt 0x0
	s_cmp_lt_i32 s4, 2
	s_cbranch_scc1 .LBB173_4
; %bb.2:
	s_add_co_i32 s2, s4, -1
	s_delay_alu instid0(SALU_CYCLE_1)
	s_lshl_b64 s[6:7], s[2:3], 2
	s_mov_b32 s2, s8
	s_add_nc_u64 s[10:11], s[0:1], s[6:7]
	s_add_co_i32 s6, s4, 1
	s_add_nc_u64 s[4:5], s[10:11], 8
.LBB173_3:                              ; =>This Inner Loop Header: Depth=1
	s_clause 0x1
	s_load_b32 s7, s[4:5], 0x0
	s_load_b32 s9, s[4:5], 0x64
	s_mov_b32 s12, s2
	s_add_nc_u64 s[4:5], s[4:5], -4
	s_wait_kmcnt 0x0
	s_cvt_f32_u32 s10, s7
	s_sub_co_i32 s11, 0, s7
	s_wait_alu 0xfffe
	s_delay_alu instid0(SALU_CYCLE_1) | instskip(NEXT) | instid1(TRANS32_DEP_1)
	v_rcp_iflag_f32_e32 v1, s10
	v_readfirstlane_b32 s10, v1
	s_mul_f32 s10, s10, 0x4f7ffffe
	s_wait_alu 0xfffe
	s_delay_alu instid0(SALU_CYCLE_2) | instskip(SKIP_1) | instid1(SALU_CYCLE_2)
	s_cvt_u32_f32 s10, s10
	s_wait_alu 0xfffe
	s_mul_i32 s11, s11, s10
	s_wait_alu 0xfffe
	s_mul_hi_u32 s11, s10, s11
	s_wait_alu 0xfffe
	s_add_co_i32 s10, s10, s11
	s_wait_alu 0xfffe
	s_mul_hi_u32 s2, s2, s10
	s_delay_alu instid0(SALU_CYCLE_1)
	s_mul_i32 s10, s2, s7
	s_add_co_i32 s11, s2, 1
	s_wait_alu 0xfffe
	s_sub_co_i32 s10, s12, s10
	s_wait_alu 0xfffe
	s_sub_co_i32 s15, s10, s7
	s_cmp_ge_u32 s10, s7
	s_cselect_b32 s2, s11, s2
	s_cselect_b32 s10, s15, s10
	s_add_co_i32 s11, s2, 1
	s_wait_alu 0xfffe
	s_cmp_ge_u32 s10, s7
	s_cselect_b32 s2, s11, s2
	s_add_co_i32 s6, s6, -1
	s_mul_i32 s7, s2, s7
	s_delay_alu instid0(SALU_CYCLE_1) | instskip(NEXT) | instid1(SALU_CYCLE_1)
	s_sub_co_i32 s7, s12, s7
	s_mul_i32 s7, s9, s7
	s_delay_alu instid0(SALU_CYCLE_1)
	s_add_co_i32 s3, s7, s3
	s_cmp_gt_u32 s6, 2
	s_cbranch_scc1 .LBB173_3
.LBB173_4:
	s_load_b32 s6, s[0:1], 0x1b8
	s_add_nc_u64 s[22:23], s[0:1], 0x1c8
	s_mov_b32 s5, 0
	s_wait_kmcnt 0x0
	s_cmp_lt_i32 s6, 2
	s_cbranch_scc1 .LBB173_7
; %bb.5:
	s_add_co_i32 s4, s6, -1
	s_delay_alu instid0(SALU_CYCLE_1)
	s_lshl_b64 s[10:11], s[4:5], 2
	s_add_co_i32 s4, s6, 1
	s_wait_alu 0xfffe
	s_add_nc_u64 s[10:11], s[0:1], s[10:11]
	s_wait_alu 0xfffe
	s_add_nc_u64 s[6:7], s[10:11], 0xf0
.LBB173_6:                              ; =>This Inner Loop Header: Depth=1
	s_clause 0x1
	s_load_b32 s9, s[6:7], 0x0
	s_load_b32 s10, s[6:7], 0x64
	s_mov_b32 s15, s8
	s_add_nc_u64 s[6:7], s[6:7], -4
	s_wait_kmcnt 0x0
	s_cvt_f32_u32 s11, s9
	s_sub_co_i32 s12, 0, s9
	s_wait_alu 0xfffe
	s_delay_alu instid0(SALU_CYCLE_1) | instskip(NEXT) | instid1(TRANS32_DEP_1)
	v_rcp_iflag_f32_e32 v1, s11
	v_readfirstlane_b32 s11, v1
	s_mul_f32 s11, s11, 0x4f7ffffe
	s_wait_alu 0xfffe
	s_delay_alu instid0(SALU_CYCLE_2) | instskip(SKIP_1) | instid1(SALU_CYCLE_2)
	s_cvt_u32_f32 s11, s11
	s_wait_alu 0xfffe
	s_mul_i32 s12, s12, s11
	s_delay_alu instid0(SALU_CYCLE_1) | instskip(NEXT) | instid1(SALU_CYCLE_1)
	s_mul_hi_u32 s12, s11, s12
	s_add_co_i32 s11, s11, s12
	s_wait_alu 0xfffe
	s_mul_hi_u32 s8, s8, s11
	s_delay_alu instid0(SALU_CYCLE_1)
	s_mul_i32 s11, s8, s9
	s_add_co_i32 s12, s8, 1
	s_wait_alu 0xfffe
	s_sub_co_i32 s11, s15, s11
	s_wait_alu 0xfffe
	s_sub_co_i32 s16, s11, s9
	s_cmp_ge_u32 s11, s9
	s_cselect_b32 s8, s12, s8
	s_cselect_b32 s11, s16, s11
	s_add_co_i32 s12, s8, 1
	s_wait_alu 0xfffe
	s_cmp_ge_u32 s11, s9
	s_cselect_b32 s8, s12, s8
	s_add_co_i32 s4, s4, -1
	s_mul_i32 s9, s8, s9
	s_delay_alu instid0(SALU_CYCLE_1) | instskip(NEXT) | instid1(SALU_CYCLE_1)
	s_sub_co_i32 s9, s15, s9
	s_mul_i32 s9, s10, s9
	s_delay_alu instid0(SALU_CYCLE_1)
	s_add_co_i32 s5, s9, s5
	s_cmp_gt_u32 s4, 2
	s_cbranch_scc1 .LBB173_6
.LBB173_7:
	s_clause 0x2
	s_load_b32 s4, s[0:1], 0x6c
	s_load_b64 s[16:17], s[0:1], 0x1c0
	s_load_b64 s[10:11], s[0:1], 0x0
	s_mov_b32 s19, 0
	s_wait_kmcnt 0x0
	s_mul_i32 s2, s4, s2
	s_delay_alu instid0(SALU_CYCLE_1) | instskip(SKIP_3) | instid1(SALU_CYCLE_1)
	s_add_co_i32 s18, s2, s3
	s_bitcmp1_b32 s17, 0
	s_mov_b32 s2, 0x8000
	s_cselect_b32 s9, -1, 0
	s_and_b32 s3, s9, exec_lo
	s_cselect_b32 s3, s2, 0x7fff
	s_lshl_b64 s[18:19], s[18:19], 1
	s_pack_ll_b32_b16 s6, s3, s3
	v_mov_b32_e32 v3, s3
	s_mov_b32 s7, s6
	v_and_b32_e32 v21, 0x3ff, v0
	v_dual_mov_b32 v1, s6 :: v_dual_mov_b32 v2, s7
	s_add_nc_u64 s[18:19], s[10:11], s[18:19]
	s_delay_alu instid0(VALU_DEP_2)
	v_mul_lo_u32 v17, s14, v21
	v_cmp_gt_u32_e64 s2, s13, v21
	s_and_saveexec_b32 s3, s2
	s_cbranch_execz .LBB173_9
; %bb.8:
	v_mov_b32_e32 v18, 0
	s_delay_alu instid0(VALU_DEP_1) | instskip(NEXT) | instid1(VALU_DEP_1)
	v_lshlrev_b64_e32 v[1:2], 1, v[17:18]
	v_add_co_u32 v1, vcc_lo, s18, v1
	s_delay_alu instid0(VALU_DEP_1)
	v_add_co_ci_u32_e64 v2, null, s19, v2, vcc_lo
	global_load_u16 v3, v[1:2], off
	v_mov_b32_e32 v2, s6
	s_wait_loadcnt 0x0
	v_bfi_b32 v1, 0xffff, v3, s6
.LBB173_9:
	s_wait_alu 0xfffe
	s_or_b32 exec_lo, exec_lo, s3
	v_add_nc_u32_e32 v9, 32, v21
	s_delay_alu instid0(VALU_DEP_1)
	v_cmp_gt_u32_e64 s3, s13, v9
	s_and_saveexec_b32 s4, s3
	s_cbranch_execz .LBB173_11
; %bb.10:
	v_mul_lo_u32 v4, s14, v9
	v_mov_b32_e32 v5, 0
	s_delay_alu instid0(VALU_DEP_1) | instskip(NEXT) | instid1(VALU_DEP_1)
	v_lshlrev_b64_e32 v[4:5], 1, v[4:5]
	v_add_co_u32 v4, vcc_lo, s18, v4
	s_wait_alu 0xfffd
	s_delay_alu instid0(VALU_DEP_2)
	v_add_co_ci_u32_e64 v5, null, s19, v5, vcc_lo
	global_load_d16_hi_b16 v1, v[4:5], off
.LBB173_11:
	s_or_b32 exec_lo, exec_lo, s4
	v_add_nc_u32_e32 v10, 64, v21
	s_delay_alu instid0(VALU_DEP_1)
	v_cmp_gt_u32_e64 s4, s13, v10
	s_and_saveexec_b32 s6, s4
	s_cbranch_execz .LBB173_13
; %bb.12:
	v_mul_lo_u32 v4, s14, v10
	v_mov_b32_e32 v5, 0
	s_delay_alu instid0(VALU_DEP_1) | instskip(NEXT) | instid1(VALU_DEP_1)
	v_lshlrev_b64_e32 v[4:5], 1, v[4:5]
	v_add_co_u32 v4, vcc_lo, s18, v4
	s_wait_alu 0xfffd
	s_delay_alu instid0(VALU_DEP_2)
	v_add_co_ci_u32_e64 v5, null, s19, v5, vcc_lo
	global_load_d16_b16 v2, v[4:5], off
.LBB173_13:
	s_wait_alu 0xfffe
	s_or_b32 exec_lo, exec_lo, s6
	s_clause 0x1
	s_load_b32 s10, s[0:1], 0x154
	s_load_b64 s[6:7], s[0:1], 0xe8
	v_add_nc_u32_e32 v11, 0x60, v21
	s_delay_alu instid0(VALU_DEP_1)
	v_cmp_gt_u32_e64 s0, s13, v11
	s_and_saveexec_b32 s1, s0
	s_cbranch_execz .LBB173_15
; %bb.14:
	v_mul_lo_u32 v4, s14, v11
	v_mov_b32_e32 v5, 0
	s_delay_alu instid0(VALU_DEP_1) | instskip(NEXT) | instid1(VALU_DEP_1)
	v_lshlrev_b64_e32 v[4:5], 1, v[4:5]
	v_add_co_u32 v4, vcc_lo, s18, v4
	s_wait_alu 0xfffd
	s_delay_alu instid0(VALU_DEP_2)
	v_add_co_ci_u32_e64 v5, null, s19, v5, vcc_lo
	s_wait_loadcnt 0x0
	global_load_d16_hi_b16 v2, v[4:5], off
.LBB173_15:
	s_or_b32 exec_lo, exec_lo, s1
	v_lshrrev_b32_e32 v4, 4, v21
	v_lshrrev_b32_e32 v5, 4, v9
	v_lshlrev_b32_e32 v6, 1, v21
	v_lshrrev_b32_e32 v12, 2, v21
	v_lshrrev_b32_e32 v7, 4, v10
	v_and_b32_e32 v4, 60, v4
	v_and_b32_e32 v5, 0x7c, v5
	v_lshrrev_b32_e32 v8, 4, v11
	s_wait_kmcnt 0x0
	s_mul_i32 s1, s10, s8
	v_and_b32_e32 v7, 0x7c, v7
	v_add_nc_u32_e32 v32, v4, v6
	v_and_b32_e32 v4, 0xfc, v12
	v_add_nc_u32_e32 v18, v5, v6
	v_and_b32_e32 v8, 0x7c, v8
	v_mul_lo_u32 v19, s16, v21
	ds_store_b16 v32, v3
	s_wait_loadcnt 0x0
	ds_store_b16_d16_hi v18, v1 offset:64
	v_lshl_add_u32 v35, v21, 3, v4
	v_mov_b32_e32 v3, 0
	v_dual_mov_b32 v4, 0 :: v_dual_add_nc_u32 v33, v7, v6
	v_add_nc_u32_e32 v34, v8, v6
	ds_store_b16 v33, v2 offset:128
	ds_store_b16_d16_hi v34, v2 offset:192
	s_wait_dscnt 0x0
	; wave barrier
	global_inv scope:SCOPE_SE
	ds_load_2addr_b32 v[22:23], v35 offset1:1
	s_add_co_i32 s10, s1, s5
	s_mov_b32 s11, 0
	v_mov_b32_e32 v1, 0
	v_mov_b32_e32 v2, 0
	s_wait_alu 0xfffe
	s_lshl_b64 s[10:11], s[10:11], 3
	s_wait_loadcnt_dscnt 0x0
	s_wait_alu 0xfffe
	s_add_nc_u64 s[20:21], s[6:7], s[10:11]
	; wave barrier
	global_inv scope:SCOPE_SE
	s_and_saveexec_b32 s1, s2
	s_cbranch_execz .LBB173_17
; %bb.16:
	v_mov_b32_e32 v20, 0
	s_delay_alu instid0(VALU_DEP_1) | instskip(NEXT) | instid1(VALU_DEP_1)
	v_lshlrev_b64_e32 v[3:4], 3, v[19:20]
	v_add_co_u32 v3, vcc_lo, s20, v3
	s_wait_alu 0xfffd
	s_delay_alu instid0(VALU_DEP_2)
	v_add_co_ci_u32_e64 v4, null, s21, v4, vcc_lo
	global_load_b64 v[3:4], v[3:4], off
.LBB173_17:
	s_or_b32 exec_lo, exec_lo, s1
	s_and_saveexec_b32 s1, s3
	s_cbranch_execz .LBB173_19
; %bb.18:
	v_mul_lo_u32 v1, s16, v9
	v_mov_b32_e32 v2, 0
	s_delay_alu instid0(VALU_DEP_1) | instskip(NEXT) | instid1(VALU_DEP_1)
	v_lshlrev_b64_e32 v[1:2], 3, v[1:2]
	v_add_co_u32 v1, vcc_lo, s20, v1
	s_wait_alu 0xfffd
	s_delay_alu instid0(VALU_DEP_2)
	v_add_co_ci_u32_e64 v2, null, s21, v2, vcc_lo
	global_load_b64 v[1:2], v[1:2], off
.LBB173_19:
	s_or_b32 exec_lo, exec_lo, s1
	v_mov_b32_e32 v5, 0
	v_dual_mov_b32 v6, 0 :: v_dual_mov_b32 v7, 0
	v_mov_b32_e32 v8, 0
	s_and_saveexec_b32 s1, s4
	s_cbranch_execz .LBB173_21
; %bb.20:
	v_mul_lo_u32 v7, s16, v10
	v_mov_b32_e32 v8, 0
	s_delay_alu instid0(VALU_DEP_1) | instskip(NEXT) | instid1(VALU_DEP_1)
	v_lshlrev_b64_e32 v[7:8], 3, v[7:8]
	v_add_co_u32 v7, vcc_lo, s20, v7
	s_wait_alu 0xfffd
	s_delay_alu instid0(VALU_DEP_2)
	v_add_co_ci_u32_e64 v8, null, s21, v8, vcc_lo
	global_load_b64 v[7:8], v[7:8], off
.LBB173_21:
	s_or_b32 exec_lo, exec_lo, s1
	v_lshrrev_b32_e32 v12, 5, v21
	v_lshrrev_b32_e32 v9, 5, v9
	v_lshrrev_b32_e32 v10, 5, v10
	v_lshrrev_b32_e32 v13, 5, v11
	v_lshlrev_b32_e32 v41, 2, v21
	v_lshrrev_b32_e32 v14, 3, v21
	s_xor_b32 s7, s9, -1
	s_and_saveexec_b32 s1, s0
	s_cbranch_execz .LBB173_23
; %bb.22:
	v_mul_lo_u32 v5, s16, v11
	v_mov_b32_e32 v6, 0
	s_delay_alu instid0(VALU_DEP_1) | instskip(NEXT) | instid1(VALU_DEP_1)
	v_lshlrev_b64_e32 v[5:6], 3, v[5:6]
	v_add_co_u32 v5, vcc_lo, s20, v5
	s_wait_alu 0xfffd
	s_delay_alu instid0(VALU_DEP_2)
	v_add_co_ci_u32_e64 v6, null, s21, v6, vcc_lo
	global_load_b64 v[5:6], v[5:6], off
.LBB173_23:
	s_or_b32 exec_lo, exec_lo, s1
	v_lshlrev_b32_e32 v11, 3, v21
	v_lshlrev_b32_e32 v40, 3, v41
	v_mbcnt_lo_u32_b32 v43, -1, 0
	v_lshrrev_b32_e32 v48, 16, v22
	v_lshrrev_b32_e32 v47, 16, v23
	v_lshl_add_u32 v36, v12, 3, v11
	v_lshl_add_u32 v39, v14, 3, v40
	;; [unrolled: 1-line block ×5, first 2 shown]
	s_wait_loadcnt 0x0
	ds_store_b64 v36, v[3:4]
	ds_store_b64 v20, v[1:2] offset:256
	ds_store_b64 v37, v[7:8] offset:512
	;; [unrolled: 1-line block ×3, first 2 shown]
	s_wait_dscnt 0x0
	; wave barrier
	global_inv scope:SCOPE_SE
	ds_load_2addr_b64 v[5:8], v39 offset1:1
	ds_load_2addr_b64 v[1:4], v39 offset0:2 offset1:3
	v_and_b32_e32 v46, 3, v43
	v_and_b32_e32 v44, 28, v43
	s_wait_alu 0xfffe
	s_and_b32 vcc_lo, exec_lo, s7
	v_bfe_u32 v45, v0, 10, 10
	v_bfe_u32 v0, v0, 20, 10
	v_cmp_eq_u32_e64 s6, 0, v46
	v_cmp_eq_u32_e64 s5, 1, v46
	;; [unrolled: 1-line block ×4, first 2 shown]
	v_lshlrev_b32_e32 v42, 5, v21
	s_mov_b32 s8, -1
	; wave barrier
	s_wait_loadcnt_dscnt 0x0
	global_inv scope:SCOPE_SE
                                        ; implicit-def: $vgpr14
                                        ; implicit-def: $vgpr13
	s_wait_alu 0xfffe
	s_cbranch_vccz .LBB173_45
; %bb.24:
	v_xor_b32_e32 v9, 0xffff8000, v22
	v_xor_b32_e32 v10, 0xffff8000, v48
	;; [unrolled: 1-line block ×4, first 2 shown]
	s_getpc_b64 s[8:9]
	s_sext_i32_i16 s9, s9
	s_add_co_u32 s8, s8, _ZN7rocprim17ROCPRIM_400000_NS16block_radix_sortIsLj32ELj4ElLj1ELj1ELj0ELNS0_26block_radix_rank_algorithmE1ELNS0_18block_padding_hintE2ELNS0_4arch9wavefront6targetE0EE19radix_bits_per_passE@rel32@lo+8
	s_add_co_ci_u32 s9, s9, _ZN7rocprim17ROCPRIM_400000_NS16block_radix_sortIsLj32ELj4ElLj1ELj1ELj0ELNS0_26block_radix_rank_algorithmE1ELNS0_18block_padding_hintE2ELNS0_4arch9wavefront6targetE0EE19radix_bits_per_passE@rel32@hi+16
	v_and_b32_e32 v9, 0xffff, v9
	v_and_b32_e32 v10, 0xffff, v10
	v_and_b32_e32 v11, 0xffff, v11
	v_and_b32_e32 v13, 0xffff, v13
	s_load_b32 s15, s[8:9], 0x0
	ds_bpermute_b32 v12, v44, v9
	ds_bpermute_b32 v14, v44, v10
	ds_bpermute_b32 v15, v44, v11
	ds_bpermute_b32 v16, v44, v13
	ds_bpermute_b32 v24, v44, v9 offset:64
	ds_bpermute_b32 v52, v44, v9 offset:32
	;; [unrolled: 1-line block ×6, first 2 shown]
	; wave barrier
	s_wait_loadcnt_dscnt 0x0
	global_inv scope:SCOPE_SE
	s_load_b32 s8, s[22:23], 0xc
	ds_bpermute_b32 v65, v44, v5
	ds_bpermute_b32 v66, v44, v6
	;; [unrolled: 1-line block ×6, first 2 shown]
	s_wait_kmcnt 0x0
	s_min_u32 s9, s15, 16
	v_and_b32_e32 v12, 0xffff, v12
	v_and_b32_e32 v14, 0xffff, v14
	v_and_b32_e32 v15, 0xffff, v15
	v_and_b32_e32 v16, 0xffff, v16
	v_and_b32_e32 v24, 0xffff, v24
	v_cndmask_b32_e64 v12, 0, v12, s6
	s_lshl_b32 s9, -1, s9
	ds_bpermute_b32 v25, v44, v3
	s_not_b32 s9, s9
	v_cndmask_b32_e64 v24, 0, v24, s6
	v_cndmask_b32_e64 v12, v12, v14, s5
	ds_bpermute_b32 v14, v44, v10 offset:32
	s_lshr_b32 s10, s8, 16
	s_and_b32 s11, s8, 0xffff
	v_bfi_b32 v57, 0xffff, v53, v24
	v_cndmask_b32_e64 v12, v12, v15, s1
	ds_bpermute_b32 v15, v44, v11 offset:64
	ds_bpermute_b32 v10, v44, v10 offset:96
	ds_bpermute_b32 v26, v44, v4
	v_cndmask_b32_e64 v24, v24, v57, s5
	v_cndmask_b32_e64 v12, v12, v16, s7
	ds_bpermute_b32 v16, v44, v11 offset:32
	ds_bpermute_b32 v68, v44, v5 offset:32
	;; [unrolled: 1-line block ×4, first 2 shown]
	v_perm_b32 v56, v52, v12, 0x5040100
	ds_bpermute_b32 v55, v44, v8 offset:32
	ds_bpermute_b32 v30, v44, v1 offset:32
	;; [unrolled: 1-line block ×4, first 2 shown]
	v_cndmask_b32_e64 v12, v12, v56, s6
	ds_bpermute_b32 v31, v44, v4 offset:32
	ds_bpermute_b32 v67, v44, v5 offset:64
	;; [unrolled: 1-line block ×4, first 2 shown]
	s_wait_dscnt 0xf
	v_perm_b32 v14, v14, v12, 0x5040100
	s_wait_dscnt 0xe
	v_bfi_b32 v15, 0xffff, v15, v24
	ds_bpermute_b32 v59, v44, v8 offset:64
	ds_bpermute_b32 v52, v44, v1 offset:64
	;; [unrolled: 1-line block ×3, first 2 shown]
	v_cndmask_b32_e64 v12, v12, v14, s5
	v_cndmask_b32_e64 v14, v24, v15, s1
	ds_bpermute_b32 v56, v44, v3 offset:64
	ds_bpermute_b32 v57, v44, v4 offset:64
	;; [unrolled: 1-line block ×3, first 2 shown]
	s_wait_dscnt 0x11
	v_perm_b32 v15, v16, v12, 0x5040100
	v_bfi_b32 v16, 0xffff, v60, v14
	ds_bpermute_b32 v69, v44, v6 offset:96
	ds_bpermute_b32 v61, v44, v7 offset:96
	;; [unrolled: 1-line block ×3, first 2 shown]
	v_cndmask_b32_e64 v12, v12, v15, s1
	v_cndmask_b32_e64 v14, v14, v16, s7
	ds_bpermute_b32 v16, v44, v11 offset:96
	s_wait_alu 0xfffe
	v_mad_u32_u24 v11, v0, s10, v45
	ds_bpermute_b32 v60, v44, v1 offset:96
	v_perm_b32 v15, v64, v12, 0x5040100
	v_perm_b32 v9, v9, v14, 0x5040100
	s_delay_alu instid0(VALU_DEP_2) | instskip(SKIP_3) | instid1(VALU_DEP_2)
	v_cndmask_b32_e64 v64, v12, v15, s7
	ds_bpermute_b32 v12, v44, v13 offset:96
	v_cndmask_b32_e64 v9, v14, v9, s6
	v_and_b32_e32 v13, s9, v64
	v_perm_b32 v10, v10, v9, 0x5040100
	s_delay_alu instid0(VALU_DEP_2)
	v_and_b32_e32 v14, 1, v13
	v_lshlrev_b32_e32 v15, 30, v13
	v_lshlrev_b32_e32 v24, 29, v13
	;; [unrolled: 1-line block ×4, first 2 shown]
	v_add_co_u32 v14, s8, v14, -1
	s_wait_alu 0xf1ff
	v_cndmask_b32_e64 v73, 0, 1, s8
	v_not_b32_e32 v77, v15
	v_cmp_gt_i32_e64 s8, 0, v15
	v_not_b32_e32 v15, v24
	v_lshlrev_b32_e32 v75, 26, v13
	v_cmp_ne_u32_e32 vcc_lo, 0, v73
	v_ashrrev_i32_e32 v77, 31, v77
	v_lshlrev_b32_e32 v76, 25, v13
	v_ashrrev_i32_e32 v15, 31, v15
	v_lshlrev_b32_e32 v73, 24, v13
	s_wait_alu 0xfffd
	v_xor_b32_e32 v14, vcc_lo, v14
	v_cmp_gt_i32_e32 vcc_lo, 0, v24
	v_not_b32_e32 v24, v71
	s_wait_alu 0xf1ff
	v_xor_b32_e32 v77, s8, v77
	v_cmp_gt_i32_e64 s8, 0, v71
	v_and_b32_e32 v14, exec_lo, v14
	v_not_b32_e32 v71, v74
	v_ashrrev_i32_e32 v24, 31, v24
	s_wait_alu 0xfffd
	v_xor_b32_e32 v15, vcc_lo, v15
	v_cmp_gt_i32_e32 vcc_lo, 0, v74
	v_and_b32_e32 v14, v14, v77
	v_not_b32_e32 v74, v75
	v_ashrrev_i32_e32 v71, 31, v71
	s_wait_alu 0xf1ff
	v_xor_b32_e32 v24, s8, v24
	v_cmp_gt_i32_e64 s8, 0, v75
	v_and_b32_e32 v14, v14, v15
	v_not_b32_e32 v15, v76
	v_ashrrev_i32_e32 v74, 31, v74
	s_wait_alu 0xfffd
	v_xor_b32_e32 v71, vcc_lo, v71
	v_cmp_gt_i32_e32 vcc_lo, 0, v76
	v_and_b32_e32 v14, v14, v24
	v_not_b32_e32 v24, v73
	v_ashrrev_i32_e32 v15, 31, v15
	s_wait_alu 0xf1ff
	v_xor_b32_e32 v74, s8, v74
	v_cndmask_b32_e64 v9, v9, v10, s5
	v_and_b32_e32 v14, v14, v71
	v_cmp_gt_i32_e64 s8, 0, v73
	v_ashrrev_i32_e32 v24, 31, v24
	s_wait_alu 0xfffd
	v_xor_b32_e32 v15, vcc_lo, v15
	v_mad_co_u64_u32 v[10:11], null, v11, s11, v[21:22]
	v_and_b32_e32 v14, v14, v74
	s_wait_dscnt 0x2
	v_perm_b32 v11, v16, v9, 0x5040100
	s_wait_alu 0xf1ff
	v_xor_b32_e32 v16, s8, v24
	ds_bpermute_b32 v75, v44, v2 offset:96
	ds_bpermute_b32 v73, v44, v3 offset:96
	v_and_b32_e32 v14, v14, v15
	ds_bpermute_b32 v74, v44, v4 offset:96
	v_cndmask_b32_e64 v11, v9, v11, s1
	v_lshrrev_b32_e32 v10, 5, v10
	v_dual_mov_b32 v14, 0 :: v_dual_and_b32 v9, v14, v16
	s_wait_dscnt 0x3
	s_delay_alu instid0(VALU_DEP_3) | instskip(NEXT) | instid1(VALU_DEP_3)
	v_perm_b32 v12, v12, v11, 0x5040100
	v_lshlrev_b32_e32 v24, 2, v10
	v_and_b32_e32 v10, 0xffff, v13
	v_mbcnt_lo_u32_b32 v77, v9, 0
	v_cmp_ne_u32_e64 s8, 0, v9
	v_cndmask_b32_e64 v76, v11, v12, s7
	ds_store_2addr_b32 v42, v14, v14 offset0:1 offset1:2
	ds_store_2addr_b32 v42, v14, v14 offset0:3 offset1:4
	;; [unrolled: 1-line block ×4, first 2 shown]
	v_lshl_add_u32 v79, v10, 2, v24
	v_cmp_eq_u32_e32 vcc_lo, 0, v77
	; wave barrier
	s_wait_loadcnt_dscnt 0x0
	global_inv scope:SCOPE_SE
	; wave barrier
	s_and_b32 s10, s8, vcc_lo
	s_wait_alu 0xfffe
	s_and_saveexec_b32 s8, s10
; %bb.25:
	v_bcnt_u32_b32 v9, v9, 0
	ds_store_b32 v79, v9 offset:4
; %bb.26:
	s_wait_alu 0xfffe
	s_or_b32 exec_lo, exec_lo, s8
	v_lshrrev_b32_e32 v78, 16, v64
	; wave barrier
	s_delay_alu instid0(VALU_DEP_1) | instskip(NEXT) | instid1(VALU_DEP_1)
	v_and_b32_e32 v9, s9, v78
	v_and_b32_e32 v10, 1, v9
	v_lshlrev_b32_e32 v11, 30, v9
	v_lshlrev_b32_e32 v12, 29, v9
	;; [unrolled: 1-line block ×4, first 2 shown]
	v_add_co_u32 v10, s8, v10, -1
	s_wait_alu 0xf1ff
	v_cndmask_b32_e64 v14, 0, 1, s8
	v_not_b32_e32 v80, v11
	v_cmp_gt_i32_e64 s8, 0, v11
	v_not_b32_e32 v11, v12
	v_lshlrev_b32_e32 v16, 26, v9
	v_cmp_ne_u32_e32 vcc_lo, 0, v14
	v_ashrrev_i32_e32 v80, 31, v80
	v_lshlrev_b32_e32 v71, 25, v9
	v_ashrrev_i32_e32 v11, 31, v11
	v_lshlrev_b32_e32 v14, 24, v9
	s_wait_alu 0xfffd
	v_xor_b32_e32 v10, vcc_lo, v10
	v_cmp_gt_i32_e32 vcc_lo, 0, v12
	v_not_b32_e32 v12, v13
	s_wait_alu 0xf1ff
	v_xor_b32_e32 v80, s8, v80
	v_cmp_gt_i32_e64 s8, 0, v13
	v_and_b32_e32 v10, exec_lo, v10
	v_not_b32_e32 v13, v15
	v_ashrrev_i32_e32 v12, 31, v12
	s_wait_alu 0xfffd
	v_xor_b32_e32 v11, vcc_lo, v11
	v_cmp_gt_i32_e32 vcc_lo, 0, v15
	v_and_b32_e32 v10, v10, v80
	v_not_b32_e32 v15, v16
	v_ashrrev_i32_e32 v13, 31, v13
	s_wait_alu 0xf1ff
	v_xor_b32_e32 v12, s8, v12
	v_cmp_gt_i32_e64 s8, 0, v16
	v_and_b32_e32 v10, v10, v11
	v_not_b32_e32 v11, v71
	v_ashrrev_i32_e32 v15, 31, v15
	s_wait_alu 0xfffd
	v_xor_b32_e32 v13, vcc_lo, v13
	v_cmp_gt_i32_e32 vcc_lo, 0, v71
	v_and_b32_e32 v10, v10, v12
	v_not_b32_e32 v12, v14
	v_ashrrev_i32_e32 v11, 31, v11
	s_wait_alu 0xf1ff
	v_xor_b32_e32 v15, s8, v15
	v_cmp_gt_i32_e64 s8, 0, v14
	v_and_b32_e32 v10, v10, v13
	v_ashrrev_i32_e32 v12, 31, v12
	s_wait_alu 0xfffd
	v_xor_b32_e32 v11, vcc_lo, v11
	v_lshl_add_u32 v82, v9, 2, v24
	v_and_b32_e32 v10, v10, v15
	s_wait_alu 0xf1ff
	v_xor_b32_e32 v9, s8, v12
	ds_load_b32 v80, v82 offset:4
	v_and_b32_e32 v10, v10, v11
	; wave barrier
	s_delay_alu instid0(VALU_DEP_1) | instskip(NEXT) | instid1(VALU_DEP_1)
	v_and_b32_e32 v9, v10, v9
	v_mbcnt_lo_u32_b32 v81, v9, 0
	v_cmp_ne_u32_e64 s8, 0, v9
	s_delay_alu instid0(VALU_DEP_2)
	v_cmp_eq_u32_e32 vcc_lo, 0, v81
	s_and_b32 s10, s8, vcc_lo
	s_wait_alu 0xfffe
	s_and_saveexec_b32 s8, s10
	s_cbranch_execz .LBB173_28
; %bb.27:
	s_wait_dscnt 0x0
	v_bcnt_u32_b32 v9, v9, v80
	ds_store_b32 v82, v9 offset:4
.LBB173_28:
	s_wait_alu 0xfffe
	s_or_b32 exec_lo, exec_lo, s8
	v_and_b32_e32 v9, s9, v76
	; wave barrier
	s_delay_alu instid0(VALU_DEP_1)
	v_and_b32_e32 v10, 1, v9
	v_lshlrev_b32_e32 v11, 30, v9
	v_lshlrev_b32_e32 v12, 29, v9
	;; [unrolled: 1-line block ×4, first 2 shown]
	v_add_co_u32 v10, s8, v10, -1
	s_wait_alu 0xf1ff
	v_cndmask_b32_e64 v14, 0, 1, s8
	v_not_b32_e32 v83, v11
	v_cmp_gt_i32_e64 s8, 0, v11
	v_not_b32_e32 v11, v12
	v_lshlrev_b32_e32 v16, 26, v9
	v_cmp_ne_u32_e32 vcc_lo, 0, v14
	v_ashrrev_i32_e32 v83, 31, v83
	v_lshlrev_b32_e32 v71, 25, v9
	v_ashrrev_i32_e32 v11, 31, v11
	v_lshlrev_b32_e32 v14, 24, v9
	s_wait_alu 0xfffd
	v_xor_b32_e32 v10, vcc_lo, v10
	v_cmp_gt_i32_e32 vcc_lo, 0, v12
	v_not_b32_e32 v12, v13
	s_wait_alu 0xf1ff
	v_xor_b32_e32 v83, s8, v83
	v_cmp_gt_i32_e64 s8, 0, v13
	v_and_b32_e32 v10, exec_lo, v10
	v_not_b32_e32 v13, v15
	v_ashrrev_i32_e32 v12, 31, v12
	s_wait_alu 0xfffd
	v_xor_b32_e32 v11, vcc_lo, v11
	v_cmp_gt_i32_e32 vcc_lo, 0, v15
	v_and_b32_e32 v10, v10, v83
	v_not_b32_e32 v15, v16
	v_ashrrev_i32_e32 v13, 31, v13
	s_wait_alu 0xf1ff
	v_xor_b32_e32 v12, s8, v12
	v_cmp_gt_i32_e64 s8, 0, v16
	v_and_b32_e32 v10, v10, v11
	v_not_b32_e32 v11, v71
	v_ashrrev_i32_e32 v15, 31, v15
	s_wait_alu 0xfffd
	v_xor_b32_e32 v13, vcc_lo, v13
	v_cmp_gt_i32_e32 vcc_lo, 0, v71
	v_and_b32_e32 v10, v10, v12
	v_not_b32_e32 v12, v14
	v_ashrrev_i32_e32 v11, 31, v11
	s_wait_alu 0xf1ff
	v_xor_b32_e32 v15, s8, v15
	v_and_b32_e32 v9, 0xffff, v9
	v_and_b32_e32 v10, v10, v13
	v_cmp_gt_i32_e64 s8, 0, v14
	v_ashrrev_i32_e32 v12, 31, v12
	s_wait_alu 0xfffd
	v_xor_b32_e32 v11, vcc_lo, v11
	v_lshl_add_u32 v86, v9, 2, v24
	v_and_b32_e32 v10, v10, v15
	s_wait_alu 0xf1ff
	v_xor_b32_e32 v9, s8, v12
	ds_load_b32 v83, v86 offset:4
	v_and_b32_e32 v10, v10, v11
	; wave barrier
	s_delay_alu instid0(VALU_DEP_1) | instskip(NEXT) | instid1(VALU_DEP_1)
	v_and_b32_e32 v9, v10, v9
	v_mbcnt_lo_u32_b32 v84, v9, 0
	v_cmp_ne_u32_e64 s8, 0, v9
	s_delay_alu instid0(VALU_DEP_2)
	v_cmp_eq_u32_e32 vcc_lo, 0, v84
	s_and_b32 s10, s8, vcc_lo
	s_wait_alu 0xfffe
	s_and_saveexec_b32 s8, s10
	s_cbranch_execz .LBB173_30
; %bb.29:
	s_wait_dscnt 0x0
	v_bcnt_u32_b32 v9, v9, v83
	ds_store_b32 v86, v9 offset:4
.LBB173_30:
	s_wait_alu 0xfffe
	s_or_b32 exec_lo, exec_lo, s8
	v_lshrrev_b32_e32 v85, 16, v76
	; wave barrier
	v_and_or_b32 v89, 0xf80, v41, v43
	s_delay_alu instid0(VALU_DEP_2) | instskip(NEXT) | instid1(VALU_DEP_1)
	v_and_b32_e32 v9, s9, v85
	v_and_b32_e32 v10, 1, v9
	v_lshlrev_b32_e32 v11, 30, v9
	v_lshlrev_b32_e32 v12, 29, v9
	;; [unrolled: 1-line block ×4, first 2 shown]
	v_add_co_u32 v10, s8, v10, -1
	s_wait_alu 0xf1ff
	v_cndmask_b32_e64 v14, 0, 1, s8
	v_not_b32_e32 v87, v11
	v_cmp_gt_i32_e64 s8, 0, v11
	v_not_b32_e32 v11, v12
	v_lshlrev_b32_e32 v16, 26, v9
	v_cmp_ne_u32_e32 vcc_lo, 0, v14
	v_ashrrev_i32_e32 v87, 31, v87
	v_lshlrev_b32_e32 v71, 25, v9
	v_ashrrev_i32_e32 v11, 31, v11
	v_lshlrev_b32_e32 v14, 24, v9
	s_wait_alu 0xfffd
	v_xor_b32_e32 v10, vcc_lo, v10
	v_cmp_gt_i32_e32 vcc_lo, 0, v12
	v_not_b32_e32 v12, v13
	s_wait_alu 0xf1ff
	v_xor_b32_e32 v87, s8, v87
	v_cmp_gt_i32_e64 s8, 0, v13
	v_and_b32_e32 v10, exec_lo, v10
	v_not_b32_e32 v13, v15
	v_ashrrev_i32_e32 v12, 31, v12
	s_wait_alu 0xfffd
	v_xor_b32_e32 v11, vcc_lo, v11
	v_cmp_gt_i32_e32 vcc_lo, 0, v15
	v_and_b32_e32 v10, v10, v87
	v_not_b32_e32 v15, v16
	v_ashrrev_i32_e32 v13, 31, v13
	s_wait_alu 0xf1ff
	v_xor_b32_e32 v12, s8, v12
	v_cmp_gt_i32_e64 s8, 0, v16
	v_and_b32_e32 v10, v10, v11
	v_not_b32_e32 v11, v71
	v_ashrrev_i32_e32 v15, 31, v15
	s_wait_alu 0xfffd
	v_xor_b32_e32 v13, vcc_lo, v13
	v_cmp_gt_i32_e32 vcc_lo, 0, v71
	v_and_b32_e32 v10, v10, v12
	v_not_b32_e32 v12, v14
	v_ashrrev_i32_e32 v11, 31, v11
	s_wait_alu 0xf1ff
	v_xor_b32_e32 v15, s8, v15
	v_cmp_gt_i32_e64 s8, 0, v14
	v_and_b32_e32 v10, v10, v13
	v_ashrrev_i32_e32 v12, 31, v12
	s_wait_alu 0xfffd
	v_xor_b32_e32 v11, vcc_lo, v11
	v_lshl_add_u32 v90, v9, 2, v24
	v_and_b32_e32 v10, v10, v15
	s_wait_alu 0xf1ff
	v_xor_b32_e32 v9, s8, v12
	ds_load_b32 v87, v90 offset:4
	v_and_b32_e32 v10, v10, v11
	; wave barrier
	s_delay_alu instid0(VALU_DEP_1) | instskip(NEXT) | instid1(VALU_DEP_1)
	v_and_b32_e32 v9, v10, v9
	v_mbcnt_lo_u32_b32 v88, v9, 0
	v_cmp_ne_u32_e64 s8, 0, v9
	s_delay_alu instid0(VALU_DEP_2)
	v_cmp_eq_u32_e32 vcc_lo, 0, v88
	s_and_b32 s9, s8, vcc_lo
	s_wait_alu 0xfffe
	s_and_saveexec_b32 s8, s9
	s_cbranch_execz .LBB173_32
; %bb.31:
	s_wait_dscnt 0x0
	v_bcnt_u32_b32 v9, v9, v87
	ds_store_b32 v90, v9 offset:4
.LBB173_32:
	s_wait_alu 0xfffe
	s_or_b32 exec_lo, exec_lo, s8
	; wave barrier
	; wave barrier
	s_wait_loadcnt_dscnt 0x0
	global_inv scope:SCOPE_SE
	ds_load_2addr_b32 v[15:16], v42 offset0:1 offset1:2
	ds_load_2addr_b32 v[13:14], v42 offset0:3 offset1:4
	;; [unrolled: 1-line block ×4, first 2 shown]
	v_and_b32_e32 v92, 16, v43
	v_cmp_eq_u32_e64 s11, 31, v21
	s_delay_alu instid0(VALU_DEP_2) | instskip(SKIP_3) | instid1(VALU_DEP_1)
	v_cmp_eq_u32_e64 s12, 0, v92
	s_wait_dscnt 0x3
	v_add_nc_u32_e32 v71, v16, v15
	s_wait_dscnt 0x2
	v_add3_u32 v71, v71, v13, v14
	s_wait_dscnt 0x1
	s_delay_alu instid0(VALU_DEP_1) | instskip(SKIP_1) | instid1(VALU_DEP_1)
	v_add3_u32 v71, v71, v11, v12
	s_wait_dscnt 0x0
	v_add3_u32 v10, v71, v9, v10
	v_and_b32_e32 v71, 15, v43
	s_delay_alu instid0(VALU_DEP_2) | instskip(NEXT) | instid1(VALU_DEP_2)
	v_mov_b32_dpp v91, v10 row_shr:1 row_mask:0xf bank_mask:0xf
	v_cmp_eq_u32_e32 vcc_lo, 0, v71
	v_cmp_lt_u32_e64 s8, 1, v71
	v_cmp_lt_u32_e64 s9, 3, v71
	;; [unrolled: 1-line block ×3, first 2 shown]
	s_wait_alu 0xfffd
	v_cndmask_b32_e64 v91, v91, 0, vcc_lo
	s_delay_alu instid0(VALU_DEP_1) | instskip(NEXT) | instid1(VALU_DEP_1)
	v_add_nc_u32_e32 v10, v91, v10
	v_mov_b32_dpp v91, v10 row_shr:2 row_mask:0xf bank_mask:0xf
	s_wait_alu 0xf1ff
	s_delay_alu instid0(VALU_DEP_1) | instskip(NEXT) | instid1(VALU_DEP_1)
	v_cndmask_b32_e64 v91, 0, v91, s8
	v_add_nc_u32_e32 v10, v10, v91
	s_delay_alu instid0(VALU_DEP_1) | instskip(NEXT) | instid1(VALU_DEP_1)
	v_mov_b32_dpp v91, v10 row_shr:4 row_mask:0xf bank_mask:0xf
	v_cndmask_b32_e64 v91, 0, v91, s9
	s_delay_alu instid0(VALU_DEP_1) | instskip(NEXT) | instid1(VALU_DEP_1)
	v_add_nc_u32_e32 v10, v10, v91
	v_mov_b32_dpp v91, v10 row_shr:8 row_mask:0xf bank_mask:0xf
	s_delay_alu instid0(VALU_DEP_1) | instskip(NEXT) | instid1(VALU_DEP_1)
	v_cndmask_b32_e64 v71, 0, v91, s10
	v_add_nc_u32_e32 v91, v10, v71
	v_bfe_i32 v71, v43, 4, 1
	ds_swizzle_b32 v10, v91 offset:swizzle(BROADCAST,32,15)
	s_wait_dscnt 0x0
	v_and_b32_e32 v93, v71, v10
	v_sub_co_u32 v71, s17, v43, 1
	v_mul_u32_u24_e32 v10, 6, v89
	s_delay_alu instid0(VALU_DEP_3)
	v_add_nc_u32_e32 v91, v91, v93
	s_and_saveexec_b32 s13, s11
; %bb.33:
	v_mov_b32_e32 v92, 0
	ds_store_b32 v92, v91
; %bb.34:
	s_wait_alu 0xfffe
	s_or_b32 exec_lo, exec_lo, s13
	v_cmp_gt_i32_e64 s13, 0, v71
	; wave barrier
	s_wait_loadcnt_dscnt 0x0
	global_inv scope:SCOPE_SE
	v_cndmask_b32_e64 v66, 0, v66, s6
	v_cndmask_b32_e64 v65, 0, v65, s6
	s_wait_alu 0xf1ff
	v_cndmask_b32_e64 v71, v71, v43, s13
	v_cmp_eq_u32_e64 s13, 0, v21
	v_cndmask_b32_e64 v68, 0, v68, s6
	v_cndmask_b32_e64 v51, v66, v51, s5
	;; [unrolled: 1-line block ×3, first 2 shown]
	v_lshlrev_b32_e32 v71, 2, v71
	s_or_b32 s17, s13, s17
	v_cndmask_b32_e64 v54, v68, v54, s5
	s_min_u32 s13, s15, 8
	s_wait_alu 0xfffe
	s_lshl_b32 s13, -1, s13
	ds_bpermute_b32 v91, v71, v91
	s_wait_alu 0xfffe
	s_not_b32 s15, s13
	s_wait_dscnt 0x0
	v_cndmask_b32_e64 v91, v91, 0, s17
	s_delay_alu instid0(VALU_DEP_1) | instskip(NEXT) | instid1(VALU_DEP_1)
	v_add_nc_u32_e32 v15, v91, v15
	v_add_nc_u32_e32 v16, v15, v16
	s_delay_alu instid0(VALU_DEP_1) | instskip(NEXT) | instid1(VALU_DEP_1)
	v_add_nc_u32_e32 v13, v16, v13
	v_add_nc_u32_e32 v14, v13, v14
	s_delay_alu instid0(VALU_DEP_1) | instskip(NEXT) | instid1(VALU_DEP_1)
	v_add_nc_u32_e32 v11, v14, v11
	v_add_nc_u32_e32 v12, v11, v12
	s_delay_alu instid0(VALU_DEP_1)
	v_add_nc_u32_e32 v9, v12, v9
	ds_store_2addr_b32 v42, v91, v15 offset0:1 offset1:2
	ds_store_2addr_b32 v42, v16, v13 offset0:3 offset1:4
	;; [unrolled: 1-line block ×4, first 2 shown]
	; wave barrier
	s_wait_loadcnt_dscnt 0x0
	global_inv scope:SCOPE_SE
	ds_load_b32 v9, v79 offset:4
	ds_load_b32 v11, v82 offset:4
	;; [unrolled: 1-line block ×4, first 2 shown]
	v_cndmask_b32_e64 v15, 0, v67, s6
	v_cndmask_b32_e64 v16, 0, v70, s6
	;; [unrolled: 1-line block ×4, first 2 shown]
	v_lshlrev_b32_e32 v69, 1, v89
	v_cndmask_b32_e64 v15, v15, v58, s5
	v_cndmask_b32_e64 v16, v16, v59, s5
	;; [unrolled: 1-line block ×4, first 2 shown]
	; wave barrier
	s_wait_loadcnt_dscnt 0x0
	global_inv scope:SCOPE_SE
	v_cndmask_b32_e64 v62, 0, v72, s6
	v_cndmask_b32_e64 v16, v16, v53, s1
	v_add_nc_u32_e32 v58, v9, v77
	v_add3_u32 v59, v81, v80, v11
	v_add3_u32 v63, v84, v83, v12
	;; [unrolled: 1-line block ×3, first 2 shown]
	v_cndmask_b32_e64 v61, v62, v61, s5
	v_lshlrev_b32_e32 v9, 1, v58
	v_lshlrev_b32_e32 v11, 1, v59
	;; [unrolled: 1-line block ×4, first 2 shown]
	ds_store_b16 v9, v64
	ds_store_b16 v11, v78
	;; [unrolled: 1-line block ×4, first 2 shown]
	; wave barrier
	s_wait_loadcnt_dscnt 0x0
	global_inv scope:SCOPE_SE
	ds_load_u16 v50, v69
	v_add_nc_u32_e32 v62, v69, v10
	v_cndmask_b32_e64 v10, v65, v27, s1
	v_cndmask_b32_e64 v27, v51, v28, s1
	v_cndmask_b32_e64 v28, v54, v30, s1
	v_cndmask_b32_e64 v30, v14, v49, s1
	v_cndmask_b32_e64 v49, v15, v52, s1
	v_cndmask_b32_e64 v14, v10, v25, s7
	v_cndmask_b32_e64 v15, v27, v26, s7
	v_cndmask_b32_e64 v25, v28, v29, s7
	v_cndmask_b32_e64 v28, v16, v57, s7
	v_cndmask_b32_e64 v26, v30, v31, s7
	v_cndmask_b32_e64 v53, v61, v60, s1
	v_cndmask_b32_e64 v54, v55, v75, s1
	v_cndmask_b32_e64 v27, v49, v56, s7
	ds_load_u16 v49, v69 offset:64
	ds_load_u16 v51, v69 offset:128
	;; [unrolled: 1-line block ×3, first 2 shown]
	; wave barrier
	s_wait_loadcnt_dscnt 0x0
	global_inv scope:SCOPE_SE
	v_cndmask_b32_e64 v30, v54, v74, s7
	v_cndmask_b32_e64 v29, v53, v73, s7
	v_lshrrev_b16 v10, 8, v50
	s_delay_alu instid0(VALU_DEP_1) | instskip(SKIP_3) | instid1(VALU_DEP_3)
	v_and_b32_e32 v16, 0xffff, v10
	v_mad_co_u64_u32 v[9:10], null, v58, 6, v[9:10]
	v_mad_co_u64_u32 v[10:11], null, v59, 6, v[11:12]
	s_wait_alu 0xfffe
	v_and_b32_e32 v31, s15, v16
	v_mad_co_u64_u32 v[11:12], null, v63, 6, v[12:13]
	v_mad_co_u64_u32 v[12:13], null, v66, 6, v[13:14]
	ds_store_b64 v9, v[14:15]
	v_and_b32_e32 v9, 1, v31
	v_lshlrev_b32_e32 v13, 30, v31
	v_lshlrev_b32_e32 v14, 29, v31
	;; [unrolled: 1-line block ×4, first 2 shown]
	v_add_co_u32 v9, s7, v9, -1
	s_wait_alu 0xf1ff
	v_cndmask_b32_e64 v16, 0, 1, s7
	v_not_b32_e32 v56, v13
	v_cmp_gt_i32_e64 s13, 0, v13
	v_not_b32_e32 v13, v14
	v_lshlrev_b32_e32 v54, 26, v31
	v_cmp_ne_u32_e64 s7, 0, v16
	v_ashrrev_i32_e32 v56, 31, v56
	v_lshlrev_b32_e32 v55, 25, v31
	v_ashrrev_i32_e32 v13, 31, v13
	v_lshlrev_b32_e32 v16, 24, v31
	s_wait_alu 0xf1ff
	v_xor_b32_e32 v9, s7, v9
	v_cmp_gt_i32_e64 s7, 0, v14
	v_not_b32_e32 v14, v15
	v_xor_b32_e32 v56, s13, v56
	v_cmp_gt_i32_e64 s13, 0, v15
	v_and_b32_e32 v9, exec_lo, v9
	v_not_b32_e32 v15, v53
	v_ashrrev_i32_e32 v14, 31, v14
	s_wait_alu 0xf1ff
	v_xor_b32_e32 v13, s7, v13
	v_cmp_gt_i32_e64 s7, 0, v53
	v_and_b32_e32 v9, v9, v56
	v_not_b32_e32 v53, v54
	v_ashrrev_i32_e32 v15, 31, v15
	v_xor_b32_e32 v14, s13, v14
	v_cmp_gt_i32_e64 s13, 0, v54
	v_and_b32_e32 v9, v9, v13
	v_not_b32_e32 v13, v55
	v_ashrrev_i32_e32 v53, 31, v53
	s_wait_alu 0xf1ff
	v_xor_b32_e32 v15, s7, v15
	v_cmp_gt_i32_e64 s7, 0, v55
	v_and_b32_e32 v9, v9, v14
	v_not_b32_e32 v14, v16
	v_ashrrev_i32_e32 v13, 31, v13
	v_xor_b32_e32 v53, s13, v53
	ds_store_b64 v10, v[25:26]
	v_and_b32_e32 v9, v9, v15
	v_cmp_gt_i32_e64 s13, 0, v16
	v_ashrrev_i32_e32 v10, 31, v14
	s_wait_alu 0xf1ff
	v_xor_b32_e32 v13, s7, v13
	ds_store_b64 v11, v[27:28]
	ds_store_b64 v12, v[29:30]
	v_and_b32_e32 v9, v9, v53
	s_wait_loadcnt_dscnt 0x0
	v_xor_b32_e32 v25, s13, v10
	; wave barrier
	global_inv scope:SCOPE_SE
	v_lshl_add_u32 v54, v31, 2, v24
	v_and_b32_e32 v26, v9, v13
	ds_load_2addr_b64 v[13:16], v62 offset1:32
	ds_load_2addr_b64 v[9:12], v62 offset0:64 offset1:96
	; wave barrier
	s_wait_loadcnt_dscnt 0x0
	global_inv scope:SCOPE_SE
	v_dual_mov_b32 v26, 0 :: v_dual_and_b32 v25, v26, v25
	ds_store_2addr_b32 v42, v26, v26 offset0:1 offset1:2
	ds_store_2addr_b32 v42, v26, v26 offset0:3 offset1:4
	;; [unrolled: 1-line block ×4, first 2 shown]
	v_mbcnt_lo_u32_b32 v53, v25, 0
	v_cmp_ne_u32_e64 s13, 0, v25
	; wave barrier
	s_wait_loadcnt_dscnt 0x0
	global_inv scope:SCOPE_SE
	v_cmp_eq_u32_e64 s7, 0, v53
	; wave barrier
	s_and_b32 s13, s13, s7
	s_wait_alu 0xfffe
	s_and_saveexec_b32 s7, s13
; %bb.35:
	v_bcnt_u32_b32 v25, v25, 0
	ds_store_b32 v54, v25 offset:4
; %bb.36:
	s_wait_alu 0xfffe
	s_or_b32 exec_lo, exec_lo, s7
	v_lshrrev_b16 v25, 8, v49
	; wave barrier
	s_delay_alu instid0(VALU_DEP_1) | instskip(NEXT) | instid1(VALU_DEP_1)
	v_and_b32_e32 v25, s15, v25
	v_and_b32_e32 v26, 1, v25
	v_lshlrev_b32_e32 v27, 30, v25
	v_lshlrev_b32_e32 v28, 29, v25
	;; [unrolled: 1-line block ×4, first 2 shown]
	v_add_co_u32 v26, s7, v26, -1
	s_wait_alu 0xf1ff
	v_cndmask_b32_e64 v30, 0, 1, s7
	v_not_b32_e32 v57, v27
	v_cmp_gt_i32_e64 s13, 0, v27
	v_not_b32_e32 v27, v28
	v_lshlrev_b32_e32 v55, 26, v25
	v_cmp_ne_u32_e64 s7, 0, v30
	v_ashrrev_i32_e32 v57, 31, v57
	v_lshlrev_b32_e32 v56, 25, v25
	v_ashrrev_i32_e32 v27, 31, v27
	v_lshlrev_b32_e32 v30, 24, v25
	s_wait_alu 0xf1ff
	v_xor_b32_e32 v26, s7, v26
	v_cmp_gt_i32_e64 s7, 0, v28
	v_not_b32_e32 v28, v29
	v_xor_b32_e32 v57, s13, v57
	v_cmp_gt_i32_e64 s13, 0, v29
	v_and_b32_e32 v26, exec_lo, v26
	v_not_b32_e32 v29, v31
	v_ashrrev_i32_e32 v28, 31, v28
	s_wait_alu 0xf1ff
	v_xor_b32_e32 v27, s7, v27
	v_cmp_gt_i32_e64 s7, 0, v31
	v_and_b32_e32 v26, v26, v57
	v_not_b32_e32 v31, v55
	v_ashrrev_i32_e32 v29, 31, v29
	v_xor_b32_e32 v28, s13, v28
	v_cmp_gt_i32_e64 s13, 0, v55
	v_and_b32_e32 v26, v26, v27
	v_not_b32_e32 v27, v56
	v_ashrrev_i32_e32 v31, 31, v31
	s_wait_alu 0xf1ff
	v_xor_b32_e32 v29, s7, v29
	v_cmp_gt_i32_e64 s7, 0, v56
	v_and_b32_e32 v26, v26, v28
	v_not_b32_e32 v28, v30
	v_ashrrev_i32_e32 v27, 31, v27
	v_xor_b32_e32 v31, s13, v31
	v_cmp_gt_i32_e64 s13, 0, v30
	v_and_b32_e32 v26, v26, v29
	v_ashrrev_i32_e32 v28, 31, v28
	s_wait_alu 0xf1ff
	v_xor_b32_e32 v27, s7, v27
	v_lshl_add_u32 v57, v25, 2, v24
	v_and_b32_e32 v26, v26, v31
	v_xor_b32_e32 v25, s13, v28
	ds_load_b32 v55, v57 offset:4
	v_and_b32_e32 v26, v26, v27
	; wave barrier
	s_delay_alu instid0(VALU_DEP_1) | instskip(NEXT) | instid1(VALU_DEP_1)
	v_and_b32_e32 v25, v26, v25
	v_mbcnt_lo_u32_b32 v56, v25, 0
	v_cmp_ne_u32_e64 s13, 0, v25
	s_delay_alu instid0(VALU_DEP_2)
	v_cmp_eq_u32_e64 s7, 0, v56
	s_and_b32 s13, s13, s7
	s_wait_alu 0xfffe
	s_and_saveexec_b32 s7, s13
	s_cbranch_execz .LBB173_38
; %bb.37:
	s_wait_dscnt 0x0
	v_bcnt_u32_b32 v25, v25, v55
	ds_store_b32 v57, v25 offset:4
.LBB173_38:
	s_wait_alu 0xfffe
	s_or_b32 exec_lo, exec_lo, s7
	v_lshrrev_b16 v25, 8, v51
	; wave barrier
	s_delay_alu instid0(VALU_DEP_1) | instskip(NEXT) | instid1(VALU_DEP_1)
	v_and_b32_e32 v25, s15, v25
	v_and_b32_e32 v26, 1, v25
	v_lshlrev_b32_e32 v27, 30, v25
	v_lshlrev_b32_e32 v28, 29, v25
	;; [unrolled: 1-line block ×4, first 2 shown]
	v_add_co_u32 v26, s7, v26, -1
	s_wait_alu 0xf1ff
	v_cndmask_b32_e64 v30, 0, 1, s7
	v_not_b32_e32 v60, v27
	v_cmp_gt_i32_e64 s13, 0, v27
	v_not_b32_e32 v27, v28
	v_lshlrev_b32_e32 v58, 26, v25
	v_cmp_ne_u32_e64 s7, 0, v30
	v_ashrrev_i32_e32 v60, 31, v60
	v_lshlrev_b32_e32 v59, 25, v25
	v_ashrrev_i32_e32 v27, 31, v27
	v_lshlrev_b32_e32 v30, 24, v25
	s_wait_alu 0xf1ff
	v_xor_b32_e32 v26, s7, v26
	v_cmp_gt_i32_e64 s7, 0, v28
	v_not_b32_e32 v28, v29
	v_xor_b32_e32 v60, s13, v60
	v_cmp_gt_i32_e64 s13, 0, v29
	v_and_b32_e32 v26, exec_lo, v26
	v_not_b32_e32 v29, v31
	v_ashrrev_i32_e32 v28, 31, v28
	s_wait_alu 0xf1ff
	v_xor_b32_e32 v27, s7, v27
	v_cmp_gt_i32_e64 s7, 0, v31
	v_and_b32_e32 v26, v26, v60
	v_not_b32_e32 v31, v58
	v_ashrrev_i32_e32 v29, 31, v29
	v_xor_b32_e32 v28, s13, v28
	v_cmp_gt_i32_e64 s13, 0, v58
	v_and_b32_e32 v26, v26, v27
	v_not_b32_e32 v27, v59
	v_ashrrev_i32_e32 v31, 31, v31
	s_wait_alu 0xf1ff
	v_xor_b32_e32 v29, s7, v29
	v_cmp_gt_i32_e64 s7, 0, v59
	v_and_b32_e32 v26, v26, v28
	v_not_b32_e32 v28, v30
	v_ashrrev_i32_e32 v27, 31, v27
	v_xor_b32_e32 v31, s13, v31
	v_cmp_gt_i32_e64 s13, 0, v30
	v_and_b32_e32 v26, v26, v29
	v_ashrrev_i32_e32 v28, 31, v28
	s_wait_alu 0xf1ff
	v_xor_b32_e32 v27, s7, v27
	v_lshl_add_u32 v60, v25, 2, v24
	v_and_b32_e32 v26, v26, v31
	v_xor_b32_e32 v25, s13, v28
	ds_load_b32 v58, v60 offset:4
	v_and_b32_e32 v26, v26, v27
	; wave barrier
	s_delay_alu instid0(VALU_DEP_1) | instskip(NEXT) | instid1(VALU_DEP_1)
	v_and_b32_e32 v25, v26, v25
	v_mbcnt_lo_u32_b32 v59, v25, 0
	v_cmp_ne_u32_e64 s13, 0, v25
	s_delay_alu instid0(VALU_DEP_2)
	v_cmp_eq_u32_e64 s7, 0, v59
	s_and_b32 s13, s13, s7
	s_wait_alu 0xfffe
	s_and_saveexec_b32 s7, s13
	s_cbranch_execz .LBB173_40
; %bb.39:
	s_wait_dscnt 0x0
	v_bcnt_u32_b32 v25, v25, v58
	ds_store_b32 v60, v25 offset:4
.LBB173_40:
	s_wait_alu 0xfffe
	s_or_b32 exec_lo, exec_lo, s7
	v_lshrrev_b16 v25, 8, v52
	; wave barrier
	s_delay_alu instid0(VALU_DEP_1) | instskip(NEXT) | instid1(VALU_DEP_1)
	v_and_b32_e32 v25, s15, v25
	v_and_b32_e32 v26, 1, v25
	v_lshlrev_b32_e32 v27, 30, v25
	v_lshlrev_b32_e32 v28, 29, v25
	;; [unrolled: 1-line block ×4, first 2 shown]
	v_add_co_u32 v26, s7, v26, -1
	s_wait_alu 0xf1ff
	v_cndmask_b32_e64 v30, 0, 1, s7
	v_not_b32_e32 v63, v27
	v_cmp_gt_i32_e64 s13, 0, v27
	v_not_b32_e32 v27, v28
	v_lshlrev_b32_e32 v61, 26, v25
	v_cmp_ne_u32_e64 s7, 0, v30
	v_ashrrev_i32_e32 v63, 31, v63
	v_lshlrev_b32_e32 v62, 25, v25
	v_ashrrev_i32_e32 v27, 31, v27
	v_lshlrev_b32_e32 v30, 24, v25
	s_wait_alu 0xf1ff
	v_xor_b32_e32 v26, s7, v26
	v_cmp_gt_i32_e64 s7, 0, v28
	v_not_b32_e32 v28, v29
	v_xor_b32_e32 v63, s13, v63
	v_cmp_gt_i32_e64 s13, 0, v29
	v_and_b32_e32 v26, exec_lo, v26
	v_not_b32_e32 v29, v31
	v_ashrrev_i32_e32 v28, 31, v28
	s_wait_alu 0xf1ff
	v_xor_b32_e32 v27, s7, v27
	v_cmp_gt_i32_e64 s7, 0, v31
	v_and_b32_e32 v26, v26, v63
	v_not_b32_e32 v31, v61
	v_ashrrev_i32_e32 v29, 31, v29
	v_xor_b32_e32 v28, s13, v28
	v_cmp_gt_i32_e64 s13, 0, v61
	v_and_b32_e32 v26, v26, v27
	v_not_b32_e32 v27, v62
	v_ashrrev_i32_e32 v31, 31, v31
	s_wait_alu 0xf1ff
	v_xor_b32_e32 v29, s7, v29
	v_cmp_gt_i32_e64 s7, 0, v62
	v_and_b32_e32 v26, v26, v28
	v_not_b32_e32 v28, v30
	v_ashrrev_i32_e32 v27, 31, v27
	v_xor_b32_e32 v31, s13, v31
	v_cmp_gt_i32_e64 s13, 0, v30
	v_and_b32_e32 v26, v26, v29
	v_ashrrev_i32_e32 v28, 31, v28
	s_wait_alu 0xf1ff
	v_xor_b32_e32 v27, s7, v27
	v_lshl_add_u32 v63, v25, 2, v24
	v_and_b32_e32 v26, v26, v31
	v_xor_b32_e32 v24, s13, v28
	ds_load_b32 v61, v63 offset:4
	v_and_b32_e32 v25, v26, v27
	; wave barrier
	s_delay_alu instid0(VALU_DEP_1) | instskip(NEXT) | instid1(VALU_DEP_1)
	v_and_b32_e32 v24, v25, v24
	v_mbcnt_lo_u32_b32 v62, v24, 0
	v_cmp_ne_u32_e64 s13, 0, v24
	s_delay_alu instid0(VALU_DEP_2)
	v_cmp_eq_u32_e64 s7, 0, v62
	s_and_b32 s13, s13, s7
	s_wait_alu 0xfffe
	s_and_saveexec_b32 s7, s13
	s_cbranch_execz .LBB173_42
; %bb.41:
	s_wait_dscnt 0x0
	v_bcnt_u32_b32 v24, v24, v61
	ds_store_b32 v63, v24 offset:4
.LBB173_42:
	s_wait_alu 0xfffe
	s_or_b32 exec_lo, exec_lo, s7
	; wave barrier
	; wave barrier
	s_wait_loadcnt_dscnt 0x0
	global_inv scope:SCOPE_SE
	ds_load_2addr_b32 v[30:31], v42 offset0:1 offset1:2
	ds_load_2addr_b32 v[28:29], v42 offset0:3 offset1:4
	;; [unrolled: 1-line block ×4, first 2 shown]
	s_wait_dscnt 0x3
	v_add_nc_u32_e32 v64, v31, v30
	s_wait_dscnt 0x2
	s_delay_alu instid0(VALU_DEP_1) | instskip(SKIP_1) | instid1(VALU_DEP_1)
	v_add3_u32 v64, v64, v28, v29
	s_wait_dscnt 0x1
	v_add3_u32 v64, v64, v26, v27
	s_wait_dscnt 0x0
	s_delay_alu instid0(VALU_DEP_1) | instskip(NEXT) | instid1(VALU_DEP_1)
	v_add3_u32 v25, v64, v24, v25
	v_mov_b32_dpp v64, v25 row_shr:1 row_mask:0xf bank_mask:0xf
	s_delay_alu instid0(VALU_DEP_1) | instskip(NEXT) | instid1(VALU_DEP_1)
	v_cndmask_b32_e64 v64, v64, 0, vcc_lo
	v_add_nc_u32_e32 v25, v64, v25
	s_delay_alu instid0(VALU_DEP_1) | instskip(NEXT) | instid1(VALU_DEP_1)
	v_mov_b32_dpp v64, v25 row_shr:2 row_mask:0xf bank_mask:0xf
	v_cndmask_b32_e64 v64, 0, v64, s8
	s_mov_b32 s8, 0
	s_delay_alu instid0(VALU_DEP_1) | instskip(NEXT) | instid1(VALU_DEP_1)
	v_add_nc_u32_e32 v25, v25, v64
	v_mov_b32_dpp v64, v25 row_shr:4 row_mask:0xf bank_mask:0xf
	s_delay_alu instid0(VALU_DEP_1) | instskip(NEXT) | instid1(VALU_DEP_1)
	v_cndmask_b32_e64 v64, 0, v64, s9
	v_add_nc_u32_e32 v25, v25, v64
	s_delay_alu instid0(VALU_DEP_1) | instskip(NEXT) | instid1(VALU_DEP_1)
	v_mov_b32_dpp v64, v25 row_shr:8 row_mask:0xf bank_mask:0xf
	v_cndmask_b32_e64 v64, 0, v64, s10
	s_delay_alu instid0(VALU_DEP_1) | instskip(SKIP_3) | instid1(VALU_DEP_1)
	v_add_nc_u32_e32 v25, v25, v64
	ds_swizzle_b32 v64, v25 offset:swizzle(BROADCAST,32,15)
	s_wait_dscnt 0x0
	v_cndmask_b32_e64 v64, v64, 0, s12
	v_add_nc_u32_e32 v25, v25, v64
	s_and_saveexec_b32 s7, s11
; %bb.43:
	v_mov_b32_e32 v64, 0
	ds_store_b32 v64, v25
; %bb.44:
	s_wait_alu 0xfffe
	s_or_b32 exec_lo, exec_lo, s7
	ds_bpermute_b32 v25, v71, v25
	; wave barrier
	s_wait_loadcnt_dscnt 0x0
	global_inv scope:SCOPE_SE
	v_cndmask_b32_e64 v25, v25, 0, s17
	s_delay_alu instid0(VALU_DEP_1) | instskip(NEXT) | instid1(VALU_DEP_1)
	v_add_nc_u32_e32 v30, v25, v30
	v_add_nc_u32_e32 v31, v30, v31
	s_delay_alu instid0(VALU_DEP_1) | instskip(NEXT) | instid1(VALU_DEP_1)
	v_add_nc_u32_e32 v28, v31, v28
	v_add_nc_u32_e32 v29, v28, v29
	;; [unrolled: 3-line block ×3, first 2 shown]
	s_delay_alu instid0(VALU_DEP_1)
	v_add_nc_u32_e32 v24, v27, v24
	ds_store_2addr_b32 v42, v25, v30 offset0:1 offset1:2
	ds_store_2addr_b32 v42, v31, v28 offset0:3 offset1:4
	;; [unrolled: 1-line block ×4, first 2 shown]
	; wave barrier
	s_wait_loadcnt_dscnt 0x0
	global_inv scope:SCOPE_SE
	ds_load_b32 v24, v54 offset:4
	ds_load_b32 v25, v57 offset:4
	ds_load_b32 v26, v60 offset:4
	ds_load_b32 v27, v63 offset:4
	v_lshlrev_b32_e32 v28, 1, v41
	; wave barrier
	s_wait_loadcnt_dscnt 0x0
	global_inv scope:SCOPE_SE
	v_add_nc_u32_e32 v30, v24, v53
	v_add3_u32 v53, v56, v55, v25
	v_add3_u32 v54, v59, v58, v26
	;; [unrolled: 1-line block ×3, first 2 shown]
	s_delay_alu instid0(VALU_DEP_4) | instskip(NEXT) | instid1(VALU_DEP_4)
	v_lshlrev_b32_e32 v24, 1, v30
	v_lshlrev_b32_e32 v25, 1, v53
	s_delay_alu instid0(VALU_DEP_4) | instskip(NEXT) | instid1(VALU_DEP_4)
	v_lshlrev_b32_e32 v26, 1, v54
	v_lshlrev_b32_e32 v27, 1, v55
	ds_store_b16 v24, v50
	ds_store_b16 v25, v49
	;; [unrolled: 1-line block ×4, first 2 shown]
	; wave barrier
	s_wait_loadcnt_dscnt 0x0
	global_inv scope:SCOPE_SE
	ds_load_b64 v[28:29], v28
	v_mad_co_u64_u32 v[30:31], null, v30, 6, v[24:25]
	v_mad_co_u64_u32 v[24:25], null, v53, 6, v[25:26]
	;; [unrolled: 1-line block ×3, first 2 shown]
	; wave barrier
	s_wait_loadcnt_dscnt 0x0
	global_inv scope:SCOPE_SE
	ds_store_b64 v30, v[13:14]
	ds_store_b64 v24, v[15:16]
	v_mad_co_u64_u32 v[26:27], null, v55, 6, v[27:28]
	v_xor_b32_e32 v13, 0x80008000, v28
	v_xor_b32_e32 v14, 0x80008000, v29
	ds_store_b64 v25, v[9:10]
	ds_store_b64 v26, v[11:12]
	; wave barrier
	s_wait_loadcnt_dscnt 0x0
	global_inv scope:SCOPE_SE
.LBB173_45:
	s_and_b32 vcc_lo, exec_lo, s8
	s_wait_alu 0xfffe
	s_cbranch_vccz .LBB173_67
; %bb.46:
	v_xor_b32_e32 v10, 0x7fff, v48
	v_cmp_eq_u32_e32 vcc_lo, 3, v46
	v_xor_b32_e32 v9, 0x7fff, v22
	s_getpc_b64 s[8:9]
	s_wait_alu 0xfffe
	s_sext_i32_i16 s9, s9
	s_add_co_u32 s8, s8, _ZN7rocprim17ROCPRIM_400000_NS16block_radix_sortIsLj32ELj4ElLj1ELj1ELj0ELNS0_26block_radix_rank_algorithmE1ELNS0_18block_padding_hintE2ELNS0_4arch9wavefront6targetE0EE19radix_bits_per_passE@rel32@lo+12
	s_wait_alu 0xfffe
	s_add_co_ci_u32 s9, s9, _ZN7rocprim17ROCPRIM_400000_NS16block_radix_sortIsLj32ELj4ElLj1ELj1ELj0ELNS0_26block_radix_rank_algorithmE1ELNS0_18block_padding_hintE2ELNS0_4arch9wavefront6targetE0EE19radix_bits_per_passE@rel32@hi+24
	ds_bpermute_b32 v22, v44, v7
	v_and_b32_e32 v49, 0xffff, v10
	v_xor_b32_e32 v10, 0x7fff, v47
	s_load_b32 s15, s[8:9], 0x0
	ds_bpermute_b32 v25, v44, v7 offset:32
	s_wait_loadcnt_dscnt 0x0
	ds_bpermute_b32 v14, v44, v49
	v_and_b32_e32 v58, 0xffff, v10
	ds_bpermute_b32 v47, v44, v49 offset:64
	ds_bpermute_b32 v55, v44, v49 offset:32
	; wave barrier
	s_wait_dscnt 0x0
	global_inv scope:SCOPE_SE
	s_load_b32 s7, s[22:23], 0xc
	ds_bpermute_b32 v26, v44, v58
	ds_bpermute_b32 v60, v44, v58 offset:64
	ds_bpermute_b32 v61, v44, v58 offset:32
	ds_bpermute_b32 v52, v44, v6
	ds_bpermute_b32 v11, v44, v1
	ds_bpermute_b32 v48, v44, v6 offset:32
	ds_bpermute_b32 v15, v44, v1 offset:32
	;; [unrolled: 1-line block ×3, first 2 shown]
	ds_bpermute_b32 v51, v44, v5
	ds_bpermute_b32 v54, v44, v5 offset:32
	ds_bpermute_b32 v27, v44, v8 offset:32
	s_wait_kmcnt 0x0
	s_min_u32 s8, s15, 16
	ds_bpermute_b32 v53, v44, v5 offset:64
	s_wait_alu 0xfffe
	s_lshl_b32 s8, -1, s8
	v_and_b32_e32 v14, 0xffff, v14
	s_wait_alu 0xfffe
	s_not_b32 s9, s8
	ds_bpermute_b32 v12, v44, v2
	ds_bpermute_b32 v10, v44, v4
	ds_bpermute_b32 v16, v44, v2 offset:32
	s_lshr_b32 s8, s7, 16
	s_wait_dscnt 0xe
	v_and_b32_e32 v26, 0xffff, v26
	v_and_b32_e32 v29, 0xffff, v9
	v_xor_b32_e32 v9, 0x7fff, v23
	ds_bpermute_b32 v23, v44, v8
	s_and_b32 s10, s7, 0xffff
	s_wait_alu 0xfffe
	v_mad_u32_u24 v0, v0, s8, v45
	ds_bpermute_b32 v13, v44, v29
	v_and_b32_e32 v50, 0xffff, v9
	ds_bpermute_b32 v9, v44, v3
	ds_bpermute_b32 v24, v44, v50
	ds_bpermute_b32 v57, v44, v50 offset:64
	ds_bpermute_b32 v46, v44, v50 offset:32
	s_wait_dscnt 0x4
	v_and_b32_e32 v13, 0xffff, v13
	s_delay_alu instid0(VALU_DEP_1) | instskip(SKIP_2) | instid1(VALU_DEP_2)
	v_cndmask_b32_e64 v13, 0, v13, s6
	s_wait_dscnt 0x2
	v_and_b32_e32 v24, 0xffff, v24
	v_cndmask_b32_e64 v30, v13, v14, s5
	ds_bpermute_b32 v13, v44, v3 offset:32
	ds_bpermute_b32 v14, v44, v4 offset:32
	v_cndmask_b32_e64 v24, v30, v24, s1
	ds_bpermute_b32 v30, v44, v7 offset:64
	v_cndmask_b32_e32 v26, v24, v26, vcc_lo
	ds_bpermute_b32 v28, v44, v29 offset:64
	ds_bpermute_b32 v31, v44, v29 offset:32
	;; [unrolled: 1-line block ×5, first 2 shown]
	s_wait_dscnt 0x4
	v_and_b32_e32 v28, 0xffff, v28
	s_wait_dscnt 0x3
	v_perm_b32 v59, v31, v26, 0x5040100
	ds_bpermute_b32 v31, v44, v8 offset:64
	v_cndmask_b32_e64 v28, 0, v28, s6
	v_cndmask_b32_e64 v59, v26, v59, s6
	ds_bpermute_b32 v26, v44, v2 offset:64
	v_bfi_b32 v47, 0xffff, v47, v28
	v_perm_b32 v55, v55, v59, 0x5040100
	s_delay_alu instid0(VALU_DEP_2) | instskip(NEXT) | instid1(VALU_DEP_2)
	v_cndmask_b32_e64 v47, v28, v47, s5
	v_cndmask_b32_e64 v55, v59, v55, s5
	ds_bpermute_b32 v28, v44, v3 offset:64
	v_bfi_b32 v57, 0xffff, v57, v47
	v_perm_b32 v46, v46, v55, 0x5040100
	s_delay_alu instid0(VALU_DEP_2) | instskip(NEXT) | instid1(VALU_DEP_2)
	v_cndmask_b32_e64 v59, v47, v57, s1
	v_cndmask_b32_e64 v63, v55, v46, s1
	ds_bpermute_b32 v47, v44, v7 offset:96
	ds_bpermute_b32 v55, v44, v6 offset:96
	;; [unrolled: 1-line block ×3, first 2 shown]
	v_bfi_b32 v60, 0xffff, v60, v59
	v_perm_b32 v7, v61, v63, 0x5040100
	ds_bpermute_b32 v1, v44, v50 offset:96
	ds_bpermute_b32 v57, v44, v5 offset:96
	v_cndmask_b32_e32 v6, v59, v60, vcc_lo
	v_cndmask_b32_e32 v50, v63, v7, vcc_lo
	ds_bpermute_b32 v5, v44, v49 offset:96
	ds_bpermute_b32 v49, v44, v8 offset:96
	;; [unrolled: 1-line block ×3, first 2 shown]
	s_wait_dscnt 0xd
	v_perm_b32 v8, v62, v6, 0x5040100
	v_and_b32_e32 v59, s9, v50
	s_delay_alu instid0(VALU_DEP_2) | instskip(NEXT) | instid1(VALU_DEP_2)
	v_cndmask_b32_e64 v6, v6, v8, s6
	v_and_b32_e32 v8, 1, v59
	v_lshlrev_b32_e32 v45, 30, v59
	v_lshlrev_b32_e32 v58, 29, v59
	;; [unrolled: 1-line block ×4, first 2 shown]
	v_add_co_u32 v8, s7, v8, -1
	s_wait_alu 0xf1ff
	v_cndmask_b32_e64 v61, 0, 1, s7
	v_not_b32_e32 v65, v45
	v_cmp_gt_i32_e64 s8, 0, v45
	v_not_b32_e32 v45, v58
	v_lshlrev_b32_e32 v63, 26, v59
	v_cmp_ne_u32_e64 s7, 0, v61
	v_ashrrev_i32_e32 v65, 31, v65
	v_lshlrev_b32_e32 v64, 25, v59
	v_ashrrev_i32_e32 v45, 31, v45
	v_lshlrev_b32_e32 v61, 24, v59
	s_wait_alu 0xf1ff
	v_xor_b32_e32 v8, s7, v8
	v_cmp_gt_i32_e64 s7, 0, v58
	v_not_b32_e32 v58, v60
	v_xor_b32_e32 v65, s8, v65
	v_cmp_gt_i32_e64 s8, 0, v60
	v_and_b32_e32 v8, exec_lo, v8
	v_not_b32_e32 v60, v62
	v_ashrrev_i32_e32 v58, 31, v58
	s_wait_alu 0xf1ff
	v_xor_b32_e32 v45, s7, v45
	v_cmp_gt_i32_e64 s7, 0, v62
	v_and_b32_e32 v8, v8, v65
	v_not_b32_e32 v62, v63
	v_ashrrev_i32_e32 v60, 31, v60
	v_xor_b32_e32 v58, s8, v58
	v_cmp_gt_i32_e64 s8, 0, v63
	v_and_b32_e32 v8, v8, v45
	v_not_b32_e32 v45, v64
	v_ashrrev_i32_e32 v62, 31, v62
	s_wait_alu 0xf1ff
	v_xor_b32_e32 v60, s7, v60
	s_wait_dscnt 0x2
	v_perm_b32 v5, v5, v6, 0x5040100
	v_and_b32_e32 v8, v8, v58
	v_cmp_gt_i32_e64 s7, 0, v64
	v_not_b32_e32 v58, v61
	v_ashrrev_i32_e32 v45, 31, v45
	v_xor_b32_e32 v62, s8, v62
	v_and_b32_e32 v8, v8, v60
	v_cndmask_b32_e64 v60, v6, v5, s5
	v_cmp_gt_i32_e64 s8, 0, v61
	v_ashrrev_i32_e32 v58, 31, v58
	s_wait_alu 0xf1ff
	v_xor_b32_e32 v45, s7, v45
	v_and_b32_e32 v8, v8, v62
	v_mad_co_u64_u32 v[5:6], null, v0, s10, v[21:22]
	v_perm_b32 v0, v1, v60, 0x5040100
	v_xor_b32_e32 v1, s8, v58
	s_delay_alu instid0(VALU_DEP_4)
	v_and_b32_e32 v6, v8, v45
	ds_bpermute_b32 v58, v44, v2 offset:96
	ds_bpermute_b32 v45, v44, v3 offset:96
	;; [unrolled: 1-line block ×3, first 2 shown]
	v_cndmask_b32_e64 v2, v60, v0, s1
	v_dual_mov_b32 v1, 0 :: v_dual_and_b32 v0, v6, v1
	v_lshrrev_b32_e32 v3, 5, v5
	ds_store_2addr_b32 v42, v1, v1 offset0:1 offset1:2
	ds_store_2addr_b32 v42, v1, v1 offset0:3 offset1:4
	;; [unrolled: 1-line block ×4, first 2 shown]
	v_mbcnt_lo_u32_b32 v60, v0, 0
	s_wait_dscnt 0x7
	v_perm_b32 v4, v7, v2, 0x5040100
	v_lshlrev_b32_e32 v8, 2, v3
	v_and_b32_e32 v1, 0xffff, v59
	v_cmp_ne_u32_e64 s8, 0, v0
	v_cmp_eq_u32_e64 s7, 0, v60
	v_cndmask_b32_e32 v59, v2, v4, vcc_lo
	s_wait_loadcnt_dscnt 0x0
	v_lshl_add_u32 v62, v1, 2, v8
	; wave barrier
	global_inv scope:SCOPE_SE
	s_and_b32 s8, s8, s7
	; wave barrier
	s_wait_alu 0xfffe
	s_and_saveexec_b32 s7, s8
; %bb.47:
	v_bcnt_u32_b32 v0, v0, 0
	ds_store_b32 v62, v0 offset:4
; %bb.48:
	s_wait_alu 0xfffe
	s_or_b32 exec_lo, exec_lo, s7
	v_lshrrev_b32_e32 v61, 16, v50
	; wave barrier
	s_delay_alu instid0(VALU_DEP_1) | instskip(NEXT) | instid1(VALU_DEP_1)
	v_and_b32_e32 v0, s9, v61
	v_and_b32_e32 v1, 1, v0
	v_lshlrev_b32_e32 v2, 30, v0
	v_lshlrev_b32_e32 v3, 29, v0
	;; [unrolled: 1-line block ×4, first 2 shown]
	v_add_co_u32 v1, s7, v1, -1
	s_wait_alu 0xf1ff
	v_cndmask_b32_e64 v5, 0, 1, s7
	v_not_b32_e32 v64, v2
	v_cmp_gt_i32_e64 s8, 0, v2
	v_not_b32_e32 v2, v3
	v_lshlrev_b32_e32 v7, 26, v0
	v_cmp_ne_u32_e64 s7, 0, v5
	v_ashrrev_i32_e32 v64, 31, v64
	v_lshlrev_b32_e32 v63, 25, v0
	v_ashrrev_i32_e32 v2, 31, v2
	v_lshlrev_b32_e32 v5, 24, v0
	s_wait_alu 0xf1ff
	v_xor_b32_e32 v1, s7, v1
	v_cmp_gt_i32_e64 s7, 0, v3
	v_not_b32_e32 v3, v4
	v_xor_b32_e32 v64, s8, v64
	v_cmp_gt_i32_e64 s8, 0, v4
	v_and_b32_e32 v1, exec_lo, v1
	v_not_b32_e32 v4, v6
	v_ashrrev_i32_e32 v3, 31, v3
	s_wait_alu 0xf1ff
	v_xor_b32_e32 v2, s7, v2
	v_cmp_gt_i32_e64 s7, 0, v6
	v_and_b32_e32 v1, v1, v64
	v_not_b32_e32 v6, v7
	v_ashrrev_i32_e32 v4, 31, v4
	v_xor_b32_e32 v3, s8, v3
	v_cmp_gt_i32_e64 s8, 0, v7
	v_and_b32_e32 v1, v1, v2
	v_not_b32_e32 v2, v63
	v_ashrrev_i32_e32 v6, 31, v6
	s_wait_alu 0xf1ff
	v_xor_b32_e32 v4, s7, v4
	v_cmp_gt_i32_e64 s7, 0, v63
	v_and_b32_e32 v1, v1, v3
	v_not_b32_e32 v3, v5
	v_ashrrev_i32_e32 v2, 31, v2
	v_xor_b32_e32 v6, s8, v6
	v_cmp_gt_i32_e64 s8, 0, v5
	v_and_b32_e32 v1, v1, v4
	v_ashrrev_i32_e32 v3, 31, v3
	s_wait_alu 0xf1ff
	v_xor_b32_e32 v2, s7, v2
	v_lshl_add_u32 v65, v0, 2, v8
	v_and_b32_e32 v1, v1, v6
	v_xor_b32_e32 v0, s8, v3
	ds_load_b32 v63, v65 offset:4
	v_and_b32_e32 v1, v1, v2
	; wave barrier
	s_delay_alu instid0(VALU_DEP_1) | instskip(NEXT) | instid1(VALU_DEP_1)
	v_and_b32_e32 v0, v1, v0
	v_mbcnt_lo_u32_b32 v64, v0, 0
	v_cmp_ne_u32_e64 s8, 0, v0
	s_delay_alu instid0(VALU_DEP_2)
	v_cmp_eq_u32_e64 s7, 0, v64
	s_and_b32 s8, s8, s7
	s_wait_alu 0xfffe
	s_and_saveexec_b32 s7, s8
	s_cbranch_execz .LBB173_50
; %bb.49:
	s_wait_dscnt 0x0
	v_bcnt_u32_b32 v0, v0, v63
	ds_store_b32 v65, v0 offset:4
.LBB173_50:
	s_wait_alu 0xfffe
	s_or_b32 exec_lo, exec_lo, s7
	v_and_b32_e32 v0, s9, v59
	; wave barrier
	s_delay_alu instid0(VALU_DEP_1)
	v_and_b32_e32 v1, 1, v0
	v_lshlrev_b32_e32 v2, 30, v0
	v_lshlrev_b32_e32 v3, 29, v0
	;; [unrolled: 1-line block ×4, first 2 shown]
	v_add_co_u32 v1, s7, v1, -1
	s_wait_alu 0xf1ff
	v_cndmask_b32_e64 v5, 0, 1, s7
	v_not_b32_e32 v67, v2
	v_cmp_gt_i32_e64 s8, 0, v2
	v_not_b32_e32 v2, v3
	v_lshlrev_b32_e32 v7, 26, v0
	v_cmp_ne_u32_e64 s7, 0, v5
	v_ashrrev_i32_e32 v67, 31, v67
	v_lshlrev_b32_e32 v66, 25, v0
	v_ashrrev_i32_e32 v2, 31, v2
	v_lshlrev_b32_e32 v5, 24, v0
	s_wait_alu 0xf1ff
	v_xor_b32_e32 v1, s7, v1
	v_cmp_gt_i32_e64 s7, 0, v3
	v_not_b32_e32 v3, v4
	v_xor_b32_e32 v67, s8, v67
	v_cmp_gt_i32_e64 s8, 0, v4
	v_and_b32_e32 v1, exec_lo, v1
	v_not_b32_e32 v4, v6
	v_ashrrev_i32_e32 v3, 31, v3
	s_wait_alu 0xf1ff
	v_xor_b32_e32 v2, s7, v2
	v_cmp_gt_i32_e64 s7, 0, v6
	v_and_b32_e32 v1, v1, v67
	v_not_b32_e32 v6, v7
	v_ashrrev_i32_e32 v4, 31, v4
	v_xor_b32_e32 v3, s8, v3
	v_cmp_gt_i32_e64 s8, 0, v7
	v_and_b32_e32 v1, v1, v2
	v_not_b32_e32 v2, v66
	v_ashrrev_i32_e32 v6, 31, v6
	s_wait_alu 0xf1ff
	v_xor_b32_e32 v4, s7, v4
	v_cmp_gt_i32_e64 s7, 0, v66
	v_and_b32_e32 v1, v1, v3
	v_not_b32_e32 v3, v5
	v_ashrrev_i32_e32 v2, 31, v2
	v_xor_b32_e32 v6, s8, v6
	v_and_b32_e32 v0, 0xffff, v0
	v_and_b32_e32 v1, v1, v4
	v_cmp_gt_i32_e64 s8, 0, v5
	v_ashrrev_i32_e32 v3, 31, v3
	s_wait_alu 0xf1ff
	v_xor_b32_e32 v2, s7, v2
	v_lshl_add_u32 v69, v0, 2, v8
	v_and_b32_e32 v1, v1, v6
	v_xor_b32_e32 v0, s8, v3
	ds_load_b32 v66, v69 offset:4
	v_and_b32_e32 v1, v1, v2
	; wave barrier
	s_delay_alu instid0(VALU_DEP_1) | instskip(NEXT) | instid1(VALU_DEP_1)
	v_and_b32_e32 v0, v1, v0
	v_mbcnt_lo_u32_b32 v67, v0, 0
	v_cmp_ne_u32_e64 s8, 0, v0
	s_delay_alu instid0(VALU_DEP_2)
	v_cmp_eq_u32_e64 s7, 0, v67
	s_and_b32 s8, s8, s7
	s_wait_alu 0xfffe
	s_and_saveexec_b32 s7, s8
	s_cbranch_execz .LBB173_52
; %bb.51:
	s_wait_dscnt 0x0
	v_bcnt_u32_b32 v0, v0, v66
	ds_store_b32 v69, v0 offset:4
.LBB173_52:
	s_wait_alu 0xfffe
	s_or_b32 exec_lo, exec_lo, s7
	v_lshrrev_b32_e32 v68, 16, v59
	; wave barrier
	v_and_or_b32 v72, 0xf80, v41, v43
	s_delay_alu instid0(VALU_DEP_2) | instskip(NEXT) | instid1(VALU_DEP_1)
	v_and_b32_e32 v0, s9, v68
	v_and_b32_e32 v1, 1, v0
	v_lshlrev_b32_e32 v2, 30, v0
	v_lshlrev_b32_e32 v3, 29, v0
	;; [unrolled: 1-line block ×4, first 2 shown]
	v_add_co_u32 v1, s7, v1, -1
	s_wait_alu 0xf1ff
	v_cndmask_b32_e64 v5, 0, 1, s7
	v_not_b32_e32 v71, v2
	v_cmp_gt_i32_e64 s8, 0, v2
	v_not_b32_e32 v2, v3
	v_lshlrev_b32_e32 v7, 26, v0
	v_cmp_ne_u32_e64 s7, 0, v5
	v_ashrrev_i32_e32 v71, 31, v71
	v_lshlrev_b32_e32 v70, 25, v0
	v_ashrrev_i32_e32 v2, 31, v2
	v_lshlrev_b32_e32 v5, 24, v0
	s_wait_alu 0xf1ff
	v_xor_b32_e32 v1, s7, v1
	v_cmp_gt_i32_e64 s7, 0, v3
	v_not_b32_e32 v3, v4
	v_xor_b32_e32 v71, s8, v71
	v_cmp_gt_i32_e64 s8, 0, v4
	v_and_b32_e32 v1, exec_lo, v1
	v_not_b32_e32 v4, v6
	v_ashrrev_i32_e32 v3, 31, v3
	s_wait_alu 0xf1ff
	v_xor_b32_e32 v2, s7, v2
	v_cmp_gt_i32_e64 s7, 0, v6
	v_and_b32_e32 v1, v1, v71
	v_not_b32_e32 v6, v7
	v_ashrrev_i32_e32 v4, 31, v4
	v_xor_b32_e32 v3, s8, v3
	v_cmp_gt_i32_e64 s8, 0, v7
	v_and_b32_e32 v1, v1, v2
	v_not_b32_e32 v2, v70
	v_ashrrev_i32_e32 v6, 31, v6
	s_wait_alu 0xf1ff
	v_xor_b32_e32 v4, s7, v4
	v_cmp_gt_i32_e64 s7, 0, v70
	v_and_b32_e32 v1, v1, v3
	v_not_b32_e32 v3, v5
	v_ashrrev_i32_e32 v2, 31, v2
	v_xor_b32_e32 v6, s8, v6
	v_cmp_gt_i32_e64 s8, 0, v5
	v_and_b32_e32 v1, v1, v4
	v_ashrrev_i32_e32 v3, 31, v3
	s_wait_alu 0xf1ff
	v_xor_b32_e32 v2, s7, v2
	v_lshl_add_u32 v73, v0, 2, v8
	v_and_b32_e32 v1, v1, v6
	v_xor_b32_e32 v0, s8, v3
	ds_load_b32 v70, v73 offset:4
	v_and_b32_e32 v1, v1, v2
	; wave barrier
	s_delay_alu instid0(VALU_DEP_1) | instskip(NEXT) | instid1(VALU_DEP_1)
	v_and_b32_e32 v0, v1, v0
	v_mbcnt_lo_u32_b32 v71, v0, 0
	v_cmp_ne_u32_e64 s8, 0, v0
	s_delay_alu instid0(VALU_DEP_2)
	v_cmp_eq_u32_e64 s7, 0, v71
	s_and_b32 s8, s8, s7
	s_wait_alu 0xfffe
	s_and_saveexec_b32 s7, s8
	s_cbranch_execz .LBB173_54
; %bb.53:
	s_wait_dscnt 0x0
	v_bcnt_u32_b32 v0, v0, v70
	ds_store_b32 v73, v0 offset:4
.LBB173_54:
	s_wait_alu 0xfffe
	s_or_b32 exec_lo, exec_lo, s7
	; wave barrier
	; wave barrier
	s_wait_loadcnt_dscnt 0x0
	global_inv scope:SCOPE_SE
	ds_load_2addr_b32 v[6:7], v42 offset0:1 offset1:2
	ds_load_2addr_b32 v[4:5], v42 offset0:3 offset1:4
	;; [unrolled: 1-line block ×4, first 2 shown]
	v_and_b32_e32 v76, 16, v43
	v_cmp_eq_u32_e64 s11, 31, v21
	s_delay_alu instid0(VALU_DEP_2) | instskip(SKIP_3) | instid1(VALU_DEP_1)
	v_cmp_eq_u32_e64 s12, 0, v76
	s_wait_dscnt 0x3
	v_add_nc_u32_e32 v74, v7, v6
	s_wait_dscnt 0x2
	v_add3_u32 v74, v74, v4, v5
	s_wait_dscnt 0x1
	s_delay_alu instid0(VALU_DEP_1) | instskip(SKIP_1) | instid1(VALU_DEP_1)
	v_add3_u32 v74, v74, v2, v3
	s_wait_dscnt 0x0
	v_add3_u32 v1, v74, v0, v1
	v_and_b32_e32 v74, 15, v43
	s_delay_alu instid0(VALU_DEP_2) | instskip(NEXT) | instid1(VALU_DEP_2)
	v_mov_b32_dpp v75, v1 row_shr:1 row_mask:0xf bank_mask:0xf
	v_cmp_eq_u32_e64 s7, 0, v74
	v_cmp_lt_u32_e64 s8, 1, v74
	v_cmp_lt_u32_e64 s9, 3, v74
	;; [unrolled: 1-line block ×3, first 2 shown]
	s_wait_alu 0xf1ff
	v_cndmask_b32_e64 v75, v75, 0, s7
	s_delay_alu instid0(VALU_DEP_1) | instskip(NEXT) | instid1(VALU_DEP_1)
	v_add_nc_u32_e32 v1, v75, v1
	v_mov_b32_dpp v75, v1 row_shr:2 row_mask:0xf bank_mask:0xf
	s_delay_alu instid0(VALU_DEP_1) | instskip(NEXT) | instid1(VALU_DEP_1)
	v_cndmask_b32_e64 v75, 0, v75, s8
	v_add_nc_u32_e32 v1, v1, v75
	s_delay_alu instid0(VALU_DEP_1) | instskip(NEXT) | instid1(VALU_DEP_1)
	v_mov_b32_dpp v75, v1 row_shr:4 row_mask:0xf bank_mask:0xf
	v_cndmask_b32_e64 v75, 0, v75, s9
	s_delay_alu instid0(VALU_DEP_1) | instskip(NEXT) | instid1(VALU_DEP_1)
	v_add_nc_u32_e32 v1, v1, v75
	v_mov_b32_dpp v75, v1 row_shr:8 row_mask:0xf bank_mask:0xf
	s_delay_alu instid0(VALU_DEP_1) | instskip(SKIP_1) | instid1(VALU_DEP_2)
	v_cndmask_b32_e64 v74, 0, v75, s10
	v_bfe_i32 v75, v43, 4, 1
	v_add_nc_u32_e32 v74, v1, v74
	ds_swizzle_b32 v1, v74 offset:swizzle(BROADCAST,32,15)
	s_wait_dscnt 0x0
	v_and_b32_e32 v77, v75, v1
	v_sub_co_u32 v75, s17, v43, 1
	v_mul_u32_u24_e32 v1, 6, v72
	s_delay_alu instid0(VALU_DEP_3)
	v_add_nc_u32_e32 v74, v74, v77
	s_and_saveexec_b32 s13, s11
; %bb.55:
	v_mov_b32_e32 v76, 0
	ds_store_b32 v76, v74
; %bb.56:
	s_wait_alu 0xfffe
	s_or_b32 exec_lo, exec_lo, s13
	v_cmp_gt_i32_e64 s13, 0, v75
	; wave barrier
	s_wait_loadcnt_dscnt 0x0
	global_inv scope:SCOPE_SE
	v_cndmask_b32_e64 v51, 0, v51, s6
	v_cndmask_b32_e64 v52, 0, v52, s6
	s_wait_alu 0xf1ff
	v_cndmask_b32_e64 v43, v75, v43, s13
	v_cmp_eq_u32_e64 s13, 0, v21
	v_cndmask_b32_e64 v54, 0, v54, s6
	v_cndmask_b32_e64 v22, v51, v22, s5
	;; [unrolled: 1-line block ×3, first 2 shown]
	v_lshlrev_b32_e32 v43, 2, v43
	s_or_b32 s13, s13, s17
	v_cndmask_b32_e64 v25, v54, v25, s5
	s_min_u32 s15, s15, 8
	ds_bpermute_b32 v74, v43, v74
	s_wait_dscnt 0x0
	s_wait_alu 0xfffe
	v_cndmask_b32_e64 v21, v74, 0, s13
	s_delay_alu instid0(VALU_DEP_1) | instskip(NEXT) | instid1(VALU_DEP_1)
	v_add_nc_u32_e32 v6, v21, v6
	v_add_nc_u32_e32 v7, v6, v7
	s_delay_alu instid0(VALU_DEP_1) | instskip(NEXT) | instid1(VALU_DEP_1)
	v_add_nc_u32_e32 v4, v7, v4
	v_add_nc_u32_e32 v5, v4, v5
	s_delay_alu instid0(VALU_DEP_1) | instskip(NEXT) | instid1(VALU_DEP_1)
	v_add_nc_u32_e32 v2, v5, v2
	v_add_nc_u32_e32 v3, v2, v3
	s_delay_alu instid0(VALU_DEP_1)
	v_add_nc_u32_e32 v0, v3, v0
	ds_store_2addr_b32 v42, v21, v6 offset0:1 offset1:2
	ds_store_2addr_b32 v42, v7, v4 offset0:3 offset1:4
	;; [unrolled: 1-line block ×4, first 2 shown]
	; wave barrier
	s_wait_loadcnt_dscnt 0x0
	global_inv scope:SCOPE_SE
	ds_load_b32 v0, v62 offset:4
	ds_load_b32 v2, v65 offset:4
	;; [unrolled: 1-line block ×4, first 2 shown]
	v_cndmask_b32_e64 v6, 0, v53, s6
	v_cndmask_b32_e64 v7, 0, v56, s6
	;; [unrolled: 1-line block ×4, first 2 shown]
	v_lshlrev_b32_e32 v53, 1, v72
	v_cndmask_b32_e64 v6, v6, v30, s5
	v_cndmask_b32_e64 v7, v7, v31, s5
	;; [unrolled: 1-line block ×4, first 2 shown]
	; wave barrier
	s_wait_loadcnt_dscnt 0x0
	global_inv scope:SCOPE_SE
	v_cndmask_b32_e64 v48, 0, v57, s6
	v_cndmask_b32_e64 v7, v7, v26, s1
	s_lshl_b32 s6, -1, s15
	s_wait_alu 0xfffe
	s_not_b32 s6, s6
	v_add_nc_u32_e32 v30, v0, v60
	v_add3_u32 v31, v64, v63, v2
	v_add3_u32 v49, v67, v66, v3
	;; [unrolled: 1-line block ×3, first 2 shown]
	v_cndmask_b32_e64 v47, v48, v47, s5
	v_lshlrev_b32_e32 v0, 1, v30
	v_lshlrev_b32_e32 v2, 1, v31
	;; [unrolled: 1-line block ×4, first 2 shown]
	ds_store_b16 v0, v50
	ds_store_b16 v2, v61
	;; [unrolled: 1-line block ×4, first 2 shown]
	; wave barrier
	s_wait_loadcnt_dscnt 0x0
	global_inv scope:SCOPE_SE
	ds_load_u16 v21, v53
	v_add_nc_u32_e32 v48, v53, v1
	v_cndmask_b32_e64 v1, v22, v11, s1
	v_cndmask_b32_e64 v11, v23, v12, s1
	;; [unrolled: 1-line block ×5, first 2 shown]
	s_delay_alu instid0(VALU_DEP_4) | instskip(NEXT) | instid1(VALU_DEP_4)
	v_dual_cndmask_b32 v5, v1, v9 :: v_dual_cndmask_b32 v6, v11, v10
	v_cndmask_b32_e32 v9, v12, v13, vcc_lo
	v_cndmask_b32_e32 v12, v7, v29, vcc_lo
	s_delay_alu instid0(VALU_DEP_4)
	v_dual_cndmask_b32 v10, v15, v14 :: v_dual_cndmask_b32 v11, v16, v28
	ds_load_u16 v16, v53 offset:64
	ds_load_u16 v22, v53 offset:128
	;; [unrolled: 1-line block ×3, first 2 shown]
	; wave barrier
	s_wait_loadcnt_dscnt 0x0
	global_inv scope:SCOPE_SE
	v_cndmask_b32_e64 v24, v47, v46, s1
	v_cndmask_b32_e64 v25, v27, v58, s1
	v_lshrrev_b16 v1, 8, v21
	s_delay_alu instid0(VALU_DEP_2) | instskip(NEXT) | instid1(VALU_DEP_2)
	v_dual_cndmask_b32 v13, v24, v45 :: v_dual_cndmask_b32 v14, v25, v44
	v_and_b32_e32 v7, 0xffff, v1
	v_mad_co_u64_u32 v[0:1], null, v30, 6, v[0:1]
	v_mad_co_u64_u32 v[1:2], null, v31, 6, v[2:3]
	s_wait_alu 0xfffe
	s_delay_alu instid0(VALU_DEP_3)
	v_and_b32_e32 v15, s6, v7
	v_mad_co_u64_u32 v[2:3], null, v49, 6, v[3:4]
	v_mad_co_u64_u32 v[3:4], null, v51, 6, v[4:5]
	ds_store_b64 v0, v[5:6]
	v_and_b32_e32 v0, 1, v15
	v_lshlrev_b32_e32 v4, 30, v15
	v_lshlrev_b32_e32 v5, 29, v15
	;; [unrolled: 1-line block ×4, first 2 shown]
	v_add_co_u32 v0, s1, v0, -1
	s_wait_alu 0xf1ff
	v_cndmask_b32_e64 v7, 0, 1, s1
	v_not_b32_e32 v27, v4
	v_cmp_gt_i32_e64 s1, 0, v4
	v_not_b32_e32 v4, v5
	v_lshlrev_b32_e32 v25, 26, v15
	v_cmp_ne_u32_e32 vcc_lo, 0, v7
	v_ashrrev_i32_e32 v27, 31, v27
	v_lshlrev_b32_e32 v26, 25, v15
	v_ashrrev_i32_e32 v4, 31, v4
	v_lshlrev_b32_e32 v7, 24, v15
	s_wait_alu 0xfffd
	v_xor_b32_e32 v0, vcc_lo, v0
	v_cmp_gt_i32_e32 vcc_lo, 0, v5
	v_not_b32_e32 v5, v6
	s_wait_alu 0xf1ff
	v_xor_b32_e32 v27, s1, v27
	v_cmp_gt_i32_e64 s1, 0, v6
	v_and_b32_e32 v0, exec_lo, v0
	v_not_b32_e32 v6, v24
	v_ashrrev_i32_e32 v5, 31, v5
	s_wait_alu 0xfffd
	v_xor_b32_e32 v4, vcc_lo, v4
	v_cmp_gt_i32_e32 vcc_lo, 0, v24
	v_and_b32_e32 v0, v0, v27
	v_not_b32_e32 v24, v25
	v_ashrrev_i32_e32 v6, 31, v6
	s_wait_alu 0xf1ff
	v_xor_b32_e32 v5, s1, v5
	v_cmp_gt_i32_e64 s1, 0, v25
	v_and_b32_e32 v0, v0, v4
	v_not_b32_e32 v4, v26
	v_ashrrev_i32_e32 v24, 31, v24
	s_wait_alu 0xfffd
	v_xor_b32_e32 v6, vcc_lo, v6
	v_cmp_gt_i32_e32 vcc_lo, 0, v26
	v_and_b32_e32 v0, v0, v5
	v_not_b32_e32 v5, v7
	v_ashrrev_i32_e32 v4, 31, v4
	s_wait_alu 0xf1ff
	v_xor_b32_e32 v24, s1, v24
	ds_store_b64 v1, v[9:10]
	v_and_b32_e32 v0, v0, v6
	v_cmp_gt_i32_e64 s1, 0, v7
	v_ashrrev_i32_e32 v1, 31, v5
	s_wait_alu 0xfffd
	v_xor_b32_e32 v4, vcc_lo, v4
	ds_store_b64 v2, v[11:12]
	ds_store_b64 v3, v[13:14]
	v_and_b32_e32 v0, v0, v24
	s_wait_loadcnt_dscnt 0x0
	s_wait_alu 0xf1ff
	v_xor_b32_e32 v9, s1, v1
	; wave barrier
	global_inv scope:SCOPE_SE
	v_lshl_add_u32 v25, v15, 2, v8
	v_and_b32_e32 v10, v0, v4
	ds_load_2addr_b64 v[4:7], v48 offset1:32
	ds_load_2addr_b64 v[0:3], v48 offset0:64 offset1:96
	; wave barrier
	s_wait_loadcnt_dscnt 0x0
	global_inv scope:SCOPE_SE
	v_dual_mov_b32 v10, 0 :: v_dual_and_b32 v9, v10, v9
	ds_store_2addr_b32 v42, v10, v10 offset0:1 offset1:2
	ds_store_2addr_b32 v42, v10, v10 offset0:3 offset1:4
	;; [unrolled: 1-line block ×4, first 2 shown]
	v_mbcnt_lo_u32_b32 v24, v9, 0
	v_cmp_ne_u32_e64 s1, 0, v9
	; wave barrier
	s_wait_loadcnt_dscnt 0x0
	global_inv scope:SCOPE_SE
	v_cmp_eq_u32_e32 vcc_lo, 0, v24
	; wave barrier
	s_and_b32 s5, s1, vcc_lo
	s_wait_alu 0xfffe
	s_and_saveexec_b32 s1, s5
; %bb.57:
	v_bcnt_u32_b32 v9, v9, 0
	ds_store_b32 v25, v9 offset:4
; %bb.58:
	s_wait_alu 0xfffe
	s_or_b32 exec_lo, exec_lo, s1
	v_lshrrev_b16 v9, 8, v16
	; wave barrier
	s_delay_alu instid0(VALU_DEP_1) | instskip(NEXT) | instid1(VALU_DEP_1)
	v_and_b32_e32 v9, s6, v9
	v_and_b32_e32 v10, 1, v9
	v_lshlrev_b32_e32 v11, 30, v9
	v_lshlrev_b32_e32 v12, 29, v9
	;; [unrolled: 1-line block ×4, first 2 shown]
	v_add_co_u32 v10, s1, v10, -1
	s_wait_alu 0xf1ff
	v_cndmask_b32_e64 v14, 0, 1, s1
	v_not_b32_e32 v28, v11
	v_cmp_gt_i32_e64 s1, 0, v11
	v_not_b32_e32 v11, v12
	v_lshlrev_b32_e32 v26, 26, v9
	v_cmp_ne_u32_e32 vcc_lo, 0, v14
	v_ashrrev_i32_e32 v28, 31, v28
	v_lshlrev_b32_e32 v27, 25, v9
	v_ashrrev_i32_e32 v11, 31, v11
	v_lshlrev_b32_e32 v14, 24, v9
	s_wait_alu 0xfffd
	v_xor_b32_e32 v10, vcc_lo, v10
	v_cmp_gt_i32_e32 vcc_lo, 0, v12
	v_not_b32_e32 v12, v13
	s_wait_alu 0xf1ff
	v_xor_b32_e32 v28, s1, v28
	v_cmp_gt_i32_e64 s1, 0, v13
	v_and_b32_e32 v10, exec_lo, v10
	v_not_b32_e32 v13, v15
	v_ashrrev_i32_e32 v12, 31, v12
	s_wait_alu 0xfffd
	v_xor_b32_e32 v11, vcc_lo, v11
	v_cmp_gt_i32_e32 vcc_lo, 0, v15
	v_and_b32_e32 v10, v10, v28
	v_not_b32_e32 v15, v26
	v_ashrrev_i32_e32 v13, 31, v13
	s_wait_alu 0xf1ff
	v_xor_b32_e32 v12, s1, v12
	v_cmp_gt_i32_e64 s1, 0, v26
	v_and_b32_e32 v10, v10, v11
	v_not_b32_e32 v11, v27
	v_ashrrev_i32_e32 v15, 31, v15
	s_wait_alu 0xfffd
	v_xor_b32_e32 v13, vcc_lo, v13
	v_cmp_gt_i32_e32 vcc_lo, 0, v27
	v_and_b32_e32 v10, v10, v12
	v_not_b32_e32 v12, v14
	v_ashrrev_i32_e32 v11, 31, v11
	s_wait_alu 0xf1ff
	v_xor_b32_e32 v15, s1, v15
	v_cmp_gt_i32_e64 s1, 0, v14
	v_and_b32_e32 v10, v10, v13
	v_ashrrev_i32_e32 v12, 31, v12
	s_wait_alu 0xfffd
	v_xor_b32_e32 v11, vcc_lo, v11
	v_lshl_add_u32 v28, v9, 2, v8
	v_and_b32_e32 v10, v10, v15
	s_wait_alu 0xf1ff
	v_xor_b32_e32 v9, s1, v12
	ds_load_b32 v26, v28 offset:4
	v_and_b32_e32 v10, v10, v11
	; wave barrier
	s_delay_alu instid0(VALU_DEP_1) | instskip(NEXT) | instid1(VALU_DEP_1)
	v_and_b32_e32 v9, v10, v9
	v_mbcnt_lo_u32_b32 v27, v9, 0
	v_cmp_ne_u32_e64 s1, 0, v9
	s_delay_alu instid0(VALU_DEP_2)
	v_cmp_eq_u32_e32 vcc_lo, 0, v27
	s_and_b32 s5, s1, vcc_lo
	s_wait_alu 0xfffe
	s_and_saveexec_b32 s1, s5
	s_cbranch_execz .LBB173_60
; %bb.59:
	s_wait_dscnt 0x0
	v_bcnt_u32_b32 v9, v9, v26
	ds_store_b32 v28, v9 offset:4
.LBB173_60:
	s_wait_alu 0xfffe
	s_or_b32 exec_lo, exec_lo, s1
	v_lshrrev_b16 v9, 8, v22
	; wave barrier
	s_delay_alu instid0(VALU_DEP_1) | instskip(NEXT) | instid1(VALU_DEP_1)
	v_and_b32_e32 v9, s6, v9
	v_and_b32_e32 v10, 1, v9
	v_lshlrev_b32_e32 v11, 30, v9
	v_lshlrev_b32_e32 v12, 29, v9
	;; [unrolled: 1-line block ×4, first 2 shown]
	v_add_co_u32 v10, s1, v10, -1
	s_wait_alu 0xf1ff
	v_cndmask_b32_e64 v14, 0, 1, s1
	v_not_b32_e32 v31, v11
	v_cmp_gt_i32_e64 s1, 0, v11
	v_not_b32_e32 v11, v12
	v_lshlrev_b32_e32 v29, 26, v9
	v_cmp_ne_u32_e32 vcc_lo, 0, v14
	v_ashrrev_i32_e32 v31, 31, v31
	v_lshlrev_b32_e32 v30, 25, v9
	v_ashrrev_i32_e32 v11, 31, v11
	v_lshlrev_b32_e32 v14, 24, v9
	s_wait_alu 0xfffd
	v_xor_b32_e32 v10, vcc_lo, v10
	v_cmp_gt_i32_e32 vcc_lo, 0, v12
	v_not_b32_e32 v12, v13
	s_wait_alu 0xf1ff
	v_xor_b32_e32 v31, s1, v31
	v_cmp_gt_i32_e64 s1, 0, v13
	v_and_b32_e32 v10, exec_lo, v10
	v_not_b32_e32 v13, v15
	v_ashrrev_i32_e32 v12, 31, v12
	s_wait_alu 0xfffd
	v_xor_b32_e32 v11, vcc_lo, v11
	v_cmp_gt_i32_e32 vcc_lo, 0, v15
	v_and_b32_e32 v10, v10, v31
	v_not_b32_e32 v15, v29
	v_ashrrev_i32_e32 v13, 31, v13
	s_wait_alu 0xf1ff
	v_xor_b32_e32 v12, s1, v12
	v_cmp_gt_i32_e64 s1, 0, v29
	v_and_b32_e32 v10, v10, v11
	v_not_b32_e32 v11, v30
	v_ashrrev_i32_e32 v15, 31, v15
	s_wait_alu 0xfffd
	v_xor_b32_e32 v13, vcc_lo, v13
	v_cmp_gt_i32_e32 vcc_lo, 0, v30
	v_and_b32_e32 v10, v10, v12
	v_not_b32_e32 v12, v14
	v_ashrrev_i32_e32 v11, 31, v11
	s_wait_alu 0xf1ff
	v_xor_b32_e32 v15, s1, v15
	v_cmp_gt_i32_e64 s1, 0, v14
	v_and_b32_e32 v10, v10, v13
	v_ashrrev_i32_e32 v12, 31, v12
	s_wait_alu 0xfffd
	v_xor_b32_e32 v11, vcc_lo, v11
	v_lshl_add_u32 v31, v9, 2, v8
	v_and_b32_e32 v10, v10, v15
	s_wait_alu 0xf1ff
	v_xor_b32_e32 v9, s1, v12
	ds_load_b32 v29, v31 offset:4
	v_and_b32_e32 v10, v10, v11
	; wave barrier
	s_delay_alu instid0(VALU_DEP_1) | instskip(NEXT) | instid1(VALU_DEP_1)
	v_and_b32_e32 v9, v10, v9
	v_mbcnt_lo_u32_b32 v30, v9, 0
	v_cmp_ne_u32_e64 s1, 0, v9
	s_delay_alu instid0(VALU_DEP_2)
	v_cmp_eq_u32_e32 vcc_lo, 0, v30
	s_and_b32 s5, s1, vcc_lo
	s_wait_alu 0xfffe
	s_and_saveexec_b32 s1, s5
	s_cbranch_execz .LBB173_62
; %bb.61:
	s_wait_dscnt 0x0
	v_bcnt_u32_b32 v9, v9, v29
	ds_store_b32 v31, v9 offset:4
.LBB173_62:
	s_wait_alu 0xfffe
	s_or_b32 exec_lo, exec_lo, s1
	v_lshrrev_b16 v9, 8, v23
	; wave barrier
	s_delay_alu instid0(VALU_DEP_1) | instskip(NEXT) | instid1(VALU_DEP_1)
	v_and_b32_e32 v9, s6, v9
	v_and_b32_e32 v10, 1, v9
	v_lshlrev_b32_e32 v11, 30, v9
	v_lshlrev_b32_e32 v12, 29, v9
	;; [unrolled: 1-line block ×4, first 2 shown]
	v_add_co_u32 v10, s1, v10, -1
	s_wait_alu 0xf1ff
	v_cndmask_b32_e64 v14, 0, 1, s1
	v_not_b32_e32 v46, v11
	v_cmp_gt_i32_e64 s1, 0, v11
	v_not_b32_e32 v11, v12
	v_lshlrev_b32_e32 v44, 26, v9
	v_cmp_ne_u32_e32 vcc_lo, 0, v14
	v_ashrrev_i32_e32 v46, 31, v46
	v_lshlrev_b32_e32 v45, 25, v9
	v_ashrrev_i32_e32 v11, 31, v11
	v_lshlrev_b32_e32 v14, 24, v9
	s_wait_alu 0xfffd
	v_xor_b32_e32 v10, vcc_lo, v10
	v_cmp_gt_i32_e32 vcc_lo, 0, v12
	v_not_b32_e32 v12, v13
	s_wait_alu 0xf1ff
	v_xor_b32_e32 v46, s1, v46
	v_cmp_gt_i32_e64 s1, 0, v13
	v_and_b32_e32 v10, exec_lo, v10
	v_not_b32_e32 v13, v15
	v_ashrrev_i32_e32 v12, 31, v12
	s_wait_alu 0xfffd
	v_xor_b32_e32 v11, vcc_lo, v11
	v_cmp_gt_i32_e32 vcc_lo, 0, v15
	v_and_b32_e32 v10, v10, v46
	v_not_b32_e32 v15, v44
	v_ashrrev_i32_e32 v13, 31, v13
	s_wait_alu 0xf1ff
	v_xor_b32_e32 v12, s1, v12
	v_cmp_gt_i32_e64 s1, 0, v44
	v_and_b32_e32 v10, v10, v11
	v_not_b32_e32 v11, v45
	v_ashrrev_i32_e32 v15, 31, v15
	s_wait_alu 0xfffd
	v_xor_b32_e32 v13, vcc_lo, v13
	v_cmp_gt_i32_e32 vcc_lo, 0, v45
	v_and_b32_e32 v10, v10, v12
	v_not_b32_e32 v12, v14
	v_ashrrev_i32_e32 v11, 31, v11
	s_wait_alu 0xf1ff
	v_xor_b32_e32 v15, s1, v15
	v_cmp_gt_i32_e64 s1, 0, v14
	v_and_b32_e32 v10, v10, v13
	v_ashrrev_i32_e32 v12, 31, v12
	s_wait_alu 0xfffd
	v_xor_b32_e32 v11, vcc_lo, v11
	v_lshl_add_u32 v46, v9, 2, v8
	v_and_b32_e32 v10, v10, v15
	s_wait_alu 0xf1ff
	v_xor_b32_e32 v8, s1, v12
	ds_load_b32 v44, v46 offset:4
	v_and_b32_e32 v9, v10, v11
	; wave barrier
	s_delay_alu instid0(VALU_DEP_1) | instskip(NEXT) | instid1(VALU_DEP_1)
	v_and_b32_e32 v8, v9, v8
	v_mbcnt_lo_u32_b32 v45, v8, 0
	v_cmp_ne_u32_e64 s1, 0, v8
	s_delay_alu instid0(VALU_DEP_2)
	v_cmp_eq_u32_e32 vcc_lo, 0, v45
	s_and_b32 s5, s1, vcc_lo
	s_wait_alu 0xfffe
	s_and_saveexec_b32 s1, s5
	s_cbranch_execz .LBB173_64
; %bb.63:
	s_wait_dscnt 0x0
	v_bcnt_u32_b32 v8, v8, v44
	ds_store_b32 v46, v8 offset:4
.LBB173_64:
	s_wait_alu 0xfffe
	s_or_b32 exec_lo, exec_lo, s1
	; wave barrier
	; wave barrier
	s_wait_loadcnt_dscnt 0x0
	global_inv scope:SCOPE_SE
	ds_load_2addr_b32 v[14:15], v42 offset0:1 offset1:2
	ds_load_2addr_b32 v[12:13], v42 offset0:3 offset1:4
	;; [unrolled: 1-line block ×4, first 2 shown]
	s_wait_dscnt 0x3
	v_add_nc_u32_e32 v47, v15, v14
	s_wait_dscnt 0x2
	s_delay_alu instid0(VALU_DEP_1) | instskip(SKIP_1) | instid1(VALU_DEP_1)
	v_add3_u32 v47, v47, v12, v13
	s_wait_dscnt 0x1
	v_add3_u32 v47, v47, v10, v11
	s_wait_dscnt 0x0
	s_delay_alu instid0(VALU_DEP_1) | instskip(NEXT) | instid1(VALU_DEP_1)
	v_add3_u32 v9, v47, v8, v9
	v_mov_b32_dpp v47, v9 row_shr:1 row_mask:0xf bank_mask:0xf
	s_delay_alu instid0(VALU_DEP_1) | instskip(NEXT) | instid1(VALU_DEP_1)
	v_cndmask_b32_e64 v47, v47, 0, s7
	v_add_nc_u32_e32 v9, v47, v9
	s_delay_alu instid0(VALU_DEP_1) | instskip(NEXT) | instid1(VALU_DEP_1)
	v_mov_b32_dpp v47, v9 row_shr:2 row_mask:0xf bank_mask:0xf
	v_cndmask_b32_e64 v47, 0, v47, s8
	s_delay_alu instid0(VALU_DEP_1) | instskip(NEXT) | instid1(VALU_DEP_1)
	v_add_nc_u32_e32 v9, v9, v47
	v_mov_b32_dpp v47, v9 row_shr:4 row_mask:0xf bank_mask:0xf
	s_delay_alu instid0(VALU_DEP_1) | instskip(NEXT) | instid1(VALU_DEP_1)
	v_cndmask_b32_e64 v47, 0, v47, s9
	v_add_nc_u32_e32 v9, v9, v47
	s_delay_alu instid0(VALU_DEP_1) | instskip(NEXT) | instid1(VALU_DEP_1)
	v_mov_b32_dpp v47, v9 row_shr:8 row_mask:0xf bank_mask:0xf
	v_cndmask_b32_e64 v47, 0, v47, s10
	s_delay_alu instid0(VALU_DEP_1) | instskip(SKIP_3) | instid1(VALU_DEP_1)
	v_add_nc_u32_e32 v9, v9, v47
	ds_swizzle_b32 v47, v9 offset:swizzle(BROADCAST,32,15)
	s_wait_dscnt 0x0
	v_cndmask_b32_e64 v47, v47, 0, s12
	v_add_nc_u32_e32 v9, v9, v47
	s_and_saveexec_b32 s1, s11
; %bb.65:
	v_mov_b32_e32 v47, 0
	ds_store_b32 v47, v9
; %bb.66:
	s_wait_alu 0xfffe
	s_or_b32 exec_lo, exec_lo, s1
	ds_bpermute_b32 v9, v43, v9
	; wave barrier
	s_wait_loadcnt_dscnt 0x0
	global_inv scope:SCOPE_SE
	v_cndmask_b32_e64 v9, v9, 0, s13
	s_delay_alu instid0(VALU_DEP_1) | instskip(NEXT) | instid1(VALU_DEP_1)
	v_add_nc_u32_e32 v14, v9, v14
	v_add_nc_u32_e32 v15, v14, v15
	s_delay_alu instid0(VALU_DEP_1) | instskip(NEXT) | instid1(VALU_DEP_1)
	v_add_nc_u32_e32 v12, v15, v12
	v_add_nc_u32_e32 v13, v12, v13
	;; [unrolled: 3-line block ×3, first 2 shown]
	s_delay_alu instid0(VALU_DEP_1)
	v_add_nc_u32_e32 v8, v11, v8
	ds_store_2addr_b32 v42, v9, v14 offset0:1 offset1:2
	ds_store_2addr_b32 v42, v15, v12 offset0:3 offset1:4
	;; [unrolled: 1-line block ×4, first 2 shown]
	; wave barrier
	s_wait_loadcnt_dscnt 0x0
	global_inv scope:SCOPE_SE
	ds_load_b32 v8, v25 offset:4
	ds_load_b32 v9, v28 offset:4
	;; [unrolled: 1-line block ×4, first 2 shown]
	v_lshlrev_b32_e32 v12, 1, v41
	; wave barrier
	s_wait_loadcnt_dscnt 0x0
	global_inv scope:SCOPE_SE
	v_add_nc_u32_e32 v15, v8, v24
	v_add3_u32 v24, v27, v26, v9
	v_add3_u32 v25, v30, v29, v10
	;; [unrolled: 1-line block ×3, first 2 shown]
	s_delay_alu instid0(VALU_DEP_4) | instskip(NEXT) | instid1(VALU_DEP_4)
	v_lshlrev_b32_e32 v8, 1, v15
	v_lshlrev_b32_e32 v9, 1, v24
	s_delay_alu instid0(VALU_DEP_4) | instskip(NEXT) | instid1(VALU_DEP_4)
	v_lshlrev_b32_e32 v10, 1, v25
	v_lshlrev_b32_e32 v11, 1, v26
	ds_store_b16 v8, v21
	ds_store_b16 v9, v16
	;; [unrolled: 1-line block ×4, first 2 shown]
	; wave barrier
	s_wait_loadcnt_dscnt 0x0
	global_inv scope:SCOPE_SE
	ds_load_b64 v[13:14], v12
	v_mad_co_u64_u32 v[15:16], null, v15, 6, v[8:9]
	v_mad_co_u64_u32 v[8:9], null, v24, 6, v[9:10]
	;; [unrolled: 1-line block ×4, first 2 shown]
	; wave barrier
	s_wait_loadcnt_dscnt 0x0
	global_inv scope:SCOPE_SE
	ds_store_b64 v15, v[4:5]
	ds_store_b64 v8, v[6:7]
	ds_store_b64 v9, v[0:1]
	ds_store_b64 v10, v[2:3]
	; wave barrier
	s_wait_loadcnt_dscnt 0x0
	global_inv scope:SCOPE_SE
	v_xor_b32_e32 v13, 0x7fff7fff, v13
	v_xor_b32_e32 v14, 0x7fff7fff, v14
.LBB173_67:
	ds_load_b128 v[0:3], v40
	ds_load_b128 v[4:7], v40 offset:16
	; wave barrier
	s_wait_loadcnt_dscnt 0x0
	global_inv scope:SCOPE_SE
	ds_store_2addr_b32 v35, v13, v14 offset1:1
	; wave barrier
	s_wait_loadcnt_dscnt 0x0
	global_inv scope:SCOPE_SE
	ds_load_u16 v12, v18 offset:64
	ds_load_u16 v11, v33 offset:128
	;; [unrolled: 1-line block ×3, first 2 shown]
	v_mov_b32_e32 v18, 0
	s_delay_alu instid0(VALU_DEP_1) | instskip(NEXT) | instid1(VALU_DEP_1)
	v_lshlrev_b64_e32 v[8:9], 1, v[17:18]
	v_add_co_u32 v8, vcc_lo, s18, v8
	s_wait_alu 0xfffd
	s_delay_alu instid0(VALU_DEP_2)
	v_add_co_ci_u32_e64 v9, null, s19, v9, vcc_lo
	s_and_saveexec_b32 s1, s2
	s_cbranch_execnz .LBB173_78
; %bb.68:
	s_wait_alu 0xfffe
	s_or_b32 exec_lo, exec_lo, s1
	s_and_saveexec_b32 s1, s3
	s_cbranch_execnz .LBB173_79
.LBB173_69:
	s_wait_alu 0xfffe
	s_or_b32 exec_lo, exec_lo, s1
	s_and_saveexec_b32 s1, s4
	s_cbranch_execnz .LBB173_80
.LBB173_70:
	s_wait_alu 0xfffe
	s_or_b32 exec_lo, exec_lo, s1
	s_and_saveexec_b32 s1, s0
	s_cbranch_execz .LBB173_72
.LBB173_71:
	s_mul_i32 s6, s14, 0x60
	s_mov_b32 s7, 0
	s_wait_alu 0xfffe
	s_lshl_b64 s[6:7], s[6:7], 1
	s_wait_alu 0xfffe
	v_add_co_u32 v8, vcc_lo, v8, s6
	s_wait_alu 0xfffd
	v_add_co_ci_u32_e64 v9, null, s7, v9, vcc_lo
	s_wait_dscnt 0x0
	global_store_b16 v[8:9], v10, off
.LBB173_72:
	s_wait_alu 0xfffe
	s_or_b32 exec_lo, exec_lo, s1
	s_wait_storecnt 0x0
	; wave barrier
	s_wait_loadcnt_dscnt 0x0
	global_inv scope:SCOPE_SE
	ds_store_2addr_b64 v39, v[0:1], v[2:3] offset1:1
	ds_store_2addr_b64 v39, v[4:5], v[6:7] offset0:2 offset1:3
	; wave barrier
	s_wait_loadcnt_dscnt 0x0
	global_inv scope:SCOPE_SE
	ds_load_b64 v[6:7], v20 offset:256
	ds_load_b64 v[4:5], v37 offset:512
	;; [unrolled: 1-line block ×3, first 2 shown]
	v_mov_b32_e32 v20, 0
	s_delay_alu instid0(VALU_DEP_1) | instskip(NEXT) | instid1(VALU_DEP_1)
	v_lshlrev_b64_e32 v[2:3], 3, v[19:20]
	v_add_co_u32 v2, vcc_lo, s20, v2
	s_wait_alu 0xfffd
	s_delay_alu instid0(VALU_DEP_2)
	v_add_co_ci_u32_e64 v3, null, s21, v3, vcc_lo
	s_and_saveexec_b32 s1, s2
	s_cbranch_execnz .LBB173_81
; %bb.73:
	s_wait_alu 0xfffe
	s_or_b32 exec_lo, exec_lo, s1
	s_and_saveexec_b32 s1, s3
	s_cbranch_execnz .LBB173_82
.LBB173_74:
	s_wait_alu 0xfffe
	s_or_b32 exec_lo, exec_lo, s1
	s_and_saveexec_b32 s1, s4
	s_cbranch_execnz .LBB173_83
.LBB173_75:
	s_wait_alu 0xfffe
	s_or_b32 exec_lo, exec_lo, s1
	s_and_saveexec_b32 s1, s0
	s_cbranch_execz .LBB173_77
.LBB173_76:
	s_mul_i32 s0, s16, 0x60
	s_mov_b32 s1, 0
	s_wait_alu 0xfffe
	s_lshl_b64 s[0:1], s[0:1], 3
	s_wait_alu 0xfffe
	v_add_co_u32 v2, vcc_lo, v2, s0
	s_wait_alu 0xfffd
	v_add_co_ci_u32_e64 v3, null, s1, v3, vcc_lo
	s_wait_dscnt 0x0
	global_store_b64 v[2:3], v[0:1], off
.LBB173_77:
	s_endpgm
.LBB173_78:
	ds_load_u16 v13, v32
	s_wait_dscnt 0x0
	global_store_b16 v[8:9], v13, off
	s_wait_alu 0xfffe
	s_or_b32 exec_lo, exec_lo, s1
	s_and_saveexec_b32 s1, s3
	s_cbranch_execz .LBB173_69
.LBB173_79:
	s_lshl_b32 s6, s14, 5
	s_mov_b32 s7, 0
	s_wait_alu 0xfffe
	s_lshl_b64 s[6:7], s[6:7], 1
	s_wait_alu 0xfffe
	v_add_co_u32 v13, vcc_lo, v8, s6
	s_wait_alu 0xfffd
	v_add_co_ci_u32_e64 v14, null, s7, v9, vcc_lo
	s_wait_dscnt 0x2
	global_store_b16 v[13:14], v12, off
	s_or_b32 exec_lo, exec_lo, s1
	s_and_saveexec_b32 s1, s4
	s_cbranch_execz .LBB173_70
.LBB173_80:
	s_lshl_b32 s6, s14, 6
	s_mov_b32 s7, 0
	s_wait_alu 0xfffe
	s_lshl_b64 s[6:7], s[6:7], 1
	s_wait_dscnt 0x2
	s_wait_alu 0xfffe
	v_add_co_u32 v12, vcc_lo, v8, s6
	s_wait_alu 0xfffd
	v_add_co_ci_u32_e64 v13, null, s7, v9, vcc_lo
	s_wait_dscnt 0x1
	global_store_b16 v[12:13], v11, off
	s_or_b32 exec_lo, exec_lo, s1
	s_and_saveexec_b32 s1, s0
	s_cbranch_execnz .LBB173_71
	s_branch .LBB173_72
.LBB173_81:
	ds_load_b64 v[8:9], v36
	s_wait_dscnt 0x0
	global_store_b64 v[2:3], v[8:9], off
	s_wait_alu 0xfffe
	s_or_b32 exec_lo, exec_lo, s1
	s_and_saveexec_b32 s1, s3
	s_cbranch_execz .LBB173_74
.LBB173_82:
	s_lshl_b32 s2, s16, 5
	s_mov_b32 s3, 0
	s_wait_alu 0xfffe
	s_lshl_b64 s[2:3], s[2:3], 3
	s_wait_alu 0xfffe
	v_add_co_u32 v8, vcc_lo, v2, s2
	s_wait_alu 0xfffd
	v_add_co_ci_u32_e64 v9, null, s3, v3, vcc_lo
	s_wait_dscnt 0x2
	global_store_b64 v[8:9], v[6:7], off
	s_or_b32 exec_lo, exec_lo, s1
	s_and_saveexec_b32 s1, s4
	s_cbranch_execz .LBB173_75
.LBB173_83:
	s_lshl_b32 s2, s16, 6
	s_mov_b32 s3, 0
	s_wait_alu 0xfffe
	s_lshl_b64 s[2:3], s[2:3], 3
	s_wait_dscnt 0x2
	s_wait_alu 0xfffe
	v_add_co_u32 v6, vcc_lo, v2, s2
	s_wait_alu 0xfffd
	v_add_co_ci_u32_e64 v7, null, s3, v3, vcc_lo
	s_wait_dscnt 0x1
	global_store_b64 v[6:7], v[4:5], off
	s_or_b32 exec_lo, exec_lo, s1
	s_and_saveexec_b32 s1, s0
	s_cbranch_execnz .LBB173_76
	s_branch .LBB173_77
	.section	.rodata,"a",@progbits
	.p2align	6, 0x0
	.amdhsa_kernel _ZN2at6native18radixSortKVInPlaceILin1ELin1ELi32ELi4EsljEEvNS_4cuda6detail10TensorInfoIT3_T5_EES6_S6_S6_NS4_IT4_S6_EES6_b
		.amdhsa_group_segment_fixed_size 1056
		.amdhsa_private_segment_fixed_size 0
		.amdhsa_kernarg_size 712
		.amdhsa_user_sgpr_count 2
		.amdhsa_user_sgpr_dispatch_ptr 0
		.amdhsa_user_sgpr_queue_ptr 0
		.amdhsa_user_sgpr_kernarg_segment_ptr 1
		.amdhsa_user_sgpr_dispatch_id 0
		.amdhsa_user_sgpr_private_segment_size 0
		.amdhsa_wavefront_size32 1
		.amdhsa_uses_dynamic_stack 0
		.amdhsa_enable_private_segment 0
		.amdhsa_system_sgpr_workgroup_id_x 1
		.amdhsa_system_sgpr_workgroup_id_y 1
		.amdhsa_system_sgpr_workgroup_id_z 1
		.amdhsa_system_sgpr_workgroup_info 0
		.amdhsa_system_vgpr_workitem_id 2
		.amdhsa_next_free_vgpr 94
		.amdhsa_next_free_sgpr 24
		.amdhsa_reserve_vcc 1
		.amdhsa_float_round_mode_32 0
		.amdhsa_float_round_mode_16_64 0
		.amdhsa_float_denorm_mode_32 3
		.amdhsa_float_denorm_mode_16_64 3
		.amdhsa_fp16_overflow 0
		.amdhsa_workgroup_processor_mode 1
		.amdhsa_memory_ordered 1
		.amdhsa_forward_progress 1
		.amdhsa_inst_pref_size 108
		.amdhsa_round_robin_scheduling 0
		.amdhsa_exception_fp_ieee_invalid_op 0
		.amdhsa_exception_fp_denorm_src 0
		.amdhsa_exception_fp_ieee_div_zero 0
		.amdhsa_exception_fp_ieee_overflow 0
		.amdhsa_exception_fp_ieee_underflow 0
		.amdhsa_exception_fp_ieee_inexact 0
		.amdhsa_exception_int_div_zero 0
	.end_amdhsa_kernel
	.section	.text._ZN2at6native18radixSortKVInPlaceILin1ELin1ELi32ELi4EsljEEvNS_4cuda6detail10TensorInfoIT3_T5_EES6_S6_S6_NS4_IT4_S6_EES6_b,"axG",@progbits,_ZN2at6native18radixSortKVInPlaceILin1ELin1ELi32ELi4EsljEEvNS_4cuda6detail10TensorInfoIT3_T5_EES6_S6_S6_NS4_IT4_S6_EES6_b,comdat
.Lfunc_end173:
	.size	_ZN2at6native18radixSortKVInPlaceILin1ELin1ELi32ELi4EsljEEvNS_4cuda6detail10TensorInfoIT3_T5_EES6_S6_S6_NS4_IT4_S6_EES6_b, .Lfunc_end173-_ZN2at6native18radixSortKVInPlaceILin1ELin1ELi32ELi4EsljEEvNS_4cuda6detail10TensorInfoIT3_T5_EES6_S6_S6_NS4_IT4_S6_EES6_b
                                        ; -- End function
	.set _ZN2at6native18radixSortKVInPlaceILin1ELin1ELi32ELi4EsljEEvNS_4cuda6detail10TensorInfoIT3_T5_EES6_S6_S6_NS4_IT4_S6_EES6_b.num_vgpr, 94
	.set _ZN2at6native18radixSortKVInPlaceILin1ELin1ELi32ELi4EsljEEvNS_4cuda6detail10TensorInfoIT3_T5_EES6_S6_S6_NS4_IT4_S6_EES6_b.num_agpr, 0
	.set _ZN2at6native18radixSortKVInPlaceILin1ELin1ELi32ELi4EsljEEvNS_4cuda6detail10TensorInfoIT3_T5_EES6_S6_S6_NS4_IT4_S6_EES6_b.numbered_sgpr, 24
	.set _ZN2at6native18radixSortKVInPlaceILin1ELin1ELi32ELi4EsljEEvNS_4cuda6detail10TensorInfoIT3_T5_EES6_S6_S6_NS4_IT4_S6_EES6_b.num_named_barrier, 0
	.set _ZN2at6native18radixSortKVInPlaceILin1ELin1ELi32ELi4EsljEEvNS_4cuda6detail10TensorInfoIT3_T5_EES6_S6_S6_NS4_IT4_S6_EES6_b.private_seg_size, 0
	.set _ZN2at6native18radixSortKVInPlaceILin1ELin1ELi32ELi4EsljEEvNS_4cuda6detail10TensorInfoIT3_T5_EES6_S6_S6_NS4_IT4_S6_EES6_b.uses_vcc, 1
	.set _ZN2at6native18radixSortKVInPlaceILin1ELin1ELi32ELi4EsljEEvNS_4cuda6detail10TensorInfoIT3_T5_EES6_S6_S6_NS4_IT4_S6_EES6_b.uses_flat_scratch, 0
	.set _ZN2at6native18radixSortKVInPlaceILin1ELin1ELi32ELi4EsljEEvNS_4cuda6detail10TensorInfoIT3_T5_EES6_S6_S6_NS4_IT4_S6_EES6_b.has_dyn_sized_stack, 0
	.set _ZN2at6native18radixSortKVInPlaceILin1ELin1ELi32ELi4EsljEEvNS_4cuda6detail10TensorInfoIT3_T5_EES6_S6_S6_NS4_IT4_S6_EES6_b.has_recursion, 0
	.set _ZN2at6native18radixSortKVInPlaceILin1ELin1ELi32ELi4EsljEEvNS_4cuda6detail10TensorInfoIT3_T5_EES6_S6_S6_NS4_IT4_S6_EES6_b.has_indirect_call, 0
	.section	.AMDGPU.csdata,"",@progbits
; Kernel info:
; codeLenInByte = 13804
; TotalNumSgprs: 26
; NumVgprs: 94
; ScratchSize: 0
; MemoryBound: 0
; FloatMode: 240
; IeeeMode: 1
; LDSByteSize: 1056 bytes/workgroup (compile time only)
; SGPRBlocks: 0
; VGPRBlocks: 11
; NumSGPRsForWavesPerEU: 26
; NumVGPRsForWavesPerEU: 94
; Occupancy: 16
; WaveLimiterHint : 1
; COMPUTE_PGM_RSRC2:SCRATCH_EN: 0
; COMPUTE_PGM_RSRC2:USER_SGPR: 2
; COMPUTE_PGM_RSRC2:TRAP_HANDLER: 0
; COMPUTE_PGM_RSRC2:TGID_X_EN: 1
; COMPUTE_PGM_RSRC2:TGID_Y_EN: 1
; COMPUTE_PGM_RSRC2:TGID_Z_EN: 1
; COMPUTE_PGM_RSRC2:TIDIG_COMP_CNT: 2
	.section	.text._ZN2at6native18radixSortKVInPlaceILin1ELin1ELi16ELi2EsljEEvNS_4cuda6detail10TensorInfoIT3_T5_EES6_S6_S6_NS4_IT4_S6_EES6_b,"axG",@progbits,_ZN2at6native18radixSortKVInPlaceILin1ELin1ELi16ELi2EsljEEvNS_4cuda6detail10TensorInfoIT3_T5_EES6_S6_S6_NS4_IT4_S6_EES6_b,comdat
	.protected	_ZN2at6native18radixSortKVInPlaceILin1ELin1ELi16ELi2EsljEEvNS_4cuda6detail10TensorInfoIT3_T5_EES6_S6_S6_NS4_IT4_S6_EES6_b ; -- Begin function _ZN2at6native18radixSortKVInPlaceILin1ELin1ELi16ELi2EsljEEvNS_4cuda6detail10TensorInfoIT3_T5_EES6_S6_S6_NS4_IT4_S6_EES6_b
	.globl	_ZN2at6native18radixSortKVInPlaceILin1ELin1ELi16ELi2EsljEEvNS_4cuda6detail10TensorInfoIT3_T5_EES6_S6_S6_NS4_IT4_S6_EES6_b
	.p2align	8
	.type	_ZN2at6native18radixSortKVInPlaceILin1ELin1ELi16ELi2EsljEEvNS_4cuda6detail10TensorInfoIT3_T5_EES6_S6_S6_NS4_IT4_S6_EES6_b,@function
_ZN2at6native18radixSortKVInPlaceILin1ELin1ELi16ELi2EsljEEvNS_4cuda6detail10TensorInfoIT3_T5_EES6_S6_S6_NS4_IT4_S6_EES6_b: ; @_ZN2at6native18radixSortKVInPlaceILin1ELin1ELi16ELi2EsljEEvNS_4cuda6detail10TensorInfoIT3_T5_EES6_S6_S6_NS4_IT4_S6_EES6_b
; %bb.0:
	s_clause 0x1
	s_load_b64 s[2:3], s[0:1], 0x1c8
	s_load_b96 s[8:10], s[0:1], 0xd8
	s_lshr_b32 s4, ttmp7, 16
	s_wait_kmcnt 0x0
	s_mul_i32 s3, s3, s4
	s_and_b32 s4, ttmp7, 0xffff
	s_delay_alu instid0(SALU_CYCLE_1) | instskip(NEXT) | instid1(SALU_CYCLE_1)
	s_add_co_i32 s3, s3, s4
	s_mul_i32 s2, s3, s2
	s_delay_alu instid0(SALU_CYCLE_1) | instskip(NEXT) | instid1(SALU_CYCLE_1)
	s_add_co_i32 s11, s2, ttmp9
	s_cmp_ge_u32 s11, s8
	s_cbranch_scc1 .LBB174_115
; %bb.1:
	s_load_b32 s4, s[0:1], 0xd0
	s_mov_b32 s3, 0
	s_mov_b32 s2, s11
	s_wait_kmcnt 0x0
	s_cmp_lt_i32 s4, 2
	s_cbranch_scc1 .LBB174_4
; %bb.2:
	s_add_co_i32 s2, s4, -1
	s_delay_alu instid0(SALU_CYCLE_1)
	s_lshl_b64 s[6:7], s[2:3], 2
	s_mov_b32 s2, s11
	s_add_nc_u64 s[12:13], s[0:1], s[6:7]
	s_add_co_i32 s6, s4, 1
	s_add_nc_u64 s[4:5], s[12:13], 8
.LBB174_3:                              ; =>This Inner Loop Header: Depth=1
	s_clause 0x1
	s_load_b32 s7, s[4:5], 0x0
	s_load_b32 s8, s[4:5], 0x64
	s_mov_b32 s14, s2
	s_add_nc_u64 s[4:5], s[4:5], -4
	s_wait_kmcnt 0x0
	s_cvt_f32_u32 s12, s7
	s_sub_co_i32 s13, 0, s7
	s_wait_alu 0xfffe
	s_delay_alu instid0(SALU_CYCLE_1) | instskip(NEXT) | instid1(TRANS32_DEP_1)
	v_rcp_iflag_f32_e32 v1, s12
	v_readfirstlane_b32 s12, v1
	s_mul_f32 s12, s12, 0x4f7ffffe
	s_wait_alu 0xfffe
	s_delay_alu instid0(SALU_CYCLE_2) | instskip(SKIP_1) | instid1(SALU_CYCLE_2)
	s_cvt_u32_f32 s12, s12
	s_wait_alu 0xfffe
	s_mul_i32 s13, s13, s12
	s_wait_alu 0xfffe
	s_mul_hi_u32 s13, s12, s13
	s_wait_alu 0xfffe
	s_add_co_i32 s12, s12, s13
	s_wait_alu 0xfffe
	s_mul_hi_u32 s2, s2, s12
	s_delay_alu instid0(SALU_CYCLE_1)
	s_mul_i32 s12, s2, s7
	s_add_co_i32 s13, s2, 1
	s_wait_alu 0xfffe
	s_sub_co_i32 s12, s14, s12
	s_wait_alu 0xfffe
	s_sub_co_i32 s15, s12, s7
	s_cmp_ge_u32 s12, s7
	s_cselect_b32 s2, s13, s2
	s_cselect_b32 s12, s15, s12
	s_add_co_i32 s13, s2, 1
	s_wait_alu 0xfffe
	s_cmp_ge_u32 s12, s7
	s_cselect_b32 s2, s13, s2
	s_add_co_i32 s6, s6, -1
	s_mul_i32 s7, s2, s7
	s_delay_alu instid0(SALU_CYCLE_1) | instskip(NEXT) | instid1(SALU_CYCLE_1)
	s_sub_co_i32 s7, s14, s7
	s_mul_i32 s7, s8, s7
	s_delay_alu instid0(SALU_CYCLE_1)
	s_add_co_i32 s3, s7, s3
	s_cmp_gt_u32 s6, 2
	s_cbranch_scc1 .LBB174_3
.LBB174_4:
	s_load_b32 s6, s[0:1], 0x1b8
	s_mov_b32 s5, 0
	s_wait_kmcnt 0x0
	s_cmp_lt_i32 s6, 2
	s_cbranch_scc1 .LBB174_7
; %bb.5:
	s_add_co_i32 s4, s6, -1
	s_delay_alu instid0(SALU_CYCLE_1)
	s_lshl_b64 s[12:13], s[4:5], 2
	s_add_co_i32 s4, s6, 1
	s_wait_alu 0xfffe
	s_add_nc_u64 s[12:13], s[0:1], s[12:13]
	s_wait_alu 0xfffe
	s_add_nc_u64 s[6:7], s[12:13], 0xf0
.LBB174_6:                              ; =>This Inner Loop Header: Depth=1
	s_clause 0x1
	s_load_b32 s8, s[6:7], 0x0
	s_load_b32 s12, s[6:7], 0x64
	s_mov_b32 s15, s11
	s_add_nc_u64 s[6:7], s[6:7], -4
	s_wait_kmcnt 0x0
	s_cvt_f32_u32 s13, s8
	s_sub_co_i32 s14, 0, s8
	s_wait_alu 0xfffe
	s_delay_alu instid0(SALU_CYCLE_1) | instskip(NEXT) | instid1(TRANS32_DEP_1)
	v_rcp_iflag_f32_e32 v1, s13
	v_readfirstlane_b32 s13, v1
	s_mul_f32 s13, s13, 0x4f7ffffe
	s_wait_alu 0xfffe
	s_delay_alu instid0(SALU_CYCLE_2) | instskip(SKIP_1) | instid1(SALU_CYCLE_2)
	s_cvt_u32_f32 s13, s13
	s_wait_alu 0xfffe
	s_mul_i32 s14, s14, s13
	s_delay_alu instid0(SALU_CYCLE_1) | instskip(NEXT) | instid1(SALU_CYCLE_1)
	s_mul_hi_u32 s14, s13, s14
	s_add_co_i32 s13, s13, s14
	s_wait_alu 0xfffe
	s_mul_hi_u32 s11, s11, s13
	s_delay_alu instid0(SALU_CYCLE_1)
	s_mul_i32 s13, s11, s8
	s_add_co_i32 s14, s11, 1
	s_wait_alu 0xfffe
	s_sub_co_i32 s13, s15, s13
	s_wait_alu 0xfffe
	s_sub_co_i32 s16, s13, s8
	s_cmp_ge_u32 s13, s8
	s_cselect_b32 s11, s14, s11
	s_cselect_b32 s13, s16, s13
	s_add_co_i32 s14, s11, 1
	s_wait_alu 0xfffe
	s_cmp_ge_u32 s13, s8
	s_cselect_b32 s11, s14, s11
	s_add_co_i32 s4, s4, -1
	s_mul_i32 s8, s11, s8
	s_delay_alu instid0(SALU_CYCLE_1) | instskip(NEXT) | instid1(SALU_CYCLE_1)
	s_sub_co_i32 s8, s15, s8
	s_mul_i32 s8, s12, s8
	s_delay_alu instid0(SALU_CYCLE_1)
	s_add_co_i32 s5, s8, s5
	s_cmp_gt_u32 s4, 2
	s_cbranch_scc1 .LBB174_6
.LBB174_7:
	s_clause 0x2
	s_load_b32 s4, s[0:1], 0x6c
	s_load_b64 s[12:13], s[0:1], 0x1c0
	s_load_b64 s[6:7], s[0:1], 0x0
	v_mul_lo_u32 v20, s10, v0
	s_mov_b32 s15, 0
	s_wait_kmcnt 0x0
	s_mul_i32 s2, s4, s2
	s_delay_alu instid0(SALU_CYCLE_1) | instskip(SKIP_3) | instid1(SALU_CYCLE_1)
	s_add_co_i32 s14, s2, s3
	s_bitcmp1_b32 s13, 0
	s_mov_b32 s2, 0x8000
	s_cselect_b32 s3, -1, 0
	s_and_b32 s4, s3, exec_lo
	s_cselect_b32 s8, s2, 0x7fff
	v_cmp_gt_u32_e64 s2, s9, v0
	s_pack_ll_b32_b16 s4, s8, s8
	s_lshl_b64 s[14:15], s[14:15], 1
	v_dual_mov_b32 v1, s4 :: v_dual_mov_b32 v2, s8
	s_add_nc_u64 s[14:15], s[6:7], s[14:15]
	s_and_saveexec_b32 s6, s2
	s_cbranch_execz .LBB174_9
; %bb.8:
	v_mov_b32_e32 v21, 0
	s_delay_alu instid0(VALU_DEP_1) | instskip(NEXT) | instid1(VALU_DEP_1)
	v_lshlrev_b64_e32 v[1:2], 1, v[20:21]
	v_add_co_u32 v1, vcc_lo, s14, v1
	s_delay_alu instid0(VALU_DEP_1)
	v_add_co_ci_u32_e64 v2, null, s15, v2, vcc_lo
	global_load_u16 v2, v[1:2], off
	s_wait_loadcnt 0x0
	v_bfi_b32 v1, 0xffff, v2, s4
.LBB174_9:
	s_or_b32 exec_lo, exec_lo, s6
	s_clause 0x1
	s_load_b32 s4, s[0:1], 0x154
	s_load_b64 s[6:7], s[0:1], 0xe8
	v_or_b32_e32 v3, 16, v0
	s_delay_alu instid0(VALU_DEP_1)
	v_cmp_gt_u32_e64 s0, s9, v3
	s_and_saveexec_b32 s1, s0
	s_cbranch_execz .LBB174_11
; %bb.10:
	v_mul_lo_u32 v4, s10, v3
	v_mov_b32_e32 v5, 0
	s_delay_alu instid0(VALU_DEP_1) | instskip(NEXT) | instid1(VALU_DEP_1)
	v_lshlrev_b64_e32 v[4:5], 1, v[4:5]
	v_add_co_u32 v4, vcc_lo, s14, v4
	s_wait_alu 0xfffd
	s_delay_alu instid0(VALU_DEP_2)
	v_add_co_ci_u32_e64 v5, null, s15, v5, vcc_lo
	global_load_d16_hi_b16 v1, v[4:5], off
.LBB174_11:
	s_or_b32 exec_lo, exec_lo, s1
	v_lshlrev_b32_e32 v22, 1, v0
	v_dual_mov_b32 v18, 0 :: v_dual_lshlrev_b32 v21, 2, v0
	s_wait_kmcnt 0x0
	s_mul_i32 s1, s4, s11
	v_mul_lo_u32 v17, s12, v0
	ds_store_b16 v22, v2
	s_wait_loadcnt 0x0
	ds_store_b16_d16_hi v22, v1 offset:32
	s_wait_dscnt 0x0
	; wave barrier
	global_inv scope:SCOPE_SE
	ds_load_b32 v27, v21
	s_add_co_i32 s4, s1, s5
	s_mov_b32 s5, 0
	v_mov_b32_e32 v1, 0
	v_dual_mov_b32 v2, 0 :: v_dual_mov_b32 v19, v18
	s_wait_alu 0xfffe
	s_lshl_b64 s[4:5], s[4:5], 3
	s_wait_loadcnt_dscnt 0x0
	s_wait_alu 0xfffe
	s_add_nc_u64 s[8:9], s[6:7], s[4:5]
	; wave barrier
	global_inv scope:SCOPE_SE
	s_and_saveexec_b32 s1, s2
	s_cbranch_execz .LBB174_13
; %bb.12:
	v_lshlrev_b64_e32 v[1:2], 3, v[17:18]
	v_mov_b32_e32 v19, v18
	s_wait_alu 0xfffe
	s_delay_alu instid0(VALU_DEP_2) | instskip(SKIP_1) | instid1(VALU_DEP_3)
	v_add_co_u32 v1, vcc_lo, s8, v1
	s_wait_alu 0xfffd
	v_add_co_ci_u32_e64 v2, null, s9, v2, vcc_lo
	global_load_b64 v[1:2], v[1:2], off
.LBB174_13:
	s_or_b32 exec_lo, exec_lo, s1
	s_xor_b32 s16, s3, -1
	s_and_saveexec_b32 s1, s0
	s_cbranch_execz .LBB174_15
; %bb.14:
	v_mul_lo_u32 v3, s12, v3
	v_mov_b32_e32 v4, 0
	s_delay_alu instid0(VALU_DEP_1) | instskip(SKIP_1) | instid1(VALU_DEP_1)
	v_lshlrev_b64_e32 v[3:4], 3, v[3:4]
	s_wait_alu 0xfffe
	v_add_co_u32 v3, vcc_lo, s8, v3
	s_wait_alu 0xfffd
	s_delay_alu instid0(VALU_DEP_2)
	v_add_co_ci_u32_e64 v4, null, s9, v4, vcc_lo
	global_load_b64 v[18:19], v[3:4], off
.LBB174_15:
	s_or_b32 exec_lo, exec_lo, s1
	v_mbcnt_lo_u32_b32 v5, -1, 0
	v_lshlrev_b32_e32 v23, 3, v0
	s_getpc_b64 s[4:5]
	s_wait_alu 0xfffe
	s_sext_i32_i16 s5, s5
	s_add_co_u32 s4, s4, _ZN7rocprim17ROCPRIM_400000_NS16block_radix_sortIsLj16ELj2ElLj1ELj1ELj0ELNS0_26block_radix_rank_algorithmE1ELNS0_18block_padding_hintE2ELNS0_4arch9wavefront6targetE0EE19radix_bits_per_passE@rel32@lo+12
	s_wait_alu 0xfffe
	s_add_co_ci_u32 s5, s5, _ZN7rocprim17ROCPRIM_400000_NS16block_radix_sortIsLj16ELj2ElLj1ELj1ELj0ELNS0_26block_radix_rank_algorithmE1ELNS0_18block_padding_hintE2ELNS0_4arch9wavefront6targetE0EE19radix_bits_per_passE@rel32@hi+24
	v_lshlrev_b32_e32 v25, 5, v0
	s_load_b32 s13, s[4:5], 0x0
	v_sub_co_u32 v7, s11, v5, 1
	v_and_b32_e32 v8, 16, v5
	s_wait_loadcnt 0x0
	ds_store_2addr_b64 v23, v[1:2], v[18:19] offset1:16
	s_wait_dscnt 0x0
	; wave barrier
	global_inv scope:SCOPE_SE
	v_and_b32_e32 v6, 15, v5
	v_cmp_lt_i32_e32 vcc_lo, v7, v8
	v_lshlrev_b32_e32 v24, 3, v22
	v_mad_i32_i24 v19, 0xffffffe4, v0, v25
	v_cmp_gt_u32_e64 s7, 0x80, v0
	v_cmp_eq_u32_e64 s5, 0, v6
	s_wait_alu 0xfffd
	v_cndmask_b32_e32 v5, v7, v5, vcc_lo
	ds_load_2addr_b64 v[1:4], v24 offset1:1
	v_cmp_lt_u32_e64 s3, 1, v6
	v_cmp_lt_u32_e64 s6, 3, v6
	;; [unrolled: 1-line block ×3, first 2 shown]
	v_cmp_eq_u32_e64 s1, 15, v0
	v_lshlrev_b32_e32 v26, 2, v5
	v_mad_u32_u24 v18, v0, 12, v19
	s_and_b32 vcc_lo, exec_lo, s16
	s_mov_b32 s16, -1
	; wave barrier
	s_wait_loadcnt_dscnt 0x0
	global_inv scope:SCOPE_SE
	s_wait_alu 0xfffe
	s_cbranch_vccz .LBB174_61
; %bb.16:
	s_and_saveexec_b32 s16, s7
	s_cbranch_execz .LBB174_25
; %bb.17:
	v_mov_b32_e32 v5, 0
	v_cmp_gt_u32_e32 vcc_lo, 0x70, v0
	ds_store_b32 v21, v5
	s_and_b32 exec_lo, exec_lo, vcc_lo
	s_cbranch_execz .LBB174_25
; %bb.18:
	v_cmp_gt_u32_e32 vcc_lo, 0x60, v0
	ds_store_b32 v21, v5 offset:64
	s_and_b32 exec_lo, exec_lo, vcc_lo
	s_cbranch_execz .LBB174_25
; %bb.19:
	v_mov_b32_e32 v5, 0
	v_cmp_gt_u32_e32 vcc_lo, 0x50, v0
	ds_store_b32 v21, v5 offset:128
	s_and_b32 exec_lo, exec_lo, vcc_lo
	s_cbranch_execz .LBB174_25
; %bb.20:
	v_cmp_gt_u32_e32 vcc_lo, 64, v0
	ds_store_b32 v21, v5 offset:192
	s_and_b32 exec_lo, exec_lo, vcc_lo
	s_cbranch_execz .LBB174_25
; %bb.21:
	v_mov_b32_e32 v5, 0
	v_cmp_gt_u32_e32 vcc_lo, 48, v0
	ds_store_b32 v21, v5 offset:256
	;; [unrolled: 11-line block ×3, first 2 shown]
	s_and_b32 exec_lo, exec_lo, vcc_lo
; %bb.24:
	ds_store_b32 v21, v5 offset:448
.LBB174_25:
	s_or_b32 exec_lo, exec_lo, s16
	s_wait_kmcnt 0x0
	s_min_u32 s16, s13, 16
	v_xor_b32_e32 v13, 0x80008000, v27
	s_lshl_b32 s16, -1, s16
	s_delay_alu instid0(SALU_CYCLE_1) | instskip(NEXT) | instid1(VALU_DEP_1)
	s_not_b32 s16, s16
	v_lshrrev_b32_e32 v14, 16, v13
	v_and_b32_e32 v5, s16, v13
	s_delay_alu instid0(VALU_DEP_1) | instskip(SKIP_1) | instid1(VALU_DEP_2)
	v_and_b32_e32 v6, 0xffff, v5
	v_lshrrev_b32_e32 v5, 2, v5
	v_lshlrev_b32_e32 v6, 4, v6
	s_delay_alu instid0(VALU_DEP_2) | instskip(NEXT) | instid1(VALU_DEP_2)
	v_and_b32_e32 v5, 0x3ffe, v5
	v_and_or_b32 v6, 0x70, v6, v0
	s_delay_alu instid0(VALU_DEP_1) | instskip(SKIP_4) | instid1(VALU_DEP_2)
	v_lshl_add_u32 v16, v6, 2, v5
	v_and_b32_e32 v5, s16, v14
	ds_load_u16 v15, v16
	v_lshlrev_b32_e32 v6, 4, v5
	v_lshrrev_b32_e32 v5, 2, v5
	v_and_or_b32 v6, 0x70, v6, v0
	s_delay_alu instid0(VALU_DEP_2) | instskip(NEXT) | instid1(VALU_DEP_1)
	v_and_b32_e32 v5, 0x3ffe, v5
	v_lshl_add_u32 v28, v6, 2, v5
	s_wait_dscnt 0x0
	v_add_nc_u16 v7, v15, 1
	ds_store_b16 v16, v7
	ds_load_u16 v30, v28
	s_wait_dscnt 0x0
	v_add_nc_u16 v5, v30, 1
	ds_store_b16 v28, v5
	; wave barrier
	s_wait_loadcnt_dscnt 0x0
	global_inv scope:SCOPE_SE
	ds_load_b128 v[9:12], v25
	ds_load_b128 v[5:8], v25 offset:16
	s_wait_dscnt 0x1
	v_add_nc_u32_e32 v29, v10, v9
	s_delay_alu instid0(VALU_DEP_1) | instskip(SKIP_1) | instid1(VALU_DEP_1)
	v_add3_u32 v29, v29, v11, v12
	s_wait_dscnt 0x0
	v_add3_u32 v29, v29, v5, v6
	s_delay_alu instid0(VALU_DEP_1) | instskip(NEXT) | instid1(VALU_DEP_1)
	v_add3_u32 v8, v29, v7, v8
	v_mov_b32_dpp v29, v8 row_shr:1 row_mask:0xf bank_mask:0xf
	s_delay_alu instid0(VALU_DEP_1) | instskip(NEXT) | instid1(VALU_DEP_1)
	v_cndmask_b32_e64 v29, v29, 0, s5
	v_add_nc_u32_e32 v8, v29, v8
	s_delay_alu instid0(VALU_DEP_1) | instskip(NEXT) | instid1(VALU_DEP_1)
	v_mov_b32_dpp v29, v8 row_shr:2 row_mask:0xf bank_mask:0xf
	v_cndmask_b32_e64 v29, 0, v29, s3
	s_delay_alu instid0(VALU_DEP_1) | instskip(NEXT) | instid1(VALU_DEP_1)
	v_add_nc_u32_e32 v8, v8, v29
	v_mov_b32_dpp v29, v8 row_shr:4 row_mask:0xf bank_mask:0xf
	s_delay_alu instid0(VALU_DEP_1) | instskip(NEXT) | instid1(VALU_DEP_1)
	v_cndmask_b32_e64 v29, 0, v29, s6
	v_add_nc_u32_e32 v8, v8, v29
	s_delay_alu instid0(VALU_DEP_1) | instskip(NEXT) | instid1(VALU_DEP_1)
	v_mov_b32_dpp v29, v8 row_shr:8 row_mask:0xf bank_mask:0xf
	v_cndmask_b32_e64 v29, 0, v29, s4
	s_delay_alu instid0(VALU_DEP_1)
	v_add_nc_u32_e32 v8, v8, v29
	s_and_saveexec_b32 s16, s1
; %bb.26:
	v_mov_b32_e32 v29, 0
	ds_store_b32 v29, v8 offset:512
; %bb.27:
	s_wait_alu 0xfffe
	s_or_b32 exec_lo, exec_lo, s16
	ds_bpermute_b32 v8, v26, v8
	v_mov_b32_e32 v29, 0
	; wave barrier
	s_wait_loadcnt_dscnt 0x0
	global_inv scope:SCOPE_SE
	ds_load_b32 v31, v29 offset:512
	v_cndmask_b32_e64 v8, v8, 0, s11
	s_wait_dscnt 0x0
	s_delay_alu instid0(VALU_DEP_1) | instskip(NEXT) | instid1(VALU_DEP_1)
	v_lshl_add_u32 v8, v31, 16, v8
	v_add_nc_u32_e32 v9, v8, v9
	s_delay_alu instid0(VALU_DEP_1) | instskip(NEXT) | instid1(VALU_DEP_1)
	v_add_nc_u32_e32 v10, v9, v10
	v_add_nc_u32_e32 v11, v10, v11
	s_delay_alu instid0(VALU_DEP_1) | instskip(NEXT) | instid1(VALU_DEP_1)
	v_add_nc_u32_e32 v31, v11, v12
	;; [unrolled: 3-line block ×3, first 2 shown]
	v_add_nc_u32_e32 v34, v33, v7
	v_and_b32_e32 v7, 0xffff, v15
	ds_store_b128 v25, v[8:11]
	ds_store_b128 v25, v[31:34] offset:16
	; wave barrier
	s_wait_loadcnt_dscnt 0x0
	global_inv scope:SCOPE_SE
	ds_load_u16 v5, v16
	ds_load_u16 v6, v28
	v_and_b32_e32 v8, 0xffff, v30
	; wave barrier
	s_wait_loadcnt_dscnt 0x0
	global_inv scope:SCOPE_SE
	v_add_nc_u32_e32 v5, v5, v7
	v_add_nc_u32_e32 v6, v6, v8
	s_delay_alu instid0(VALU_DEP_2) | instskip(NEXT) | instid1(VALU_DEP_2)
	v_lshlrev_b32_e32 v7, 1, v5
	v_lshlrev_b32_e32 v8, 1, v6
	ds_store_b16 v7, v13
	ds_store_b16 v8, v14
	v_mad_u32_u24 v5, v5, 6, v7
	v_mad_u32_u24 v6, v6, 6, v8
	; wave barrier
	s_wait_loadcnt_dscnt 0x0
	global_inv scope:SCOPE_SE
	ds_load_b32 v28, v19
	; wave barrier
	s_wait_loadcnt_dscnt 0x0
	global_inv scope:SCOPE_SE
	ds_store_b64 v5, v[1:2]
	ds_store_b64 v6, v[3:4]
	; wave barrier
	s_wait_loadcnt_dscnt 0x0
	global_inv scope:SCOPE_SE
	ds_load_b128 v[5:8], v18
	; wave barrier
	s_wait_loadcnt_dscnt 0x0
	global_inv scope:SCOPE_SE
	s_and_saveexec_b32 s16, s7
	s_cbranch_execz .LBB174_36
; %bb.28:
	v_cmp_gt_u32_e32 vcc_lo, 0x70, v0
	ds_store_b32 v21, v29
	s_and_b32 exec_lo, exec_lo, vcc_lo
	s_cbranch_execz .LBB174_36
; %bb.29:
	v_mov_b32_e32 v9, 0
	v_cmp_gt_u32_e32 vcc_lo, 0x60, v0
	ds_store_b32 v21, v9 offset:64
	s_and_b32 exec_lo, exec_lo, vcc_lo
	s_cbranch_execz .LBB174_36
; %bb.30:
	v_cmp_gt_u32_e32 vcc_lo, 0x50, v0
	ds_store_b32 v21, v9 offset:128
	s_and_b32 exec_lo, exec_lo, vcc_lo
	s_cbranch_execz .LBB174_36
; %bb.31:
	v_mov_b32_e32 v9, 0
	v_cmp_gt_u32_e32 vcc_lo, 64, v0
	ds_store_b32 v21, v9 offset:192
	s_and_b32 exec_lo, exec_lo, vcc_lo
	s_cbranch_execz .LBB174_36
; %bb.32:
	v_cmp_gt_u32_e32 vcc_lo, 48, v0
	ds_store_b32 v21, v9 offset:256
	;; [unrolled: 11-line block ×3, first 2 shown]
	s_and_b32 exec_lo, exec_lo, vcc_lo
; %bb.35:
	v_mov_b32_e32 v9, 0
	ds_store_b32 v21, v9 offset:448
.LBB174_36:
	s_wait_alu 0xfffe
	s_or_b32 exec_lo, exec_lo, s16
	v_lshrrev_b16 v9, 4, v28
	s_min_u32 s16, s13, 12
	s_wait_alu 0xfffe
	s_lshl_b32 s16, -1, s16
	s_wait_alu 0xfffe
	s_not_b32 s16, s16
	v_and_b32_e32 v9, 0xffff, v9
	s_wait_alu 0xfffe
	s_delay_alu instid0(VALU_DEP_1) | instskip(NEXT) | instid1(VALU_DEP_1)
	v_and_b32_e32 v9, s16, v9
	v_lshlrev_b32_e32 v10, 4, v9
	v_lshrrev_b32_e32 v9, 2, v9
	s_delay_alu instid0(VALU_DEP_2) | instskip(NEXT) | instid1(VALU_DEP_2)
	v_and_or_b32 v10, 0x70, v10, v0
	v_and_b32_e32 v9, 0x3fe, v9
	s_delay_alu instid0(VALU_DEP_1) | instskip(SKIP_3) | instid1(VALU_DEP_1)
	v_lshl_add_u32 v30, v10, 2, v9
	v_lshrrev_b32_e32 v9, 20, v28
	ds_load_u16 v29, v30
	v_and_b32_e32 v9, s16, v9
	v_lshlrev_b32_e32 v10, 4, v9
	v_lshrrev_b32_e32 v9, 2, v9
	s_delay_alu instid0(VALU_DEP_2) | instskip(NEXT) | instid1(VALU_DEP_2)
	v_and_or_b32 v10, 0x70, v10, v0
	v_and_b32_e32 v9, 0x3fe, v9
	s_delay_alu instid0(VALU_DEP_1)
	v_lshl_add_u32 v31, v10, 2, v9
	s_wait_dscnt 0x0
	v_add_nc_u16 v11, v29, 1
	ds_store_b16 v30, v11
	ds_load_u16 v32, v31
	s_wait_dscnt 0x0
	v_add_nc_u16 v9, v32, 1
	ds_store_b16 v31, v9
	; wave barrier
	s_wait_loadcnt_dscnt 0x0
	global_inv scope:SCOPE_SE
	ds_load_b128 v[13:16], v25
	ds_load_b128 v[9:12], v25 offset:16
	s_wait_dscnt 0x1
	v_add_nc_u32_e32 v33, v14, v13
	s_delay_alu instid0(VALU_DEP_1) | instskip(SKIP_1) | instid1(VALU_DEP_1)
	v_add3_u32 v33, v33, v15, v16
	s_wait_dscnt 0x0
	v_add3_u32 v33, v33, v9, v10
	s_delay_alu instid0(VALU_DEP_1) | instskip(NEXT) | instid1(VALU_DEP_1)
	v_add3_u32 v12, v33, v11, v12
	v_mov_b32_dpp v33, v12 row_shr:1 row_mask:0xf bank_mask:0xf
	s_delay_alu instid0(VALU_DEP_1) | instskip(NEXT) | instid1(VALU_DEP_1)
	v_cndmask_b32_e64 v33, v33, 0, s5
	v_add_nc_u32_e32 v12, v33, v12
	s_delay_alu instid0(VALU_DEP_1) | instskip(NEXT) | instid1(VALU_DEP_1)
	v_mov_b32_dpp v33, v12 row_shr:2 row_mask:0xf bank_mask:0xf
	v_cndmask_b32_e64 v33, 0, v33, s3
	s_delay_alu instid0(VALU_DEP_1) | instskip(NEXT) | instid1(VALU_DEP_1)
	v_add_nc_u32_e32 v12, v12, v33
	v_mov_b32_dpp v33, v12 row_shr:4 row_mask:0xf bank_mask:0xf
	s_delay_alu instid0(VALU_DEP_1) | instskip(NEXT) | instid1(VALU_DEP_1)
	v_cndmask_b32_e64 v33, 0, v33, s6
	v_add_nc_u32_e32 v12, v12, v33
	s_delay_alu instid0(VALU_DEP_1) | instskip(NEXT) | instid1(VALU_DEP_1)
	v_mov_b32_dpp v33, v12 row_shr:8 row_mask:0xf bank_mask:0xf
	v_cndmask_b32_e64 v34, 0, v33, s4
	v_lshrrev_b32_e32 v33, 16, v28
	s_delay_alu instid0(VALU_DEP_2)
	v_add_nc_u32_e32 v12, v12, v34
	s_and_saveexec_b32 s16, s1
; %bb.37:
	v_mov_b32_e32 v34, 0
	ds_store_b32 v34, v12 offset:512
; %bb.38:
	s_wait_alu 0xfffe
	s_or_b32 exec_lo, exec_lo, s16
	ds_bpermute_b32 v34, v26, v12
	v_mov_b32_e32 v12, 0
	; wave barrier
	s_wait_loadcnt_dscnt 0x0
	global_inv scope:SCOPE_SE
	ds_load_b32 v35, v12 offset:512
	v_cndmask_b32_e64 v34, v34, 0, s11
	s_wait_dscnt 0x0
	s_delay_alu instid0(VALU_DEP_1) | instskip(NEXT) | instid1(VALU_DEP_1)
	v_lshl_add_u32 v34, v35, 16, v34
	v_add_nc_u32_e32 v35, v34, v13
	s_delay_alu instid0(VALU_DEP_1) | instskip(NEXT) | instid1(VALU_DEP_1)
	v_add_nc_u32_e32 v36, v35, v14
	v_add_nc_u32_e32 v37, v36, v15
	s_delay_alu instid0(VALU_DEP_1) | instskip(NEXT) | instid1(VALU_DEP_1)
	v_add_nc_u32_e32 v13, v37, v16
	;; [unrolled: 3-line block ×3, first 2 shown]
	v_add_nc_u32_e32 v16, v15, v11
	v_and_b32_e32 v11, 0xffff, v29
	ds_store_b128 v25, v[34:37]
	ds_store_b128 v25, v[13:16] offset:16
	; wave barrier
	s_wait_loadcnt_dscnt 0x0
	global_inv scope:SCOPE_SE
	ds_load_u16 v9, v30
	ds_load_u16 v10, v31
	v_and_b32_e32 v13, 0xffff, v32
	; wave barrier
	s_wait_loadcnt_dscnt 0x0
	global_inv scope:SCOPE_SE
	v_add_nc_u32_e32 v9, v9, v11
	v_add_nc_u32_e32 v10, v10, v13
	s_delay_alu instid0(VALU_DEP_2) | instskip(NEXT) | instid1(VALU_DEP_2)
	v_lshlrev_b32_e32 v11, 1, v9
	v_lshlrev_b32_e32 v13, 1, v10
	ds_store_b16 v11, v28
	ds_store_b16 v13, v33
	v_mad_u32_u24 v9, v9, 6, v11
	v_mad_u32_u24 v10, v10, 6, v13
	; wave barrier
	s_wait_loadcnt_dscnt 0x0
	global_inv scope:SCOPE_SE
	ds_load_b32 v28, v19
	; wave barrier
	s_wait_loadcnt_dscnt 0x0
	global_inv scope:SCOPE_SE
	ds_store_b64 v9, v[5:6]
	ds_store_b64 v10, v[7:8]
	; wave barrier
	s_wait_loadcnt_dscnt 0x0
	global_inv scope:SCOPE_SE
	ds_load_b128 v[5:8], v18
	; wave barrier
	s_wait_loadcnt_dscnt 0x0
	global_inv scope:SCOPE_SE
	s_and_saveexec_b32 s16, s7
	s_cbranch_execz .LBB174_47
; %bb.39:
	v_cmp_gt_u32_e32 vcc_lo, 0x70, v0
	ds_store_b32 v21, v12
	s_and_b32 exec_lo, exec_lo, vcc_lo
	s_cbranch_execz .LBB174_47
; %bb.40:
	v_mov_b32_e32 v9, 0
	v_cmp_gt_u32_e32 vcc_lo, 0x60, v0
	ds_store_b32 v21, v9 offset:64
	s_and_b32 exec_lo, exec_lo, vcc_lo
	s_cbranch_execz .LBB174_47
; %bb.41:
	v_cmp_gt_u32_e32 vcc_lo, 0x50, v0
	ds_store_b32 v21, v9 offset:128
	s_and_b32 exec_lo, exec_lo, vcc_lo
	s_cbranch_execz .LBB174_47
; %bb.42:
	v_mov_b32_e32 v9, 0
	v_cmp_gt_u32_e32 vcc_lo, 64, v0
	ds_store_b32 v21, v9 offset:192
	s_and_b32 exec_lo, exec_lo, vcc_lo
	s_cbranch_execz .LBB174_47
; %bb.43:
	v_cmp_gt_u32_e32 vcc_lo, 48, v0
	ds_store_b32 v21, v9 offset:256
	;; [unrolled: 11-line block ×3, first 2 shown]
	s_and_b32 exec_lo, exec_lo, vcc_lo
; %bb.46:
	v_mov_b32_e32 v9, 0
	ds_store_b32 v21, v9 offset:448
.LBB174_47:
	s_wait_alu 0xfffe
	s_or_b32 exec_lo, exec_lo, s16
	v_lshrrev_b16 v9, 8, v28
	s_min_u32 s16, s13, 8
	s_wait_alu 0xfffe
	s_lshl_b32 s16, -1, s16
	s_wait_alu 0xfffe
	s_not_b32 s16, s16
	v_and_b32_e32 v9, 0xffff, v9
	s_wait_alu 0xfffe
	s_delay_alu instid0(VALU_DEP_1) | instskip(NEXT) | instid1(VALU_DEP_1)
	v_and_b32_e32 v9, s16, v9
	v_lshlrev_b32_e32 v10, 4, v9
	v_lshrrev_b32_e32 v9, 2, v9
	s_delay_alu instid0(VALU_DEP_2) | instskip(NEXT) | instid1(VALU_DEP_2)
	v_and_or_b32 v10, 0x70, v10, v0
	v_and_b32_e32 v9, 62, v9
	s_delay_alu instid0(VALU_DEP_1) | instskip(SKIP_3) | instid1(VALU_DEP_1)
	v_lshl_add_u32 v30, v10, 2, v9
	v_lshrrev_b32_e32 v9, 24, v28
	ds_load_u16 v29, v30
	v_and_b32_e32 v9, s16, v9
	v_lshlrev_b32_e32 v10, 4, v9
	v_lshrrev_b32_e32 v9, 2, v9
	s_delay_alu instid0(VALU_DEP_2) | instskip(NEXT) | instid1(VALU_DEP_2)
	v_and_or_b32 v10, 0x70, v10, v0
	v_and_b32_e32 v9, 62, v9
	s_delay_alu instid0(VALU_DEP_1)
	v_lshl_add_u32 v31, v10, 2, v9
	s_wait_dscnt 0x0
	v_add_nc_u16 v11, v29, 1
	ds_store_b16 v30, v11
	ds_load_u16 v32, v31
	s_wait_dscnt 0x0
	v_add_nc_u16 v9, v32, 1
	ds_store_b16 v31, v9
	; wave barrier
	s_wait_loadcnt_dscnt 0x0
	global_inv scope:SCOPE_SE
	ds_load_b128 v[13:16], v25
	ds_load_b128 v[9:12], v25 offset:16
	s_wait_dscnt 0x1
	v_add_nc_u32_e32 v33, v14, v13
	s_delay_alu instid0(VALU_DEP_1) | instskip(SKIP_1) | instid1(VALU_DEP_1)
	v_add3_u32 v33, v33, v15, v16
	s_wait_dscnt 0x0
	v_add3_u32 v33, v33, v9, v10
	s_delay_alu instid0(VALU_DEP_1) | instskip(NEXT) | instid1(VALU_DEP_1)
	v_add3_u32 v12, v33, v11, v12
	v_mov_b32_dpp v33, v12 row_shr:1 row_mask:0xf bank_mask:0xf
	s_delay_alu instid0(VALU_DEP_1) | instskip(NEXT) | instid1(VALU_DEP_1)
	v_cndmask_b32_e64 v33, v33, 0, s5
	v_add_nc_u32_e32 v12, v33, v12
	s_delay_alu instid0(VALU_DEP_1) | instskip(NEXT) | instid1(VALU_DEP_1)
	v_mov_b32_dpp v33, v12 row_shr:2 row_mask:0xf bank_mask:0xf
	v_cndmask_b32_e64 v33, 0, v33, s3
	s_delay_alu instid0(VALU_DEP_1) | instskip(NEXT) | instid1(VALU_DEP_1)
	v_add_nc_u32_e32 v12, v12, v33
	v_mov_b32_dpp v33, v12 row_shr:4 row_mask:0xf bank_mask:0xf
	s_delay_alu instid0(VALU_DEP_1) | instskip(NEXT) | instid1(VALU_DEP_1)
	v_cndmask_b32_e64 v33, 0, v33, s6
	v_add_nc_u32_e32 v12, v12, v33
	s_delay_alu instid0(VALU_DEP_1) | instskip(NEXT) | instid1(VALU_DEP_1)
	v_mov_b32_dpp v33, v12 row_shr:8 row_mask:0xf bank_mask:0xf
	v_cndmask_b32_e64 v34, 0, v33, s4
	v_lshrrev_b32_e32 v33, 16, v28
	s_delay_alu instid0(VALU_DEP_2)
	v_add_nc_u32_e32 v12, v12, v34
	s_and_saveexec_b32 s16, s1
; %bb.48:
	v_mov_b32_e32 v34, 0
	ds_store_b32 v34, v12 offset:512
; %bb.49:
	s_wait_alu 0xfffe
	s_or_b32 exec_lo, exec_lo, s16
	ds_bpermute_b32 v34, v26, v12
	v_mov_b32_e32 v12, 0
	; wave barrier
	s_wait_loadcnt_dscnt 0x0
	global_inv scope:SCOPE_SE
	ds_load_b32 v35, v12 offset:512
	v_cndmask_b32_e64 v34, v34, 0, s11
	s_wait_dscnt 0x0
	s_delay_alu instid0(VALU_DEP_1) | instskip(NEXT) | instid1(VALU_DEP_1)
	v_lshl_add_u32 v34, v35, 16, v34
	v_add_nc_u32_e32 v35, v34, v13
	s_delay_alu instid0(VALU_DEP_1) | instskip(NEXT) | instid1(VALU_DEP_1)
	v_add_nc_u32_e32 v36, v35, v14
	v_add_nc_u32_e32 v37, v36, v15
	s_delay_alu instid0(VALU_DEP_1) | instskip(NEXT) | instid1(VALU_DEP_1)
	v_add_nc_u32_e32 v13, v37, v16
	v_add_nc_u32_e32 v14, v13, v9
	s_delay_alu instid0(VALU_DEP_1) | instskip(NEXT) | instid1(VALU_DEP_1)
	v_add_nc_u32_e32 v15, v14, v10
	v_add_nc_u32_e32 v16, v15, v11
	v_and_b32_e32 v11, 0xffff, v29
	ds_store_b128 v25, v[34:37]
	ds_store_b128 v25, v[13:16] offset:16
	; wave barrier
	s_wait_loadcnt_dscnt 0x0
	global_inv scope:SCOPE_SE
	ds_load_u16 v9, v30
	ds_load_u16 v10, v31
	v_and_b32_e32 v13, 0xffff, v32
	; wave barrier
	s_wait_loadcnt_dscnt 0x0
	global_inv scope:SCOPE_SE
	v_add_nc_u32_e32 v9, v9, v11
	v_add_nc_u32_e32 v10, v10, v13
	s_delay_alu instid0(VALU_DEP_2) | instskip(NEXT) | instid1(VALU_DEP_2)
	v_lshlrev_b32_e32 v11, 1, v9
	v_lshlrev_b32_e32 v13, 1, v10
	ds_store_b16 v11, v28
	ds_store_b16 v13, v33
	v_mad_u32_u24 v9, v9, 6, v11
	v_mad_u32_u24 v10, v10, 6, v13
	; wave barrier
	s_wait_loadcnt_dscnt 0x0
	global_inv scope:SCOPE_SE
	ds_load_b32 v28, v19
	; wave barrier
	s_wait_loadcnt_dscnt 0x0
	global_inv scope:SCOPE_SE
	ds_store_b64 v9, v[5:6]
	ds_store_b64 v10, v[7:8]
	; wave barrier
	s_wait_loadcnt_dscnt 0x0
	global_inv scope:SCOPE_SE
	ds_load_b128 v[5:8], v18
	; wave barrier
	s_wait_loadcnt_dscnt 0x0
	global_inv scope:SCOPE_SE
	s_and_saveexec_b32 s16, s7
	s_cbranch_execz .LBB174_58
; %bb.50:
	v_cmp_gt_u32_e32 vcc_lo, 0x70, v0
	ds_store_b32 v21, v12
	s_and_b32 exec_lo, exec_lo, vcc_lo
	s_cbranch_execz .LBB174_58
; %bb.51:
	v_mov_b32_e32 v9, 0
	v_cmp_gt_u32_e32 vcc_lo, 0x60, v0
	ds_store_b32 v21, v9 offset:64
	s_and_b32 exec_lo, exec_lo, vcc_lo
	s_cbranch_execz .LBB174_58
; %bb.52:
	v_cmp_gt_u32_e32 vcc_lo, 0x50, v0
	ds_store_b32 v21, v9 offset:128
	s_and_b32 exec_lo, exec_lo, vcc_lo
	s_cbranch_execz .LBB174_58
; %bb.53:
	v_mov_b32_e32 v9, 0
	v_cmp_gt_u32_e32 vcc_lo, 64, v0
	ds_store_b32 v21, v9 offset:192
	s_and_b32 exec_lo, exec_lo, vcc_lo
	s_cbranch_execz .LBB174_58
; %bb.54:
	v_cmp_gt_u32_e32 vcc_lo, 48, v0
	ds_store_b32 v21, v9 offset:256
	;; [unrolled: 11-line block ×3, first 2 shown]
	s_and_b32 exec_lo, exec_lo, vcc_lo
; %bb.57:
	v_mov_b32_e32 v9, 0
	ds_store_b32 v21, v9 offset:448
.LBB174_58:
	s_wait_alu 0xfffe
	s_or_b32 exec_lo, exec_lo, s16
	v_lshrrev_b16 v9, 12, v28
	s_min_u32 s16, s13, 4
	s_wait_alu 0xfffe
	s_lshl_b32 s16, -1, s16
	s_wait_alu 0xfffe
	s_not_b32 s16, s16
	v_and_b32_e32 v9, 0xffff, v9
	s_wait_alu 0xfffe
	s_delay_alu instid0(VALU_DEP_1) | instskip(NEXT) | instid1(VALU_DEP_1)
	v_and_b32_e32 v9, s16, v9
	v_lshlrev_b32_e32 v10, 4, v9
	v_lshrrev_b32_e32 v9, 2, v9
	s_delay_alu instid0(VALU_DEP_2) | instskip(NEXT) | instid1(VALU_DEP_2)
	v_and_or_b32 v10, 0x70, v10, v0
	v_and_b32_e32 v9, 2, v9
	s_delay_alu instid0(VALU_DEP_1) | instskip(SKIP_4) | instid1(VALU_DEP_1)
	v_lshl_or_b32 v30, v10, 2, v9
	v_lshrrev_b32_e32 v9, 28, v28
	ds_load_u16 v29, v30
	v_and_b32_e32 v9, s16, v9
	s_mov_b32 s16, 0
	v_lshlrev_b32_e32 v10, 4, v9
	v_lshrrev_b32_e32 v9, 2, v9
	s_delay_alu instid0(VALU_DEP_2) | instskip(NEXT) | instid1(VALU_DEP_2)
	v_and_or_b32 v10, 0x70, v10, v0
	v_and_b32_e32 v9, 2, v9
	s_delay_alu instid0(VALU_DEP_1)
	v_lshl_or_b32 v31, v10, 2, v9
	s_wait_dscnt 0x0
	v_add_nc_u16 v11, v29, 1
	ds_store_b16 v30, v11
	ds_load_u16 v32, v31
	s_wait_dscnt 0x0
	v_add_nc_u16 v9, v32, 1
	ds_store_b16 v31, v9
	; wave barrier
	s_wait_loadcnt_dscnt 0x0
	global_inv scope:SCOPE_SE
	ds_load_b128 v[13:16], v25
	ds_load_b128 v[9:12], v25 offset:16
	s_wait_dscnt 0x1
	v_add_nc_u32_e32 v33, v14, v13
	s_delay_alu instid0(VALU_DEP_1) | instskip(SKIP_1) | instid1(VALU_DEP_1)
	v_add3_u32 v33, v33, v15, v16
	s_wait_dscnt 0x0
	v_add3_u32 v33, v33, v9, v10
	s_delay_alu instid0(VALU_DEP_1) | instskip(NEXT) | instid1(VALU_DEP_1)
	v_add3_u32 v12, v33, v11, v12
	v_mov_b32_dpp v33, v12 row_shr:1 row_mask:0xf bank_mask:0xf
	s_delay_alu instid0(VALU_DEP_1) | instskip(NEXT) | instid1(VALU_DEP_1)
	v_cndmask_b32_e64 v33, v33, 0, s5
	v_add_nc_u32_e32 v12, v33, v12
	s_delay_alu instid0(VALU_DEP_1) | instskip(NEXT) | instid1(VALU_DEP_1)
	v_mov_b32_dpp v33, v12 row_shr:2 row_mask:0xf bank_mask:0xf
	v_cndmask_b32_e64 v33, 0, v33, s3
	s_delay_alu instid0(VALU_DEP_1) | instskip(NEXT) | instid1(VALU_DEP_1)
	v_add_nc_u32_e32 v12, v12, v33
	v_mov_b32_dpp v33, v12 row_shr:4 row_mask:0xf bank_mask:0xf
	s_delay_alu instid0(VALU_DEP_1) | instskip(NEXT) | instid1(VALU_DEP_1)
	v_cndmask_b32_e64 v33, 0, v33, s6
	v_add_nc_u32_e32 v33, v12, v33
	s_delay_alu instid0(VALU_DEP_1) | instskip(NEXT) | instid1(VALU_DEP_1)
	v_mov_b32_dpp v12, v33 row_shr:8 row_mask:0xf bank_mask:0xf
	v_cndmask_b32_e64 v34, 0, v12, s4
	v_lshrrev_b32_e32 v12, 16, v28
	s_delay_alu instid0(VALU_DEP_2)
	v_add_nc_u32_e32 v33, v33, v34
	s_and_saveexec_b32 s17, s1
; %bb.59:
	v_mov_b32_e32 v34, 0
	ds_store_b32 v34, v33 offset:512
; %bb.60:
	s_wait_alu 0xfffe
	s_or_b32 exec_lo, exec_lo, s17
	ds_bpermute_b32 v33, v26, v33
	v_mov_b32_e32 v34, 0
	; wave barrier
	s_wait_loadcnt_dscnt 0x0
	global_inv scope:SCOPE_SE
	ds_load_b32 v34, v34 offset:512
	v_cndmask_b32_e64 v33, v33, 0, s11
	s_wait_dscnt 0x0
	s_delay_alu instid0(VALU_DEP_1) | instskip(NEXT) | instid1(VALU_DEP_1)
	v_lshl_add_u32 v33, v34, 16, v33
	v_add_nc_u32_e32 v34, v33, v13
	s_delay_alu instid0(VALU_DEP_1) | instskip(NEXT) | instid1(VALU_DEP_1)
	v_add_nc_u32_e32 v35, v34, v14
	v_add_nc_u32_e32 v36, v35, v15
	s_delay_alu instid0(VALU_DEP_1) | instskip(NEXT) | instid1(VALU_DEP_1)
	v_add_nc_u32_e32 v13, v36, v16
	;; [unrolled: 3-line block ×3, first 2 shown]
	v_add_nc_u32_e32 v16, v15, v11
	v_and_b32_e32 v11, 0xffff, v29
	ds_store_b128 v25, v[33:36]
	ds_store_b128 v25, v[13:16] offset:16
	; wave barrier
	s_wait_loadcnt_dscnt 0x0
	global_inv scope:SCOPE_SE
	ds_load_u16 v9, v30
	ds_load_u16 v10, v31
	v_and_b32_e32 v13, 0xffff, v32
	; wave barrier
	s_wait_loadcnt_dscnt 0x0
	global_inv scope:SCOPE_SE
	v_add_nc_u32_e32 v9, v9, v11
	v_add_nc_u32_e32 v10, v10, v13
	s_delay_alu instid0(VALU_DEP_2) | instskip(NEXT) | instid1(VALU_DEP_2)
	v_lshlrev_b32_e32 v11, 1, v9
	v_lshlrev_b32_e32 v13, 1, v10
	ds_store_b16 v11, v28
	ds_store_b16 v13, v12
	; wave barrier
	s_wait_loadcnt_dscnt 0x0
	global_inv scope:SCOPE_SE
	v_mad_u32_u24 v9, v9, 6, v11
	ds_load_b32 v11, v19
	v_mad_u32_u24 v10, v10, 6, v13
	; wave barrier
	s_wait_loadcnt_dscnt 0x0
	global_inv scope:SCOPE_SE
	ds_store_b64 v9, v[5:6]
	ds_store_b64 v10, v[7:8]
	; wave barrier
	s_wait_loadcnt_dscnt 0x0
	global_inv scope:SCOPE_SE
	ds_load_b128 v[5:8], v18
	v_xor_b32_e32 v9, 0x80008000, v11
	s_and_b32 vcc_lo, exec_lo, s16
	s_wait_alu 0xfffe
	s_cbranch_vccnz .LBB174_62
	s_branch .LBB174_107
.LBB174_61:
                                        ; implicit-def: $vgpr7_vgpr8
                                        ; implicit-def: $vgpr9
	s_and_b32 vcc_lo, exec_lo, s16
	s_wait_alu 0xfffe
	s_cbranch_vccz .LBB174_107
.LBB174_62:
	s_and_saveexec_b32 s16, s7
	s_cbranch_execz .LBB174_71
; %bb.63:
	s_wait_dscnt 0x0
	v_mad_i32_i24 v5, v0, -12, v18
	v_mov_b32_e32 v6, 0
	v_cmp_gt_u32_e32 vcc_lo, 0x70, v0
	ds_store_b32 v5, v6
	s_and_b32 exec_lo, exec_lo, vcc_lo
	s_cbranch_execz .LBB174_71
; %bb.64:
	v_mul_i32_i24_e32 v5, -12, v0
	v_cmp_gt_u32_e32 vcc_lo, 0x60, v0
	s_delay_alu instid0(VALU_DEP_2)
	v_add_nc_u32_e32 v5, v18, v5
	ds_store_b32 v5, v6 offset:64
	s_and_b32 exec_lo, exec_lo, vcc_lo
	s_cbranch_execz .LBB174_71
; %bb.65:
	v_mov_b32_e32 v6, 0
	v_cmp_gt_u32_e32 vcc_lo, 0x50, v0
	ds_store_b32 v5, v6 offset:128
	s_and_b32 exec_lo, exec_lo, vcc_lo
	s_cbranch_execz .LBB174_71
; %bb.66:
	v_cmp_gt_u32_e32 vcc_lo, 64, v0
	ds_store_b32 v5, v6 offset:192
	s_and_b32 exec_lo, exec_lo, vcc_lo
	s_cbranch_execz .LBB174_71
; %bb.67:
	v_mov_b32_e32 v6, 0
	v_cmp_gt_u32_e32 vcc_lo, 48, v0
	ds_store_b32 v5, v6 offset:256
	s_and_b32 exec_lo, exec_lo, vcc_lo
	s_cbranch_execz .LBB174_71
; %bb.68:
	v_cmp_gt_u32_e32 vcc_lo, 32, v0
	ds_store_b32 v5, v6 offset:320
	s_and_b32 exec_lo, exec_lo, vcc_lo
	s_cbranch_execz .LBB174_71
; %bb.69:
	v_mov_b32_e32 v6, 0
	v_cmp_gt_u32_e32 vcc_lo, 16, v0
	ds_store_b32 v5, v6 offset:384
	s_and_b32 exec_lo, exec_lo, vcc_lo
; %bb.70:
	ds_store_b32 v5, v6 offset:448
.LBB174_71:
	s_wait_alu 0xfffe
	s_or_b32 exec_lo, exec_lo, s16
	s_wait_kmcnt 0x0
	s_min_u32 s16, s13, 16
	v_xor_b32_e32 v13, 0x7fff7fff, v27
	s_wait_alu 0xfffe
	s_lshl_b32 s16, -1, s16
	s_wait_alu 0xfffe
	s_not_b32 s16, s16
	v_lshrrev_b32_e32 v14, 16, v13
	s_wait_dscnt 0x0
	s_wait_alu 0xfffe
	v_and_b32_e32 v5, s16, v13
	s_delay_alu instid0(VALU_DEP_1) | instskip(SKIP_1) | instid1(VALU_DEP_2)
	v_and_b32_e32 v6, 0xffff, v5
	v_lshrrev_b32_e32 v5, 2, v5
	v_lshlrev_b32_e32 v6, 4, v6
	s_delay_alu instid0(VALU_DEP_2) | instskip(NEXT) | instid1(VALU_DEP_2)
	v_and_b32_e32 v5, 0x3ffe, v5
	v_and_or_b32 v6, 0x70, v6, v0
	s_delay_alu instid0(VALU_DEP_1) | instskip(SKIP_4) | instid1(VALU_DEP_2)
	v_lshl_add_u32 v16, v6, 2, v5
	v_and_b32_e32 v5, s16, v14
	ds_load_u16 v15, v16
	v_lshlrev_b32_e32 v6, 4, v5
	v_lshrrev_b32_e32 v5, 2, v5
	v_and_or_b32 v6, 0x70, v6, v0
	s_delay_alu instid0(VALU_DEP_2) | instskip(NEXT) | instid1(VALU_DEP_1)
	v_and_b32_e32 v5, 0x3ffe, v5
	v_lshl_add_u32 v27, v6, 2, v5
	s_wait_dscnt 0x0
	v_add_nc_u16 v7, v15, 1
	ds_store_b16 v16, v7
	ds_load_u16 v28, v27
	s_wait_dscnt 0x0
	v_add_nc_u16 v5, v28, 1
	ds_store_b16 v27, v5
	; wave barrier
	s_wait_loadcnt_dscnt 0x0
	global_inv scope:SCOPE_SE
	ds_load_b128 v[9:12], v25
	ds_load_b128 v[5:8], v25 offset:16
	s_wait_dscnt 0x1
	v_add_nc_u32_e32 v29, v10, v9
	s_delay_alu instid0(VALU_DEP_1) | instskip(SKIP_1) | instid1(VALU_DEP_1)
	v_add3_u32 v29, v29, v11, v12
	s_wait_dscnt 0x0
	v_add3_u32 v29, v29, v5, v6
	s_delay_alu instid0(VALU_DEP_1) | instskip(NEXT) | instid1(VALU_DEP_1)
	v_add3_u32 v8, v29, v7, v8
	v_mov_b32_dpp v29, v8 row_shr:1 row_mask:0xf bank_mask:0xf
	s_delay_alu instid0(VALU_DEP_1) | instskip(NEXT) | instid1(VALU_DEP_1)
	v_cndmask_b32_e64 v29, v29, 0, s5
	v_add_nc_u32_e32 v8, v29, v8
	s_delay_alu instid0(VALU_DEP_1) | instskip(NEXT) | instid1(VALU_DEP_1)
	v_mov_b32_dpp v29, v8 row_shr:2 row_mask:0xf bank_mask:0xf
	v_cndmask_b32_e64 v29, 0, v29, s3
	s_delay_alu instid0(VALU_DEP_1) | instskip(NEXT) | instid1(VALU_DEP_1)
	v_add_nc_u32_e32 v8, v8, v29
	v_mov_b32_dpp v29, v8 row_shr:4 row_mask:0xf bank_mask:0xf
	s_delay_alu instid0(VALU_DEP_1) | instskip(NEXT) | instid1(VALU_DEP_1)
	v_cndmask_b32_e64 v29, 0, v29, s6
	v_add_nc_u32_e32 v8, v8, v29
	s_delay_alu instid0(VALU_DEP_1) | instskip(NEXT) | instid1(VALU_DEP_1)
	v_mov_b32_dpp v29, v8 row_shr:8 row_mask:0xf bank_mask:0xf
	v_cndmask_b32_e64 v29, 0, v29, s4
	s_delay_alu instid0(VALU_DEP_1)
	v_add_nc_u32_e32 v8, v8, v29
	s_and_saveexec_b32 s16, s1
; %bb.72:
	v_mov_b32_e32 v29, 0
	ds_store_b32 v29, v8 offset:512
; %bb.73:
	s_wait_alu 0xfffe
	s_or_b32 exec_lo, exec_lo, s16
	ds_bpermute_b32 v29, v26, v8
	v_mov_b32_e32 v8, 0
	; wave barrier
	s_wait_loadcnt_dscnt 0x0
	global_inv scope:SCOPE_SE
	ds_load_b32 v30, v8 offset:512
	v_cndmask_b32_e64 v29, v29, 0, s11
	s_wait_dscnt 0x0
	s_delay_alu instid0(VALU_DEP_1) | instskip(NEXT) | instid1(VALU_DEP_1)
	v_lshl_add_u32 v29, v30, 16, v29
	v_add_nc_u32_e32 v30, v29, v9
	s_delay_alu instid0(VALU_DEP_1) | instskip(NEXT) | instid1(VALU_DEP_1)
	v_add_nc_u32_e32 v31, v30, v10
	v_add_nc_u32_e32 v32, v31, v11
	s_delay_alu instid0(VALU_DEP_1) | instskip(NEXT) | instid1(VALU_DEP_1)
	v_add_nc_u32_e32 v9, v32, v12
	;; [unrolled: 3-line block ×3, first 2 shown]
	v_add_nc_u32_e32 v12, v11, v7
	v_and_b32_e32 v7, 0xffff, v15
	ds_store_b128 v25, v[29:32]
	ds_store_b128 v25, v[9:12] offset:16
	; wave barrier
	s_wait_loadcnt_dscnt 0x0
	global_inv scope:SCOPE_SE
	ds_load_u16 v5, v16
	ds_load_u16 v6, v27
	v_and_b32_e32 v9, 0xffff, v28
	; wave barrier
	s_wait_loadcnt_dscnt 0x0
	global_inv scope:SCOPE_SE
	v_add_nc_u32_e32 v5, v5, v7
	v_add_nc_u32_e32 v6, v6, v9
	s_delay_alu instid0(VALU_DEP_2) | instskip(NEXT) | instid1(VALU_DEP_2)
	v_lshlrev_b32_e32 v7, 1, v5
	v_lshlrev_b32_e32 v9, 1, v6
	ds_store_b16 v7, v13
	ds_store_b16 v9, v14
	v_mad_u32_u24 v5, v5, 6, v7
	v_mad_u32_u24 v6, v6, 6, v9
	; wave barrier
	s_wait_loadcnt_dscnt 0x0
	global_inv scope:SCOPE_SE
	ds_load_b32 v13, v19
	; wave barrier
	s_wait_loadcnt_dscnt 0x0
	global_inv scope:SCOPE_SE
	ds_store_b64 v5, v[1:2]
	ds_store_b64 v6, v[3:4]
	; wave barrier
	s_wait_loadcnt_dscnt 0x0
	global_inv scope:SCOPE_SE
	ds_load_b128 v[1:4], v18
	; wave barrier
	s_wait_loadcnt_dscnt 0x0
	global_inv scope:SCOPE_SE
	s_and_saveexec_b32 s16, s7
	s_cbranch_execz .LBB174_82
; %bb.74:
	v_cmp_gt_u32_e32 vcc_lo, 0x70, v0
	ds_store_b32 v21, v8
	s_and_b32 exec_lo, exec_lo, vcc_lo
	s_cbranch_execz .LBB174_82
; %bb.75:
	v_mov_b32_e32 v5, 0
	v_cmp_gt_u32_e32 vcc_lo, 0x60, v0
	ds_store_b32 v21, v5 offset:64
	s_and_b32 exec_lo, exec_lo, vcc_lo
	s_cbranch_execz .LBB174_82
; %bb.76:
	v_cmp_gt_u32_e32 vcc_lo, 0x50, v0
	ds_store_b32 v21, v5 offset:128
	s_and_b32 exec_lo, exec_lo, vcc_lo
	s_cbranch_execz .LBB174_82
; %bb.77:
	v_mov_b32_e32 v5, 0
	v_cmp_gt_u32_e32 vcc_lo, 64, v0
	ds_store_b32 v21, v5 offset:192
	s_and_b32 exec_lo, exec_lo, vcc_lo
	s_cbranch_execz .LBB174_82
; %bb.78:
	v_cmp_gt_u32_e32 vcc_lo, 48, v0
	ds_store_b32 v21, v5 offset:256
	;; [unrolled: 11-line block ×3, first 2 shown]
	s_and_b32 exec_lo, exec_lo, vcc_lo
; %bb.81:
	v_mov_b32_e32 v5, 0
	ds_store_b32 v21, v5 offset:448
.LBB174_82:
	s_wait_alu 0xfffe
	s_or_b32 exec_lo, exec_lo, s16
	v_lshrrev_b16 v5, 4, v13
	s_min_u32 s16, s13, 12
	s_wait_alu 0xfffe
	s_lshl_b32 s16, -1, s16
	s_wait_alu 0xfffe
	s_not_b32 s16, s16
	v_and_b32_e32 v5, 0xffff, v5
	s_wait_alu 0xfffe
	s_delay_alu instid0(VALU_DEP_1) | instskip(NEXT) | instid1(VALU_DEP_1)
	v_and_b32_e32 v5, s16, v5
	v_lshlrev_b32_e32 v6, 4, v5
	v_lshrrev_b32_e32 v5, 2, v5
	s_delay_alu instid0(VALU_DEP_2) | instskip(NEXT) | instid1(VALU_DEP_2)
	v_and_or_b32 v6, 0x70, v6, v0
	v_and_b32_e32 v5, 0x3fe, v5
	s_delay_alu instid0(VALU_DEP_1) | instskip(SKIP_3) | instid1(VALU_DEP_1)
	v_lshl_add_u32 v15, v6, 2, v5
	v_lshrrev_b32_e32 v5, 20, v13
	ds_load_u16 v14, v15
	v_and_b32_e32 v5, s16, v5
	v_lshlrev_b32_e32 v6, 4, v5
	v_lshrrev_b32_e32 v5, 2, v5
	s_delay_alu instid0(VALU_DEP_2) | instskip(NEXT) | instid1(VALU_DEP_2)
	v_and_or_b32 v6, 0x70, v6, v0
	v_and_b32_e32 v5, 0x3fe, v5
	s_delay_alu instid0(VALU_DEP_1)
	v_lshl_add_u32 v16, v6, 2, v5
	s_wait_dscnt 0x0
	v_add_nc_u16 v7, v14, 1
	ds_store_b16 v15, v7
	ds_load_u16 v27, v16
	s_wait_dscnt 0x0
	v_add_nc_u16 v5, v27, 1
	ds_store_b16 v16, v5
	; wave barrier
	s_wait_loadcnt_dscnt 0x0
	global_inv scope:SCOPE_SE
	ds_load_b128 v[9:12], v25
	ds_load_b128 v[5:8], v25 offset:16
	s_wait_dscnt 0x1
	v_add_nc_u32_e32 v28, v10, v9
	s_delay_alu instid0(VALU_DEP_1) | instskip(SKIP_1) | instid1(VALU_DEP_1)
	v_add3_u32 v28, v28, v11, v12
	s_wait_dscnt 0x0
	v_add3_u32 v28, v28, v5, v6
	s_delay_alu instid0(VALU_DEP_1) | instskip(NEXT) | instid1(VALU_DEP_1)
	v_add3_u32 v8, v28, v7, v8
	v_mov_b32_dpp v28, v8 row_shr:1 row_mask:0xf bank_mask:0xf
	s_delay_alu instid0(VALU_DEP_1) | instskip(NEXT) | instid1(VALU_DEP_1)
	v_cndmask_b32_e64 v28, v28, 0, s5
	v_add_nc_u32_e32 v8, v28, v8
	s_delay_alu instid0(VALU_DEP_1) | instskip(NEXT) | instid1(VALU_DEP_1)
	v_mov_b32_dpp v28, v8 row_shr:2 row_mask:0xf bank_mask:0xf
	v_cndmask_b32_e64 v28, 0, v28, s3
	s_delay_alu instid0(VALU_DEP_1) | instskip(NEXT) | instid1(VALU_DEP_1)
	v_add_nc_u32_e32 v8, v8, v28
	v_mov_b32_dpp v28, v8 row_shr:4 row_mask:0xf bank_mask:0xf
	s_delay_alu instid0(VALU_DEP_1) | instskip(NEXT) | instid1(VALU_DEP_1)
	v_cndmask_b32_e64 v28, 0, v28, s6
	v_add_nc_u32_e32 v8, v8, v28
	s_delay_alu instid0(VALU_DEP_1) | instskip(NEXT) | instid1(VALU_DEP_1)
	v_mov_b32_dpp v28, v8 row_shr:8 row_mask:0xf bank_mask:0xf
	v_cndmask_b32_e64 v29, 0, v28, s4
	v_lshrrev_b32_e32 v28, 16, v13
	s_delay_alu instid0(VALU_DEP_2)
	v_add_nc_u32_e32 v8, v8, v29
	s_and_saveexec_b32 s16, s1
; %bb.83:
	v_mov_b32_e32 v29, 0
	ds_store_b32 v29, v8 offset:512
; %bb.84:
	s_wait_alu 0xfffe
	s_or_b32 exec_lo, exec_lo, s16
	ds_bpermute_b32 v29, v26, v8
	v_mov_b32_e32 v8, 0
	; wave barrier
	s_wait_loadcnt_dscnt 0x0
	global_inv scope:SCOPE_SE
	ds_load_b32 v30, v8 offset:512
	v_cndmask_b32_e64 v29, v29, 0, s11
	s_wait_dscnt 0x0
	s_delay_alu instid0(VALU_DEP_1) | instskip(NEXT) | instid1(VALU_DEP_1)
	v_lshl_add_u32 v29, v30, 16, v29
	v_add_nc_u32_e32 v30, v29, v9
	s_delay_alu instid0(VALU_DEP_1) | instskip(NEXT) | instid1(VALU_DEP_1)
	v_add_nc_u32_e32 v31, v30, v10
	v_add_nc_u32_e32 v32, v31, v11
	s_delay_alu instid0(VALU_DEP_1) | instskip(NEXT) | instid1(VALU_DEP_1)
	v_add_nc_u32_e32 v9, v32, v12
	;; [unrolled: 3-line block ×3, first 2 shown]
	v_add_nc_u32_e32 v12, v11, v7
	v_and_b32_e32 v7, 0xffff, v14
	ds_store_b128 v25, v[29:32]
	ds_store_b128 v25, v[9:12] offset:16
	; wave barrier
	s_wait_loadcnt_dscnt 0x0
	global_inv scope:SCOPE_SE
	ds_load_u16 v5, v15
	ds_load_u16 v6, v16
	v_and_b32_e32 v9, 0xffff, v27
	; wave barrier
	s_wait_loadcnt_dscnt 0x0
	global_inv scope:SCOPE_SE
	v_add_nc_u32_e32 v5, v5, v7
	v_add_nc_u32_e32 v6, v6, v9
	s_delay_alu instid0(VALU_DEP_2) | instskip(NEXT) | instid1(VALU_DEP_2)
	v_lshlrev_b32_e32 v7, 1, v5
	v_lshlrev_b32_e32 v9, 1, v6
	ds_store_b16 v7, v13
	ds_store_b16 v9, v28
	v_mad_u32_u24 v5, v5, 6, v7
	v_mad_u32_u24 v6, v6, 6, v9
	; wave barrier
	s_wait_loadcnt_dscnt 0x0
	global_inv scope:SCOPE_SE
	ds_load_b32 v13, v19
	; wave barrier
	s_wait_loadcnt_dscnt 0x0
	global_inv scope:SCOPE_SE
	ds_store_b64 v5, v[1:2]
	ds_store_b64 v6, v[3:4]
	; wave barrier
	s_wait_loadcnt_dscnt 0x0
	global_inv scope:SCOPE_SE
	ds_load_b128 v[1:4], v18
	; wave barrier
	s_wait_loadcnt_dscnt 0x0
	global_inv scope:SCOPE_SE
	s_and_saveexec_b32 s16, s7
	s_cbranch_execz .LBB174_93
; %bb.85:
	v_cmp_gt_u32_e32 vcc_lo, 0x70, v0
	ds_store_b32 v21, v8
	s_and_b32 exec_lo, exec_lo, vcc_lo
	s_cbranch_execz .LBB174_93
; %bb.86:
	v_mov_b32_e32 v5, 0
	v_cmp_gt_u32_e32 vcc_lo, 0x60, v0
	ds_store_b32 v21, v5 offset:64
	s_and_b32 exec_lo, exec_lo, vcc_lo
	s_cbranch_execz .LBB174_93
; %bb.87:
	v_cmp_gt_u32_e32 vcc_lo, 0x50, v0
	ds_store_b32 v21, v5 offset:128
	s_and_b32 exec_lo, exec_lo, vcc_lo
	s_cbranch_execz .LBB174_93
; %bb.88:
	v_mov_b32_e32 v5, 0
	v_cmp_gt_u32_e32 vcc_lo, 64, v0
	ds_store_b32 v21, v5 offset:192
	s_and_b32 exec_lo, exec_lo, vcc_lo
	s_cbranch_execz .LBB174_93
; %bb.89:
	v_cmp_gt_u32_e32 vcc_lo, 48, v0
	ds_store_b32 v21, v5 offset:256
	;; [unrolled: 11-line block ×3, first 2 shown]
	s_and_b32 exec_lo, exec_lo, vcc_lo
; %bb.92:
	v_mov_b32_e32 v5, 0
	ds_store_b32 v21, v5 offset:448
.LBB174_93:
	s_wait_alu 0xfffe
	s_or_b32 exec_lo, exec_lo, s16
	v_lshrrev_b16 v5, 8, v13
	s_min_u32 s16, s13, 8
	s_wait_alu 0xfffe
	s_lshl_b32 s16, -1, s16
	s_wait_alu 0xfffe
	s_not_b32 s16, s16
	v_and_b32_e32 v5, 0xffff, v5
	s_wait_alu 0xfffe
	s_delay_alu instid0(VALU_DEP_1) | instskip(NEXT) | instid1(VALU_DEP_1)
	v_and_b32_e32 v5, s16, v5
	v_lshlrev_b32_e32 v6, 4, v5
	v_lshrrev_b32_e32 v5, 2, v5
	s_delay_alu instid0(VALU_DEP_2) | instskip(NEXT) | instid1(VALU_DEP_2)
	v_and_or_b32 v6, 0x70, v6, v0
	v_and_b32_e32 v5, 62, v5
	s_delay_alu instid0(VALU_DEP_1) | instskip(SKIP_3) | instid1(VALU_DEP_1)
	v_lshl_add_u32 v15, v6, 2, v5
	v_lshrrev_b32_e32 v5, 24, v13
	ds_load_u16 v14, v15
	v_and_b32_e32 v5, s16, v5
	v_lshlrev_b32_e32 v6, 4, v5
	v_lshrrev_b32_e32 v5, 2, v5
	s_delay_alu instid0(VALU_DEP_2) | instskip(NEXT) | instid1(VALU_DEP_2)
	v_and_or_b32 v6, 0x70, v6, v0
	v_and_b32_e32 v5, 62, v5
	s_delay_alu instid0(VALU_DEP_1)
	v_lshl_add_u32 v16, v6, 2, v5
	s_wait_dscnt 0x0
	v_add_nc_u16 v7, v14, 1
	ds_store_b16 v15, v7
	ds_load_u16 v27, v16
	s_wait_dscnt 0x0
	v_add_nc_u16 v5, v27, 1
	ds_store_b16 v16, v5
	; wave barrier
	s_wait_loadcnt_dscnt 0x0
	global_inv scope:SCOPE_SE
	ds_load_b128 v[9:12], v25
	ds_load_b128 v[5:8], v25 offset:16
	s_wait_dscnt 0x1
	v_add_nc_u32_e32 v28, v10, v9
	s_delay_alu instid0(VALU_DEP_1) | instskip(SKIP_1) | instid1(VALU_DEP_1)
	v_add3_u32 v28, v28, v11, v12
	s_wait_dscnt 0x0
	v_add3_u32 v28, v28, v5, v6
	s_delay_alu instid0(VALU_DEP_1) | instskip(NEXT) | instid1(VALU_DEP_1)
	v_add3_u32 v8, v28, v7, v8
	v_mov_b32_dpp v28, v8 row_shr:1 row_mask:0xf bank_mask:0xf
	s_delay_alu instid0(VALU_DEP_1) | instskip(NEXT) | instid1(VALU_DEP_1)
	v_cndmask_b32_e64 v28, v28, 0, s5
	v_add_nc_u32_e32 v8, v28, v8
	s_delay_alu instid0(VALU_DEP_1) | instskip(NEXT) | instid1(VALU_DEP_1)
	v_mov_b32_dpp v28, v8 row_shr:2 row_mask:0xf bank_mask:0xf
	v_cndmask_b32_e64 v28, 0, v28, s3
	s_delay_alu instid0(VALU_DEP_1) | instskip(NEXT) | instid1(VALU_DEP_1)
	v_add_nc_u32_e32 v8, v8, v28
	v_mov_b32_dpp v28, v8 row_shr:4 row_mask:0xf bank_mask:0xf
	s_delay_alu instid0(VALU_DEP_1) | instskip(NEXT) | instid1(VALU_DEP_1)
	v_cndmask_b32_e64 v28, 0, v28, s6
	v_add_nc_u32_e32 v8, v8, v28
	s_delay_alu instid0(VALU_DEP_1) | instskip(NEXT) | instid1(VALU_DEP_1)
	v_mov_b32_dpp v28, v8 row_shr:8 row_mask:0xf bank_mask:0xf
	v_cndmask_b32_e64 v29, 0, v28, s4
	v_lshrrev_b32_e32 v28, 16, v13
	s_delay_alu instid0(VALU_DEP_2)
	v_add_nc_u32_e32 v8, v8, v29
	s_and_saveexec_b32 s16, s1
; %bb.94:
	v_mov_b32_e32 v29, 0
	ds_store_b32 v29, v8 offset:512
; %bb.95:
	s_wait_alu 0xfffe
	s_or_b32 exec_lo, exec_lo, s16
	ds_bpermute_b32 v29, v26, v8
	v_mov_b32_e32 v8, 0
	; wave barrier
	s_wait_loadcnt_dscnt 0x0
	global_inv scope:SCOPE_SE
	ds_load_b32 v30, v8 offset:512
	v_cndmask_b32_e64 v29, v29, 0, s11
	s_wait_dscnt 0x0
	s_delay_alu instid0(VALU_DEP_1) | instskip(NEXT) | instid1(VALU_DEP_1)
	v_lshl_add_u32 v29, v30, 16, v29
	v_add_nc_u32_e32 v30, v29, v9
	s_delay_alu instid0(VALU_DEP_1) | instskip(NEXT) | instid1(VALU_DEP_1)
	v_add_nc_u32_e32 v31, v30, v10
	v_add_nc_u32_e32 v32, v31, v11
	s_delay_alu instid0(VALU_DEP_1) | instskip(NEXT) | instid1(VALU_DEP_1)
	v_add_nc_u32_e32 v9, v32, v12
	v_add_nc_u32_e32 v10, v9, v5
	s_delay_alu instid0(VALU_DEP_1) | instskip(NEXT) | instid1(VALU_DEP_1)
	v_add_nc_u32_e32 v11, v10, v6
	v_add_nc_u32_e32 v12, v11, v7
	v_and_b32_e32 v7, 0xffff, v14
	ds_store_b128 v25, v[29:32]
	ds_store_b128 v25, v[9:12] offset:16
	; wave barrier
	s_wait_loadcnt_dscnt 0x0
	global_inv scope:SCOPE_SE
	ds_load_u16 v5, v15
	ds_load_u16 v6, v16
	v_and_b32_e32 v9, 0xffff, v27
	; wave barrier
	s_wait_loadcnt_dscnt 0x0
	global_inv scope:SCOPE_SE
	v_add_nc_u32_e32 v5, v5, v7
	v_add_nc_u32_e32 v6, v6, v9
	s_delay_alu instid0(VALU_DEP_2) | instskip(NEXT) | instid1(VALU_DEP_2)
	v_lshlrev_b32_e32 v7, 1, v5
	v_lshlrev_b32_e32 v9, 1, v6
	ds_store_b16 v7, v13
	ds_store_b16 v9, v28
	v_mad_u32_u24 v5, v5, 6, v7
	v_mad_u32_u24 v6, v6, 6, v9
	; wave barrier
	s_wait_loadcnt_dscnt 0x0
	global_inv scope:SCOPE_SE
	ds_load_b32 v13, v19
	; wave barrier
	s_wait_loadcnt_dscnt 0x0
	global_inv scope:SCOPE_SE
	ds_store_b64 v5, v[1:2]
	ds_store_b64 v6, v[3:4]
	; wave barrier
	s_wait_loadcnt_dscnt 0x0
	global_inv scope:SCOPE_SE
	ds_load_b128 v[1:4], v18
	; wave barrier
	s_wait_loadcnt_dscnt 0x0
	global_inv scope:SCOPE_SE
	s_and_saveexec_b32 s16, s7
	s_cbranch_execz .LBB174_104
; %bb.96:
	v_cmp_gt_u32_e32 vcc_lo, 0x70, v0
	ds_store_b32 v21, v8
	s_and_b32 exec_lo, exec_lo, vcc_lo
	s_cbranch_execz .LBB174_104
; %bb.97:
	v_mov_b32_e32 v5, 0
	v_cmp_gt_u32_e32 vcc_lo, 0x60, v0
	ds_store_b32 v21, v5 offset:64
	s_and_b32 exec_lo, exec_lo, vcc_lo
	s_cbranch_execz .LBB174_104
; %bb.98:
	v_cmp_gt_u32_e32 vcc_lo, 0x50, v0
	ds_store_b32 v21, v5 offset:128
	s_and_b32 exec_lo, exec_lo, vcc_lo
	s_cbranch_execz .LBB174_104
; %bb.99:
	v_mov_b32_e32 v5, 0
	v_cmp_gt_u32_e32 vcc_lo, 64, v0
	ds_store_b32 v21, v5 offset:192
	s_and_b32 exec_lo, exec_lo, vcc_lo
	s_cbranch_execz .LBB174_104
; %bb.100:
	v_cmp_gt_u32_e32 vcc_lo, 48, v0
	ds_store_b32 v21, v5 offset:256
	;; [unrolled: 11-line block ×3, first 2 shown]
	s_and_b32 exec_lo, exec_lo, vcc_lo
; %bb.103:
	v_mov_b32_e32 v5, 0
	ds_store_b32 v21, v5 offset:448
.LBB174_104:
	s_wait_alu 0xfffe
	s_or_b32 exec_lo, exec_lo, s16
	v_lshrrev_b16 v5, 12, v13
	s_min_u32 s7, s13, 4
	s_wait_alu 0xfffe
	s_lshl_b32 s7, -1, s7
	s_wait_alu 0xfffe
	s_not_b32 s7, s7
	v_and_b32_e32 v5, 0xffff, v5
	s_wait_alu 0xfffe
	s_delay_alu instid0(VALU_DEP_1) | instskip(NEXT) | instid1(VALU_DEP_1)
	v_and_b32_e32 v5, s7, v5
	v_lshlrev_b32_e32 v6, 4, v5
	v_lshrrev_b32_e32 v5, 2, v5
	s_delay_alu instid0(VALU_DEP_2) | instskip(NEXT) | instid1(VALU_DEP_2)
	v_and_or_b32 v6, 0x70, v6, v0
	v_and_b32_e32 v5, 2, v5
	s_delay_alu instid0(VALU_DEP_1) | instskip(SKIP_3) | instid1(VALU_DEP_1)
	v_lshl_or_b32 v15, v6, 2, v5
	v_lshrrev_b32_e32 v5, 28, v13
	ds_load_u16 v14, v15
	v_and_b32_e32 v5, s7, v5
	v_lshlrev_b32_e32 v6, 4, v5
	v_lshrrev_b32_e32 v5, 2, v5
	s_delay_alu instid0(VALU_DEP_2) | instskip(NEXT) | instid1(VALU_DEP_2)
	v_and_or_b32 v0, 0x70, v6, v0
	v_and_b32_e32 v5, 2, v5
	s_delay_alu instid0(VALU_DEP_1)
	v_lshl_or_b32 v0, v0, 2, v5
	s_wait_dscnt 0x0
	v_add_nc_u16 v6, v14, 1
	ds_store_b16 v15, v6
	ds_load_u16 v16, v0
	s_wait_dscnt 0x0
	v_add_nc_u16 v5, v16, 1
	ds_store_b16 v0, v5
	; wave barrier
	s_wait_loadcnt_dscnt 0x0
	global_inv scope:SCOPE_SE
	ds_load_b128 v[9:12], v25
	ds_load_b128 v[5:8], v25 offset:16
	s_wait_dscnt 0x1
	v_add_nc_u32_e32 v27, v10, v9
	s_delay_alu instid0(VALU_DEP_1) | instskip(SKIP_1) | instid1(VALU_DEP_1)
	v_add3_u32 v27, v27, v11, v12
	s_wait_dscnt 0x0
	v_add3_u32 v27, v27, v5, v6
	s_delay_alu instid0(VALU_DEP_1) | instskip(NEXT) | instid1(VALU_DEP_1)
	v_add3_u32 v8, v27, v7, v8
	v_mov_b32_dpp v27, v8 row_shr:1 row_mask:0xf bank_mask:0xf
	s_delay_alu instid0(VALU_DEP_1) | instskip(NEXT) | instid1(VALU_DEP_1)
	v_cndmask_b32_e64 v27, v27, 0, s5
	v_add_nc_u32_e32 v8, v27, v8
	s_delay_alu instid0(VALU_DEP_1) | instskip(NEXT) | instid1(VALU_DEP_1)
	v_mov_b32_dpp v27, v8 row_shr:2 row_mask:0xf bank_mask:0xf
	v_cndmask_b32_e64 v27, 0, v27, s3
	s_delay_alu instid0(VALU_DEP_1) | instskip(NEXT) | instid1(VALU_DEP_1)
	v_add_nc_u32_e32 v8, v8, v27
	v_mov_b32_dpp v27, v8 row_shr:4 row_mask:0xf bank_mask:0xf
	s_delay_alu instid0(VALU_DEP_1) | instskip(NEXT) | instid1(VALU_DEP_1)
	v_cndmask_b32_e64 v27, 0, v27, s6
	v_add_nc_u32_e32 v27, v8, v27
	s_delay_alu instid0(VALU_DEP_1) | instskip(NEXT) | instid1(VALU_DEP_1)
	v_mov_b32_dpp v8, v27 row_shr:8 row_mask:0xf bank_mask:0xf
	v_cndmask_b32_e64 v28, 0, v8, s4
	v_lshrrev_b32_e32 v8, 16, v13
	s_delay_alu instid0(VALU_DEP_2)
	v_add_nc_u32_e32 v27, v27, v28
	s_and_saveexec_b32 s3, s1
; %bb.105:
	v_mov_b32_e32 v28, 0
	ds_store_b32 v28, v27 offset:512
; %bb.106:
	s_wait_alu 0xfffe
	s_or_b32 exec_lo, exec_lo, s3
	ds_bpermute_b32 v26, v26, v27
	v_mov_b32_e32 v27, 0
	; wave barrier
	s_wait_loadcnt_dscnt 0x0
	global_inv scope:SCOPE_SE
	ds_load_b32 v27, v27 offset:512
	v_cndmask_b32_e64 v26, v26, 0, s11
	s_wait_dscnt 0x0
	s_delay_alu instid0(VALU_DEP_1) | instskip(NEXT) | instid1(VALU_DEP_1)
	v_lshl_add_u32 v26, v27, 16, v26
	v_add_nc_u32_e32 v27, v26, v9
	s_delay_alu instid0(VALU_DEP_1) | instskip(NEXT) | instid1(VALU_DEP_1)
	v_add_nc_u32_e32 v28, v27, v10
	v_add_nc_u32_e32 v29, v28, v11
	s_delay_alu instid0(VALU_DEP_1) | instskip(NEXT) | instid1(VALU_DEP_1)
	v_add_nc_u32_e32 v9, v29, v12
	v_add_nc_u32_e32 v10, v9, v5
	s_delay_alu instid0(VALU_DEP_1) | instskip(SKIP_1) | instid1(VALU_DEP_2)
	v_add_nc_u32_e32 v11, v10, v6
	v_and_b32_e32 v6, 0xffff, v14
	v_add_nc_u32_e32 v12, v11, v7
	v_and_b32_e32 v7, 0xffff, v16
	ds_store_b128 v25, v[26:29]
	ds_store_b128 v25, v[9:12] offset:16
	; wave barrier
	s_wait_loadcnt_dscnt 0x0
	global_inv scope:SCOPE_SE
	ds_load_u16 v5, v15
	ds_load_u16 v0, v0
	; wave barrier
	s_wait_loadcnt_dscnt 0x0
	global_inv scope:SCOPE_SE
	v_add_nc_u32_e32 v5, v5, v6
	v_add_nc_u32_e32 v0, v0, v7
	s_delay_alu instid0(VALU_DEP_2) | instskip(NEXT) | instid1(VALU_DEP_2)
	v_lshlrev_b32_e32 v6, 1, v5
	v_lshlrev_b32_e32 v7, 1, v0
	ds_store_b16 v6, v13
	ds_store_b16 v7, v8
	v_mad_u32_u24 v5, v5, 6, v6
	v_mad_u32_u24 v0, v0, 6, v7
	; wave barrier
	s_wait_loadcnt_dscnt 0x0
	global_inv scope:SCOPE_SE
	ds_load_b32 v9, v19
	; wave barrier
	s_wait_loadcnt_dscnt 0x0
	global_inv scope:SCOPE_SE
	ds_store_b64 v5, v[1:2]
	ds_store_b64 v0, v[3:4]
	; wave barrier
	s_wait_loadcnt_dscnt 0x0
	global_inv scope:SCOPE_SE
	ds_load_b128 v[5:8], v18
	v_xor_b32_e32 v9, 0x7fff7fff, v9
.LBB174_107:
	; wave barrier
	s_wait_loadcnt_dscnt 0x0
	global_inv scope:SCOPE_SE
	ds_store_b32 v21, v9
	; wave barrier
	s_wait_loadcnt_dscnt 0x0
	global_inv scope:SCOPE_SE
	ds_load_u16 v2, v22 offset:32
	v_mov_b32_e32 v21, 0
	s_delay_alu instid0(VALU_DEP_1) | instskip(NEXT) | instid1(VALU_DEP_1)
	v_lshlrev_b64_e32 v[0:1], 1, v[20:21]
	v_add_co_u32 v0, vcc_lo, s14, v0
	s_wait_alu 0xfffd
	s_delay_alu instid0(VALU_DEP_2)
	v_add_co_ci_u32_e64 v1, null, s15, v1, vcc_lo
	s_and_saveexec_b32 s1, s2
	s_cbranch_execz .LBB174_109
; %bb.108:
	ds_load_u16 v3, v22
	s_wait_dscnt 0x0
	global_store_b16 v[0:1], v3, off
.LBB174_109:
	s_or_b32 exec_lo, exec_lo, s1
	s_and_saveexec_b32 s1, s0
	s_cbranch_execz .LBB174_111
; %bb.110:
	s_lshl_b32 s4, s10, 4
	s_mov_b32 s5, 0
	s_wait_alu 0xfffe
	s_lshl_b64 s[4:5], s[4:5], 1
	s_wait_alu 0xfffe
	v_add_co_u32 v0, vcc_lo, v0, s4
	s_wait_alu 0xfffd
	v_add_co_ci_u32_e64 v1, null, s5, v1, vcc_lo
	s_wait_dscnt 0x0
	global_store_b16 v[0:1], v2, off
.LBB174_111:
	s_or_b32 exec_lo, exec_lo, s1
	s_wait_storecnt 0x0
	; wave barrier
	s_wait_loadcnt_dscnt 0x0
	global_inv scope:SCOPE_SE
	ds_store_2addr_b64 v24, v[5:6], v[7:8] offset1:1
	; wave barrier
	s_wait_loadcnt_dscnt 0x0
	global_inv scope:SCOPE_SE
	ds_load_b64 v[0:1], v23 offset:128
	v_mov_b32_e32 v18, 0
	s_delay_alu instid0(VALU_DEP_1) | instskip(NEXT) | instid1(VALU_DEP_1)
	v_lshlrev_b64_e32 v[2:3], 3, v[17:18]
	v_add_co_u32 v2, vcc_lo, s8, v2
	s_wait_alu 0xfffd
	s_delay_alu instid0(VALU_DEP_2)
	v_add_co_ci_u32_e64 v3, null, s9, v3, vcc_lo
	s_and_saveexec_b32 s1, s2
	s_cbranch_execz .LBB174_113
; %bb.112:
	ds_load_b64 v[4:5], v23
	s_wait_dscnt 0x0
	global_store_b64 v[2:3], v[4:5], off
.LBB174_113:
	s_or_b32 exec_lo, exec_lo, s1
	s_and_saveexec_b32 s1, s0
	s_cbranch_execz .LBB174_115
; %bb.114:
	s_lshl_b32 s0, s12, 4
	s_mov_b32 s1, 0
	s_delay_alu instid0(SALU_CYCLE_1) | instskip(NEXT) | instid1(SALU_CYCLE_1)
	s_lshl_b64 s[0:1], s[0:1], 3
	v_add_co_u32 v2, vcc_lo, v2, s0
	s_wait_alu 0xfffd
	v_add_co_ci_u32_e64 v3, null, s1, v3, vcc_lo
	s_wait_dscnt 0x0
	global_store_b64 v[2:3], v[0:1], off
.LBB174_115:
	s_endpgm
	.section	.rodata,"a",@progbits
	.p2align	6, 0x0
	.amdhsa_kernel _ZN2at6native18radixSortKVInPlaceILin1ELin1ELi16ELi2EsljEEvNS_4cuda6detail10TensorInfoIT3_T5_EES6_S6_S6_NS4_IT4_S6_EES6_b
		.amdhsa_group_segment_fixed_size 528
		.amdhsa_private_segment_fixed_size 0
		.amdhsa_kernarg_size 712
		.amdhsa_user_sgpr_count 2
		.amdhsa_user_sgpr_dispatch_ptr 0
		.amdhsa_user_sgpr_queue_ptr 0
		.amdhsa_user_sgpr_kernarg_segment_ptr 1
		.amdhsa_user_sgpr_dispatch_id 0
		.amdhsa_user_sgpr_private_segment_size 0
		.amdhsa_wavefront_size32 1
		.amdhsa_uses_dynamic_stack 0
		.amdhsa_enable_private_segment 0
		.amdhsa_system_sgpr_workgroup_id_x 1
		.amdhsa_system_sgpr_workgroup_id_y 1
		.amdhsa_system_sgpr_workgroup_id_z 1
		.amdhsa_system_sgpr_workgroup_info 0
		.amdhsa_system_vgpr_workitem_id 0
		.amdhsa_next_free_vgpr 38
		.amdhsa_next_free_sgpr 18
		.amdhsa_reserve_vcc 1
		.amdhsa_float_round_mode_32 0
		.amdhsa_float_round_mode_16_64 0
		.amdhsa_float_denorm_mode_32 3
		.amdhsa_float_denorm_mode_16_64 3
		.amdhsa_fp16_overflow 0
		.amdhsa_workgroup_processor_mode 1
		.amdhsa_memory_ordered 1
		.amdhsa_forward_progress 1
		.amdhsa_inst_pref_size 72
		.amdhsa_round_robin_scheduling 0
		.amdhsa_exception_fp_ieee_invalid_op 0
		.amdhsa_exception_fp_denorm_src 0
		.amdhsa_exception_fp_ieee_div_zero 0
		.amdhsa_exception_fp_ieee_overflow 0
		.amdhsa_exception_fp_ieee_underflow 0
		.amdhsa_exception_fp_ieee_inexact 0
		.amdhsa_exception_int_div_zero 0
	.end_amdhsa_kernel
	.section	.text._ZN2at6native18radixSortKVInPlaceILin1ELin1ELi16ELi2EsljEEvNS_4cuda6detail10TensorInfoIT3_T5_EES6_S6_S6_NS4_IT4_S6_EES6_b,"axG",@progbits,_ZN2at6native18radixSortKVInPlaceILin1ELin1ELi16ELi2EsljEEvNS_4cuda6detail10TensorInfoIT3_T5_EES6_S6_S6_NS4_IT4_S6_EES6_b,comdat
.Lfunc_end174:
	.size	_ZN2at6native18radixSortKVInPlaceILin1ELin1ELi16ELi2EsljEEvNS_4cuda6detail10TensorInfoIT3_T5_EES6_S6_S6_NS4_IT4_S6_EES6_b, .Lfunc_end174-_ZN2at6native18radixSortKVInPlaceILin1ELin1ELi16ELi2EsljEEvNS_4cuda6detail10TensorInfoIT3_T5_EES6_S6_S6_NS4_IT4_S6_EES6_b
                                        ; -- End function
	.set _ZN2at6native18radixSortKVInPlaceILin1ELin1ELi16ELi2EsljEEvNS_4cuda6detail10TensorInfoIT3_T5_EES6_S6_S6_NS4_IT4_S6_EES6_b.num_vgpr, 38
	.set _ZN2at6native18radixSortKVInPlaceILin1ELin1ELi16ELi2EsljEEvNS_4cuda6detail10TensorInfoIT3_T5_EES6_S6_S6_NS4_IT4_S6_EES6_b.num_agpr, 0
	.set _ZN2at6native18radixSortKVInPlaceILin1ELin1ELi16ELi2EsljEEvNS_4cuda6detail10TensorInfoIT3_T5_EES6_S6_S6_NS4_IT4_S6_EES6_b.numbered_sgpr, 18
	.set _ZN2at6native18radixSortKVInPlaceILin1ELin1ELi16ELi2EsljEEvNS_4cuda6detail10TensorInfoIT3_T5_EES6_S6_S6_NS4_IT4_S6_EES6_b.num_named_barrier, 0
	.set _ZN2at6native18radixSortKVInPlaceILin1ELin1ELi16ELi2EsljEEvNS_4cuda6detail10TensorInfoIT3_T5_EES6_S6_S6_NS4_IT4_S6_EES6_b.private_seg_size, 0
	.set _ZN2at6native18radixSortKVInPlaceILin1ELin1ELi16ELi2EsljEEvNS_4cuda6detail10TensorInfoIT3_T5_EES6_S6_S6_NS4_IT4_S6_EES6_b.uses_vcc, 1
	.set _ZN2at6native18radixSortKVInPlaceILin1ELin1ELi16ELi2EsljEEvNS_4cuda6detail10TensorInfoIT3_T5_EES6_S6_S6_NS4_IT4_S6_EES6_b.uses_flat_scratch, 0
	.set _ZN2at6native18radixSortKVInPlaceILin1ELin1ELi16ELi2EsljEEvNS_4cuda6detail10TensorInfoIT3_T5_EES6_S6_S6_NS4_IT4_S6_EES6_b.has_dyn_sized_stack, 0
	.set _ZN2at6native18radixSortKVInPlaceILin1ELin1ELi16ELi2EsljEEvNS_4cuda6detail10TensorInfoIT3_T5_EES6_S6_S6_NS4_IT4_S6_EES6_b.has_recursion, 0
	.set _ZN2at6native18radixSortKVInPlaceILin1ELin1ELi16ELi2EsljEEvNS_4cuda6detail10TensorInfoIT3_T5_EES6_S6_S6_NS4_IT4_S6_EES6_b.has_indirect_call, 0
	.section	.AMDGPU.csdata,"",@progbits
; Kernel info:
; codeLenInByte = 9120
; TotalNumSgprs: 20
; NumVgprs: 38
; ScratchSize: 0
; MemoryBound: 0
; FloatMode: 240
; IeeeMode: 1
; LDSByteSize: 528 bytes/workgroup (compile time only)
; SGPRBlocks: 0
; VGPRBlocks: 4
; NumSGPRsForWavesPerEU: 20
; NumVGPRsForWavesPerEU: 38
; Occupancy: 16
; WaveLimiterHint : 1
; COMPUTE_PGM_RSRC2:SCRATCH_EN: 0
; COMPUTE_PGM_RSRC2:USER_SGPR: 2
; COMPUTE_PGM_RSRC2:TRAP_HANDLER: 0
; COMPUTE_PGM_RSRC2:TGID_X_EN: 1
; COMPUTE_PGM_RSRC2:TGID_Y_EN: 1
; COMPUTE_PGM_RSRC2:TGID_Z_EN: 1
; COMPUTE_PGM_RSRC2:TIDIG_COMP_CNT: 0
	.section	.text._ZN2at6native18radixSortKVInPlaceILin1ELin1ELi512ELi8EslmEEvNS_4cuda6detail10TensorInfoIT3_T5_EES6_S6_S6_NS4_IT4_S6_EES6_b,"axG",@progbits,_ZN2at6native18radixSortKVInPlaceILin1ELin1ELi512ELi8EslmEEvNS_4cuda6detail10TensorInfoIT3_T5_EES6_S6_S6_NS4_IT4_S6_EES6_b,comdat
	.protected	_ZN2at6native18radixSortKVInPlaceILin1ELin1ELi512ELi8EslmEEvNS_4cuda6detail10TensorInfoIT3_T5_EES6_S6_S6_NS4_IT4_S6_EES6_b ; -- Begin function _ZN2at6native18radixSortKVInPlaceILin1ELin1ELi512ELi8EslmEEvNS_4cuda6detail10TensorInfoIT3_T5_EES6_S6_S6_NS4_IT4_S6_EES6_b
	.globl	_ZN2at6native18radixSortKVInPlaceILin1ELin1ELi512ELi8EslmEEvNS_4cuda6detail10TensorInfoIT3_T5_EES6_S6_S6_NS4_IT4_S6_EES6_b
	.p2align	8
	.type	_ZN2at6native18radixSortKVInPlaceILin1ELin1ELi512ELi8EslmEEvNS_4cuda6detail10TensorInfoIT3_T5_EES6_S6_S6_NS4_IT4_S6_EES6_b,@function
_ZN2at6native18radixSortKVInPlaceILin1ELin1ELi512ELi8EslmEEvNS_4cuda6detail10TensorInfoIT3_T5_EES6_S6_S6_NS4_IT4_S6_EES6_b: ; @_ZN2at6native18radixSortKVInPlaceILin1ELin1ELi512ELi8EslmEEvNS_4cuda6detail10TensorInfoIT3_T5_EES6_S6_S6_NS4_IT4_S6_EES6_b
; %bb.0:
	s_clause 0x1
	s_load_b64 s[2:3], s[0:1], 0x368
	s_load_b128 s[8:11], s[0:1], 0x1a0
	s_lshr_b32 s4, ttmp7, 16
	s_and_b32 s5, ttmp7, 0xffff
	s_wait_kmcnt 0x0
	s_mul_i32 s3, s3, s4
	s_delay_alu instid0(SALU_CYCLE_1) | instskip(NEXT) | instid1(SALU_CYCLE_1)
	s_add_co_i32 s3, s3, s5
	s_mul_i32 s2, s3, s2
	s_mov_b32 s3, 0
	s_add_co_i32 s2, s2, ttmp9
	s_delay_alu instid0(SALU_CYCLE_1)
	v_cmp_le_u64_e64 s4, s[8:9], s[2:3]
	s_and_b32 vcc_lo, exec_lo, s4
	s_cbranch_vccnz .LBB175_160
; %bb.1:
	s_clause 0x1
	s_load_b32 s7, s[0:1], 0x198
	s_load_b64 s[24:25], s[0:1], 0x1b0
	s_mov_b64 s[8:9], 0
	s_mov_b64 s[4:5], s[2:3]
	s_wait_kmcnt 0x0
	s_cmp_lt_i32 s7, 2
	s_cbranch_scc1 .LBB175_9
; %bb.2:
	s_mov_b32 s6, 0
	s_add_co_i32 s4, s7, -1
	s_mov_b32 s5, s6
	s_add_co_i32 s11, s7, 1
	s_lshl_b64 s[4:5], s[4:5], 3
	s_mov_b64 s[14:15], s[2:3]
	s_add_nc_u64 s[4:5], s[0:1], s[4:5]
	s_delay_alu instid0(SALU_CYCLE_1)
	s_add_nc_u64 s[12:13], s[4:5], 8
.LBB175_3:                              ; =>This Inner Loop Header: Depth=1
	s_load_b64 s[16:17], s[12:13], 0x0
	s_wait_kmcnt 0x0
	s_or_b64 s[4:5], s[14:15], s[16:17]
	s_wait_alu 0xfffe
	s_mov_b32 s7, s5
                                        ; implicit-def: $sgpr4_sgpr5
	s_delay_alu instid0(SALU_CYCLE_1)
	s_cmp_lg_u64 s[6:7], 0
	s_mov_b32 s7, -1
	s_cbranch_scc0 .LBB175_5
; %bb.4:                                ;   in Loop: Header=BB175_3 Depth=1
	s_cvt_f32_u32 s4, s16
	s_cvt_f32_u32 s5, s17
	s_sub_nc_u64 s[18:19], 0, s[16:17]
	s_mov_b32 s21, s6
	s_mov_b32 s27, s6
	s_wait_alu 0xfffe
	s_fmamk_f32 s4, s5, 0x4f800000, s4
	s_wait_alu 0xfffe
	s_delay_alu instid0(SALU_CYCLE_2) | instskip(NEXT) | instid1(TRANS32_DEP_1)
	v_s_rcp_f32 s4, s4
	s_mul_f32 s4, s4, 0x5f7ffffc
	s_wait_alu 0xfffe
	s_delay_alu instid0(SALU_CYCLE_2) | instskip(SKIP_1) | instid1(SALU_CYCLE_2)
	s_mul_f32 s5, s4, 0x2f800000
	s_wait_alu 0xfffe
	s_trunc_f32 s5, s5
	s_wait_alu 0xfffe
	s_delay_alu instid0(SALU_CYCLE_2) | instskip(SKIP_2) | instid1(SALU_CYCLE_1)
	s_fmamk_f32 s4, s5, 0xcf800000, s4
	s_cvt_u32_f32 s5, s5
	s_wait_alu 0xfffe
	s_cvt_u32_f32 s4, s4
	s_wait_alu 0xfffe
	s_delay_alu instid0(SALU_CYCLE_2) | instskip(NEXT) | instid1(SALU_CYCLE_1)
	s_mul_u64 s[22:23], s[18:19], s[4:5]
	s_mul_hi_u32 s29, s4, s23
	s_mul_i32 s28, s4, s23
	s_mul_hi_u32 s20, s4, s22
	s_mul_i32 s26, s5, s22
	s_add_nc_u64 s[20:21], s[20:21], s[28:29]
	s_mul_hi_u32 s7, s5, s22
	s_mul_hi_u32 s30, s5, s23
	s_add_co_u32 s20, s20, s26
	s_add_co_ci_u32 s26, s21, s7
	s_mul_i32 s22, s5, s23
	s_add_co_ci_u32 s23, s30, 0
	s_delay_alu instid0(SALU_CYCLE_1) | instskip(SKIP_3) | instid1(SALU_CYCLE_1)
	s_add_nc_u64 s[20:21], s[26:27], s[22:23]
	s_mov_b32 s23, s6
	s_add_co_u32 s4, s4, s20
	s_cselect_b32 s7, -1, 0
	s_cmp_lg_u32 s7, 0
	s_add_co_ci_u32 s5, s5, s21
	s_mov_b32 s21, s6
	s_wait_alu 0xfffe
	s_mul_u64 s[18:19], s[18:19], s[4:5]
	s_delay_alu instid0(SALU_CYCLE_1)
	s_mul_hi_u32 s27, s4, s19
	s_mul_i32 s26, s4, s19
	s_mul_hi_u32 s20, s4, s18
	s_mul_i32 s22, s5, s18
	s_add_nc_u64 s[20:21], s[20:21], s[26:27]
	s_mul_hi_u32 s7, s5, s18
	s_mul_hi_u32 s28, s5, s19
	s_mul_i32 s18, s5, s19
	s_add_co_u32 s19, s20, s22
	s_add_co_ci_u32 s22, s21, s7
	s_add_co_ci_u32 s19, s28, 0
	s_mov_b32 s21, s6
	s_add_nc_u64 s[18:19], s[22:23], s[18:19]
	s_delay_alu instid0(SALU_CYCLE_1)
	s_add_co_u32 s4, s4, s18
	s_cselect_b32 s7, -1, 0
	s_wait_alu 0xfffe
	s_mul_hi_u32 s20, s14, s4
	s_cmp_lg_u32 s7, 0
	s_mul_hi_u32 s7, s15, s4
	s_add_co_ci_u32 s18, s5, s19
	s_mul_i32 s19, s15, s4
	s_mul_hi_u32 s5, s14, s18
	s_mul_i32 s4, s14, s18
	s_mul_hi_u32 s26, s15, s18
	s_wait_alu 0xfffe
	s_add_nc_u64 s[4:5], s[20:21], s[4:5]
	s_mul_i32 s18, s15, s18
	s_wait_alu 0xfffe
	s_add_co_u32 s4, s4, s19
	s_add_co_ci_u32 s22, s5, s7
	s_add_co_ci_u32 s19, s26, 0
	s_delay_alu instid0(SALU_CYCLE_1) | instskip(SKIP_2) | instid1(SALU_CYCLE_1)
	s_add_nc_u64 s[4:5], s[22:23], s[18:19]
	s_wait_alu 0xfffe
	s_mul_u64 s[18:19], s[16:17], s[4:5]
	s_sub_co_u32 s7, s14, s18
	s_cselect_b32 s18, -1, 0
	s_sub_co_i32 s20, s15, s19
	s_cmp_lg_u32 s18, 0
	s_sub_co_ci_u32 s20, s20, s17
	s_sub_co_u32 s21, s7, s16
	s_cselect_b32 s22, -1, 0
	s_delay_alu instid0(SALU_CYCLE_1) | instskip(SKIP_1) | instid1(SALU_CYCLE_1)
	s_cmp_lg_u32 s22, 0
	s_sub_co_ci_u32 s20, s20, 0
	s_cmp_ge_u32 s20, s17
	s_cselect_b32 s22, -1, 0
	s_cmp_ge_u32 s21, s16
	s_cselect_b32 s23, -1, 0
	s_cmp_eq_u32 s20, s17
	s_add_nc_u64 s[20:21], s[4:5], 1
	s_cselect_b32 s26, s23, s22
	s_add_nc_u64 s[22:23], s[4:5], 2
	s_cmp_lg_u32 s26, 0
	s_cselect_b32 s20, s22, s20
	s_cselect_b32 s21, s23, s21
	s_cmp_lg_u32 s18, 0
	s_sub_co_ci_u32 s18, s15, s19
	s_delay_alu instid0(SALU_CYCLE_1)
	s_cmp_ge_u32 s18, s17
	s_cselect_b32 s19, -1, 0
	s_cmp_ge_u32 s7, s16
	s_cselect_b32 s7, -1, 0
	s_cmp_eq_u32 s18, s17
	s_cselect_b32 s7, s7, s19
	s_delay_alu instid0(SALU_CYCLE_1)
	s_cmp_lg_u32 s7, 0
	s_mov_b32 s7, 0
	s_cselect_b32 s5, s21, s5
	s_cselect_b32 s4, s20, s4
.LBB175_5:                              ;   in Loop: Header=BB175_3 Depth=1
	s_and_not1_b32 vcc_lo, exec_lo, s7
	s_cbranch_vccnz .LBB175_7
; %bb.6:                                ;   in Loop: Header=BB175_3 Depth=1
	v_cvt_f32_u32_e32 v1, s16
	s_sub_co_i32 s5, 0, s16
	s_delay_alu instid0(VALU_DEP_1) | instskip(NEXT) | instid1(TRANS32_DEP_1)
	v_rcp_iflag_f32_e32 v1, v1
	v_mul_f32_e32 v1, 0x4f7ffffe, v1
	s_delay_alu instid0(VALU_DEP_1) | instskip(NEXT) | instid1(VALU_DEP_1)
	v_cvt_u32_f32_e32 v1, v1
	v_readfirstlane_b32 s4, v1
	s_wait_alu 0xfffe
	s_mul_i32 s5, s5, s4
	s_wait_alu 0xfffe
	s_mul_hi_u32 s5, s4, s5
	s_wait_alu 0xfffe
	s_add_co_i32 s4, s4, s5
	s_wait_alu 0xfffe
	s_mul_hi_u32 s4, s14, s4
	s_wait_alu 0xfffe
	s_mul_i32 s5, s4, s16
	s_add_co_i32 s7, s4, 1
	s_wait_alu 0xfffe
	s_sub_co_i32 s5, s14, s5
	s_wait_alu 0xfffe
	s_sub_co_i32 s18, s5, s16
	s_cmp_ge_u32 s5, s16
	s_cselect_b32 s4, s7, s4
	s_cselect_b32 s5, s18, s5
	s_wait_alu 0xfffe
	s_add_co_i32 s7, s4, 1
	s_cmp_ge_u32 s5, s16
	s_mov_b32 s5, s6
	s_cselect_b32 s4, s7, s4
.LBB175_7:                              ;   in Loop: Header=BB175_3 Depth=1
	s_load_b64 s[18:19], s[12:13], 0xc8
	s_mul_u64 s[16:17], s[4:5], s[16:17]
	s_add_co_i32 s11, s11, -1
	s_wait_alu 0xfffe
	s_sub_nc_u64 s[14:15], s[14:15], s[16:17]
	s_cmp_gt_u32 s11, 2
	s_add_nc_u64 s[12:13], s[12:13], -8
	s_wait_kmcnt 0x0
	s_mul_u64 s[14:15], s[18:19], s[14:15]
	s_delay_alu instid0(SALU_CYCLE_1)
	s_add_nc_u64 s[8:9], s[14:15], s[8:9]
	s_cbranch_scc0 .LBB175_9
; %bb.8:                                ;   in Loop: Header=BB175_3 Depth=1
	s_mov_b64 s[14:15], s[4:5]
	s_branch .LBB175_3
.LBB175_9:
	s_load_b32 s7, s[0:1], 0x350
	s_add_nc_u64 s[34:35], s[0:1], 0x368
	s_mov_b64 s[12:13], 0
	s_wait_kmcnt 0x0
	s_cmp_lt_i32 s7, 2
	s_cbranch_scc1 .LBB175_17
; %bb.10:
	s_mov_b32 s6, 0
	s_add_co_i32 s12, s7, -1
	s_mov_b32 s13, s6
	s_add_co_i32 s11, s7, 1
	s_lshl_b64 s[12:13], s[12:13], 3
	s_delay_alu instid0(SALU_CYCLE_1) | instskip(NEXT) | instid1(SALU_CYCLE_1)
	s_add_nc_u64 s[12:13], s[0:1], s[12:13]
	s_add_nc_u64 s[16:17], s[12:13], 0x1c0
	s_mov_b64 s[12:13], 0
.LBB175_11:                             ; =>This Inner Loop Header: Depth=1
	s_load_b64 s[18:19], s[16:17], 0x0
	s_wait_kmcnt 0x0
	s_or_b64 s[14:15], s[2:3], s[18:19]
	s_delay_alu instid0(SALU_CYCLE_1)
	s_mov_b32 s7, s15
                                        ; implicit-def: $sgpr14_sgpr15
	s_wait_alu 0xfffe
	s_cmp_lg_u64 s[6:7], 0
	s_mov_b32 s7, -1
	s_cbranch_scc0 .LBB175_13
; %bb.12:                               ;   in Loop: Header=BB175_11 Depth=1
	s_cvt_f32_u32 s7, s18
	s_cvt_f32_u32 s14, s19
	s_sub_nc_u64 s[20:21], 0, s[18:19]
	s_mov_b32 s23, s6
	s_mov_b32 s29, s6
	s_wait_alu 0xfffe
	s_fmamk_f32 s7, s14, 0x4f800000, s7
	s_wait_alu 0xfffe
	s_delay_alu instid0(SALU_CYCLE_2) | instskip(NEXT) | instid1(TRANS32_DEP_1)
	v_s_rcp_f32 s7, s7
	s_mul_f32 s7, s7, 0x5f7ffffc
	s_wait_alu 0xfffe
	s_delay_alu instid0(SALU_CYCLE_2) | instskip(NEXT) | instid1(SALU_CYCLE_3)
	s_mul_f32 s14, s7, 0x2f800000
	s_trunc_f32 s14, s14
	s_delay_alu instid0(SALU_CYCLE_3) | instskip(SKIP_2) | instid1(SALU_CYCLE_1)
	s_fmamk_f32 s7, s14, 0xcf800000, s7
	s_cvt_u32_f32 s15, s14
	s_wait_alu 0xfffe
	s_cvt_u32_f32 s14, s7
	s_delay_alu instid0(SALU_CYCLE_3) | instskip(NEXT) | instid1(SALU_CYCLE_1)
	s_mul_u64 s[26:27], s[20:21], s[14:15]
	s_mul_hi_u32 s31, s14, s27
	s_mul_i32 s30, s14, s27
	s_mul_hi_u32 s22, s14, s26
	s_mul_i32 s28, s15, s26
	s_add_nc_u64 s[22:23], s[22:23], s[30:31]
	s_mul_hi_u32 s7, s15, s26
	s_mul_hi_u32 s33, s15, s27
	s_add_co_u32 s22, s22, s28
	s_wait_alu 0xfffe
	s_add_co_ci_u32 s28, s23, s7
	s_mul_i32 s26, s15, s27
	s_add_co_ci_u32 s27, s33, 0
	s_delay_alu instid0(SALU_CYCLE_1)
	s_add_nc_u64 s[22:23], s[28:29], s[26:27]
	s_mov_b32 s27, s6
	s_add_co_u32 s14, s14, s22
	s_cselect_b32 s7, -1, 0
	s_wait_alu 0xfffe
	s_cmp_lg_u32 s7, 0
	s_add_co_ci_u32 s15, s15, s23
	s_mov_b32 s23, s6
	s_mul_u64 s[20:21], s[20:21], s[14:15]
	s_delay_alu instid0(SALU_CYCLE_1)
	s_mul_hi_u32 s29, s14, s21
	s_mul_i32 s28, s14, s21
	s_mul_hi_u32 s22, s14, s20
	s_mul_i32 s26, s15, s20
	s_add_nc_u64 s[22:23], s[22:23], s[28:29]
	s_mul_hi_u32 s7, s15, s20
	s_mul_hi_u32 s30, s15, s21
	s_mul_i32 s20, s15, s21
	s_add_co_u32 s21, s22, s26
	s_wait_alu 0xfffe
	s_add_co_ci_u32 s26, s23, s7
	s_add_co_ci_u32 s21, s30, 0
	s_mov_b32 s23, s6
	s_add_nc_u64 s[20:21], s[26:27], s[20:21]
	s_delay_alu instid0(SALU_CYCLE_1)
	s_add_co_u32 s7, s14, s20
	s_cselect_b32 s14, -1, 0
	s_wait_alu 0xfffe
	s_mul_hi_u32 s22, s2, s7
	s_cmp_lg_u32 s14, 0
	s_mul_hi_u32 s26, s3, s7
	s_add_co_ci_u32 s20, s15, s21
	s_mul_i32 s7, s3, s7
	s_mul_hi_u32 s15, s2, s20
	s_mul_i32 s14, s2, s20
	s_mul_hi_u32 s21, s3, s20
	s_add_nc_u64 s[14:15], s[22:23], s[14:15]
	s_mul_i32 s20, s3, s20
	s_wait_alu 0xfffe
	s_add_co_u32 s7, s14, s7
	s_add_co_ci_u32 s26, s15, s26
	s_add_co_ci_u32 s21, s21, 0
	s_delay_alu instid0(SALU_CYCLE_1) | instskip(NEXT) | instid1(SALU_CYCLE_1)
	s_add_nc_u64 s[14:15], s[26:27], s[20:21]
	s_mul_u64 s[20:21], s[18:19], s[14:15]
	s_delay_alu instid0(SALU_CYCLE_1)
	s_sub_co_u32 s7, s2, s20
	s_cselect_b32 s20, -1, 0
	s_sub_co_i32 s22, s3, s21
	s_cmp_lg_u32 s20, 0
	s_sub_co_ci_u32 s22, s22, s19
	s_wait_alu 0xfffe
	s_sub_co_u32 s23, s7, s18
	s_cselect_b32 s26, -1, 0
	s_delay_alu instid0(SALU_CYCLE_1) | instskip(SKIP_1) | instid1(SALU_CYCLE_1)
	s_cmp_lg_u32 s26, 0
	s_sub_co_ci_u32 s22, s22, 0
	s_cmp_ge_u32 s22, s19
	s_cselect_b32 s26, -1, 0
	s_cmp_ge_u32 s23, s18
	s_cselect_b32 s27, -1, 0
	s_cmp_eq_u32 s22, s19
	s_add_nc_u64 s[22:23], s[14:15], 1
	s_cselect_b32 s28, s27, s26
	s_add_nc_u64 s[26:27], s[14:15], 2
	s_cmp_lg_u32 s28, 0
	s_cselect_b32 s22, s26, s22
	s_cselect_b32 s23, s27, s23
	s_cmp_lg_u32 s20, 0
	s_sub_co_ci_u32 s20, s3, s21
	s_delay_alu instid0(SALU_CYCLE_1)
	s_cmp_ge_u32 s20, s19
	s_cselect_b32 s21, -1, 0
	s_cmp_ge_u32 s7, s18
	s_cselect_b32 s7, -1, 0
	s_cmp_eq_u32 s20, s19
	s_wait_alu 0xfffe
	s_cselect_b32 s7, s7, s21
	s_wait_alu 0xfffe
	s_cmp_lg_u32 s7, 0
	s_mov_b32 s7, 0
	s_cselect_b32 s15, s23, s15
	s_cselect_b32 s14, s22, s14
.LBB175_13:                             ;   in Loop: Header=BB175_11 Depth=1
	s_wait_alu 0xfffe
	s_and_not1_b32 vcc_lo, exec_lo, s7
	s_cbranch_vccnz .LBB175_15
; %bb.14:                               ;   in Loop: Header=BB175_11 Depth=1
	v_cvt_f32_u32_e32 v1, s18
	s_sub_co_i32 s14, 0, s18
	s_delay_alu instid0(VALU_DEP_1) | instskip(NEXT) | instid1(TRANS32_DEP_1)
	v_rcp_iflag_f32_e32 v1, v1
	v_mul_f32_e32 v1, 0x4f7ffffe, v1
	s_delay_alu instid0(VALU_DEP_1) | instskip(NEXT) | instid1(VALU_DEP_1)
	v_cvt_u32_f32_e32 v1, v1
	v_readfirstlane_b32 s7, v1
	s_mul_i32 s14, s14, s7
	s_delay_alu instid0(SALU_CYCLE_1) | instskip(NEXT) | instid1(SALU_CYCLE_1)
	s_mul_hi_u32 s14, s7, s14
	s_add_co_i32 s7, s7, s14
	s_wait_alu 0xfffe
	s_mul_hi_u32 s7, s2, s7
	s_wait_alu 0xfffe
	s_mul_i32 s14, s7, s18
	s_add_co_i32 s15, s7, 1
	s_sub_co_i32 s14, s2, s14
	s_delay_alu instid0(SALU_CYCLE_1)
	s_sub_co_i32 s20, s14, s18
	s_cmp_ge_u32 s14, s18
	s_cselect_b32 s7, s15, s7
	s_cselect_b32 s14, s20, s14
	s_wait_alu 0xfffe
	s_add_co_i32 s15, s7, 1
	s_cmp_ge_u32 s14, s18
	s_cselect_b32 s14, s15, s7
	s_mov_b32 s15, s6
.LBB175_15:                             ;   in Loop: Header=BB175_11 Depth=1
	s_load_b64 s[20:21], s[16:17], 0xc8
	s_mul_u64 s[18:19], s[14:15], s[18:19]
	s_add_co_i32 s11, s11, -1
	s_wait_alu 0xfffe
	s_sub_nc_u64 s[2:3], s[2:3], s[18:19]
	s_cmp_gt_u32 s11, 2
	s_add_nc_u64 s[16:17], s[16:17], -8
	s_wait_kmcnt 0x0
	s_wait_alu 0xfffe
	s_mul_u64 s[2:3], s[20:21], s[2:3]
	s_wait_alu 0xfffe
	s_add_nc_u64 s[12:13], s[2:3], s[12:13]
	s_cbranch_scc0 .LBB175_18
; %bb.16:                               ;   in Loop: Header=BB175_11 Depth=1
	s_mov_b64 s[2:3], s[14:15]
	s_branch .LBB175_11
.LBB175_17:
	s_mov_b64 s[14:15], s[2:3]
.LBB175_18:
	s_clause 0x2
	s_load_b64 s[2:3], s[0:1], 0xd0
	s_load_b32 s11, s[0:1], 0x360
	s_load_b64 s[16:17], s[0:1], 0x0
	s_wait_kmcnt 0x0
	s_mul_u64 s[6:7], s[2:3], s[4:5]
	s_bitcmp1_b32 s11, 0
	s_mov_b32 s2, 0x8000
	s_cselect_b32 s11, -1, 0
	s_delay_alu instid0(SALU_CYCLE_1)
	s_and_b32 s3, s11, exec_lo
	s_wait_alu 0xfffe
	s_cselect_b32 s3, s2, 0x7fff
	s_lshl_b64 s[18:19], s[6:7], 1
	s_wait_alu 0xfffe
	s_pack_ll_b32_b16 s4, s3, s3
	v_mov_b32_e32 v5, s3
	s_wait_alu 0xfffe
	s_mov_b32 s5, s4
	s_mov_b32 s6, s4
	;; [unrolled: 1-line block ×3, first 2 shown]
	v_and_b32_e32 v41, 0x3ff, v0
	s_wait_alu 0xfffe
	v_dual_mov_b32 v1, s4 :: v_dual_mov_b32 v4, s7
	v_dual_mov_b32 v2, s5 :: v_dual_mov_b32 v3, s6
	s_delay_alu instid0(VALU_DEP_3)
	v_cmp_gt_u32_e64 s2, s10, v41
	s_add_nc_u64 s[16:17], s[16:17], s[18:19]
	s_lshl_b64 s[6:7], s[8:9], 1
	s_wait_alu 0xfffe
	s_add_nc_u64 s[28:29], s[16:17], s[6:7]
	s_and_saveexec_b32 s3, s2
	s_cbranch_execz .LBB175_20
; %bb.19:
	v_mad_co_u64_u32 v[1:2], null, s24, v41, 0
	v_mov_b32_e32 v4, s4
	s_delay_alu instid0(VALU_DEP_2) | instskip(SKIP_1) | instid1(VALU_DEP_2)
	v_mad_co_u64_u32 v[2:3], null, s25, v41, v[2:3]
	v_mov_b32_e32 v3, s4
	v_lshlrev_b64_e32 v[1:2], 1, v[1:2]
	s_delay_alu instid0(VALU_DEP_1) | instskip(NEXT) | instid1(VALU_DEP_1)
	v_add_co_u32 v1, vcc_lo, s28, v1
	v_add_co_ci_u32_e64 v2, null, s29, v2, vcc_lo
	global_load_u16 v5, v[1:2], off
	v_mov_b32_e32 v2, s4
	s_wait_loadcnt 0x0
	v_bfi_b32 v1, 0xffff, v5, s4
.LBB175_20:
	s_wait_alu 0xfffe
	s_or_b32 exec_lo, exec_lo, s3
	v_add_nc_u32_e32 v17, 0x200, v41
	s_delay_alu instid0(VALU_DEP_1)
	v_cmp_gt_u32_e64 s3, s10, v17
	s_and_saveexec_b32 s4, s3
	s_cbranch_execz .LBB175_22
; %bb.21:
	v_mad_co_u64_u32 v[6:7], null, s24, v17, 0
	s_delay_alu instid0(VALU_DEP_1) | instskip(NEXT) | instid1(VALU_DEP_1)
	v_mad_co_u64_u32 v[7:8], null, s25, v17, v[7:8]
	v_lshlrev_b64_e32 v[6:7], 1, v[6:7]
	s_delay_alu instid0(VALU_DEP_1) | instskip(SKIP_1) | instid1(VALU_DEP_2)
	v_add_co_u32 v6, vcc_lo, s28, v6
	s_wait_alu 0xfffd
	v_add_co_ci_u32_e64 v7, null, s29, v7, vcc_lo
	global_load_d16_hi_b16 v1, v[6:7], off
.LBB175_22:
	s_wait_alu 0xfffe
	s_or_b32 exec_lo, exec_lo, s4
	v_or_b32_e32 v18, 0x400, v41
	s_delay_alu instid0(VALU_DEP_1)
	v_cmp_gt_u32_e64 s4, s10, v18
	s_and_saveexec_b32 s5, s4
	s_cbranch_execz .LBB175_24
; %bb.23:
	v_mad_co_u64_u32 v[6:7], null, s24, v18, 0
	s_delay_alu instid0(VALU_DEP_1) | instskip(NEXT) | instid1(VALU_DEP_1)
	v_mad_co_u64_u32 v[7:8], null, s25, v18, v[7:8]
	v_lshlrev_b64_e32 v[6:7], 1, v[6:7]
	s_delay_alu instid0(VALU_DEP_1) | instskip(SKIP_1) | instid1(VALU_DEP_2)
	v_add_co_u32 v6, vcc_lo, s28, v6
	s_wait_alu 0xfffd
	v_add_co_ci_u32_e64 v7, null, s29, v7, vcc_lo
	global_load_d16_b16 v2, v[6:7], off
.LBB175_24:
	s_wait_alu 0xfffe
	s_or_b32 exec_lo, exec_lo, s5
	v_add_nc_u32_e32 v19, 0x600, v41
	s_delay_alu instid0(VALU_DEP_1)
	v_cmp_gt_u32_e64 s5, s10, v19
	s_and_saveexec_b32 s6, s5
	s_cbranch_execz .LBB175_26
; %bb.25:
	v_mad_co_u64_u32 v[6:7], null, s24, v19, 0
	s_delay_alu instid0(VALU_DEP_1) | instskip(NEXT) | instid1(VALU_DEP_1)
	v_mad_co_u64_u32 v[7:8], null, s25, v19, v[7:8]
	v_lshlrev_b64_e32 v[6:7], 1, v[6:7]
	s_delay_alu instid0(VALU_DEP_1) | instskip(SKIP_1) | instid1(VALU_DEP_2)
	v_add_co_u32 v6, vcc_lo, s28, v6
	s_wait_alu 0xfffd
	v_add_co_ci_u32_e64 v7, null, s29, v7, vcc_lo
	s_wait_loadcnt 0x0
	global_load_d16_hi_b16 v2, v[6:7], off
.LBB175_26:
	s_wait_alu 0xfffe
	s_or_b32 exec_lo, exec_lo, s6
	v_or_b32_e32 v20, 0x800, v41
	s_delay_alu instid0(VALU_DEP_1)
	v_cmp_gt_u32_e64 s6, s10, v20
	s_and_saveexec_b32 s7, s6
	s_cbranch_execz .LBB175_28
; %bb.27:
	v_mad_co_u64_u32 v[6:7], null, s24, v20, 0
	s_delay_alu instid0(VALU_DEP_1) | instskip(NEXT) | instid1(VALU_DEP_1)
	v_mad_co_u64_u32 v[7:8], null, s25, v20, v[7:8]
	v_lshlrev_b64_e32 v[6:7], 1, v[6:7]
	s_delay_alu instid0(VALU_DEP_1) | instskip(SKIP_1) | instid1(VALU_DEP_2)
	v_add_co_u32 v6, vcc_lo, s28, v6
	s_wait_alu 0xfffd
	v_add_co_ci_u32_e64 v7, null, s29, v7, vcc_lo
	global_load_d16_b16 v3, v[6:7], off
.LBB175_28:
	s_wait_alu 0xfffe
	s_or_b32 exec_lo, exec_lo, s7
	v_add_nc_u32_e32 v21, 0xa00, v41
	s_delay_alu instid0(VALU_DEP_1)
	v_cmp_gt_u32_e64 s7, s10, v21
	s_and_saveexec_b32 s8, s7
	s_cbranch_execz .LBB175_30
; %bb.29:
	v_mad_co_u64_u32 v[6:7], null, s24, v21, 0
	s_delay_alu instid0(VALU_DEP_1) | instskip(NEXT) | instid1(VALU_DEP_1)
	v_mad_co_u64_u32 v[7:8], null, s25, v21, v[7:8]
	v_lshlrev_b64_e32 v[6:7], 1, v[6:7]
	s_delay_alu instid0(VALU_DEP_1) | instskip(SKIP_1) | instid1(VALU_DEP_2)
	v_add_co_u32 v6, vcc_lo, s28, v6
	s_wait_alu 0xfffd
	v_add_co_ci_u32_e64 v7, null, s29, v7, vcc_lo
	s_wait_loadcnt 0x0
	global_load_d16_hi_b16 v3, v[6:7], off
.LBB175_30:
	s_wait_alu 0xfffe
	s_or_b32 exec_lo, exec_lo, s8
	v_or_b32_e32 v22, 0xc00, v41
	s_delay_alu instid0(VALU_DEP_1)
	v_cmp_gt_u32_e64 s8, s10, v22
	s_and_saveexec_b32 s9, s8
	s_cbranch_execz .LBB175_32
; %bb.31:
	v_mad_co_u64_u32 v[6:7], null, s24, v22, 0
	s_delay_alu instid0(VALU_DEP_1) | instskip(NEXT) | instid1(VALU_DEP_1)
	v_mad_co_u64_u32 v[7:8], null, s25, v22, v[7:8]
	v_lshlrev_b64_e32 v[6:7], 1, v[6:7]
	s_delay_alu instid0(VALU_DEP_1) | instskip(SKIP_1) | instid1(VALU_DEP_2)
	v_add_co_u32 v6, vcc_lo, s28, v6
	s_wait_alu 0xfffd
	v_add_co_ci_u32_e64 v7, null, s29, v7, vcc_lo
	global_load_d16_b16 v4, v[6:7], off
.LBB175_32:
	s_wait_alu 0xfffe
	s_or_b32 exec_lo, exec_lo, s9
	s_clause 0x1
	s_load_b64 s[18:19], s[0:1], 0x288
	s_load_b64 s[16:17], s[0:1], 0x1b8
	v_add_nc_u32_e32 v23, 0xe00, v41
	s_delay_alu instid0(VALU_DEP_1)
	v_cmp_gt_u32_e64 s9, s10, v23
	s_and_saveexec_b32 s10, s9
	s_cbranch_execz .LBB175_34
; %bb.33:
	v_mad_co_u64_u32 v[6:7], null, s24, v23, 0
	s_delay_alu instid0(VALU_DEP_1) | instskip(NEXT) | instid1(VALU_DEP_1)
	v_mad_co_u64_u32 v[7:8], null, s25, v23, v[7:8]
	v_lshlrev_b64_e32 v[6:7], 1, v[6:7]
	s_delay_alu instid0(VALU_DEP_1) | instskip(SKIP_1) | instid1(VALU_DEP_2)
	v_add_co_u32 v6, vcc_lo, s28, v6
	s_wait_alu 0xfffd
	v_add_co_ci_u32_e64 v7, null, s29, v7, vcc_lo
	s_wait_loadcnt 0x0
	global_load_d16_hi_b16 v4, v[6:7], off
.LBB175_34:
	s_wait_alu 0xfffe
	s_or_b32 exec_lo, exec_lo, s10
	v_lshrrev_b32_e32 v6, 4, v41
	v_lshrrev_b32_e32 v7, 4, v17
	;; [unrolled: 1-line block ×3, first 2 shown]
	v_lshlrev_b32_e32 v9, 1, v41
	v_lshrrev_b32_e32 v10, 4, v19
	v_and_b32_e32 v6, 60, v6
	v_and_b32_e32 v7, 0x7c, v7
	;; [unrolled: 1-line block ×3, first 2 shown]
	v_lshrrev_b32_e32 v11, 4, v23
	s_load_b64 s[26:27], s[0:1], 0x358
	v_add_nc_u32_e32 v46, v6, v9
	v_add_nc_u32_e32 v47, v7, v9
	;; [unrolled: 1-line block ×3, first 2 shown]
	v_and_b32_e32 v6, 0xfc, v10
	v_lshrrev_b32_e32 v7, 4, v20
	v_lshrrev_b32_e32 v8, 4, v21
	;; [unrolled: 1-line block ×3, first 2 shown]
	s_wait_kmcnt 0x0
	s_mul_u64 s[14:15], s[18:19], s[14:15]
	v_add_nc_u32_e32 v49, v6, v9
	v_and_b32_e32 v6, 0xbc, v7
	v_and_b32_e32 v7, 0xfc, v8
	;; [unrolled: 1-line block ×4, first 2 shown]
	v_lshrrev_b32_e32 v11, 1, v41
	v_add_nc_u32_e32 v50, v6, v9
	v_add_nc_u32_e32 v51, v7, v9
	;; [unrolled: 1-line block ×3, first 2 shown]
	s_lshl_b64 s[14:15], s[14:15], 3
	v_dual_mov_b32 v11, 0 :: v_dual_and_b32 v6, 0x1fc, v11
	v_dual_mov_b32 v12, 0 :: v_dual_add_nc_u32 v53, v10, v9
	ds_store_b16 v46, v5
	s_wait_loadcnt 0x0
	ds_store_b16_d16_hi v47, v1 offset:1024
	ds_store_b16 v48, v2 offset:2048
	ds_store_b16_d16_hi v49, v2 offset:3072
	ds_store_b16 v50, v3 offset:4096
	;; [unrolled: 2-line block ×3, first 2 shown]
	ds_store_b16_d16_hi v53, v4 offset:7168
	v_lshl_add_u32 v54, v41, 4, v6
	s_wait_dscnt 0x0
	s_barrier_signal -1
	s_barrier_wait -1
	global_inv scope:SCOPE_SE
	ds_load_2addr_b32 v[44:45], v54 offset1:1
	ds_load_2addr_b32 v[42:43], v54 offset0:2 offset1:3
	v_mov_b32_e32 v1, 0
	s_add_nc_u64 s[14:15], s[16:17], s[14:15]
	s_lshl_b64 s[12:13], s[12:13], 3
	s_wait_loadcnt_dscnt 0x0
	s_add_nc_u64 s[30:31], s[14:15], s[12:13]
	v_dual_mov_b32 v2, v1 :: v_dual_mov_b32 v13, v1
	v_dual_mov_b32 v14, v1 :: v_dual_mov_b32 v15, v1
	;; [unrolled: 1-line block ×6, first 2 shown]
	v_mov_b32_e32 v10, v1
	s_barrier_signal -1
	s_barrier_wait -1
	global_inv scope:SCOPE_SE
	s_and_saveexec_b32 s0, s2
	s_cbranch_execnz .LBB175_90
; %bb.35:
	s_or_b32 exec_lo, exec_lo, s0
	s_and_saveexec_b32 s0, s3
	s_cbranch_execnz .LBB175_91
.LBB175_36:
	s_or_b32 exec_lo, exec_lo, s0
	s_and_saveexec_b32 s0, s4
	s_cbranch_execnz .LBB175_92
.LBB175_37:
	s_or_b32 exec_lo, exec_lo, s0
	s_and_saveexec_b32 s0, s5
	s_cbranch_execnz .LBB175_93
.LBB175_38:
	s_or_b32 exec_lo, exec_lo, s0
	s_and_saveexec_b32 s0, s6
	s_cbranch_execnz .LBB175_94
.LBB175_39:
	s_or_b32 exec_lo, exec_lo, s0
	s_and_saveexec_b32 s0, s7
	s_cbranch_execnz .LBB175_95
.LBB175_40:
	s_or_b32 exec_lo, exec_lo, s0
	s_and_saveexec_b32 s0, s8
	s_cbranch_execz .LBB175_42
.LBB175_41:
	v_mad_co_u64_u32 v[7:8], null, s26, v22, 0
	s_delay_alu instid0(VALU_DEP_1) | instskip(NEXT) | instid1(VALU_DEP_1)
	v_mad_co_u64_u32 v[24:25], null, s27, v22, v[8:9]
	v_mov_b32_e32 v8, v24
	s_delay_alu instid0(VALU_DEP_1) | instskip(NEXT) | instid1(VALU_DEP_1)
	v_lshlrev_b64_e32 v[7:8], 3, v[7:8]
	v_add_co_u32 v7, vcc_lo, s30, v7
	s_wait_alu 0xfffd
	s_delay_alu instid0(VALU_DEP_2)
	v_add_co_ci_u32_e64 v8, null, s31, v8, vcc_lo
	global_load_b64 v[7:8], v[7:8], off
.LBB175_42:
	s_or_b32 exec_lo, exec_lo, s0
	v_lshrrev_b32_e32 v67, 5, v41
	v_lshrrev_b32_e32 v27, 5, v17
	;; [unrolled: 1-line block ×8, first 2 shown]
	v_lshlrev_b32_e32 v64, 3, v41
	v_lshrrev_b32_e32 v17, 2, v41
	s_xor_b32 s0, s11, -1
	s_and_saveexec_b32 s1, s9
	s_cbranch_execz .LBB175_44
; %bb.43:
	v_mad_co_u64_u32 v[9:10], null, s26, v23, 0
	s_wait_loadcnt 0x0
	s_delay_alu instid0(VALU_DEP_1) | instskip(NEXT) | instid1(VALU_DEP_1)
	v_mad_co_u64_u32 v[21:22], null, s27, v23, v[10:11]
	v_mov_b32_e32 v10, v21
	s_delay_alu instid0(VALU_DEP_1) | instskip(NEXT) | instid1(VALU_DEP_1)
	v_lshlrev_b64_e32 v[9:10], 3, v[9:10]
	v_add_co_u32 v9, vcc_lo, s30, v9
	s_wait_alu 0xfffd
	s_delay_alu instid0(VALU_DEP_2)
	v_add_co_ci_u32_e64 v10, null, s31, v10, vcc_lo
	global_load_b64 v[9:10], v[9:10], off
.LBB175_44:
	s_or_b32 exec_lo, exec_lo, s1
	v_lshl_add_u32 v55, v67, 3, v64
	v_lshl_add_u32 v56, v27, 3, v64
	v_lshl_add_u32 v57, v26, 3, v64
	v_lshl_add_u32 v58, v25, 3, v64
	v_lshl_add_u32 v59, v24, 3, v64
	s_wait_loadcnt 0x0
	ds_store_b64 v55, v[11:12]
	ds_store_b64 v56, v[1:2] offset:4096
	ds_store_b64 v57, v[13:14] offset:8192
	;; [unrolled: 1-line block ×3, first 2 shown]
	v_lshlrev_b32_e32 v1, 3, v64
	v_lshl_add_u32 v60, v20, 3, v64
	v_lshl_add_u32 v61, v19, 3, v64
	;; [unrolled: 1-line block ×3, first 2 shown]
	ds_store_b64 v59, v[3:4] offset:16384
	ds_store_b64 v60, v[5:6] offset:20480
	;; [unrolled: 1-line block ×4, first 2 shown]
	v_lshl_add_u32 v63, v17, 3, v1
	s_wait_dscnt 0x0
	s_barrier_signal -1
	s_barrier_wait -1
	global_inv scope:SCOPE_SE
	ds_load_2addr_b64 v[5:8], v63 offset1:1
	ds_load_2addr_b64 v[1:4], v63 offset0:2 offset1:3
	v_mbcnt_lo_u32_b32 v68, -1, 0
	v_and_b32_e32 v17, 0x1f00, v64
	ds_load_2addr_b64 v[13:16], v63 offset0:4 offset1:5
	ds_load_2addr_b64 v[9:12], v63 offset0:6 offset1:7
	v_and_b32_e32 v70, 0x3e0, v41
	v_bfe_u32 v71, v0, 10, 10
	v_bfe_u32 v72, v0, 20, 10
	v_or_b32_e32 v69, v68, v17
	v_lshlrev_b32_e32 v65, 2, v64
	v_or_b32_e32 v18, v68, v70
	s_mov_b32 s12, 0
	s_and_b32 vcc_lo, exec_lo, s0
	v_lshlrev_b32_e32 v66, 1, v69
	s_mov_b32 s0, -1
	v_lshlrev_b32_e32 v74, 3, v18
	v_lshlrev_b32_e32 v75, 4, v18
	s_wait_loadcnt_dscnt 0x0
	v_mad_u32_u24 v73, v69, 6, v66
	s_barrier_signal -1
	s_barrier_wait -1
	global_inv scope:SCOPE_SE
	s_wait_alu 0xfffe
	s_cbranch_vccz .LBB175_96
; %bb.45:
	v_xor_b32_e32 v17, 0x80008000, v44
	v_xor_b32_e32 v18, 0x80008000, v45
	;; [unrolled: 1-line block ×4, first 2 shown]
	s_getpc_b64 s[0:1]
	s_sext_i32_i16 s1, s1
	s_add_co_u32 s0, s0, _ZN7rocprim17ROCPRIM_400000_NS16block_radix_sortIsLj512ELj8ElLj1ELj1ELj0ELNS0_26block_radix_rank_algorithmE1ELNS0_18block_padding_hintE2ELNS0_4arch9wavefront6targetE0EE19radix_bits_per_passE@rel32@lo+8
	s_add_co_ci_u32 s1, s1, _ZN7rocprim17ROCPRIM_400000_NS16block_radix_sortIsLj512ELj8ElLj1ELj1ELj0ELNS0_26block_radix_rank_algorithmE1ELNS0_18block_padding_hintE2ELNS0_4arch9wavefront6targetE0EE19radix_bits_per_passE@rel32@hi+16
	s_mov_b32 s13, s12
	s_load_b32 s17, s[0:1], 0x0
	s_mov_b32 s14, s12
	ds_store_b128 v75, v[17:20]
	; wave barrier
	ds_load_u16 v76, v66
	s_mov_b32 s15, s12
	v_lshlrev_b32_e32 v0, 3, v74
	ds_load_u16 v77, v66 offset:64
	ds_load_u16 v78, v66 offset:128
	;; [unrolled: 1-line block ×7, first 2 shown]
	s_wait_loadcnt_dscnt 0x0
	s_barrier_signal -1
	s_barrier_wait -1
	global_inv scope:SCOPE_SE
	ds_store_b128 v0, v[5:8]
	ds_store_b128 v0, v[1:4] offset:16
	ds_store_b128 v0, v[13:16] offset:32
	;; [unrolled: 1-line block ×3, first 2 shown]
	; wave barrier
	s_wait_kmcnt 0x0
	s_min_u32 s0, s17, 16
	s_delay_alu instid0(SALU_CYCLE_1) | instskip(NEXT) | instid1(SALU_CYCLE_1)
	s_lshl_b32 s0, -1, s0
	s_not_b32 s1, s0
	v_and_b32_e32 v17, 0xffff, v76
	s_delay_alu instid0(VALU_DEP_1)
	v_and_b32_e32 v40, s1, v17
	ds_load_2addr_b64 v[21:24], v73 offset1:32
	ds_load_2addr_b64 v[17:20], v73 offset0:64 offset1:96
	ds_load_2addr_b64 v[29:32], v73 offset0:128 offset1:160
	ds_load_2addr_b64 v[25:28], v73 offset0:192 offset1:224
	s_wait_loadcnt_dscnt 0x0
	s_barrier_signal -1
	v_and_b32_e32 v0, 1, v40
	v_lshlrev_b32_e32 v33, 30, v40
	v_lshlrev_b32_e32 v36, 28, v40
	;; [unrolled: 1-line block ×3, first 2 shown]
	s_barrier_wait -1
	v_add_co_u32 v0, s0, v0, -1
	s_wait_alu 0xf1ff
	v_cndmask_b32_e64 v34, 0, 1, s0
	v_not_b32_e32 v35, v33
	v_cmp_gt_i32_e64 s0, 0, v33
	global_inv scope:SCOPE_SE
	v_cmp_ne_u32_e32 vcc_lo, 0, v34
	v_lshlrev_b32_e32 v34, 29, v40
	v_ashrrev_i32_e32 v33, 31, v35
	s_wait_alu 0xfffd
	v_xor_b32_e32 v0, vcc_lo, v0
	s_delay_alu instid0(VALU_DEP_3)
	v_not_b32_e32 v35, v34
	v_cmp_gt_i32_e32 vcc_lo, 0, v34
	s_wait_alu 0xf1ff
	v_xor_b32_e32 v33, s0, v33
	s_load_b32 s0, s[34:35], 0xc
	v_and_b32_e32 v0, exec_lo, v0
	v_ashrrev_i32_e32 v34, 31, v35
	v_not_b32_e32 v35, v36
	s_delay_alu instid0(VALU_DEP_3) | instskip(NEXT) | instid1(VALU_DEP_3)
	v_and_b32_e32 v0, v0, v33
	v_xor_b32_e32 v33, vcc_lo, v34
	v_cmp_gt_i32_e32 vcc_lo, 0, v36
	s_delay_alu instid0(VALU_DEP_4) | instskip(SKIP_1) | instid1(VALU_DEP_4)
	v_ashrrev_i32_e32 v34, 31, v35
	v_not_b32_e32 v35, v37
	v_and_b32_e32 v0, v0, v33
	v_lshlrev_b32_e32 v33, 26, v40
	s_wait_alu 0xfffd
	v_xor_b32_e32 v34, vcc_lo, v34
	v_cmp_gt_i32_e32 vcc_lo, 0, v37
	v_ashrrev_i32_e32 v35, 31, v35
	v_not_b32_e32 v36, v33
	s_delay_alu instid0(VALU_DEP_4)
	v_and_b32_e32 v0, v0, v34
	v_lshlrev_b32_e32 v34, 25, v40
	s_wait_alu 0xfffd
	v_xor_b32_e32 v35, vcc_lo, v35
	v_cmp_gt_i32_e32 vcc_lo, 0, v33
	v_ashrrev_i32_e32 v33, 31, v36
	s_wait_kmcnt 0x0
	s_lshr_b32 s10, s0, 16
	v_not_b32_e32 v36, v34
	v_and_b32_e32 v0, v0, v35
	v_lshlrev_b32_e32 v35, 24, v40
	s_wait_alu 0xfffd
	v_xor_b32_e32 v33, vcc_lo, v33
	v_cmp_gt_i32_e32 vcc_lo, 0, v34
	v_ashrrev_i32_e32 v34, 31, v36
	s_wait_alu 0xfffe
	v_mad_u32_u24 v37, v72, s10, v71
	v_not_b32_e32 v36, v35
	v_and_b32_e32 v0, v0, v33
	s_and_b32 s0, s0, 0xffff
	s_wait_alu 0xfffd
	v_xor_b32_e32 v33, vcc_lo, v34
	v_cmp_gt_i32_e32 vcc_lo, 0, v35
	v_ashrrev_i32_e32 v34, 31, v36
	s_wait_alu 0xfffe
	v_mad_co_u64_u32 v[38:39], null, v37, s0, v[41:42]
	v_and_b32_e32 v0, v0, v33
	s_wait_alu 0xfffd
	v_xor_b32_e32 v33, vcc_lo, v34
	v_dual_mov_b32 v37, s15 :: v_dual_mov_b32 v36, s14
	v_dual_mov_b32 v35, s13 :: v_dual_mov_b32 v34, s12
	s_delay_alu instid0(VALU_DEP_3)
	v_and_b32_e32 v33, v0, v33
	v_lshrrev_b32_e32 v0, 5, v38
	ds_store_b128 v65, v[34:37] offset:64
	ds_store_b128 v65, v[34:37] offset:80
	v_mbcnt_lo_u32_b32 v88, v33, 0
	v_lshlrev_b32_e32 v0, 2, v0
	v_lshlrev_b32_e32 v34, 6, v40
	v_cmp_ne_u32_e64 s0, 0, v33
	s_wait_loadcnt_dscnt 0x0
	v_cmp_eq_u32_e32 vcc_lo, 0, v88
	s_barrier_signal -1
	v_add_nc_u32_e32 v89, v0, v34
	s_barrier_wait -1
	global_inv scope:SCOPE_SE
	s_and_b32 s10, s0, vcc_lo
	; wave barrier
	s_wait_alu 0xfffe
	s_and_saveexec_b32 s0, s10
; %bb.46:
	v_bcnt_u32_b32 v33, v33, 0
	ds_store_b32 v89, v33 offset:64
; %bb.47:
	s_wait_alu 0xfffe
	s_or_b32 exec_lo, exec_lo, s0
	v_and_b32_e32 v33, 0xffff, v77
	; wave barrier
	s_delay_alu instid0(VALU_DEP_1) | instskip(NEXT) | instid1(VALU_DEP_1)
	v_and_b32_e32 v33, s1, v33
	v_and_b32_e32 v34, 1, v33
	v_lshlrev_b32_e32 v35, 30, v33
	v_lshlrev_b32_e32 v36, 29, v33
	;; [unrolled: 1-line block ×4, first 2 shown]
	v_add_co_u32 v34, s0, v34, -1
	s_wait_alu 0xf1ff
	v_cndmask_b32_e64 v38, 0, 1, s0
	v_not_b32_e32 v85, v35
	v_cmp_gt_i32_e64 s0, 0, v35
	v_not_b32_e32 v35, v36
	v_lshlrev_b32_e32 v40, 26, v33
	v_cmp_ne_u32_e32 vcc_lo, 0, v38
	v_ashrrev_i32_e32 v85, 31, v85
	v_lshlrev_b32_e32 v84, 25, v33
	v_ashrrev_i32_e32 v35, 31, v35
	v_lshlrev_b32_e32 v38, 24, v33
	s_wait_alu 0xfffd
	v_xor_b32_e32 v34, vcc_lo, v34
	v_cmp_gt_i32_e32 vcc_lo, 0, v36
	v_not_b32_e32 v36, v37
	s_wait_alu 0xf1ff
	v_xor_b32_e32 v85, s0, v85
	v_cmp_gt_i32_e64 s0, 0, v37
	v_and_b32_e32 v34, exec_lo, v34
	v_not_b32_e32 v37, v39
	v_ashrrev_i32_e32 v36, 31, v36
	s_wait_alu 0xfffd
	v_xor_b32_e32 v35, vcc_lo, v35
	v_cmp_gt_i32_e32 vcc_lo, 0, v39
	v_and_b32_e32 v34, v34, v85
	v_not_b32_e32 v39, v40
	v_ashrrev_i32_e32 v37, 31, v37
	s_wait_alu 0xf1ff
	v_xor_b32_e32 v36, s0, v36
	v_cmp_gt_i32_e64 s0, 0, v40
	v_and_b32_e32 v34, v34, v35
	v_not_b32_e32 v35, v84
	v_ashrrev_i32_e32 v39, 31, v39
	s_wait_alu 0xfffd
	v_xor_b32_e32 v37, vcc_lo, v37
	v_cmp_gt_i32_e32 vcc_lo, 0, v84
	v_and_b32_e32 v34, v34, v36
	v_not_b32_e32 v36, v38
	v_ashrrev_i32_e32 v35, 31, v35
	s_wait_alu 0xf1ff
	v_xor_b32_e32 v39, s0, v39
	v_lshlrev_b32_e32 v33, 6, v33
	v_and_b32_e32 v34, v34, v37
	v_cmp_gt_i32_e64 s0, 0, v38
	v_ashrrev_i32_e32 v36, 31, v36
	s_wait_alu 0xfffd
	v_xor_b32_e32 v35, vcc_lo, v35
	v_add_nc_u32_e32 v92, v0, v33
	v_and_b32_e32 v34, v34, v39
	s_wait_alu 0xf1ff
	v_xor_b32_e32 v33, s0, v36
	ds_load_b32 v90, v92 offset:64
	v_and_b32_e32 v34, v34, v35
	; wave barrier
	s_delay_alu instid0(VALU_DEP_1) | instskip(NEXT) | instid1(VALU_DEP_1)
	v_and_b32_e32 v33, v34, v33
	v_mbcnt_lo_u32_b32 v91, v33, 0
	v_cmp_ne_u32_e64 s0, 0, v33
	s_delay_alu instid0(VALU_DEP_2)
	v_cmp_eq_u32_e32 vcc_lo, 0, v91
	s_and_b32 s10, s0, vcc_lo
	s_wait_alu 0xfffe
	s_and_saveexec_b32 s0, s10
	s_cbranch_execz .LBB175_49
; %bb.48:
	s_wait_dscnt 0x0
	v_bcnt_u32_b32 v33, v33, v90
	ds_store_b32 v92, v33 offset:64
.LBB175_49:
	s_wait_alu 0xfffe
	s_or_b32 exec_lo, exec_lo, s0
	v_and_b32_e32 v33, 0xffff, v78
	; wave barrier
	s_delay_alu instid0(VALU_DEP_1) | instskip(NEXT) | instid1(VALU_DEP_1)
	v_and_b32_e32 v33, s1, v33
	v_and_b32_e32 v34, 1, v33
	v_lshlrev_b32_e32 v35, 30, v33
	v_lshlrev_b32_e32 v36, 29, v33
	;; [unrolled: 1-line block ×4, first 2 shown]
	v_add_co_u32 v34, s0, v34, -1
	s_wait_alu 0xf1ff
	v_cndmask_b32_e64 v38, 0, 1, s0
	v_not_b32_e32 v85, v35
	v_cmp_gt_i32_e64 s0, 0, v35
	v_not_b32_e32 v35, v36
	v_lshlrev_b32_e32 v40, 26, v33
	v_cmp_ne_u32_e32 vcc_lo, 0, v38
	v_ashrrev_i32_e32 v85, 31, v85
	v_lshlrev_b32_e32 v84, 25, v33
	v_ashrrev_i32_e32 v35, 31, v35
	v_lshlrev_b32_e32 v38, 24, v33
	s_wait_alu 0xfffd
	v_xor_b32_e32 v34, vcc_lo, v34
	v_cmp_gt_i32_e32 vcc_lo, 0, v36
	v_not_b32_e32 v36, v37
	s_wait_alu 0xf1ff
	v_xor_b32_e32 v85, s0, v85
	v_cmp_gt_i32_e64 s0, 0, v37
	v_and_b32_e32 v34, exec_lo, v34
	v_not_b32_e32 v37, v39
	v_ashrrev_i32_e32 v36, 31, v36
	s_wait_alu 0xfffd
	v_xor_b32_e32 v35, vcc_lo, v35
	v_cmp_gt_i32_e32 vcc_lo, 0, v39
	v_and_b32_e32 v34, v34, v85
	v_not_b32_e32 v39, v40
	v_ashrrev_i32_e32 v37, 31, v37
	s_wait_alu 0xf1ff
	v_xor_b32_e32 v36, s0, v36
	v_cmp_gt_i32_e64 s0, 0, v40
	v_and_b32_e32 v34, v34, v35
	v_not_b32_e32 v35, v84
	v_ashrrev_i32_e32 v39, 31, v39
	s_wait_alu 0xfffd
	v_xor_b32_e32 v37, vcc_lo, v37
	v_cmp_gt_i32_e32 vcc_lo, 0, v84
	v_and_b32_e32 v34, v34, v36
	v_not_b32_e32 v36, v38
	v_ashrrev_i32_e32 v35, 31, v35
	s_wait_alu 0xf1ff
	v_xor_b32_e32 v39, s0, v39
	v_lshlrev_b32_e32 v33, 6, v33
	v_and_b32_e32 v34, v34, v37
	v_cmp_gt_i32_e64 s0, 0, v38
	v_ashrrev_i32_e32 v36, 31, v36
	s_wait_alu 0xfffd
	v_xor_b32_e32 v35, vcc_lo, v35
	v_add_nc_u32_e32 v95, v0, v33
	v_and_b32_e32 v34, v34, v39
	s_wait_alu 0xf1ff
	v_xor_b32_e32 v33, s0, v36
	ds_load_b32 v93, v95 offset:64
	v_and_b32_e32 v34, v34, v35
	; wave barrier
	s_delay_alu instid0(VALU_DEP_1) | instskip(NEXT) | instid1(VALU_DEP_1)
	v_and_b32_e32 v33, v34, v33
	v_mbcnt_lo_u32_b32 v94, v33, 0
	v_cmp_ne_u32_e64 s0, 0, v33
	s_delay_alu instid0(VALU_DEP_2)
	v_cmp_eq_u32_e32 vcc_lo, 0, v94
	s_and_b32 s10, s0, vcc_lo
	s_wait_alu 0xfffe
	s_and_saveexec_b32 s0, s10
	s_cbranch_execz .LBB175_51
; %bb.50:
	s_wait_dscnt 0x0
	v_bcnt_u32_b32 v33, v33, v93
	ds_store_b32 v95, v33 offset:64
.LBB175_51:
	s_wait_alu 0xfffe
	s_or_b32 exec_lo, exec_lo, s0
	v_and_b32_e32 v33, 0xffff, v79
	; wave barrier
	s_delay_alu instid0(VALU_DEP_1) | instskip(NEXT) | instid1(VALU_DEP_1)
	v_and_b32_e32 v33, s1, v33
	v_and_b32_e32 v34, 1, v33
	v_lshlrev_b32_e32 v35, 30, v33
	v_lshlrev_b32_e32 v36, 29, v33
	;; [unrolled: 1-line block ×4, first 2 shown]
	v_add_co_u32 v34, s0, v34, -1
	s_wait_alu 0xf1ff
	v_cndmask_b32_e64 v38, 0, 1, s0
	v_not_b32_e32 v85, v35
	v_cmp_gt_i32_e64 s0, 0, v35
	v_not_b32_e32 v35, v36
	v_lshlrev_b32_e32 v40, 26, v33
	v_cmp_ne_u32_e32 vcc_lo, 0, v38
	v_ashrrev_i32_e32 v85, 31, v85
	v_lshlrev_b32_e32 v84, 25, v33
	v_ashrrev_i32_e32 v35, 31, v35
	v_lshlrev_b32_e32 v38, 24, v33
	s_wait_alu 0xfffd
	v_xor_b32_e32 v34, vcc_lo, v34
	v_cmp_gt_i32_e32 vcc_lo, 0, v36
	v_not_b32_e32 v36, v37
	s_wait_alu 0xf1ff
	v_xor_b32_e32 v85, s0, v85
	v_cmp_gt_i32_e64 s0, 0, v37
	v_and_b32_e32 v34, exec_lo, v34
	v_not_b32_e32 v37, v39
	v_ashrrev_i32_e32 v36, 31, v36
	s_wait_alu 0xfffd
	v_xor_b32_e32 v35, vcc_lo, v35
	v_cmp_gt_i32_e32 vcc_lo, 0, v39
	v_and_b32_e32 v34, v34, v85
	v_not_b32_e32 v39, v40
	v_ashrrev_i32_e32 v37, 31, v37
	s_wait_alu 0xf1ff
	v_xor_b32_e32 v36, s0, v36
	v_cmp_gt_i32_e64 s0, 0, v40
	v_and_b32_e32 v34, v34, v35
	v_not_b32_e32 v35, v84
	v_ashrrev_i32_e32 v39, 31, v39
	s_wait_alu 0xfffd
	v_xor_b32_e32 v37, vcc_lo, v37
	v_cmp_gt_i32_e32 vcc_lo, 0, v84
	v_and_b32_e32 v34, v34, v36
	v_not_b32_e32 v36, v38
	v_ashrrev_i32_e32 v35, 31, v35
	s_wait_alu 0xf1ff
	v_xor_b32_e32 v39, s0, v39
	v_lshlrev_b32_e32 v33, 6, v33
	v_and_b32_e32 v34, v34, v37
	v_cmp_gt_i32_e64 s0, 0, v38
	v_ashrrev_i32_e32 v36, 31, v36
	s_wait_alu 0xfffd
	v_xor_b32_e32 v35, vcc_lo, v35
	v_add_nc_u32_e32 v98, v0, v33
	v_and_b32_e32 v34, v34, v39
	s_wait_alu 0xf1ff
	v_xor_b32_e32 v33, s0, v36
	ds_load_b32 v96, v98 offset:64
	v_and_b32_e32 v34, v34, v35
	; wave barrier
	s_delay_alu instid0(VALU_DEP_1) | instskip(NEXT) | instid1(VALU_DEP_1)
	v_and_b32_e32 v33, v34, v33
	v_mbcnt_lo_u32_b32 v97, v33, 0
	v_cmp_ne_u32_e64 s0, 0, v33
	s_delay_alu instid0(VALU_DEP_2)
	v_cmp_eq_u32_e32 vcc_lo, 0, v97
	s_and_b32 s10, s0, vcc_lo
	s_wait_alu 0xfffe
	s_and_saveexec_b32 s0, s10
	s_cbranch_execz .LBB175_53
; %bb.52:
	s_wait_dscnt 0x0
	v_bcnt_u32_b32 v33, v33, v96
	ds_store_b32 v98, v33 offset:64
.LBB175_53:
	s_wait_alu 0xfffe
	s_or_b32 exec_lo, exec_lo, s0
	v_and_b32_e32 v33, 0xffff, v80
	; wave barrier
	s_delay_alu instid0(VALU_DEP_1) | instskip(NEXT) | instid1(VALU_DEP_1)
	v_and_b32_e32 v33, s1, v33
	v_and_b32_e32 v34, 1, v33
	v_lshlrev_b32_e32 v35, 30, v33
	v_lshlrev_b32_e32 v36, 29, v33
	;; [unrolled: 1-line block ×4, first 2 shown]
	v_add_co_u32 v34, s0, v34, -1
	s_wait_alu 0xf1ff
	v_cndmask_b32_e64 v38, 0, 1, s0
	v_not_b32_e32 v85, v35
	v_cmp_gt_i32_e64 s0, 0, v35
	v_not_b32_e32 v35, v36
	v_lshlrev_b32_e32 v40, 26, v33
	v_cmp_ne_u32_e32 vcc_lo, 0, v38
	v_ashrrev_i32_e32 v85, 31, v85
	v_lshlrev_b32_e32 v84, 25, v33
	v_ashrrev_i32_e32 v35, 31, v35
	v_lshlrev_b32_e32 v38, 24, v33
	s_wait_alu 0xfffd
	v_xor_b32_e32 v34, vcc_lo, v34
	v_cmp_gt_i32_e32 vcc_lo, 0, v36
	v_not_b32_e32 v36, v37
	s_wait_alu 0xf1ff
	v_xor_b32_e32 v85, s0, v85
	v_cmp_gt_i32_e64 s0, 0, v37
	v_and_b32_e32 v34, exec_lo, v34
	v_not_b32_e32 v37, v39
	v_ashrrev_i32_e32 v36, 31, v36
	s_wait_alu 0xfffd
	v_xor_b32_e32 v35, vcc_lo, v35
	v_cmp_gt_i32_e32 vcc_lo, 0, v39
	v_and_b32_e32 v34, v34, v85
	v_not_b32_e32 v39, v40
	v_ashrrev_i32_e32 v37, 31, v37
	s_wait_alu 0xf1ff
	v_xor_b32_e32 v36, s0, v36
	v_cmp_gt_i32_e64 s0, 0, v40
	v_and_b32_e32 v34, v34, v35
	v_not_b32_e32 v35, v84
	v_ashrrev_i32_e32 v39, 31, v39
	s_wait_alu 0xfffd
	v_xor_b32_e32 v37, vcc_lo, v37
	v_cmp_gt_i32_e32 vcc_lo, 0, v84
	v_and_b32_e32 v34, v34, v36
	v_not_b32_e32 v36, v38
	v_ashrrev_i32_e32 v35, 31, v35
	s_wait_alu 0xf1ff
	v_xor_b32_e32 v39, s0, v39
	v_lshlrev_b32_e32 v33, 6, v33
	v_and_b32_e32 v34, v34, v37
	v_cmp_gt_i32_e64 s0, 0, v38
	v_ashrrev_i32_e32 v36, 31, v36
	s_wait_alu 0xfffd
	v_xor_b32_e32 v35, vcc_lo, v35
	v_add_nc_u32_e32 v101, v0, v33
	v_and_b32_e32 v34, v34, v39
	s_wait_alu 0xf1ff
	v_xor_b32_e32 v33, s0, v36
	ds_load_b32 v99, v101 offset:64
	v_and_b32_e32 v34, v34, v35
	; wave barrier
	s_delay_alu instid0(VALU_DEP_1) | instskip(NEXT) | instid1(VALU_DEP_1)
	v_and_b32_e32 v33, v34, v33
	v_mbcnt_lo_u32_b32 v100, v33, 0
	v_cmp_ne_u32_e64 s0, 0, v33
	s_delay_alu instid0(VALU_DEP_2)
	v_cmp_eq_u32_e32 vcc_lo, 0, v100
	s_and_b32 s10, s0, vcc_lo
	s_wait_alu 0xfffe
	s_and_saveexec_b32 s0, s10
	s_cbranch_execz .LBB175_55
; %bb.54:
	s_wait_dscnt 0x0
	v_bcnt_u32_b32 v33, v33, v99
	ds_store_b32 v101, v33 offset:64
.LBB175_55:
	s_wait_alu 0xfffe
	s_or_b32 exec_lo, exec_lo, s0
	v_and_b32_e32 v33, 0xffff, v81
	; wave barrier
	s_delay_alu instid0(VALU_DEP_1) | instskip(NEXT) | instid1(VALU_DEP_1)
	v_and_b32_e32 v33, s1, v33
	v_and_b32_e32 v34, 1, v33
	v_lshlrev_b32_e32 v35, 30, v33
	v_lshlrev_b32_e32 v36, 29, v33
	;; [unrolled: 1-line block ×4, first 2 shown]
	v_add_co_u32 v34, s0, v34, -1
	s_wait_alu 0xf1ff
	v_cndmask_b32_e64 v38, 0, 1, s0
	v_not_b32_e32 v85, v35
	v_cmp_gt_i32_e64 s0, 0, v35
	v_not_b32_e32 v35, v36
	v_lshlrev_b32_e32 v40, 26, v33
	v_cmp_ne_u32_e32 vcc_lo, 0, v38
	v_ashrrev_i32_e32 v85, 31, v85
	v_lshlrev_b32_e32 v84, 25, v33
	v_ashrrev_i32_e32 v35, 31, v35
	v_lshlrev_b32_e32 v38, 24, v33
	s_wait_alu 0xfffd
	v_xor_b32_e32 v34, vcc_lo, v34
	v_cmp_gt_i32_e32 vcc_lo, 0, v36
	v_not_b32_e32 v36, v37
	s_wait_alu 0xf1ff
	v_xor_b32_e32 v85, s0, v85
	v_cmp_gt_i32_e64 s0, 0, v37
	v_and_b32_e32 v34, exec_lo, v34
	v_not_b32_e32 v37, v39
	v_ashrrev_i32_e32 v36, 31, v36
	s_wait_alu 0xfffd
	v_xor_b32_e32 v35, vcc_lo, v35
	v_cmp_gt_i32_e32 vcc_lo, 0, v39
	v_and_b32_e32 v34, v34, v85
	v_not_b32_e32 v39, v40
	v_ashrrev_i32_e32 v37, 31, v37
	s_wait_alu 0xf1ff
	v_xor_b32_e32 v36, s0, v36
	v_cmp_gt_i32_e64 s0, 0, v40
	v_and_b32_e32 v34, v34, v35
	v_not_b32_e32 v35, v84
	v_ashrrev_i32_e32 v39, 31, v39
	s_wait_alu 0xfffd
	v_xor_b32_e32 v37, vcc_lo, v37
	v_cmp_gt_i32_e32 vcc_lo, 0, v84
	v_and_b32_e32 v34, v34, v36
	v_not_b32_e32 v36, v38
	v_ashrrev_i32_e32 v35, 31, v35
	s_wait_alu 0xf1ff
	v_xor_b32_e32 v39, s0, v39
	v_lshlrev_b32_e32 v33, 6, v33
	v_and_b32_e32 v34, v34, v37
	v_cmp_gt_i32_e64 s0, 0, v38
	v_ashrrev_i32_e32 v36, 31, v36
	s_wait_alu 0xfffd
	v_xor_b32_e32 v35, vcc_lo, v35
	v_add_nc_u32_e32 v104, v0, v33
	v_and_b32_e32 v34, v34, v39
	s_wait_alu 0xf1ff
	v_xor_b32_e32 v33, s0, v36
	ds_load_b32 v102, v104 offset:64
	v_and_b32_e32 v34, v34, v35
	; wave barrier
	s_delay_alu instid0(VALU_DEP_1) | instskip(NEXT) | instid1(VALU_DEP_1)
	v_and_b32_e32 v33, v34, v33
	v_mbcnt_lo_u32_b32 v103, v33, 0
	v_cmp_ne_u32_e64 s0, 0, v33
	s_delay_alu instid0(VALU_DEP_2)
	v_cmp_eq_u32_e32 vcc_lo, 0, v103
	s_and_b32 s10, s0, vcc_lo
	s_wait_alu 0xfffe
	s_and_saveexec_b32 s0, s10
	s_cbranch_execz .LBB175_57
; %bb.56:
	s_wait_dscnt 0x0
	v_bcnt_u32_b32 v33, v33, v102
	ds_store_b32 v104, v33 offset:64
.LBB175_57:
	s_wait_alu 0xfffe
	s_or_b32 exec_lo, exec_lo, s0
	v_and_b32_e32 v33, 0xffff, v82
	; wave barrier
	s_delay_alu instid0(VALU_DEP_1) | instskip(NEXT) | instid1(VALU_DEP_1)
	v_and_b32_e32 v33, s1, v33
	v_and_b32_e32 v34, 1, v33
	v_lshlrev_b32_e32 v35, 30, v33
	v_lshlrev_b32_e32 v36, 29, v33
	;; [unrolled: 1-line block ×4, first 2 shown]
	v_add_co_u32 v34, s0, v34, -1
	s_wait_alu 0xf1ff
	v_cndmask_b32_e64 v38, 0, 1, s0
	v_not_b32_e32 v85, v35
	v_cmp_gt_i32_e64 s0, 0, v35
	v_not_b32_e32 v35, v36
	v_lshlrev_b32_e32 v40, 26, v33
	v_cmp_ne_u32_e32 vcc_lo, 0, v38
	v_ashrrev_i32_e32 v85, 31, v85
	v_lshlrev_b32_e32 v84, 25, v33
	v_ashrrev_i32_e32 v35, 31, v35
	v_lshlrev_b32_e32 v38, 24, v33
	s_wait_alu 0xfffd
	v_xor_b32_e32 v34, vcc_lo, v34
	v_cmp_gt_i32_e32 vcc_lo, 0, v36
	v_not_b32_e32 v36, v37
	s_wait_alu 0xf1ff
	v_xor_b32_e32 v85, s0, v85
	v_cmp_gt_i32_e64 s0, 0, v37
	v_and_b32_e32 v34, exec_lo, v34
	v_not_b32_e32 v37, v39
	v_ashrrev_i32_e32 v36, 31, v36
	s_wait_alu 0xfffd
	v_xor_b32_e32 v35, vcc_lo, v35
	v_cmp_gt_i32_e32 vcc_lo, 0, v39
	v_and_b32_e32 v34, v34, v85
	v_not_b32_e32 v39, v40
	v_ashrrev_i32_e32 v37, 31, v37
	s_wait_alu 0xf1ff
	v_xor_b32_e32 v36, s0, v36
	v_cmp_gt_i32_e64 s0, 0, v40
	v_and_b32_e32 v34, v34, v35
	v_not_b32_e32 v35, v84
	v_ashrrev_i32_e32 v39, 31, v39
	s_wait_alu 0xfffd
	v_xor_b32_e32 v37, vcc_lo, v37
	v_cmp_gt_i32_e32 vcc_lo, 0, v84
	v_and_b32_e32 v34, v34, v36
	v_not_b32_e32 v36, v38
	v_ashrrev_i32_e32 v35, 31, v35
	s_wait_alu 0xf1ff
	v_xor_b32_e32 v39, s0, v39
	v_lshlrev_b32_e32 v33, 6, v33
	v_and_b32_e32 v34, v34, v37
	v_cmp_gt_i32_e64 s0, 0, v38
	v_ashrrev_i32_e32 v36, 31, v36
	s_wait_alu 0xfffd
	v_xor_b32_e32 v35, vcc_lo, v35
	v_add_nc_u32_e32 v107, v0, v33
	v_and_b32_e32 v34, v34, v39
	s_wait_alu 0xf1ff
	v_xor_b32_e32 v33, s0, v36
	ds_load_b32 v105, v107 offset:64
	v_and_b32_e32 v34, v34, v35
	; wave barrier
	s_delay_alu instid0(VALU_DEP_1) | instskip(NEXT) | instid1(VALU_DEP_1)
	v_and_b32_e32 v33, v34, v33
	v_mbcnt_lo_u32_b32 v106, v33, 0
	v_cmp_ne_u32_e64 s0, 0, v33
	s_delay_alu instid0(VALU_DEP_2)
	v_cmp_eq_u32_e32 vcc_lo, 0, v106
	s_and_b32 s10, s0, vcc_lo
	s_wait_alu 0xfffe
	s_and_saveexec_b32 s0, s10
	s_cbranch_execz .LBB175_59
; %bb.58:
	s_wait_dscnt 0x0
	v_bcnt_u32_b32 v33, v33, v105
	ds_store_b32 v107, v33 offset:64
.LBB175_59:
	s_wait_alu 0xfffe
	s_or_b32 exec_lo, exec_lo, s0
	v_and_b32_e32 v33, 0xffff, v83
	; wave barrier
	s_delay_alu instid0(VALU_DEP_1) | instskip(NEXT) | instid1(VALU_DEP_1)
	v_and_b32_e32 v33, s1, v33
	v_and_b32_e32 v34, 1, v33
	v_lshlrev_b32_e32 v35, 30, v33
	v_lshlrev_b32_e32 v36, 29, v33
	;; [unrolled: 1-line block ×4, first 2 shown]
	v_add_co_u32 v34, s0, v34, -1
	s_wait_alu 0xf1ff
	v_cndmask_b32_e64 v38, 0, 1, s0
	v_not_b32_e32 v85, v35
	v_cmp_gt_i32_e64 s0, 0, v35
	v_not_b32_e32 v35, v36
	v_lshlrev_b32_e32 v40, 26, v33
	v_cmp_ne_u32_e32 vcc_lo, 0, v38
	v_ashrrev_i32_e32 v85, 31, v85
	v_lshlrev_b32_e32 v84, 25, v33
	v_ashrrev_i32_e32 v35, 31, v35
	v_lshlrev_b32_e32 v38, 24, v33
	s_wait_alu 0xfffd
	v_xor_b32_e32 v34, vcc_lo, v34
	v_cmp_gt_i32_e32 vcc_lo, 0, v36
	v_not_b32_e32 v36, v37
	s_wait_alu 0xf1ff
	v_xor_b32_e32 v85, s0, v85
	v_cmp_gt_i32_e64 s0, 0, v37
	v_and_b32_e32 v34, exec_lo, v34
	v_not_b32_e32 v37, v39
	v_ashrrev_i32_e32 v36, 31, v36
	s_wait_alu 0xfffd
	v_xor_b32_e32 v35, vcc_lo, v35
	v_cmp_gt_i32_e32 vcc_lo, 0, v39
	v_and_b32_e32 v34, v34, v85
	v_not_b32_e32 v39, v40
	v_ashrrev_i32_e32 v37, 31, v37
	s_wait_alu 0xf1ff
	v_xor_b32_e32 v36, s0, v36
	v_cmp_gt_i32_e64 s0, 0, v40
	v_and_b32_e32 v34, v34, v35
	v_not_b32_e32 v35, v84
	v_ashrrev_i32_e32 v39, 31, v39
	s_wait_alu 0xfffd
	v_xor_b32_e32 v37, vcc_lo, v37
	v_cmp_gt_i32_e32 vcc_lo, 0, v84
	v_and_b32_e32 v34, v34, v36
	v_not_b32_e32 v36, v38
	v_ashrrev_i32_e32 v35, 31, v35
	s_wait_alu 0xf1ff
	v_xor_b32_e32 v39, s0, v39
	v_lshlrev_b32_e32 v33, 6, v33
	v_and_b32_e32 v34, v34, v37
	v_cmp_gt_i32_e64 s0, 0, v38
	v_ashrrev_i32_e32 v36, 31, v36
	s_wait_alu 0xfffd
	v_xor_b32_e32 v35, vcc_lo, v35
	v_add_nc_u32_e32 v110, v0, v33
	v_and_b32_e32 v34, v34, v39
	v_min_u32_e32 v84, 0x1e0, v70
	s_wait_alu 0xf1ff
	v_xor_b32_e32 v33, s0, v36
	ds_load_b32 v108, v110 offset:64
	v_and_b32_e32 v34, v34, v35
	; wave barrier
	s_delay_alu instid0(VALU_DEP_1) | instskip(NEXT) | instid1(VALU_DEP_1)
	v_and_b32_e32 v33, v34, v33
	v_mbcnt_lo_u32_b32 v109, v33, 0
	v_cmp_ne_u32_e64 s0, 0, v33
	s_delay_alu instid0(VALU_DEP_2)
	v_cmp_eq_u32_e32 vcc_lo, 0, v109
	s_and_b32 s1, s0, vcc_lo
	s_wait_alu 0xfffe
	s_and_saveexec_b32 s0, s1
	s_cbranch_execz .LBB175_61
; %bb.60:
	s_wait_dscnt 0x0
	v_bcnt_u32_b32 v33, v33, v108
	ds_store_b32 v110, v33 offset:64
.LBB175_61:
	s_wait_alu 0xfffe
	s_or_b32 exec_lo, exec_lo, s0
	; wave barrier
	s_wait_loadcnt_dscnt 0x0
	s_barrier_signal -1
	s_barrier_wait -1
	global_inv scope:SCOPE_SE
	ds_load_b128 v[37:40], v65 offset:64
	ds_load_b128 v[33:36], v65 offset:80
	v_and_b32_e32 v87, 16, v68
	v_or_b32_e32 v84, 31, v84
	s_delay_alu instid0(VALU_DEP_2) | instskip(NEXT) | instid1(VALU_DEP_2)
	v_cmp_eq_u32_e64 s15, 0, v87
	v_cmp_eq_u32_e64 s13, v41, v84
	s_wait_dscnt 0x1
	v_add_nc_u32_e32 v85, v38, v37
	s_delay_alu instid0(VALU_DEP_1) | instskip(SKIP_1) | instid1(VALU_DEP_1)
	v_add3_u32 v85, v85, v39, v40
	s_wait_dscnt 0x0
	v_add3_u32 v85, v85, v33, v34
	s_delay_alu instid0(VALU_DEP_1) | instskip(SKIP_1) | instid1(VALU_DEP_2)
	v_add3_u32 v36, v85, v35, v36
	v_and_b32_e32 v85, 15, v68
	v_mov_b32_dpp v86, v36 row_shr:1 row_mask:0xf bank_mask:0xf
	s_delay_alu instid0(VALU_DEP_2)
	v_cmp_eq_u32_e32 vcc_lo, 0, v85
	v_cmp_lt_u32_e64 s0, 1, v85
	v_cmp_lt_u32_e64 s1, 3, v85
	;; [unrolled: 1-line block ×3, first 2 shown]
	s_wait_alu 0xfffd
	v_cndmask_b32_e64 v86, v86, 0, vcc_lo
	s_delay_alu instid0(VALU_DEP_1) | instskip(NEXT) | instid1(VALU_DEP_1)
	v_add_nc_u32_e32 v36, v86, v36
	v_mov_b32_dpp v86, v36 row_shr:2 row_mask:0xf bank_mask:0xf
	s_wait_alu 0xf1ff
	s_delay_alu instid0(VALU_DEP_1) | instskip(NEXT) | instid1(VALU_DEP_1)
	v_cndmask_b32_e64 v86, 0, v86, s0
	v_add_nc_u32_e32 v36, v36, v86
	s_delay_alu instid0(VALU_DEP_1) | instskip(NEXT) | instid1(VALU_DEP_1)
	v_mov_b32_dpp v86, v36 row_shr:4 row_mask:0xf bank_mask:0xf
	v_cndmask_b32_e64 v86, 0, v86, s1
	s_delay_alu instid0(VALU_DEP_1) | instskip(NEXT) | instid1(VALU_DEP_1)
	v_add_nc_u32_e32 v36, v36, v86
	v_mov_b32_dpp v86, v36 row_shr:8 row_mask:0xf bank_mask:0xf
	s_delay_alu instid0(VALU_DEP_1) | instskip(NEXT) | instid1(VALU_DEP_1)
	v_cndmask_b32_e64 v85, 0, v86, s10
	v_add_nc_u32_e32 v86, v36, v85
	v_bfe_i32 v85, v68, 4, 1
	ds_swizzle_b32 v36, v86 offset:swizzle(BROADCAST,32,15)
	s_wait_dscnt 0x0
	v_and_b32_e32 v111, v85, v36
	v_mul_i32_i24_e32 v36, 0xffffffe4, v41
	v_lshlrev_b32_e32 v85, 2, v67
	s_delay_alu instid0(VALU_DEP_3)
	v_add_nc_u32_e32 v87, v86, v111
	s_and_saveexec_b32 s11, s13
; %bb.62:
	ds_store_b32 v85, v87
; %bb.63:
	s_wait_alu 0xfffe
	s_or_b32 exec_lo, exec_lo, s11
	v_cmp_gt_u32_e64 s12, 16, v41
	v_add_nc_u32_e32 v84, v65, v36
	s_wait_loadcnt_dscnt 0x0
	s_barrier_signal -1
	s_barrier_wait -1
	global_inv scope:SCOPE_SE
	s_and_saveexec_b32 s11, s12
	s_cbranch_execz .LBB175_65
; %bb.64:
	ds_load_b32 v36, v84
	s_wait_dscnt 0x0
	v_mov_b32_dpp v86, v36 row_shr:1 row_mask:0xf bank_mask:0xf
	s_delay_alu instid0(VALU_DEP_1) | instskip(NEXT) | instid1(VALU_DEP_1)
	v_cndmask_b32_e64 v86, v86, 0, vcc_lo
	v_add_nc_u32_e32 v36, v86, v36
	s_delay_alu instid0(VALU_DEP_1) | instskip(NEXT) | instid1(VALU_DEP_1)
	v_mov_b32_dpp v86, v36 row_shr:2 row_mask:0xf bank_mask:0xf
	v_cndmask_b32_e64 v86, 0, v86, s0
	s_delay_alu instid0(VALU_DEP_1) | instskip(NEXT) | instid1(VALU_DEP_1)
	v_add_nc_u32_e32 v36, v36, v86
	v_mov_b32_dpp v86, v36 row_shr:4 row_mask:0xf bank_mask:0xf
	s_delay_alu instid0(VALU_DEP_1) | instskip(NEXT) | instid1(VALU_DEP_1)
	v_cndmask_b32_e64 v86, 0, v86, s1
	v_add_nc_u32_e32 v36, v36, v86
	s_delay_alu instid0(VALU_DEP_1) | instskip(NEXT) | instid1(VALU_DEP_1)
	v_mov_b32_dpp v86, v36 row_shr:8 row_mask:0xf bank_mask:0xf
	v_cndmask_b32_e64 v86, 0, v86, s10
	s_delay_alu instid0(VALU_DEP_1)
	v_add_nc_u32_e32 v36, v36, v86
	ds_store_b32 v84, v36
.LBB175_65:
	s_wait_alu 0xfffe
	s_or_b32 exec_lo, exec_lo, s11
	v_sub_co_u32 v111, s11, v68, 1
	v_mul_u32_u24_e32 v36, 6, v69
	v_cmp_lt_u32_e64 s14, 31, v41
	v_add_nc_u32_e32 v86, -4, v85
	v_mov_b32_e32 v112, 0
	s_wait_loadcnt_dscnt 0x0
	s_barrier_signal -1
	s_barrier_wait -1
	global_inv scope:SCOPE_SE
	s_and_saveexec_b32 s16, s14
; %bb.66:
	ds_load_b32 v112, v86
; %bb.67:
	s_wait_alu 0xfffe
	s_or_b32 exec_lo, exec_lo, s16
	v_cmp_gt_i32_e64 s16, 0, v111
	s_mov_b32 s20, 0
	s_min_u32 s17, s17, 8
	s_mov_b32 s21, s20
	s_mov_b32 s22, s20
	v_cndmask_b32_e64 v111, v111, v68, s16
	s_mov_b32 s23, s20
	s_wait_dscnt 0x0
	v_add_nc_u32_e32 v113, v112, v87
	v_cmp_eq_u32_e64 s16, 0, v41
	s_wait_alu 0xfffe
	s_lshl_b32 s17, -1, s17
	v_lshlrev_b32_e32 v87, 2, v111
	s_wait_alu 0xfffe
	s_not_b32 s19, s17
	ds_bpermute_b32 v111, v87, v113
	s_wait_dscnt 0x0
	v_cndmask_b32_e64 v111, v111, v112, s11
	s_delay_alu instid0(VALU_DEP_1) | instskip(NEXT) | instid1(VALU_DEP_1)
	v_cndmask_b32_e64 v111, v111, 0, s16
	v_add_nc_u32_e32 v112, v111, v37
	s_delay_alu instid0(VALU_DEP_1) | instskip(NEXT) | instid1(VALU_DEP_1)
	v_add_nc_u32_e32 v113, v112, v38
	v_add_nc_u32_e32 v114, v113, v39
	s_delay_alu instid0(VALU_DEP_1) | instskip(NEXT) | instid1(VALU_DEP_1)
	v_add_nc_u32_e32 v37, v114, v40
	;; [unrolled: 3-line block ×3, first 2 shown]
	v_add_nc_u32_e32 v40, v39, v35
	ds_store_b128 v65, v[111:114] offset:64
	ds_store_b128 v65, v[37:40] offset:80
	s_wait_loadcnt_dscnt 0x0
	s_barrier_signal -1
	s_barrier_wait -1
	global_inv scope:SCOPE_SE
	ds_load_b32 v33, v89 offset:64
	ds_load_b32 v34, v92 offset:64
	;; [unrolled: 1-line block ×8, first 2 shown]
	v_add_nc_u32_e32 v92, v66, v36
	s_wait_loadcnt_dscnt 0x0
	s_barrier_signal -1
	s_barrier_wait -1
	global_inv scope:SCOPE_SE
	v_add_nc_u32_e32 v88, v33, v88
	v_add3_u32 v90, v91, v90, v34
	v_add3_u32 v91, v94, v93, v35
	;; [unrolled: 1-line block ×7, first 2 shown]
	v_lshlrev_b32_e32 v33, 1, v88
	v_lshlrev_b32_e32 v34, 1, v90
	;; [unrolled: 1-line block ×8, first 2 shown]
	ds_store_b16 v33, v76
	ds_store_b16 v34, v77
	ds_store_b16 v35, v78
	ds_store_b16 v36, v79
	ds_store_b16 v37, v80
	ds_store_b16 v38, v81
	ds_store_b16 v39, v82
	ds_store_b16 v40, v83
	s_wait_loadcnt_dscnt 0x0
	s_barrier_signal -1
	s_barrier_wait -1
	global_inv scope:SCOPE_SE
	ds_load_u16 v76, v66
	ds_load_u16 v77, v66 offset:64
	ds_load_u16 v78, v66 offset:128
	;; [unrolled: 1-line block ×7, first 2 shown]
	v_mad_co_u64_u32 v[88:89], null, v88, 6, v[33:34]
	v_mad_co_u64_u32 v[33:34], null, v90, 6, v[34:35]
	;; [unrolled: 1-line block ×3, first 2 shown]
	s_wait_loadcnt_dscnt 0x0
	s_barrier_signal -1
	s_barrier_wait -1
	global_inv scope:SCOPE_SE
	v_mad_co_u64_u32 v[35:36], null, v93, 6, v[36:37]
	v_lshrrev_b16 v89, 8, v76
	ds_store_b64 v88, v[21:22]
	v_mad_co_u64_u32 v[36:37], null, v94, 6, v[37:38]
	v_mad_co_u64_u32 v[37:38], null, v95, 6, v[38:39]
	v_and_b32_e32 v21, 0xffff, v89
	v_mad_co_u64_u32 v[38:39], null, v96, 6, v[39:40]
	v_mad_co_u64_u32 v[39:40], null, v97, 6, v[40:41]
	s_wait_alu 0xfffe
	s_delay_alu instid0(VALU_DEP_3)
	v_and_b32_e32 v40, s19, v21
	ds_store_b64 v33, v[23:24]
	ds_store_b64 v34, v[17:18]
	;; [unrolled: 1-line block ×7, first 2 shown]
	v_and_b32_e32 v17, 1, v40
	v_lshlrev_b32_e32 v18, 30, v40
	v_lshlrev_b32_e32 v19, 29, v40
	;; [unrolled: 1-line block ×4, first 2 shown]
	v_add_co_u32 v17, s17, v17, -1
	s_wait_alu 0xf1ff
	v_cndmask_b32_e64 v21, 0, 1, s17
	v_not_b32_e32 v25, v18
	v_cmp_gt_i32_e64 s18, 0, v18
	v_not_b32_e32 v18, v19
	v_lshlrev_b32_e32 v23, 26, v40
	v_cmp_ne_u32_e64 s17, 0, v21
	v_ashrrev_i32_e32 v25, 31, v25
	v_lshlrev_b32_e32 v24, 25, v40
	v_ashrrev_i32_e32 v18, 31, v18
	v_lshlrev_b32_e32 v21, 24, v40
	s_wait_alu 0xf1ff
	v_xor_b32_e32 v17, s17, v17
	v_cmp_gt_i32_e64 s17, 0, v19
	v_not_b32_e32 v19, v20
	v_xor_b32_e32 v25, s18, v25
	v_cmp_gt_i32_e64 s18, 0, v20
	v_and_b32_e32 v17, exec_lo, v17
	v_not_b32_e32 v20, v22
	v_ashrrev_i32_e32 v19, 31, v19
	s_wait_alu 0xf1ff
	v_xor_b32_e32 v18, s17, v18
	v_cmp_gt_i32_e64 s17, 0, v22
	v_and_b32_e32 v17, v17, v25
	v_not_b32_e32 v22, v23
	v_ashrrev_i32_e32 v20, 31, v20
	v_xor_b32_e32 v19, s18, v19
	v_cmp_gt_i32_e64 s18, 0, v23
	v_and_b32_e32 v17, v17, v18
	v_not_b32_e32 v18, v24
	v_ashrrev_i32_e32 v22, 31, v22
	s_wait_alu 0xf1ff
	v_xor_b32_e32 v20, s17, v20
	v_cmp_gt_i32_e64 s17, 0, v24
	v_and_b32_e32 v17, v17, v19
	v_not_b32_e32 v19, v21
	v_ashrrev_i32_e32 v18, 31, v18
	v_xor_b32_e32 v22, s18, v22
	v_cmp_gt_i32_e64 s18, 0, v21
	v_and_b32_e32 v17, v17, v20
	v_ashrrev_i32_e32 v19, 31, v19
	s_wait_alu 0xf1ff
	v_xor_b32_e32 v18, s17, v18
	s_wait_loadcnt_dscnt 0x0
	s_barrier_signal -1
	v_and_b32_e32 v17, v17, v22
	v_xor_b32_e32 v33, s18, v19
	s_barrier_wait -1
	global_inv scope:SCOPE_SE
	ds_load_2addr_b64 v[21:24], v92 offset1:32
	v_and_b32_e32 v38, v17, v18
	ds_load_2addr_b64 v[29:32], v92 offset0:64 offset1:96
	ds_load_2addr_b64 v[25:28], v92 offset0:128 offset1:160
	;; [unrolled: 1-line block ×3, first 2 shown]
	v_dual_mov_b32 v37, s23 :: v_dual_mov_b32 v36, s22
	v_mov_b32_e32 v35, s21
	v_dual_mov_b32 v34, s20 :: v_dual_and_b32 v33, v38, v33
	v_lshl_add_u32 v89, v40, 6, v0
	s_wait_loadcnt_dscnt 0x0
	s_barrier_signal -1
	s_delay_alu instid0(VALU_DEP_2)
	v_mbcnt_lo_u32_b32 v88, v33, 0
	v_cmp_ne_u32_e64 s18, 0, v33
	s_barrier_wait -1
	global_inv scope:SCOPE_SE
	ds_store_b128 v65, v[34:37] offset:64
	ds_store_b128 v65, v[34:37] offset:80
	v_cmp_eq_u32_e64 s17, 0, v88
	s_wait_loadcnt_dscnt 0x0
	s_barrier_signal -1
	s_barrier_wait -1
	global_inv scope:SCOPE_SE
	s_and_b32 s18, s18, s17
	; wave barrier
	s_wait_alu 0xfffe
	s_and_saveexec_b32 s17, s18
; %bb.68:
	v_bcnt_u32_b32 v33, v33, 0
	ds_store_b32 v89, v33 offset:64
; %bb.69:
	s_wait_alu 0xfffe
	s_or_b32 exec_lo, exec_lo, s17
	v_lshrrev_b16 v33, 8, v77
	; wave barrier
	s_delay_alu instid0(VALU_DEP_1) | instskip(NEXT) | instid1(VALU_DEP_1)
	v_and_b32_e32 v33, s19, v33
	v_and_b32_e32 v34, 1, v33
	v_lshlrev_b32_e32 v35, 30, v33
	v_lshlrev_b32_e32 v36, 29, v33
	;; [unrolled: 1-line block ×4, first 2 shown]
	v_add_co_u32 v34, s17, v34, -1
	s_wait_alu 0xf1ff
	v_cndmask_b32_e64 v38, 0, 1, s17
	v_not_b32_e32 v91, v35
	v_cmp_gt_i32_e64 s18, 0, v35
	v_not_b32_e32 v35, v36
	v_lshlrev_b32_e32 v40, 26, v33
	v_cmp_ne_u32_e64 s17, 0, v38
	v_ashrrev_i32_e32 v91, 31, v91
	v_lshlrev_b32_e32 v90, 25, v33
	v_ashrrev_i32_e32 v35, 31, v35
	v_lshlrev_b32_e32 v38, 24, v33
	s_wait_alu 0xf1ff
	v_xor_b32_e32 v34, s17, v34
	v_cmp_gt_i32_e64 s17, 0, v36
	v_not_b32_e32 v36, v37
	v_xor_b32_e32 v91, s18, v91
	v_cmp_gt_i32_e64 s18, 0, v37
	v_and_b32_e32 v34, exec_lo, v34
	v_not_b32_e32 v37, v39
	v_ashrrev_i32_e32 v36, 31, v36
	s_wait_alu 0xf1ff
	v_xor_b32_e32 v35, s17, v35
	v_cmp_gt_i32_e64 s17, 0, v39
	v_and_b32_e32 v34, v34, v91
	v_not_b32_e32 v39, v40
	v_ashrrev_i32_e32 v37, 31, v37
	v_xor_b32_e32 v36, s18, v36
	v_cmp_gt_i32_e64 s18, 0, v40
	v_and_b32_e32 v34, v34, v35
	v_not_b32_e32 v35, v90
	v_ashrrev_i32_e32 v39, 31, v39
	s_wait_alu 0xf1ff
	v_xor_b32_e32 v37, s17, v37
	v_cmp_gt_i32_e64 s17, 0, v90
	v_and_b32_e32 v34, v34, v36
	v_not_b32_e32 v36, v38
	v_ashrrev_i32_e32 v35, 31, v35
	v_xor_b32_e32 v39, s18, v39
	v_cmp_gt_i32_e64 s18, 0, v38
	v_and_b32_e32 v34, v34, v37
	v_ashrrev_i32_e32 v36, 31, v36
	s_wait_alu 0xf1ff
	v_xor_b32_e32 v35, s17, v35
	v_lshl_add_u32 v92, v33, 6, v0
	v_and_b32_e32 v34, v34, v39
	v_xor_b32_e32 v33, s18, v36
	ds_load_b32 v90, v92 offset:64
	v_and_b32_e32 v34, v34, v35
	; wave barrier
	s_delay_alu instid0(VALU_DEP_1) | instskip(NEXT) | instid1(VALU_DEP_1)
	v_and_b32_e32 v33, v34, v33
	v_mbcnt_lo_u32_b32 v91, v33, 0
	v_cmp_ne_u32_e64 s18, 0, v33
	s_delay_alu instid0(VALU_DEP_2)
	v_cmp_eq_u32_e64 s17, 0, v91
	s_and_b32 s18, s18, s17
	s_wait_alu 0xfffe
	s_and_saveexec_b32 s17, s18
	s_cbranch_execz .LBB175_71
; %bb.70:
	s_wait_dscnt 0x0
	v_bcnt_u32_b32 v33, v33, v90
	ds_store_b32 v92, v33 offset:64
.LBB175_71:
	s_wait_alu 0xfffe
	s_or_b32 exec_lo, exec_lo, s17
	v_lshrrev_b16 v33, 8, v78
	; wave barrier
	s_delay_alu instid0(VALU_DEP_1) | instskip(NEXT) | instid1(VALU_DEP_1)
	v_and_b32_e32 v33, s19, v33
	v_and_b32_e32 v34, 1, v33
	v_lshlrev_b32_e32 v35, 30, v33
	v_lshlrev_b32_e32 v36, 29, v33
	v_lshlrev_b32_e32 v37, 28, v33
	v_lshlrev_b32_e32 v39, 27, v33
	v_add_co_u32 v34, s17, v34, -1
	s_wait_alu 0xf1ff
	v_cndmask_b32_e64 v38, 0, 1, s17
	v_not_b32_e32 v94, v35
	v_cmp_gt_i32_e64 s18, 0, v35
	v_not_b32_e32 v35, v36
	v_lshlrev_b32_e32 v40, 26, v33
	v_cmp_ne_u32_e64 s17, 0, v38
	v_ashrrev_i32_e32 v94, 31, v94
	v_lshlrev_b32_e32 v93, 25, v33
	v_ashrrev_i32_e32 v35, 31, v35
	v_lshlrev_b32_e32 v38, 24, v33
	s_wait_alu 0xf1ff
	v_xor_b32_e32 v34, s17, v34
	v_cmp_gt_i32_e64 s17, 0, v36
	v_not_b32_e32 v36, v37
	v_xor_b32_e32 v94, s18, v94
	v_cmp_gt_i32_e64 s18, 0, v37
	v_and_b32_e32 v34, exec_lo, v34
	v_not_b32_e32 v37, v39
	v_ashrrev_i32_e32 v36, 31, v36
	s_wait_alu 0xf1ff
	v_xor_b32_e32 v35, s17, v35
	v_cmp_gt_i32_e64 s17, 0, v39
	v_and_b32_e32 v34, v34, v94
	v_not_b32_e32 v39, v40
	v_ashrrev_i32_e32 v37, 31, v37
	v_xor_b32_e32 v36, s18, v36
	v_cmp_gt_i32_e64 s18, 0, v40
	v_and_b32_e32 v34, v34, v35
	v_not_b32_e32 v35, v93
	v_ashrrev_i32_e32 v39, 31, v39
	s_wait_alu 0xf1ff
	v_xor_b32_e32 v37, s17, v37
	v_cmp_gt_i32_e64 s17, 0, v93
	v_and_b32_e32 v34, v34, v36
	v_not_b32_e32 v36, v38
	v_ashrrev_i32_e32 v35, 31, v35
	v_xor_b32_e32 v39, s18, v39
	v_cmp_gt_i32_e64 s18, 0, v38
	v_and_b32_e32 v34, v34, v37
	v_ashrrev_i32_e32 v36, 31, v36
	s_wait_alu 0xf1ff
	v_xor_b32_e32 v35, s17, v35
	v_lshl_add_u32 v95, v33, 6, v0
	v_and_b32_e32 v34, v34, v39
	v_xor_b32_e32 v33, s18, v36
	ds_load_b32 v93, v95 offset:64
	v_and_b32_e32 v34, v34, v35
	; wave barrier
	s_delay_alu instid0(VALU_DEP_1) | instskip(NEXT) | instid1(VALU_DEP_1)
	v_and_b32_e32 v33, v34, v33
	v_mbcnt_lo_u32_b32 v94, v33, 0
	v_cmp_ne_u32_e64 s18, 0, v33
	s_delay_alu instid0(VALU_DEP_2)
	v_cmp_eq_u32_e64 s17, 0, v94
	s_and_b32 s18, s18, s17
	s_wait_alu 0xfffe
	s_and_saveexec_b32 s17, s18
	s_cbranch_execz .LBB175_73
; %bb.72:
	s_wait_dscnt 0x0
	v_bcnt_u32_b32 v33, v33, v93
	ds_store_b32 v95, v33 offset:64
.LBB175_73:
	s_wait_alu 0xfffe
	s_or_b32 exec_lo, exec_lo, s17
	v_lshrrev_b16 v33, 8, v79
	; wave barrier
	s_delay_alu instid0(VALU_DEP_1) | instskip(NEXT) | instid1(VALU_DEP_1)
	v_and_b32_e32 v33, s19, v33
	v_and_b32_e32 v34, 1, v33
	v_lshlrev_b32_e32 v35, 30, v33
	v_lshlrev_b32_e32 v36, 29, v33
	;; [unrolled: 1-line block ×4, first 2 shown]
	v_add_co_u32 v34, s17, v34, -1
	s_wait_alu 0xf1ff
	v_cndmask_b32_e64 v38, 0, 1, s17
	v_not_b32_e32 v97, v35
	v_cmp_gt_i32_e64 s18, 0, v35
	v_not_b32_e32 v35, v36
	v_lshlrev_b32_e32 v40, 26, v33
	v_cmp_ne_u32_e64 s17, 0, v38
	v_ashrrev_i32_e32 v97, 31, v97
	v_lshlrev_b32_e32 v96, 25, v33
	v_ashrrev_i32_e32 v35, 31, v35
	v_lshlrev_b32_e32 v38, 24, v33
	s_wait_alu 0xf1ff
	v_xor_b32_e32 v34, s17, v34
	v_cmp_gt_i32_e64 s17, 0, v36
	v_not_b32_e32 v36, v37
	v_xor_b32_e32 v97, s18, v97
	v_cmp_gt_i32_e64 s18, 0, v37
	v_and_b32_e32 v34, exec_lo, v34
	v_not_b32_e32 v37, v39
	v_ashrrev_i32_e32 v36, 31, v36
	s_wait_alu 0xf1ff
	v_xor_b32_e32 v35, s17, v35
	v_cmp_gt_i32_e64 s17, 0, v39
	v_and_b32_e32 v34, v34, v97
	v_not_b32_e32 v39, v40
	v_ashrrev_i32_e32 v37, 31, v37
	v_xor_b32_e32 v36, s18, v36
	v_cmp_gt_i32_e64 s18, 0, v40
	v_and_b32_e32 v34, v34, v35
	v_not_b32_e32 v35, v96
	v_ashrrev_i32_e32 v39, 31, v39
	s_wait_alu 0xf1ff
	v_xor_b32_e32 v37, s17, v37
	v_cmp_gt_i32_e64 s17, 0, v96
	v_and_b32_e32 v34, v34, v36
	v_not_b32_e32 v36, v38
	v_ashrrev_i32_e32 v35, 31, v35
	v_xor_b32_e32 v39, s18, v39
	v_cmp_gt_i32_e64 s18, 0, v38
	v_and_b32_e32 v34, v34, v37
	v_ashrrev_i32_e32 v36, 31, v36
	s_wait_alu 0xf1ff
	v_xor_b32_e32 v35, s17, v35
	v_lshl_add_u32 v98, v33, 6, v0
	v_and_b32_e32 v34, v34, v39
	v_xor_b32_e32 v33, s18, v36
	ds_load_b32 v96, v98 offset:64
	v_and_b32_e32 v34, v34, v35
	; wave barrier
	s_delay_alu instid0(VALU_DEP_1) | instskip(NEXT) | instid1(VALU_DEP_1)
	v_and_b32_e32 v33, v34, v33
	v_mbcnt_lo_u32_b32 v97, v33, 0
	v_cmp_ne_u32_e64 s18, 0, v33
	s_delay_alu instid0(VALU_DEP_2)
	v_cmp_eq_u32_e64 s17, 0, v97
	s_and_b32 s18, s18, s17
	s_wait_alu 0xfffe
	s_and_saveexec_b32 s17, s18
	s_cbranch_execz .LBB175_75
; %bb.74:
	s_wait_dscnt 0x0
	v_bcnt_u32_b32 v33, v33, v96
	ds_store_b32 v98, v33 offset:64
.LBB175_75:
	s_wait_alu 0xfffe
	s_or_b32 exec_lo, exec_lo, s17
	v_lshrrev_b16 v33, 8, v80
	; wave barrier
	s_delay_alu instid0(VALU_DEP_1) | instskip(NEXT) | instid1(VALU_DEP_1)
	v_and_b32_e32 v33, s19, v33
	v_and_b32_e32 v34, 1, v33
	v_lshlrev_b32_e32 v35, 30, v33
	v_lshlrev_b32_e32 v36, 29, v33
	;; [unrolled: 1-line block ×4, first 2 shown]
	v_add_co_u32 v34, s17, v34, -1
	s_wait_alu 0xf1ff
	v_cndmask_b32_e64 v38, 0, 1, s17
	v_not_b32_e32 v100, v35
	v_cmp_gt_i32_e64 s18, 0, v35
	v_not_b32_e32 v35, v36
	v_lshlrev_b32_e32 v40, 26, v33
	v_cmp_ne_u32_e64 s17, 0, v38
	v_ashrrev_i32_e32 v100, 31, v100
	v_lshlrev_b32_e32 v99, 25, v33
	v_ashrrev_i32_e32 v35, 31, v35
	v_lshlrev_b32_e32 v38, 24, v33
	s_wait_alu 0xf1ff
	v_xor_b32_e32 v34, s17, v34
	v_cmp_gt_i32_e64 s17, 0, v36
	v_not_b32_e32 v36, v37
	v_xor_b32_e32 v100, s18, v100
	v_cmp_gt_i32_e64 s18, 0, v37
	v_and_b32_e32 v34, exec_lo, v34
	v_not_b32_e32 v37, v39
	v_ashrrev_i32_e32 v36, 31, v36
	s_wait_alu 0xf1ff
	v_xor_b32_e32 v35, s17, v35
	v_cmp_gt_i32_e64 s17, 0, v39
	v_and_b32_e32 v34, v34, v100
	v_not_b32_e32 v39, v40
	v_ashrrev_i32_e32 v37, 31, v37
	v_xor_b32_e32 v36, s18, v36
	v_cmp_gt_i32_e64 s18, 0, v40
	v_and_b32_e32 v34, v34, v35
	v_not_b32_e32 v35, v99
	v_ashrrev_i32_e32 v39, 31, v39
	s_wait_alu 0xf1ff
	v_xor_b32_e32 v37, s17, v37
	v_cmp_gt_i32_e64 s17, 0, v99
	v_and_b32_e32 v34, v34, v36
	v_not_b32_e32 v36, v38
	v_ashrrev_i32_e32 v35, 31, v35
	v_xor_b32_e32 v39, s18, v39
	v_cmp_gt_i32_e64 s18, 0, v38
	v_and_b32_e32 v34, v34, v37
	v_ashrrev_i32_e32 v36, 31, v36
	s_wait_alu 0xf1ff
	v_xor_b32_e32 v35, s17, v35
	v_lshl_add_u32 v101, v33, 6, v0
	v_and_b32_e32 v34, v34, v39
	v_xor_b32_e32 v33, s18, v36
	ds_load_b32 v99, v101 offset:64
	v_and_b32_e32 v34, v34, v35
	; wave barrier
	s_delay_alu instid0(VALU_DEP_1) | instskip(NEXT) | instid1(VALU_DEP_1)
	v_and_b32_e32 v33, v34, v33
	v_mbcnt_lo_u32_b32 v100, v33, 0
	v_cmp_ne_u32_e64 s18, 0, v33
	s_delay_alu instid0(VALU_DEP_2)
	v_cmp_eq_u32_e64 s17, 0, v100
	s_and_b32 s18, s18, s17
	s_wait_alu 0xfffe
	s_and_saveexec_b32 s17, s18
	s_cbranch_execz .LBB175_77
; %bb.76:
	s_wait_dscnt 0x0
	v_bcnt_u32_b32 v33, v33, v99
	ds_store_b32 v101, v33 offset:64
.LBB175_77:
	s_wait_alu 0xfffe
	s_or_b32 exec_lo, exec_lo, s17
	v_lshrrev_b16 v33, 8, v81
	; wave barrier
	s_delay_alu instid0(VALU_DEP_1) | instskip(NEXT) | instid1(VALU_DEP_1)
	v_and_b32_e32 v33, s19, v33
	v_and_b32_e32 v34, 1, v33
	v_lshlrev_b32_e32 v35, 30, v33
	v_lshlrev_b32_e32 v36, 29, v33
	;; [unrolled: 1-line block ×4, first 2 shown]
	v_add_co_u32 v34, s17, v34, -1
	s_wait_alu 0xf1ff
	v_cndmask_b32_e64 v38, 0, 1, s17
	v_not_b32_e32 v103, v35
	v_cmp_gt_i32_e64 s18, 0, v35
	v_not_b32_e32 v35, v36
	v_lshlrev_b32_e32 v40, 26, v33
	v_cmp_ne_u32_e64 s17, 0, v38
	v_ashrrev_i32_e32 v103, 31, v103
	v_lshlrev_b32_e32 v102, 25, v33
	v_ashrrev_i32_e32 v35, 31, v35
	v_lshlrev_b32_e32 v38, 24, v33
	s_wait_alu 0xf1ff
	v_xor_b32_e32 v34, s17, v34
	v_cmp_gt_i32_e64 s17, 0, v36
	v_not_b32_e32 v36, v37
	v_xor_b32_e32 v103, s18, v103
	v_cmp_gt_i32_e64 s18, 0, v37
	v_and_b32_e32 v34, exec_lo, v34
	v_not_b32_e32 v37, v39
	v_ashrrev_i32_e32 v36, 31, v36
	s_wait_alu 0xf1ff
	v_xor_b32_e32 v35, s17, v35
	v_cmp_gt_i32_e64 s17, 0, v39
	v_and_b32_e32 v34, v34, v103
	v_not_b32_e32 v39, v40
	v_ashrrev_i32_e32 v37, 31, v37
	v_xor_b32_e32 v36, s18, v36
	v_cmp_gt_i32_e64 s18, 0, v40
	v_and_b32_e32 v34, v34, v35
	v_not_b32_e32 v35, v102
	v_ashrrev_i32_e32 v39, 31, v39
	s_wait_alu 0xf1ff
	v_xor_b32_e32 v37, s17, v37
	v_cmp_gt_i32_e64 s17, 0, v102
	v_and_b32_e32 v34, v34, v36
	v_not_b32_e32 v36, v38
	v_ashrrev_i32_e32 v35, 31, v35
	v_xor_b32_e32 v39, s18, v39
	v_cmp_gt_i32_e64 s18, 0, v38
	v_and_b32_e32 v34, v34, v37
	v_ashrrev_i32_e32 v36, 31, v36
	s_wait_alu 0xf1ff
	v_xor_b32_e32 v35, s17, v35
	v_lshl_add_u32 v104, v33, 6, v0
	v_and_b32_e32 v34, v34, v39
	v_xor_b32_e32 v33, s18, v36
	ds_load_b32 v102, v104 offset:64
	v_and_b32_e32 v34, v34, v35
	; wave barrier
	s_delay_alu instid0(VALU_DEP_1) | instskip(NEXT) | instid1(VALU_DEP_1)
	v_and_b32_e32 v33, v34, v33
	v_mbcnt_lo_u32_b32 v103, v33, 0
	v_cmp_ne_u32_e64 s18, 0, v33
	s_delay_alu instid0(VALU_DEP_2)
	v_cmp_eq_u32_e64 s17, 0, v103
	s_and_b32 s18, s18, s17
	s_wait_alu 0xfffe
	s_and_saveexec_b32 s17, s18
	s_cbranch_execz .LBB175_79
; %bb.78:
	s_wait_dscnt 0x0
	v_bcnt_u32_b32 v33, v33, v102
	ds_store_b32 v104, v33 offset:64
.LBB175_79:
	s_wait_alu 0xfffe
	s_or_b32 exec_lo, exec_lo, s17
	v_lshrrev_b16 v33, 8, v82
	; wave barrier
	s_delay_alu instid0(VALU_DEP_1) | instskip(NEXT) | instid1(VALU_DEP_1)
	v_and_b32_e32 v33, s19, v33
	v_and_b32_e32 v34, 1, v33
	v_lshlrev_b32_e32 v35, 30, v33
	v_lshlrev_b32_e32 v36, 29, v33
	;; [unrolled: 1-line block ×4, first 2 shown]
	v_add_co_u32 v34, s17, v34, -1
	s_wait_alu 0xf1ff
	v_cndmask_b32_e64 v38, 0, 1, s17
	v_not_b32_e32 v106, v35
	v_cmp_gt_i32_e64 s18, 0, v35
	v_not_b32_e32 v35, v36
	v_lshlrev_b32_e32 v40, 26, v33
	v_cmp_ne_u32_e64 s17, 0, v38
	v_ashrrev_i32_e32 v106, 31, v106
	v_lshlrev_b32_e32 v105, 25, v33
	v_ashrrev_i32_e32 v35, 31, v35
	v_lshlrev_b32_e32 v38, 24, v33
	s_wait_alu 0xf1ff
	v_xor_b32_e32 v34, s17, v34
	v_cmp_gt_i32_e64 s17, 0, v36
	v_not_b32_e32 v36, v37
	v_xor_b32_e32 v106, s18, v106
	v_cmp_gt_i32_e64 s18, 0, v37
	v_and_b32_e32 v34, exec_lo, v34
	v_not_b32_e32 v37, v39
	v_ashrrev_i32_e32 v36, 31, v36
	s_wait_alu 0xf1ff
	v_xor_b32_e32 v35, s17, v35
	v_cmp_gt_i32_e64 s17, 0, v39
	v_and_b32_e32 v34, v34, v106
	v_not_b32_e32 v39, v40
	v_ashrrev_i32_e32 v37, 31, v37
	v_xor_b32_e32 v36, s18, v36
	v_cmp_gt_i32_e64 s18, 0, v40
	v_and_b32_e32 v34, v34, v35
	v_not_b32_e32 v35, v105
	v_ashrrev_i32_e32 v39, 31, v39
	s_wait_alu 0xf1ff
	v_xor_b32_e32 v37, s17, v37
	v_cmp_gt_i32_e64 s17, 0, v105
	v_and_b32_e32 v34, v34, v36
	v_not_b32_e32 v36, v38
	v_ashrrev_i32_e32 v35, 31, v35
	v_xor_b32_e32 v39, s18, v39
	v_cmp_gt_i32_e64 s18, 0, v38
	v_and_b32_e32 v34, v34, v37
	v_ashrrev_i32_e32 v36, 31, v36
	s_wait_alu 0xf1ff
	v_xor_b32_e32 v35, s17, v35
	v_lshl_add_u32 v107, v33, 6, v0
	v_and_b32_e32 v34, v34, v39
	v_xor_b32_e32 v33, s18, v36
	ds_load_b32 v105, v107 offset:64
	v_and_b32_e32 v34, v34, v35
	; wave barrier
	s_delay_alu instid0(VALU_DEP_1) | instskip(NEXT) | instid1(VALU_DEP_1)
	v_and_b32_e32 v33, v34, v33
	v_mbcnt_lo_u32_b32 v106, v33, 0
	v_cmp_ne_u32_e64 s18, 0, v33
	s_delay_alu instid0(VALU_DEP_2)
	v_cmp_eq_u32_e64 s17, 0, v106
	s_and_b32 s18, s18, s17
	s_wait_alu 0xfffe
	s_and_saveexec_b32 s17, s18
	s_cbranch_execz .LBB175_81
; %bb.80:
	s_wait_dscnt 0x0
	v_bcnt_u32_b32 v33, v33, v105
	ds_store_b32 v107, v33 offset:64
.LBB175_81:
	s_wait_alu 0xfffe
	s_or_b32 exec_lo, exec_lo, s17
	v_lshrrev_b16 v33, 8, v83
	; wave barrier
	s_delay_alu instid0(VALU_DEP_1) | instskip(NEXT) | instid1(VALU_DEP_1)
	v_and_b32_e32 v33, s19, v33
	v_and_b32_e32 v34, 1, v33
	v_lshlrev_b32_e32 v35, 30, v33
	v_lshlrev_b32_e32 v36, 29, v33
	;; [unrolled: 1-line block ×4, first 2 shown]
	v_add_co_u32 v34, s17, v34, -1
	s_wait_alu 0xf1ff
	v_cndmask_b32_e64 v38, 0, 1, s17
	v_not_b32_e32 v109, v35
	v_cmp_gt_i32_e64 s18, 0, v35
	v_not_b32_e32 v35, v36
	v_lshlrev_b32_e32 v40, 26, v33
	v_cmp_ne_u32_e64 s17, 0, v38
	v_ashrrev_i32_e32 v109, 31, v109
	v_lshlrev_b32_e32 v108, 25, v33
	v_ashrrev_i32_e32 v35, 31, v35
	v_lshlrev_b32_e32 v38, 24, v33
	s_wait_alu 0xf1ff
	v_xor_b32_e32 v34, s17, v34
	v_cmp_gt_i32_e64 s17, 0, v36
	v_not_b32_e32 v36, v37
	v_xor_b32_e32 v109, s18, v109
	v_cmp_gt_i32_e64 s18, 0, v37
	v_and_b32_e32 v34, exec_lo, v34
	v_not_b32_e32 v37, v39
	v_ashrrev_i32_e32 v36, 31, v36
	s_wait_alu 0xf1ff
	v_xor_b32_e32 v35, s17, v35
	v_cmp_gt_i32_e64 s17, 0, v39
	v_and_b32_e32 v34, v34, v109
	v_not_b32_e32 v39, v40
	v_ashrrev_i32_e32 v37, 31, v37
	v_xor_b32_e32 v36, s18, v36
	v_cmp_gt_i32_e64 s18, 0, v40
	v_and_b32_e32 v34, v34, v35
	v_not_b32_e32 v35, v108
	v_ashrrev_i32_e32 v39, 31, v39
	s_wait_alu 0xf1ff
	v_xor_b32_e32 v37, s17, v37
	v_cmp_gt_i32_e64 s17, 0, v108
	v_and_b32_e32 v34, v34, v36
	v_not_b32_e32 v36, v38
	v_ashrrev_i32_e32 v35, 31, v35
	v_xor_b32_e32 v39, s18, v39
	v_cmp_gt_i32_e64 s18, 0, v38
	v_and_b32_e32 v34, v34, v37
	v_ashrrev_i32_e32 v36, 31, v36
	s_wait_alu 0xf1ff
	v_xor_b32_e32 v35, s17, v35
	v_lshl_add_u32 v109, v33, 6, v0
	v_and_b32_e32 v34, v34, v39
	v_xor_b32_e32 v33, s18, v36
	ds_load_b32 v0, v109 offset:64
	v_and_b32_e32 v34, v34, v35
	; wave barrier
	s_delay_alu instid0(VALU_DEP_1) | instskip(NEXT) | instid1(VALU_DEP_1)
	v_and_b32_e32 v33, v34, v33
	v_mbcnt_lo_u32_b32 v108, v33, 0
	v_cmp_ne_u32_e64 s18, 0, v33
	s_delay_alu instid0(VALU_DEP_2)
	v_cmp_eq_u32_e64 s17, 0, v108
	s_and_b32 s18, s18, s17
	s_wait_alu 0xfffe
	s_and_saveexec_b32 s17, s18
	s_cbranch_execz .LBB175_83
; %bb.82:
	s_wait_dscnt 0x0
	v_bcnt_u32_b32 v33, v33, v0
	ds_store_b32 v109, v33 offset:64
.LBB175_83:
	s_wait_alu 0xfffe
	s_or_b32 exec_lo, exec_lo, s17
	; wave barrier
	s_wait_loadcnt_dscnt 0x0
	s_barrier_signal -1
	s_barrier_wait -1
	global_inv scope:SCOPE_SE
	ds_load_b128 v[37:40], v65 offset:64
	ds_load_b128 v[33:36], v65 offset:80
	s_wait_dscnt 0x1
	v_add_nc_u32_e32 v110, v38, v37
	s_delay_alu instid0(VALU_DEP_1) | instskip(SKIP_1) | instid1(VALU_DEP_1)
	v_add3_u32 v110, v110, v39, v40
	s_wait_dscnt 0x0
	v_add3_u32 v110, v110, v33, v34
	s_delay_alu instid0(VALU_DEP_1) | instskip(NEXT) | instid1(VALU_DEP_1)
	v_add3_u32 v36, v110, v35, v36
	v_mov_b32_dpp v110, v36 row_shr:1 row_mask:0xf bank_mask:0xf
	s_delay_alu instid0(VALU_DEP_1) | instskip(NEXT) | instid1(VALU_DEP_1)
	v_cndmask_b32_e64 v110, v110, 0, vcc_lo
	v_add_nc_u32_e32 v36, v110, v36
	s_delay_alu instid0(VALU_DEP_1) | instskip(NEXT) | instid1(VALU_DEP_1)
	v_mov_b32_dpp v110, v36 row_shr:2 row_mask:0xf bank_mask:0xf
	v_cndmask_b32_e64 v110, 0, v110, s0
	s_delay_alu instid0(VALU_DEP_1) | instskip(NEXT) | instid1(VALU_DEP_1)
	v_add_nc_u32_e32 v36, v36, v110
	v_mov_b32_dpp v110, v36 row_shr:4 row_mask:0xf bank_mask:0xf
	s_delay_alu instid0(VALU_DEP_1) | instskip(NEXT) | instid1(VALU_DEP_1)
	v_cndmask_b32_e64 v110, 0, v110, s1
	v_add_nc_u32_e32 v36, v36, v110
	s_delay_alu instid0(VALU_DEP_1) | instskip(NEXT) | instid1(VALU_DEP_1)
	v_mov_b32_dpp v110, v36 row_shr:8 row_mask:0xf bank_mask:0xf
	v_cndmask_b32_e64 v110, 0, v110, s10
	s_delay_alu instid0(VALU_DEP_1) | instskip(SKIP_3) | instid1(VALU_DEP_1)
	v_add_nc_u32_e32 v36, v36, v110
	ds_swizzle_b32 v110, v36 offset:swizzle(BROADCAST,32,15)
	s_wait_dscnt 0x0
	v_cndmask_b32_e64 v110, v110, 0, s15
	v_add_nc_u32_e32 v36, v36, v110
	s_and_saveexec_b32 s15, s13
; %bb.84:
	ds_store_b32 v85, v36
; %bb.85:
	s_wait_alu 0xfffe
	s_or_b32 exec_lo, exec_lo, s15
	s_wait_loadcnt_dscnt 0x0
	s_barrier_signal -1
	s_barrier_wait -1
	global_inv scope:SCOPE_SE
	s_and_saveexec_b32 s13, s12
	s_cbranch_execz .LBB175_87
; %bb.86:
	ds_load_b32 v85, v84
	s_wait_dscnt 0x0
	v_mov_b32_dpp v110, v85 row_shr:1 row_mask:0xf bank_mask:0xf
	s_delay_alu instid0(VALU_DEP_1) | instskip(NEXT) | instid1(VALU_DEP_1)
	v_cndmask_b32_e64 v110, v110, 0, vcc_lo
	v_add_nc_u32_e32 v85, v110, v85
	s_delay_alu instid0(VALU_DEP_1) | instskip(NEXT) | instid1(VALU_DEP_1)
	v_mov_b32_dpp v110, v85 row_shr:2 row_mask:0xf bank_mask:0xf
	v_cndmask_b32_e64 v110, 0, v110, s0
	s_delay_alu instid0(VALU_DEP_1) | instskip(NEXT) | instid1(VALU_DEP_1)
	v_add_nc_u32_e32 v85, v85, v110
	v_mov_b32_dpp v110, v85 row_shr:4 row_mask:0xf bank_mask:0xf
	s_delay_alu instid0(VALU_DEP_1) | instskip(NEXT) | instid1(VALU_DEP_1)
	v_cndmask_b32_e64 v110, 0, v110, s1
	v_add_nc_u32_e32 v85, v85, v110
	s_delay_alu instid0(VALU_DEP_1) | instskip(NEXT) | instid1(VALU_DEP_1)
	v_mov_b32_dpp v110, v85 row_shr:8 row_mask:0xf bank_mask:0xf
	v_cndmask_b32_e64 v110, 0, v110, s10
	s_delay_alu instid0(VALU_DEP_1)
	v_add_nc_u32_e32 v85, v85, v110
	ds_store_b32 v84, v85
.LBB175_87:
	s_wait_alu 0xfffe
	s_or_b32 exec_lo, exec_lo, s13
	v_mov_b32_e32 v84, 0
	s_wait_loadcnt_dscnt 0x0
	s_barrier_signal -1
	s_barrier_wait -1
	global_inv scope:SCOPE_SE
	s_and_saveexec_b32 s0, s14
; %bb.88:
	ds_load_b32 v84, v86
; %bb.89:
	s_wait_alu 0xfffe
	s_or_b32 exec_lo, exec_lo, s0
	s_wait_dscnt 0x0
	v_add_nc_u32_e32 v36, v84, v36
	ds_bpermute_b32 v36, v87, v36
	s_wait_dscnt 0x0
	v_cndmask_b32_e64 v36, v36, v84, s11
	s_delay_alu instid0(VALU_DEP_1) | instskip(NEXT) | instid1(VALU_DEP_1)
	v_cndmask_b32_e64 v36, v36, 0, s16
	v_add_nc_u32_e32 v37, v36, v37
	s_delay_alu instid0(VALU_DEP_1) | instskip(NEXT) | instid1(VALU_DEP_1)
	v_add_nc_u32_e32 v38, v37, v38
	v_add_nc_u32_e32 v39, v38, v39
	s_delay_alu instid0(VALU_DEP_1) | instskip(NEXT) | instid1(VALU_DEP_1)
	v_add_nc_u32_e32 v84, v39, v40
	;; [unrolled: 3-line block ×3, first 2 shown]
	v_add_nc_u32_e32 v87, v86, v35
	ds_store_b128 v65, v[36:39] offset:64
	ds_store_b128 v65, v[84:87] offset:80
	s_wait_loadcnt_dscnt 0x0
	s_barrier_signal -1
	s_barrier_wait -1
	global_inv scope:SCOPE_SE
	ds_load_b32 v33, v109 offset:64
	ds_load_b32 v34, v107 offset:64
	;; [unrolled: 1-line block ×8, first 2 shown]
	v_lshlrev_b32_e32 v84, 1, v64
	s_wait_loadcnt_dscnt 0x0
	s_barrier_signal -1
	s_barrier_wait -1
	global_inv scope:SCOPE_SE
	v_mad_u32_u24 v85, v41, 48, v84
	v_add3_u32 v86, v108, v0, v33
	v_add3_u32 v87, v106, v105, v34
	;; [unrolled: 1-line block ×3, first 2 shown]
	v_add_nc_u32_e32 v88, v36, v88
	v_add3_u32 v90, v91, v90, v37
	v_add3_u32 v91, v94, v93, v38
	;; [unrolled: 1-line block ×4, first 2 shown]
	v_lshlrev_b32_e32 v0, 1, v88
	v_lshlrev_b32_e32 v33, 1, v90
	;; [unrolled: 1-line block ×8, first 2 shown]
	ds_store_b16 v0, v76
	ds_store_b16 v33, v77
	;; [unrolled: 1-line block ×8, first 2 shown]
	v_mad_co_u64_u32 v[76:77], null, v88, 6, v[0:1]
	v_mad_co_u64_u32 v[77:78], null, v90, 6, v[33:34]
	;; [unrolled: 1-line block ×5, first 2 shown]
	s_wait_loadcnt_dscnt 0x0
	s_barrier_signal -1
	s_barrier_wait -1
	global_inv scope:SCOPE_SE
	v_mad_co_u64_u32 v[81:82], null, v89, 6, v[37:38]
	ds_load_b128 v[33:36], v84
	v_mad_co_u64_u32 v[37:38], null, v87, 6, v[38:39]
	v_mad_co_u64_u32 v[38:39], null, v86, 6, v[39:40]
	s_wait_loadcnt_dscnt 0x0
	s_barrier_signal -1
	s_barrier_wait -1
	global_inv scope:SCOPE_SE
	ds_store_b64 v76, v[21:22]
	ds_store_b64 v77, v[23:24]
	;; [unrolled: 1-line block ×8, first 2 shown]
	s_wait_loadcnt_dscnt 0x0
	s_barrier_signal -1
	s_barrier_wait -1
	global_inv scope:SCOPE_SE
	ds_load_b128 v[29:32], v85
	ds_load_b128 v[25:28], v85 offset:16
	ds_load_b128 v[21:24], v85 offset:32
	;; [unrolled: 1-line block ×3, first 2 shown]
	v_xor_b32_e32 v0, 0x80008000, v33
	v_xor_b32_e32 v34, 0x80008000, v34
	;; [unrolled: 1-line block ×4, first 2 shown]
	s_branch .LBB175_142
.LBB175_90:
	v_mad_co_u64_u32 v[2:3], null, s26, v41, 0
	v_dual_mov_b32 v14, v1 :: v_dual_mov_b32 v15, v1
	v_mov_b32_e32 v16, v1
	v_dual_mov_b32 v6, v1 :: v_dual_mov_b32 v7, v1
	v_dual_mov_b32 v8, v1 :: v_dual_mov_b32 v9, v1
	v_mad_co_u64_u32 v[3:4], null, s27, v41, v[3:4]
	v_dual_mov_b32 v4, v1 :: v_dual_mov_b32 v5, v1
	v_dual_mov_b32 v10, v1 :: v_dual_mov_b32 v13, v1
	s_delay_alu instid0(VALU_DEP_3) | instskip(NEXT) | instid1(VALU_DEP_1)
	v_lshlrev_b64_e32 v[2:3], 3, v[2:3]
	v_add_co_u32 v2, vcc_lo, s30, v2
	s_wait_alu 0xfffd
	s_delay_alu instid0(VALU_DEP_2)
	v_add_co_ci_u32_e64 v3, null, s31, v3, vcc_lo
	global_load_b64 v[11:12], v[2:3], off
	v_dual_mov_b32 v2, v1 :: v_dual_mov_b32 v3, v1
	s_or_b32 exec_lo, exec_lo, s0
	s_and_saveexec_b32 s0, s3
	s_cbranch_execz .LBB175_36
.LBB175_91:
	v_mad_co_u64_u32 v[1:2], null, s26, v17, 0
	s_delay_alu instid0(VALU_DEP_1) | instskip(NEXT) | instid1(VALU_DEP_1)
	v_mad_co_u64_u32 v[24:25], null, s27, v17, v[2:3]
	v_mov_b32_e32 v2, v24
	s_delay_alu instid0(VALU_DEP_1) | instskip(NEXT) | instid1(VALU_DEP_1)
	v_lshlrev_b64_e32 v[1:2], 3, v[1:2]
	v_add_co_u32 v1, vcc_lo, s30, v1
	s_wait_alu 0xfffd
	s_delay_alu instid0(VALU_DEP_2)
	v_add_co_ci_u32_e64 v2, null, s31, v2, vcc_lo
	global_load_b64 v[1:2], v[1:2], off
	s_or_b32 exec_lo, exec_lo, s0
	s_and_saveexec_b32 s0, s4
	s_cbranch_execz .LBB175_37
.LBB175_92:
	v_mad_co_u64_u32 v[13:14], null, s26, v18, 0
	s_delay_alu instid0(VALU_DEP_1) | instskip(NEXT) | instid1(VALU_DEP_1)
	v_mad_co_u64_u32 v[24:25], null, s27, v18, v[14:15]
	v_mov_b32_e32 v14, v24
	s_delay_alu instid0(VALU_DEP_1) | instskip(NEXT) | instid1(VALU_DEP_1)
	v_lshlrev_b64_e32 v[13:14], 3, v[13:14]
	v_add_co_u32 v13, vcc_lo, s30, v13
	s_wait_alu 0xfffd
	s_delay_alu instid0(VALU_DEP_2)
	v_add_co_ci_u32_e64 v14, null, s31, v14, vcc_lo
	global_load_b64 v[13:14], v[13:14], off
	s_or_b32 exec_lo, exec_lo, s0
	s_and_saveexec_b32 s0, s5
	s_cbranch_execz .LBB175_38
.LBB175_93:
	v_mad_co_u64_u32 v[15:16], null, s26, v19, 0
	s_delay_alu instid0(VALU_DEP_1) | instskip(NEXT) | instid1(VALU_DEP_1)
	v_mad_co_u64_u32 v[24:25], null, s27, v19, v[16:17]
	v_mov_b32_e32 v16, v24
	s_delay_alu instid0(VALU_DEP_1) | instskip(NEXT) | instid1(VALU_DEP_1)
	v_lshlrev_b64_e32 v[15:16], 3, v[15:16]
	v_add_co_u32 v15, vcc_lo, s30, v15
	s_wait_alu 0xfffd
	s_delay_alu instid0(VALU_DEP_2)
	v_add_co_ci_u32_e64 v16, null, s31, v16, vcc_lo
	global_load_b64 v[15:16], v[15:16], off
	s_or_b32 exec_lo, exec_lo, s0
	s_and_saveexec_b32 s0, s6
	s_cbranch_execz .LBB175_39
.LBB175_94:
	v_mad_co_u64_u32 v[3:4], null, s26, v20, 0
	s_delay_alu instid0(VALU_DEP_1) | instskip(NEXT) | instid1(VALU_DEP_1)
	v_mad_co_u64_u32 v[24:25], null, s27, v20, v[4:5]
	v_mov_b32_e32 v4, v24
	s_delay_alu instid0(VALU_DEP_1) | instskip(NEXT) | instid1(VALU_DEP_1)
	v_lshlrev_b64_e32 v[3:4], 3, v[3:4]
	v_add_co_u32 v3, vcc_lo, s30, v3
	s_wait_alu 0xfffd
	s_delay_alu instid0(VALU_DEP_2)
	v_add_co_ci_u32_e64 v4, null, s31, v4, vcc_lo
	global_load_b64 v[3:4], v[3:4], off
	s_or_b32 exec_lo, exec_lo, s0
	s_and_saveexec_b32 s0, s7
	s_cbranch_execz .LBB175_40
.LBB175_95:
	v_mad_co_u64_u32 v[5:6], null, s26, v21, 0
	s_delay_alu instid0(VALU_DEP_1) | instskip(NEXT) | instid1(VALU_DEP_1)
	v_mad_co_u64_u32 v[24:25], null, s27, v21, v[6:7]
	v_mov_b32_e32 v6, v24
	s_delay_alu instid0(VALU_DEP_1) | instskip(NEXT) | instid1(VALU_DEP_1)
	v_lshlrev_b64_e32 v[5:6], 3, v[5:6]
	v_add_co_u32 v5, vcc_lo, s30, v5
	s_wait_alu 0xfffd
	s_delay_alu instid0(VALU_DEP_2)
	v_add_co_ci_u32_e64 v6, null, s31, v6, vcc_lo
	global_load_b64 v[5:6], v[5:6], off
	s_or_b32 exec_lo, exec_lo, s0
	s_and_saveexec_b32 s0, s8
	s_cbranch_execnz .LBB175_41
	s_branch .LBB175_42
.LBB175_96:
                                        ; implicit-def: $vgpr33
                                        ; implicit-def: $vgpr34
                                        ; implicit-def: $vgpr0
                                        ; implicit-def: $vgpr19_vgpr20
                                        ; implicit-def: $vgpr23_vgpr24
                                        ; implicit-def: $vgpr27_vgpr28
                                        ; implicit-def: $vgpr31_vgpr32
                                        ; implicit-def: $vgpr35
	s_and_b32 vcc_lo, exec_lo, s0
	s_wait_alu 0xfffe
	s_cbranch_vccz .LBB175_142
; %bb.97:
	s_wait_dscnt 0x0
	v_xor_b32_e32 v17, 0x7fff7fff, v44
	v_xor_b32_e32 v18, 0x7fff7fff, v45
	;; [unrolled: 1-line block ×4, first 2 shown]
	s_getpc_b64 s[0:1]
	s_sext_i32_i16 s1, s1
	s_add_co_u32 s0, s0, _ZN7rocprim17ROCPRIM_400000_NS16block_radix_sortIsLj512ELj8ElLj1ELj1ELj0ELNS0_26block_radix_rank_algorithmE1ELNS0_18block_padding_hintE2ELNS0_4arch9wavefront6targetE0EE19radix_bits_per_passE@rel32@lo+8
	s_add_co_ci_u32 s1, s1, _ZN7rocprim17ROCPRIM_400000_NS16block_radix_sortIsLj512ELj8ElLj1ELj1ELj0ELNS0_26block_radix_rank_algorithmE1ELNS0_18block_padding_hintE2ELNS0_4arch9wavefront6targetE0EE19radix_bits_per_passE@rel32@hi+16
	s_mov_b32 s12, 0
	s_load_b32 s17, s[0:1], 0x0
	s_mov_b32 s13, s12
	ds_store_b128 v75, v[17:20]
	; wave barrier
	ds_load_u16 v25, v66
	s_mov_b32 s14, s12
	s_mov_b32 s15, s12
	v_mad_u32_u24 v0, v74, 6, v75
	ds_load_u16 v26, v66 offset:64
	ds_load_u16 v27, v66 offset:128
	;; [unrolled: 1-line block ×7, first 2 shown]
	s_wait_loadcnt_dscnt 0x0
	s_barrier_signal -1
	s_barrier_wait -1
	global_inv scope:SCOPE_SE
	ds_store_b128 v0, v[5:8]
	ds_store_b128 v0, v[1:4] offset:16
	ds_store_b128 v0, v[13:16] offset:32
	;; [unrolled: 1-line block ×3, first 2 shown]
	; wave barrier
	ds_load_2addr_b64 v[4:7], v73 offset1:32
	ds_load_2addr_b64 v[0:3], v73 offset0:64 offset1:96
	ds_load_2addr_b64 v[12:15], v73 offset0:128 offset1:160
	;; [unrolled: 1-line block ×3, first 2 shown]
	s_wait_kmcnt 0x0
	s_min_u32 s0, s17, 16
	s_wait_loadcnt_dscnt 0x0
	s_lshl_b32 s0, -1, s0
	s_barrier_signal -1
	s_not_b32 s1, s0
	v_and_b32_e32 v17, 0xffff, v25
	s_barrier_wait -1
	global_inv scope:SCOPE_SE
	s_load_b32 s10, s[34:35], 0xc
	v_and_b32_e32 v23, s1, v17
	s_delay_alu instid0(VALU_DEP_1) | instskip(SKIP_3) | instid1(VALU_DEP_4)
	v_and_b32_e32 v16, 1, v23
	v_lshlrev_b32_e32 v17, 30, v23
	v_lshlrev_b32_e32 v20, 28, v23
	;; [unrolled: 1-line block ×3, first 2 shown]
	v_add_co_u32 v16, s0, v16, -1
	s_wait_alu 0xf1ff
	v_cndmask_b32_e64 v18, 0, 1, s0
	v_not_b32_e32 v19, v17
	v_cmp_gt_i32_e64 s0, 0, v17
	s_delay_alu instid0(VALU_DEP_3) | instskip(SKIP_1) | instid1(VALU_DEP_4)
	v_cmp_ne_u32_e32 vcc_lo, 0, v18
	v_lshlrev_b32_e32 v18, 29, v23
	v_ashrrev_i32_e32 v17, 31, v19
	s_wait_alu 0xfffd
	v_xor_b32_e32 v16, vcc_lo, v16
	s_delay_alu instid0(VALU_DEP_3)
	v_not_b32_e32 v19, v18
	s_wait_alu 0xf1ff
	v_xor_b32_e32 v17, s0, v17
	v_cmp_gt_i32_e32 vcc_lo, 0, v18
	s_wait_kmcnt 0x0
	s_lshr_b32 s0, s10, 16
	v_and_b32_e32 v16, exec_lo, v16
	v_ashrrev_i32_e32 v18, 31, v19
	v_not_b32_e32 v19, v20
	s_and_b32 s10, s10, 0xffff
	s_delay_alu instid0(VALU_DEP_3)
	v_and_b32_e32 v16, v16, v17
	s_wait_alu 0xfffd
	v_xor_b32_e32 v17, vcc_lo, v18
	v_cmp_gt_i32_e32 vcc_lo, 0, v20
	v_ashrrev_i32_e32 v18, 31, v19
	v_not_b32_e32 v19, v21
	s_delay_alu instid0(VALU_DEP_4)
	v_and_b32_e32 v16, v16, v17
	v_lshlrev_b32_e32 v17, 26, v23
	s_wait_alu 0xfffd
	v_xor_b32_e32 v18, vcc_lo, v18
	v_cmp_gt_i32_e32 vcc_lo, 0, v21
	v_ashrrev_i32_e32 v19, 31, v19
	v_not_b32_e32 v20, v17
	s_delay_alu instid0(VALU_DEP_4)
	v_and_b32_e32 v16, v16, v18
	v_lshlrev_b32_e32 v18, 25, v23
	;; [unrolled: 8-line block ×3, first 2 shown]
	s_wait_alu 0xfffd
	v_xor_b32_e32 v17, vcc_lo, v17
	v_cmp_gt_i32_e32 vcc_lo, 0, v18
	v_ashrrev_i32_e32 v18, 31, v20
	s_wait_alu 0xfffe
	v_mad_u32_u24 v20, v72, s0, v71
	v_not_b32_e32 v21, v19
	v_and_b32_e32 v16, v16, v17
	s_wait_alu 0xfffd
	v_xor_b32_e32 v17, vcc_lo, v18
	v_cmp_gt_i32_e32 vcc_lo, 0, v19
	v_ashrrev_i32_e32 v18, 31, v21
	v_mad_co_u64_u32 v[21:22], null, v20, s10, v[41:42]
	s_delay_alu instid0(VALU_DEP_4) | instskip(SKIP_1) | instid1(VALU_DEP_3)
	v_and_b32_e32 v16, v16, v17
	s_wait_alu 0xfffd
	v_xor_b32_e32 v22, vcc_lo, v18
	v_dual_mov_b32 v20, s15 :: v_dual_mov_b32 v19, s14
	v_dual_mov_b32 v18, s13 :: v_dual_mov_b32 v17, s12
	s_delay_alu instid0(VALU_DEP_3)
	v_and_b32_e32 v16, v16, v22
	v_lshrrev_b32_e32 v21, 5, v21
	ds_store_b128 v65, v[17:20] offset:64
	ds_store_b128 v65, v[17:20] offset:80
	v_mbcnt_lo_u32_b32 v37, v16, 0
	v_lshlrev_b32_e32 v24, 2, v21
	v_lshlrev_b32_e32 v17, 6, v23
	v_cmp_ne_u32_e64 s0, 0, v16
	s_wait_loadcnt_dscnt 0x0
	v_cmp_eq_u32_e32 vcc_lo, 0, v37
	s_barrier_signal -1
	v_add_nc_u32_e32 v38, v24, v17
	s_barrier_wait -1
	global_inv scope:SCOPE_SE
	s_and_b32 s10, s0, vcc_lo
	; wave barrier
	s_wait_alu 0xfffe
	s_and_saveexec_b32 s0, s10
; %bb.98:
	v_bcnt_u32_b32 v16, v16, 0
	ds_store_b32 v38, v16 offset:64
; %bb.99:
	s_wait_alu 0xfffe
	s_or_b32 exec_lo, exec_lo, s0
	v_and_b32_e32 v16, 0xffff, v26
	; wave barrier
	s_delay_alu instid0(VALU_DEP_1) | instskip(NEXT) | instid1(VALU_DEP_1)
	v_and_b32_e32 v16, s1, v16
	v_and_b32_e32 v17, 1, v16
	v_lshlrev_b32_e32 v18, 30, v16
	v_lshlrev_b32_e32 v19, 29, v16
	;; [unrolled: 1-line block ×4, first 2 shown]
	v_add_co_u32 v17, s0, v17, -1
	s_wait_alu 0xf1ff
	v_cndmask_b32_e64 v21, 0, 1, s0
	v_not_b32_e32 v34, v18
	v_cmp_gt_i32_e64 s0, 0, v18
	v_not_b32_e32 v18, v19
	v_lshlrev_b32_e32 v23, 26, v16
	v_cmp_ne_u32_e32 vcc_lo, 0, v21
	v_ashrrev_i32_e32 v34, 31, v34
	v_lshlrev_b32_e32 v33, 25, v16
	v_ashrrev_i32_e32 v18, 31, v18
	v_lshlrev_b32_e32 v21, 24, v16
	s_wait_alu 0xfffd
	v_xor_b32_e32 v17, vcc_lo, v17
	v_cmp_gt_i32_e32 vcc_lo, 0, v19
	v_not_b32_e32 v19, v20
	s_wait_alu 0xf1ff
	v_xor_b32_e32 v34, s0, v34
	v_cmp_gt_i32_e64 s0, 0, v20
	v_and_b32_e32 v17, exec_lo, v17
	v_not_b32_e32 v20, v22
	v_ashrrev_i32_e32 v19, 31, v19
	s_wait_alu 0xfffd
	v_xor_b32_e32 v18, vcc_lo, v18
	v_cmp_gt_i32_e32 vcc_lo, 0, v22
	v_and_b32_e32 v17, v17, v34
	v_not_b32_e32 v22, v23
	v_ashrrev_i32_e32 v20, 31, v20
	s_wait_alu 0xf1ff
	v_xor_b32_e32 v19, s0, v19
	v_cmp_gt_i32_e64 s0, 0, v23
	v_and_b32_e32 v17, v17, v18
	v_not_b32_e32 v18, v33
	v_ashrrev_i32_e32 v22, 31, v22
	s_wait_alu 0xfffd
	v_xor_b32_e32 v20, vcc_lo, v20
	v_cmp_gt_i32_e32 vcc_lo, 0, v33
	v_and_b32_e32 v17, v17, v19
	v_not_b32_e32 v19, v21
	v_ashrrev_i32_e32 v18, 31, v18
	s_wait_alu 0xf1ff
	v_xor_b32_e32 v22, s0, v22
	v_lshlrev_b32_e32 v16, 6, v16
	v_and_b32_e32 v17, v17, v20
	v_cmp_gt_i32_e64 s0, 0, v21
	v_ashrrev_i32_e32 v19, 31, v19
	s_wait_alu 0xfffd
	v_xor_b32_e32 v18, vcc_lo, v18
	v_add_nc_u32_e32 v42, v24, v16
	v_and_b32_e32 v17, v17, v22
	s_wait_alu 0xf1ff
	v_xor_b32_e32 v16, s0, v19
	ds_load_b32 v39, v42 offset:64
	v_and_b32_e32 v17, v17, v18
	; wave barrier
	s_delay_alu instid0(VALU_DEP_1) | instskip(NEXT) | instid1(VALU_DEP_1)
	v_and_b32_e32 v16, v17, v16
	v_mbcnt_lo_u32_b32 v40, v16, 0
	v_cmp_ne_u32_e64 s0, 0, v16
	s_delay_alu instid0(VALU_DEP_2)
	v_cmp_eq_u32_e32 vcc_lo, 0, v40
	s_and_b32 s10, s0, vcc_lo
	s_wait_alu 0xfffe
	s_and_saveexec_b32 s0, s10
	s_cbranch_execz .LBB175_101
; %bb.100:
	s_wait_dscnt 0x0
	v_bcnt_u32_b32 v16, v16, v39
	ds_store_b32 v42, v16 offset:64
.LBB175_101:
	s_wait_alu 0xfffe
	s_or_b32 exec_lo, exec_lo, s0
	v_and_b32_e32 v16, 0xffff, v27
	; wave barrier
	s_delay_alu instid0(VALU_DEP_1) | instskip(NEXT) | instid1(VALU_DEP_1)
	v_and_b32_e32 v16, s1, v16
	v_and_b32_e32 v17, 1, v16
	v_lshlrev_b32_e32 v18, 30, v16
	v_lshlrev_b32_e32 v19, 29, v16
	;; [unrolled: 1-line block ×4, first 2 shown]
	v_add_co_u32 v17, s0, v17, -1
	s_wait_alu 0xf1ff
	v_cndmask_b32_e64 v21, 0, 1, s0
	v_not_b32_e32 v34, v18
	v_cmp_gt_i32_e64 s0, 0, v18
	v_not_b32_e32 v18, v19
	v_lshlrev_b32_e32 v23, 26, v16
	v_cmp_ne_u32_e32 vcc_lo, 0, v21
	v_ashrrev_i32_e32 v34, 31, v34
	v_lshlrev_b32_e32 v33, 25, v16
	v_ashrrev_i32_e32 v18, 31, v18
	v_lshlrev_b32_e32 v21, 24, v16
	s_wait_alu 0xfffd
	v_xor_b32_e32 v17, vcc_lo, v17
	v_cmp_gt_i32_e32 vcc_lo, 0, v19
	v_not_b32_e32 v19, v20
	s_wait_alu 0xf1ff
	v_xor_b32_e32 v34, s0, v34
	v_cmp_gt_i32_e64 s0, 0, v20
	v_and_b32_e32 v17, exec_lo, v17
	v_not_b32_e32 v20, v22
	v_ashrrev_i32_e32 v19, 31, v19
	s_wait_alu 0xfffd
	v_xor_b32_e32 v18, vcc_lo, v18
	v_cmp_gt_i32_e32 vcc_lo, 0, v22
	v_and_b32_e32 v17, v17, v34
	v_not_b32_e32 v22, v23
	v_ashrrev_i32_e32 v20, 31, v20
	s_wait_alu 0xf1ff
	v_xor_b32_e32 v19, s0, v19
	v_cmp_gt_i32_e64 s0, 0, v23
	v_and_b32_e32 v17, v17, v18
	v_not_b32_e32 v18, v33
	v_ashrrev_i32_e32 v22, 31, v22
	s_wait_alu 0xfffd
	v_xor_b32_e32 v20, vcc_lo, v20
	v_cmp_gt_i32_e32 vcc_lo, 0, v33
	v_and_b32_e32 v17, v17, v19
	v_not_b32_e32 v19, v21
	v_ashrrev_i32_e32 v18, 31, v18
	s_wait_alu 0xf1ff
	v_xor_b32_e32 v22, s0, v22
	v_lshlrev_b32_e32 v16, 6, v16
	v_and_b32_e32 v17, v17, v20
	v_cmp_gt_i32_e64 s0, 0, v21
	v_ashrrev_i32_e32 v19, 31, v19
	s_wait_alu 0xfffd
	v_xor_b32_e32 v18, vcc_lo, v18
	v_add_nc_u32_e32 v45, v24, v16
	v_and_b32_e32 v17, v17, v22
	s_wait_alu 0xf1ff
	v_xor_b32_e32 v16, s0, v19
	ds_load_b32 v43, v45 offset:64
	v_and_b32_e32 v17, v17, v18
	; wave barrier
	s_delay_alu instid0(VALU_DEP_1) | instskip(NEXT) | instid1(VALU_DEP_1)
	v_and_b32_e32 v16, v17, v16
	v_mbcnt_lo_u32_b32 v44, v16, 0
	v_cmp_ne_u32_e64 s0, 0, v16
	s_delay_alu instid0(VALU_DEP_2)
	v_cmp_eq_u32_e32 vcc_lo, 0, v44
	s_and_b32 s10, s0, vcc_lo
	s_wait_alu 0xfffe
	s_and_saveexec_b32 s0, s10
	s_cbranch_execz .LBB175_103
; %bb.102:
	s_wait_dscnt 0x0
	v_bcnt_u32_b32 v16, v16, v43
	ds_store_b32 v45, v16 offset:64
.LBB175_103:
	s_wait_alu 0xfffe
	s_or_b32 exec_lo, exec_lo, s0
	v_and_b32_e32 v16, 0xffff, v28
	; wave barrier
	s_delay_alu instid0(VALU_DEP_1) | instskip(NEXT) | instid1(VALU_DEP_1)
	v_and_b32_e32 v16, s1, v16
	v_and_b32_e32 v17, 1, v16
	v_lshlrev_b32_e32 v18, 30, v16
	v_lshlrev_b32_e32 v19, 29, v16
	;; [unrolled: 1-line block ×4, first 2 shown]
	v_add_co_u32 v17, s0, v17, -1
	s_wait_alu 0xf1ff
	v_cndmask_b32_e64 v21, 0, 1, s0
	v_not_b32_e32 v34, v18
	v_cmp_gt_i32_e64 s0, 0, v18
	v_not_b32_e32 v18, v19
	v_lshlrev_b32_e32 v23, 26, v16
	v_cmp_ne_u32_e32 vcc_lo, 0, v21
	v_ashrrev_i32_e32 v34, 31, v34
	v_lshlrev_b32_e32 v33, 25, v16
	v_ashrrev_i32_e32 v18, 31, v18
	v_lshlrev_b32_e32 v21, 24, v16
	s_wait_alu 0xfffd
	v_xor_b32_e32 v17, vcc_lo, v17
	v_cmp_gt_i32_e32 vcc_lo, 0, v19
	v_not_b32_e32 v19, v20
	s_wait_alu 0xf1ff
	v_xor_b32_e32 v34, s0, v34
	v_cmp_gt_i32_e64 s0, 0, v20
	v_and_b32_e32 v17, exec_lo, v17
	v_not_b32_e32 v20, v22
	v_ashrrev_i32_e32 v19, 31, v19
	s_wait_alu 0xfffd
	v_xor_b32_e32 v18, vcc_lo, v18
	v_cmp_gt_i32_e32 vcc_lo, 0, v22
	v_and_b32_e32 v17, v17, v34
	v_not_b32_e32 v22, v23
	v_ashrrev_i32_e32 v20, 31, v20
	s_wait_alu 0xf1ff
	v_xor_b32_e32 v19, s0, v19
	v_cmp_gt_i32_e64 s0, 0, v23
	v_and_b32_e32 v17, v17, v18
	v_not_b32_e32 v18, v33
	v_ashrrev_i32_e32 v22, 31, v22
	s_wait_alu 0xfffd
	v_xor_b32_e32 v20, vcc_lo, v20
	v_cmp_gt_i32_e32 vcc_lo, 0, v33
	v_and_b32_e32 v17, v17, v19
	v_not_b32_e32 v19, v21
	v_ashrrev_i32_e32 v18, 31, v18
	s_wait_alu 0xf1ff
	v_xor_b32_e32 v22, s0, v22
	v_lshlrev_b32_e32 v16, 6, v16
	v_and_b32_e32 v17, v17, v20
	v_cmp_gt_i32_e64 s0, 0, v21
	v_ashrrev_i32_e32 v19, 31, v19
	s_wait_alu 0xfffd
	v_xor_b32_e32 v18, vcc_lo, v18
	v_add_nc_u32_e32 v73, v24, v16
	v_and_b32_e32 v17, v17, v22
	s_wait_alu 0xf1ff
	v_xor_b32_e32 v16, s0, v19
	ds_load_b32 v71, v73 offset:64
	v_and_b32_e32 v17, v17, v18
	; wave barrier
	s_delay_alu instid0(VALU_DEP_1) | instskip(NEXT) | instid1(VALU_DEP_1)
	v_and_b32_e32 v16, v17, v16
	v_mbcnt_lo_u32_b32 v72, v16, 0
	v_cmp_ne_u32_e64 s0, 0, v16
	s_delay_alu instid0(VALU_DEP_2)
	v_cmp_eq_u32_e32 vcc_lo, 0, v72
	s_and_b32 s10, s0, vcc_lo
	s_wait_alu 0xfffe
	s_and_saveexec_b32 s0, s10
	s_cbranch_execz .LBB175_105
; %bb.104:
	s_wait_dscnt 0x0
	v_bcnt_u32_b32 v16, v16, v71
	ds_store_b32 v73, v16 offset:64
.LBB175_105:
	s_wait_alu 0xfffe
	s_or_b32 exec_lo, exec_lo, s0
	v_and_b32_e32 v16, 0xffff, v29
	; wave barrier
	s_delay_alu instid0(VALU_DEP_1) | instskip(NEXT) | instid1(VALU_DEP_1)
	v_and_b32_e32 v16, s1, v16
	v_and_b32_e32 v17, 1, v16
	v_lshlrev_b32_e32 v18, 30, v16
	v_lshlrev_b32_e32 v19, 29, v16
	;; [unrolled: 1-line block ×4, first 2 shown]
	v_add_co_u32 v17, s0, v17, -1
	s_wait_alu 0xf1ff
	v_cndmask_b32_e64 v21, 0, 1, s0
	v_not_b32_e32 v34, v18
	v_cmp_gt_i32_e64 s0, 0, v18
	v_not_b32_e32 v18, v19
	v_lshlrev_b32_e32 v23, 26, v16
	v_cmp_ne_u32_e32 vcc_lo, 0, v21
	v_ashrrev_i32_e32 v34, 31, v34
	v_lshlrev_b32_e32 v33, 25, v16
	v_ashrrev_i32_e32 v18, 31, v18
	v_lshlrev_b32_e32 v21, 24, v16
	s_wait_alu 0xfffd
	v_xor_b32_e32 v17, vcc_lo, v17
	v_cmp_gt_i32_e32 vcc_lo, 0, v19
	v_not_b32_e32 v19, v20
	s_wait_alu 0xf1ff
	v_xor_b32_e32 v34, s0, v34
	v_cmp_gt_i32_e64 s0, 0, v20
	v_and_b32_e32 v17, exec_lo, v17
	v_not_b32_e32 v20, v22
	v_ashrrev_i32_e32 v19, 31, v19
	s_wait_alu 0xfffd
	v_xor_b32_e32 v18, vcc_lo, v18
	v_cmp_gt_i32_e32 vcc_lo, 0, v22
	v_and_b32_e32 v17, v17, v34
	v_not_b32_e32 v22, v23
	v_ashrrev_i32_e32 v20, 31, v20
	s_wait_alu 0xf1ff
	v_xor_b32_e32 v19, s0, v19
	v_cmp_gt_i32_e64 s0, 0, v23
	v_and_b32_e32 v17, v17, v18
	v_not_b32_e32 v18, v33
	v_ashrrev_i32_e32 v22, 31, v22
	s_wait_alu 0xfffd
	v_xor_b32_e32 v20, vcc_lo, v20
	v_cmp_gt_i32_e32 vcc_lo, 0, v33
	v_and_b32_e32 v17, v17, v19
	v_not_b32_e32 v19, v21
	v_ashrrev_i32_e32 v18, 31, v18
	s_wait_alu 0xf1ff
	v_xor_b32_e32 v22, s0, v22
	v_lshlrev_b32_e32 v16, 6, v16
	v_and_b32_e32 v17, v17, v20
	v_cmp_gt_i32_e64 s0, 0, v21
	v_ashrrev_i32_e32 v19, 31, v19
	s_wait_alu 0xfffd
	v_xor_b32_e32 v18, vcc_lo, v18
	v_add_nc_u32_e32 v76, v24, v16
	v_and_b32_e32 v17, v17, v22
	s_wait_alu 0xf1ff
	v_xor_b32_e32 v16, s0, v19
	ds_load_b32 v74, v76 offset:64
	v_and_b32_e32 v17, v17, v18
	; wave barrier
	s_delay_alu instid0(VALU_DEP_1) | instskip(NEXT) | instid1(VALU_DEP_1)
	v_and_b32_e32 v16, v17, v16
	v_mbcnt_lo_u32_b32 v75, v16, 0
	v_cmp_ne_u32_e64 s0, 0, v16
	s_delay_alu instid0(VALU_DEP_2)
	v_cmp_eq_u32_e32 vcc_lo, 0, v75
	s_and_b32 s10, s0, vcc_lo
	s_wait_alu 0xfffe
	s_and_saveexec_b32 s0, s10
	s_cbranch_execz .LBB175_107
; %bb.106:
	s_wait_dscnt 0x0
	v_bcnt_u32_b32 v16, v16, v74
	ds_store_b32 v76, v16 offset:64
.LBB175_107:
	s_wait_alu 0xfffe
	s_or_b32 exec_lo, exec_lo, s0
	v_and_b32_e32 v16, 0xffff, v30
	; wave barrier
	s_delay_alu instid0(VALU_DEP_1) | instskip(NEXT) | instid1(VALU_DEP_1)
	v_and_b32_e32 v16, s1, v16
	v_and_b32_e32 v17, 1, v16
	v_lshlrev_b32_e32 v18, 30, v16
	v_lshlrev_b32_e32 v19, 29, v16
	;; [unrolled: 1-line block ×4, first 2 shown]
	v_add_co_u32 v17, s0, v17, -1
	s_wait_alu 0xf1ff
	v_cndmask_b32_e64 v21, 0, 1, s0
	v_not_b32_e32 v34, v18
	v_cmp_gt_i32_e64 s0, 0, v18
	v_not_b32_e32 v18, v19
	v_lshlrev_b32_e32 v23, 26, v16
	v_cmp_ne_u32_e32 vcc_lo, 0, v21
	v_ashrrev_i32_e32 v34, 31, v34
	v_lshlrev_b32_e32 v33, 25, v16
	v_ashrrev_i32_e32 v18, 31, v18
	v_lshlrev_b32_e32 v21, 24, v16
	s_wait_alu 0xfffd
	v_xor_b32_e32 v17, vcc_lo, v17
	v_cmp_gt_i32_e32 vcc_lo, 0, v19
	v_not_b32_e32 v19, v20
	s_wait_alu 0xf1ff
	v_xor_b32_e32 v34, s0, v34
	v_cmp_gt_i32_e64 s0, 0, v20
	v_and_b32_e32 v17, exec_lo, v17
	v_not_b32_e32 v20, v22
	v_ashrrev_i32_e32 v19, 31, v19
	s_wait_alu 0xfffd
	v_xor_b32_e32 v18, vcc_lo, v18
	v_cmp_gt_i32_e32 vcc_lo, 0, v22
	v_and_b32_e32 v17, v17, v34
	v_not_b32_e32 v22, v23
	v_ashrrev_i32_e32 v20, 31, v20
	s_wait_alu 0xf1ff
	v_xor_b32_e32 v19, s0, v19
	v_cmp_gt_i32_e64 s0, 0, v23
	v_and_b32_e32 v17, v17, v18
	v_not_b32_e32 v18, v33
	v_ashrrev_i32_e32 v22, 31, v22
	s_wait_alu 0xfffd
	v_xor_b32_e32 v20, vcc_lo, v20
	v_cmp_gt_i32_e32 vcc_lo, 0, v33
	v_and_b32_e32 v17, v17, v19
	v_not_b32_e32 v19, v21
	v_ashrrev_i32_e32 v18, 31, v18
	s_wait_alu 0xf1ff
	v_xor_b32_e32 v22, s0, v22
	v_lshlrev_b32_e32 v16, 6, v16
	v_and_b32_e32 v17, v17, v20
	v_cmp_gt_i32_e64 s0, 0, v21
	v_ashrrev_i32_e32 v19, 31, v19
	s_wait_alu 0xfffd
	v_xor_b32_e32 v18, vcc_lo, v18
	v_add_nc_u32_e32 v79, v24, v16
	v_and_b32_e32 v17, v17, v22
	s_wait_alu 0xf1ff
	v_xor_b32_e32 v16, s0, v19
	ds_load_b32 v77, v79 offset:64
	v_and_b32_e32 v17, v17, v18
	; wave barrier
	s_delay_alu instid0(VALU_DEP_1) | instskip(NEXT) | instid1(VALU_DEP_1)
	v_and_b32_e32 v16, v17, v16
	v_mbcnt_lo_u32_b32 v78, v16, 0
	v_cmp_ne_u32_e64 s0, 0, v16
	s_delay_alu instid0(VALU_DEP_2)
	v_cmp_eq_u32_e32 vcc_lo, 0, v78
	s_and_b32 s10, s0, vcc_lo
	s_wait_alu 0xfffe
	s_and_saveexec_b32 s0, s10
	s_cbranch_execz .LBB175_109
; %bb.108:
	s_wait_dscnt 0x0
	v_bcnt_u32_b32 v16, v16, v77
	ds_store_b32 v79, v16 offset:64
.LBB175_109:
	s_wait_alu 0xfffe
	s_or_b32 exec_lo, exec_lo, s0
	v_and_b32_e32 v16, 0xffff, v31
	; wave barrier
	s_delay_alu instid0(VALU_DEP_1) | instskip(NEXT) | instid1(VALU_DEP_1)
	v_and_b32_e32 v16, s1, v16
	v_and_b32_e32 v17, 1, v16
	v_lshlrev_b32_e32 v18, 30, v16
	v_lshlrev_b32_e32 v19, 29, v16
	;; [unrolled: 1-line block ×4, first 2 shown]
	v_add_co_u32 v17, s0, v17, -1
	s_wait_alu 0xf1ff
	v_cndmask_b32_e64 v21, 0, 1, s0
	v_not_b32_e32 v34, v18
	v_cmp_gt_i32_e64 s0, 0, v18
	v_not_b32_e32 v18, v19
	v_lshlrev_b32_e32 v23, 26, v16
	v_cmp_ne_u32_e32 vcc_lo, 0, v21
	v_ashrrev_i32_e32 v34, 31, v34
	v_lshlrev_b32_e32 v33, 25, v16
	v_ashrrev_i32_e32 v18, 31, v18
	v_lshlrev_b32_e32 v21, 24, v16
	s_wait_alu 0xfffd
	v_xor_b32_e32 v17, vcc_lo, v17
	v_cmp_gt_i32_e32 vcc_lo, 0, v19
	v_not_b32_e32 v19, v20
	s_wait_alu 0xf1ff
	v_xor_b32_e32 v34, s0, v34
	v_cmp_gt_i32_e64 s0, 0, v20
	v_and_b32_e32 v17, exec_lo, v17
	v_not_b32_e32 v20, v22
	v_ashrrev_i32_e32 v19, 31, v19
	s_wait_alu 0xfffd
	v_xor_b32_e32 v18, vcc_lo, v18
	v_cmp_gt_i32_e32 vcc_lo, 0, v22
	v_and_b32_e32 v17, v17, v34
	v_not_b32_e32 v22, v23
	v_ashrrev_i32_e32 v20, 31, v20
	s_wait_alu 0xf1ff
	v_xor_b32_e32 v19, s0, v19
	v_cmp_gt_i32_e64 s0, 0, v23
	v_and_b32_e32 v17, v17, v18
	v_not_b32_e32 v18, v33
	v_ashrrev_i32_e32 v22, 31, v22
	s_wait_alu 0xfffd
	v_xor_b32_e32 v20, vcc_lo, v20
	v_cmp_gt_i32_e32 vcc_lo, 0, v33
	v_and_b32_e32 v17, v17, v19
	v_not_b32_e32 v19, v21
	v_ashrrev_i32_e32 v18, 31, v18
	s_wait_alu 0xf1ff
	v_xor_b32_e32 v22, s0, v22
	v_lshlrev_b32_e32 v16, 6, v16
	v_and_b32_e32 v17, v17, v20
	v_cmp_gt_i32_e64 s0, 0, v21
	v_ashrrev_i32_e32 v19, 31, v19
	s_wait_alu 0xfffd
	v_xor_b32_e32 v18, vcc_lo, v18
	v_add_nc_u32_e32 v82, v24, v16
	v_and_b32_e32 v17, v17, v22
	s_wait_alu 0xf1ff
	v_xor_b32_e32 v16, s0, v19
	ds_load_b32 v80, v82 offset:64
	v_and_b32_e32 v17, v17, v18
	; wave barrier
	s_delay_alu instid0(VALU_DEP_1) | instskip(NEXT) | instid1(VALU_DEP_1)
	v_and_b32_e32 v16, v17, v16
	v_mbcnt_lo_u32_b32 v81, v16, 0
	v_cmp_ne_u32_e64 s0, 0, v16
	s_delay_alu instid0(VALU_DEP_2)
	v_cmp_eq_u32_e32 vcc_lo, 0, v81
	s_and_b32 s10, s0, vcc_lo
	s_wait_alu 0xfffe
	s_and_saveexec_b32 s0, s10
	s_cbranch_execz .LBB175_111
; %bb.110:
	s_wait_dscnt 0x0
	v_bcnt_u32_b32 v16, v16, v80
	ds_store_b32 v82, v16 offset:64
.LBB175_111:
	s_wait_alu 0xfffe
	s_or_b32 exec_lo, exec_lo, s0
	v_and_b32_e32 v16, 0xffff, v32
	; wave barrier
	s_delay_alu instid0(VALU_DEP_1) | instskip(NEXT) | instid1(VALU_DEP_1)
	v_and_b32_e32 v16, s1, v16
	v_and_b32_e32 v17, 1, v16
	v_lshlrev_b32_e32 v18, 30, v16
	v_lshlrev_b32_e32 v19, 29, v16
	v_lshlrev_b32_e32 v20, 28, v16
	v_lshlrev_b32_e32 v22, 27, v16
	v_add_co_u32 v17, s0, v17, -1
	s_wait_alu 0xf1ff
	v_cndmask_b32_e64 v21, 0, 1, s0
	v_not_b32_e32 v34, v18
	v_cmp_gt_i32_e64 s0, 0, v18
	v_not_b32_e32 v18, v19
	v_lshlrev_b32_e32 v23, 26, v16
	v_cmp_ne_u32_e32 vcc_lo, 0, v21
	v_ashrrev_i32_e32 v34, 31, v34
	v_lshlrev_b32_e32 v33, 25, v16
	v_ashrrev_i32_e32 v18, 31, v18
	v_lshlrev_b32_e32 v21, 24, v16
	s_wait_alu 0xfffd
	v_xor_b32_e32 v17, vcc_lo, v17
	v_cmp_gt_i32_e32 vcc_lo, 0, v19
	v_not_b32_e32 v19, v20
	s_wait_alu 0xf1ff
	v_xor_b32_e32 v34, s0, v34
	v_cmp_gt_i32_e64 s0, 0, v20
	v_and_b32_e32 v17, exec_lo, v17
	v_not_b32_e32 v20, v22
	v_ashrrev_i32_e32 v19, 31, v19
	s_wait_alu 0xfffd
	v_xor_b32_e32 v18, vcc_lo, v18
	v_cmp_gt_i32_e32 vcc_lo, 0, v22
	v_and_b32_e32 v17, v17, v34
	v_not_b32_e32 v22, v23
	v_ashrrev_i32_e32 v20, 31, v20
	s_wait_alu 0xf1ff
	v_xor_b32_e32 v19, s0, v19
	v_cmp_gt_i32_e64 s0, 0, v23
	v_and_b32_e32 v17, v17, v18
	v_not_b32_e32 v18, v33
	v_ashrrev_i32_e32 v22, 31, v22
	s_wait_alu 0xfffd
	v_xor_b32_e32 v20, vcc_lo, v20
	v_cmp_gt_i32_e32 vcc_lo, 0, v33
	v_and_b32_e32 v17, v17, v19
	v_not_b32_e32 v19, v21
	v_ashrrev_i32_e32 v18, 31, v18
	s_wait_alu 0xf1ff
	v_xor_b32_e32 v22, s0, v22
	v_lshlrev_b32_e32 v16, 6, v16
	v_and_b32_e32 v17, v17, v20
	v_cmp_gt_i32_e64 s0, 0, v21
	v_ashrrev_i32_e32 v19, 31, v19
	s_wait_alu 0xfffd
	v_xor_b32_e32 v18, vcc_lo, v18
	v_add_nc_u32_e32 v85, v24, v16
	v_and_b32_e32 v17, v17, v22
	v_min_u32_e32 v33, 0x1e0, v70
	s_wait_alu 0xf1ff
	v_xor_b32_e32 v16, s0, v19
	ds_load_b32 v83, v85 offset:64
	v_and_b32_e32 v17, v17, v18
	; wave barrier
	s_delay_alu instid0(VALU_DEP_1) | instskip(NEXT) | instid1(VALU_DEP_1)
	v_and_b32_e32 v16, v17, v16
	v_mbcnt_lo_u32_b32 v84, v16, 0
	v_cmp_ne_u32_e64 s0, 0, v16
	s_delay_alu instid0(VALU_DEP_2)
	v_cmp_eq_u32_e32 vcc_lo, 0, v84
	s_and_b32 s1, s0, vcc_lo
	s_wait_alu 0xfffe
	s_and_saveexec_b32 s0, s1
	s_cbranch_execz .LBB175_113
; %bb.112:
	s_wait_dscnt 0x0
	v_bcnt_u32_b32 v16, v16, v83
	ds_store_b32 v85, v16 offset:64
.LBB175_113:
	s_wait_alu 0xfffe
	s_or_b32 exec_lo, exec_lo, s0
	; wave barrier
	s_wait_loadcnt_dscnt 0x0
	s_barrier_signal -1
	s_barrier_wait -1
	global_inv scope:SCOPE_SE
	ds_load_b128 v[20:23], v65 offset:64
	ds_load_b128 v[16:19], v65 offset:80
	v_and_b32_e32 v36, 16, v68
	v_or_b32_e32 v33, 31, v33
	s_delay_alu instid0(VALU_DEP_2) | instskip(NEXT) | instid1(VALU_DEP_2)
	v_cmp_eq_u32_e64 s15, 0, v36
	v_cmp_eq_u32_e64 s13, v41, v33
	s_wait_dscnt 0x1
	v_add_nc_u32_e32 v34, v21, v20
	s_delay_alu instid0(VALU_DEP_1) | instskip(SKIP_1) | instid1(VALU_DEP_1)
	v_add3_u32 v34, v34, v22, v23
	s_wait_dscnt 0x0
	v_add3_u32 v34, v34, v16, v17
	s_delay_alu instid0(VALU_DEP_1) | instskip(SKIP_1) | instid1(VALU_DEP_2)
	v_add3_u32 v19, v34, v18, v19
	v_and_b32_e32 v34, 15, v68
	v_mov_b32_dpp v35, v19 row_shr:1 row_mask:0xf bank_mask:0xf
	s_delay_alu instid0(VALU_DEP_2)
	v_cmp_eq_u32_e32 vcc_lo, 0, v34
	v_cmp_lt_u32_e64 s0, 1, v34
	v_cmp_lt_u32_e64 s1, 3, v34
	;; [unrolled: 1-line block ×3, first 2 shown]
	s_wait_alu 0xfffd
	v_cndmask_b32_e64 v35, v35, 0, vcc_lo
	s_delay_alu instid0(VALU_DEP_1) | instskip(NEXT) | instid1(VALU_DEP_1)
	v_add_nc_u32_e32 v19, v35, v19
	v_mov_b32_dpp v35, v19 row_shr:2 row_mask:0xf bank_mask:0xf
	s_wait_alu 0xf1ff
	s_delay_alu instid0(VALU_DEP_1) | instskip(NEXT) | instid1(VALU_DEP_1)
	v_cndmask_b32_e64 v35, 0, v35, s0
	v_add_nc_u32_e32 v19, v19, v35
	s_delay_alu instid0(VALU_DEP_1) | instskip(NEXT) | instid1(VALU_DEP_1)
	v_mov_b32_dpp v35, v19 row_shr:4 row_mask:0xf bank_mask:0xf
	v_cndmask_b32_e64 v35, 0, v35, s1
	s_delay_alu instid0(VALU_DEP_1) | instskip(NEXT) | instid1(VALU_DEP_1)
	v_add_nc_u32_e32 v19, v19, v35
	v_mov_b32_dpp v35, v19 row_shr:8 row_mask:0xf bank_mask:0xf
	s_delay_alu instid0(VALU_DEP_1) | instskip(NEXT) | instid1(VALU_DEP_1)
	v_cndmask_b32_e64 v34, 0, v35, s10
	v_add_nc_u32_e32 v35, v19, v34
	v_bfe_i32 v34, v68, 4, 1
	ds_swizzle_b32 v19, v35 offset:swizzle(BROADCAST,32,15)
	s_wait_dscnt 0x0
	v_and_b32_e32 v70, v34, v19
	v_mul_i32_i24_e32 v19, 0xffffffe4, v41
	v_lshlrev_b32_e32 v34, 2, v67
	s_delay_alu instid0(VALU_DEP_3)
	v_add_nc_u32_e32 v36, v35, v70
	s_and_saveexec_b32 s11, s13
; %bb.114:
	ds_store_b32 v34, v36
; %bb.115:
	s_wait_alu 0xfffe
	s_or_b32 exec_lo, exec_lo, s11
	v_cmp_gt_u32_e64 s12, 16, v41
	v_add_nc_u32_e32 v33, v65, v19
	s_wait_loadcnt_dscnt 0x0
	s_barrier_signal -1
	s_barrier_wait -1
	global_inv scope:SCOPE_SE
	s_and_saveexec_b32 s11, s12
	s_cbranch_execz .LBB175_117
; %bb.116:
	ds_load_b32 v19, v33
	s_wait_dscnt 0x0
	v_mov_b32_dpp v35, v19 row_shr:1 row_mask:0xf bank_mask:0xf
	s_delay_alu instid0(VALU_DEP_1) | instskip(NEXT) | instid1(VALU_DEP_1)
	v_cndmask_b32_e64 v35, v35, 0, vcc_lo
	v_add_nc_u32_e32 v19, v35, v19
	s_delay_alu instid0(VALU_DEP_1) | instskip(NEXT) | instid1(VALU_DEP_1)
	v_mov_b32_dpp v35, v19 row_shr:2 row_mask:0xf bank_mask:0xf
	v_cndmask_b32_e64 v35, 0, v35, s0
	s_delay_alu instid0(VALU_DEP_1) | instskip(NEXT) | instid1(VALU_DEP_1)
	v_add_nc_u32_e32 v19, v19, v35
	v_mov_b32_dpp v35, v19 row_shr:4 row_mask:0xf bank_mask:0xf
	s_delay_alu instid0(VALU_DEP_1) | instskip(NEXT) | instid1(VALU_DEP_1)
	v_cndmask_b32_e64 v35, 0, v35, s1
	v_add_nc_u32_e32 v19, v19, v35
	s_delay_alu instid0(VALU_DEP_1) | instskip(NEXT) | instid1(VALU_DEP_1)
	v_mov_b32_dpp v35, v19 row_shr:8 row_mask:0xf bank_mask:0xf
	v_cndmask_b32_e64 v35, 0, v35, s10
	s_delay_alu instid0(VALU_DEP_1)
	v_add_nc_u32_e32 v19, v19, v35
	ds_store_b32 v33, v19
.LBB175_117:
	s_wait_alu 0xfffe
	s_or_b32 exec_lo, exec_lo, s11
	v_sub_co_u32 v67, s11, v68, 1
	v_mul_u32_u24_e32 v19, 6, v69
	v_cmp_lt_u32_e64 s14, 31, v41
	v_add_nc_u32_e32 v35, -4, v34
	v_mov_b32_e32 v69, 0
	s_wait_loadcnt_dscnt 0x0
	s_barrier_signal -1
	s_barrier_wait -1
	global_inv scope:SCOPE_SE
	s_and_saveexec_b32 s16, s14
; %bb.118:
	ds_load_b32 v69, v35
; %bb.119:
	s_wait_alu 0xfffe
	s_or_b32 exec_lo, exec_lo, s16
	v_cmp_gt_i32_e64 s16, 0, v67
	s_mov_b32 s20, 0
	s_min_u32 s17, s17, 8
	s_mov_b32 s21, s20
	s_mov_b32 s22, s20
	v_cndmask_b32_e64 v67, v67, v68, s16
	s_mov_b32 s23, s20
	s_wait_dscnt 0x0
	v_add_nc_u32_e32 v68, v69, v36
	v_cmp_eq_u32_e64 s16, 0, v41
	s_wait_alu 0xfffe
	s_lshl_b32 s17, -1, s17
	v_lshlrev_b32_e32 v36, 2, v67
	s_wait_alu 0xfffe
	s_not_b32 s19, s17
	ds_bpermute_b32 v67, v36, v68
	s_wait_dscnt 0x0
	v_cndmask_b32_e64 v67, v67, v69, s11
	s_delay_alu instid0(VALU_DEP_1) | instskip(NEXT) | instid1(VALU_DEP_1)
	v_cndmask_b32_e64 v67, v67, 0, s16
	v_add_nc_u32_e32 v68, v67, v20
	s_delay_alu instid0(VALU_DEP_1) | instskip(NEXT) | instid1(VALU_DEP_1)
	v_add_nc_u32_e32 v69, v68, v21
	v_add_nc_u32_e32 v70, v69, v22
	s_delay_alu instid0(VALU_DEP_1) | instskip(NEXT) | instid1(VALU_DEP_1)
	v_add_nc_u32_e32 v20, v70, v23
	;; [unrolled: 3-line block ×3, first 2 shown]
	v_add_nc_u32_e32 v23, v22, v18
	ds_store_b128 v65, v[67:70] offset:64
	ds_store_b128 v65, v[20:23] offset:80
	s_wait_loadcnt_dscnt 0x0
	s_barrier_signal -1
	s_barrier_wait -1
	global_inv scope:SCOPE_SE
	ds_load_b32 v16, v38 offset:64
	ds_load_b32 v17, v42 offset:64
	ds_load_b32 v18, v45 offset:64
	ds_load_b32 v20, v73 offset:64
	ds_load_b32 v21, v76 offset:64
	ds_load_b32 v22, v79 offset:64
	ds_load_b32 v23, v82 offset:64
	ds_load_b32 v38, v85 offset:64
	v_add_nc_u32_e32 v42, v66, v19
	s_wait_loadcnt_dscnt 0x0
	s_barrier_signal -1
	s_barrier_wait -1
	global_inv scope:SCOPE_SE
	v_add_nc_u32_e32 v37, v16, v37
	v_add3_u32 v39, v40, v39, v17
	v_add3_u32 v40, v44, v43, v18
	v_add3_u32 v43, v72, v71, v20
	v_add3_u32 v44, v75, v74, v21
	v_add3_u32 v45, v78, v77, v22
	v_add3_u32 v67, v81, v80, v23
	v_add3_u32 v68, v84, v83, v38
	v_lshlrev_b32_e32 v16, 1, v37
	v_lshlrev_b32_e32 v17, 1, v39
	;; [unrolled: 1-line block ×8, first 2 shown]
	ds_store_b16 v16, v25
	ds_store_b16 v17, v26
	;; [unrolled: 1-line block ×8, first 2 shown]
	s_wait_loadcnt_dscnt 0x0
	s_barrier_signal -1
	s_barrier_wait -1
	global_inv scope:SCOPE_SE
	ds_load_u16 v25, v66
	ds_load_u16 v26, v66 offset:64
	ds_load_u16 v27, v66 offset:128
	;; [unrolled: 1-line block ×7, first 2 shown]
	v_mad_co_u64_u32 v[37:38], null, v37, 6, v[16:17]
	v_mad_co_u64_u32 v[16:17], null, v39, 6, v[17:18]
	;; [unrolled: 1-line block ×3, first 2 shown]
	s_wait_loadcnt_dscnt 0x0
	s_barrier_signal -1
	s_barrier_wait -1
	global_inv scope:SCOPE_SE
	v_mad_co_u64_u32 v[18:19], null, v43, 6, v[19:20]
	v_lshrrev_b16 v38, 8, v25
	ds_store_b64 v37, v[4:5]
	v_mad_co_u64_u32 v[19:20], null, v44, 6, v[20:21]
	v_mad_co_u64_u32 v[20:21], null, v45, 6, v[21:22]
	v_and_b32_e32 v4, 0xffff, v38
	v_mad_co_u64_u32 v[21:22], null, v67, 6, v[22:23]
	v_mad_co_u64_u32 v[22:23], null, v68, 6, v[23:24]
	s_wait_alu 0xfffe
	s_delay_alu instid0(VALU_DEP_3)
	v_and_b32_e32 v23, s19, v4
	ds_store_b64 v16, v[6:7]
	ds_store_b64 v17, v[0:1]
	ds_store_b64 v18, v[2:3]
	ds_store_b64 v19, v[12:13]
	ds_store_b64 v20, v[14:15]
	ds_store_b64 v21, v[8:9]
	ds_store_b64 v22, v[10:11]
	v_and_b32_e32 v0, 1, v23
	v_lshlrev_b32_e32 v1, 30, v23
	v_lshlrev_b32_e32 v2, 29, v23
	;; [unrolled: 1-line block ×4, first 2 shown]
	v_add_co_u32 v0, s17, v0, -1
	s_wait_alu 0xf1ff
	v_cndmask_b32_e64 v4, 0, 1, s17
	v_not_b32_e32 v8, v1
	v_cmp_gt_i32_e64 s18, 0, v1
	v_not_b32_e32 v1, v2
	v_lshlrev_b32_e32 v6, 26, v23
	v_cmp_ne_u32_e64 s17, 0, v4
	v_ashrrev_i32_e32 v8, 31, v8
	v_lshlrev_b32_e32 v7, 25, v23
	v_ashrrev_i32_e32 v1, 31, v1
	v_lshlrev_b32_e32 v4, 24, v23
	s_wait_alu 0xf1ff
	v_xor_b32_e32 v0, s17, v0
	v_cmp_gt_i32_e64 s17, 0, v2
	v_not_b32_e32 v2, v3
	v_xor_b32_e32 v8, s18, v8
	v_cmp_gt_i32_e64 s18, 0, v3
	v_and_b32_e32 v0, exec_lo, v0
	v_not_b32_e32 v3, v5
	v_ashrrev_i32_e32 v2, 31, v2
	s_wait_alu 0xf1ff
	v_xor_b32_e32 v1, s17, v1
	v_cmp_gt_i32_e64 s17, 0, v5
	v_and_b32_e32 v0, v0, v8
	v_not_b32_e32 v5, v6
	v_ashrrev_i32_e32 v3, 31, v3
	v_xor_b32_e32 v2, s18, v2
	v_cmp_gt_i32_e64 s18, 0, v6
	v_and_b32_e32 v0, v0, v1
	v_not_b32_e32 v1, v7
	v_ashrrev_i32_e32 v5, 31, v5
	s_wait_alu 0xf1ff
	v_xor_b32_e32 v3, s17, v3
	v_cmp_gt_i32_e64 s17, 0, v7
	v_and_b32_e32 v0, v0, v2
	v_not_b32_e32 v2, v4
	v_ashrrev_i32_e32 v1, 31, v1
	v_xor_b32_e32 v5, s18, v5
	v_cmp_gt_i32_e64 s18, 0, v4
	v_and_b32_e32 v0, v0, v3
	v_ashrrev_i32_e32 v2, 31, v2
	s_wait_alu 0xf1ff
	v_xor_b32_e32 v1, s17, v1
	s_wait_loadcnt_dscnt 0x0
	s_barrier_signal -1
	v_and_b32_e32 v0, v0, v5
	v_xor_b32_e32 v16, s18, v2
	s_barrier_wait -1
	global_inv scope:SCOPE_SE
	ds_load_2addr_b64 v[4:7], v42 offset1:32
	v_and_b32_e32 v21, v0, v1
	ds_load_2addr_b64 v[12:15], v42 offset0:64 offset1:96
	ds_load_2addr_b64 v[8:11], v42 offset0:128 offset1:160
	;; [unrolled: 1-line block ×3, first 2 shown]
	v_dual_mov_b32 v17, s20 :: v_dual_mov_b32 v18, s21
	v_dual_mov_b32 v19, s22 :: v_dual_and_b32 v16, v21, v16
	v_mov_b32_e32 v20, s23
	v_lshl_add_u32 v38, v23, 6, v24
	s_wait_loadcnt_dscnt 0x0
	s_barrier_signal -1
	v_mbcnt_lo_u32_b32 v37, v16, 0
	v_cmp_ne_u32_e64 s18, 0, v16
	s_barrier_wait -1
	global_inv scope:SCOPE_SE
	ds_store_b128 v65, v[17:20] offset:64
	ds_store_b128 v65, v[17:20] offset:80
	v_cmp_eq_u32_e64 s17, 0, v37
	s_wait_loadcnt_dscnt 0x0
	s_barrier_signal -1
	s_barrier_wait -1
	global_inv scope:SCOPE_SE
	s_and_b32 s18, s18, s17
	; wave barrier
	s_wait_alu 0xfffe
	s_and_saveexec_b32 s17, s18
; %bb.120:
	v_bcnt_u32_b32 v16, v16, 0
	ds_store_b32 v38, v16 offset:64
; %bb.121:
	s_wait_alu 0xfffe
	s_or_b32 exec_lo, exec_lo, s17
	v_lshrrev_b16 v16, 8, v26
	; wave barrier
	s_delay_alu instid0(VALU_DEP_1) | instskip(NEXT) | instid1(VALU_DEP_1)
	v_and_b32_e32 v16, s19, v16
	v_and_b32_e32 v17, 1, v16
	v_lshlrev_b32_e32 v18, 30, v16
	v_lshlrev_b32_e32 v19, 29, v16
	;; [unrolled: 1-line block ×4, first 2 shown]
	v_add_co_u32 v17, s17, v17, -1
	s_wait_alu 0xf1ff
	v_cndmask_b32_e64 v21, 0, 1, s17
	v_not_b32_e32 v40, v18
	v_cmp_gt_i32_e64 s18, 0, v18
	v_not_b32_e32 v18, v19
	v_lshlrev_b32_e32 v23, 26, v16
	v_cmp_ne_u32_e64 s17, 0, v21
	v_ashrrev_i32_e32 v40, 31, v40
	v_lshlrev_b32_e32 v39, 25, v16
	v_ashrrev_i32_e32 v18, 31, v18
	v_lshlrev_b32_e32 v21, 24, v16
	s_wait_alu 0xf1ff
	v_xor_b32_e32 v17, s17, v17
	v_cmp_gt_i32_e64 s17, 0, v19
	v_not_b32_e32 v19, v20
	v_xor_b32_e32 v40, s18, v40
	v_cmp_gt_i32_e64 s18, 0, v20
	v_and_b32_e32 v17, exec_lo, v17
	v_not_b32_e32 v20, v22
	v_ashrrev_i32_e32 v19, 31, v19
	s_wait_alu 0xf1ff
	v_xor_b32_e32 v18, s17, v18
	v_cmp_gt_i32_e64 s17, 0, v22
	v_and_b32_e32 v17, v17, v40
	v_not_b32_e32 v22, v23
	v_ashrrev_i32_e32 v20, 31, v20
	v_xor_b32_e32 v19, s18, v19
	v_cmp_gt_i32_e64 s18, 0, v23
	v_and_b32_e32 v17, v17, v18
	v_not_b32_e32 v18, v39
	v_ashrrev_i32_e32 v22, 31, v22
	s_wait_alu 0xf1ff
	v_xor_b32_e32 v20, s17, v20
	v_cmp_gt_i32_e64 s17, 0, v39
	v_and_b32_e32 v17, v17, v19
	v_not_b32_e32 v19, v21
	v_ashrrev_i32_e32 v18, 31, v18
	v_xor_b32_e32 v22, s18, v22
	v_cmp_gt_i32_e64 s18, 0, v21
	v_and_b32_e32 v17, v17, v20
	v_ashrrev_i32_e32 v19, 31, v19
	s_wait_alu 0xf1ff
	v_xor_b32_e32 v18, s17, v18
	v_lshl_add_u32 v42, v16, 6, v24
	v_and_b32_e32 v17, v17, v22
	v_xor_b32_e32 v16, s18, v19
	ds_load_b32 v39, v42 offset:64
	v_and_b32_e32 v17, v17, v18
	; wave barrier
	s_delay_alu instid0(VALU_DEP_1) | instskip(NEXT) | instid1(VALU_DEP_1)
	v_and_b32_e32 v16, v17, v16
	v_mbcnt_lo_u32_b32 v40, v16, 0
	v_cmp_ne_u32_e64 s18, 0, v16
	s_delay_alu instid0(VALU_DEP_2)
	v_cmp_eq_u32_e64 s17, 0, v40
	s_and_b32 s18, s18, s17
	s_wait_alu 0xfffe
	s_and_saveexec_b32 s17, s18
	s_cbranch_execz .LBB175_123
; %bb.122:
	s_wait_dscnt 0x0
	v_bcnt_u32_b32 v16, v16, v39
	ds_store_b32 v42, v16 offset:64
.LBB175_123:
	s_wait_alu 0xfffe
	s_or_b32 exec_lo, exec_lo, s17
	v_lshrrev_b16 v16, 8, v27
	; wave barrier
	s_delay_alu instid0(VALU_DEP_1) | instskip(NEXT) | instid1(VALU_DEP_1)
	v_and_b32_e32 v16, s19, v16
	v_and_b32_e32 v17, 1, v16
	v_lshlrev_b32_e32 v18, 30, v16
	v_lshlrev_b32_e32 v19, 29, v16
	;; [unrolled: 1-line block ×4, first 2 shown]
	v_add_co_u32 v17, s17, v17, -1
	s_wait_alu 0xf1ff
	v_cndmask_b32_e64 v21, 0, 1, s17
	v_not_b32_e32 v44, v18
	v_cmp_gt_i32_e64 s18, 0, v18
	v_not_b32_e32 v18, v19
	v_lshlrev_b32_e32 v23, 26, v16
	v_cmp_ne_u32_e64 s17, 0, v21
	v_ashrrev_i32_e32 v44, 31, v44
	v_lshlrev_b32_e32 v43, 25, v16
	v_ashrrev_i32_e32 v18, 31, v18
	v_lshlrev_b32_e32 v21, 24, v16
	s_wait_alu 0xf1ff
	v_xor_b32_e32 v17, s17, v17
	v_cmp_gt_i32_e64 s17, 0, v19
	v_not_b32_e32 v19, v20
	v_xor_b32_e32 v44, s18, v44
	v_cmp_gt_i32_e64 s18, 0, v20
	v_and_b32_e32 v17, exec_lo, v17
	v_not_b32_e32 v20, v22
	v_ashrrev_i32_e32 v19, 31, v19
	s_wait_alu 0xf1ff
	v_xor_b32_e32 v18, s17, v18
	v_cmp_gt_i32_e64 s17, 0, v22
	v_and_b32_e32 v17, v17, v44
	v_not_b32_e32 v22, v23
	v_ashrrev_i32_e32 v20, 31, v20
	v_xor_b32_e32 v19, s18, v19
	v_cmp_gt_i32_e64 s18, 0, v23
	v_and_b32_e32 v17, v17, v18
	v_not_b32_e32 v18, v43
	v_ashrrev_i32_e32 v22, 31, v22
	s_wait_alu 0xf1ff
	v_xor_b32_e32 v20, s17, v20
	v_cmp_gt_i32_e64 s17, 0, v43
	v_and_b32_e32 v17, v17, v19
	v_not_b32_e32 v19, v21
	v_ashrrev_i32_e32 v18, 31, v18
	v_xor_b32_e32 v22, s18, v22
	v_cmp_gt_i32_e64 s18, 0, v21
	v_and_b32_e32 v17, v17, v20
	v_ashrrev_i32_e32 v19, 31, v19
	s_wait_alu 0xf1ff
	v_xor_b32_e32 v18, s17, v18
	v_lshl_add_u32 v45, v16, 6, v24
	v_and_b32_e32 v17, v17, v22
	v_xor_b32_e32 v16, s18, v19
	ds_load_b32 v43, v45 offset:64
	v_and_b32_e32 v17, v17, v18
	; wave barrier
	s_delay_alu instid0(VALU_DEP_1) | instskip(NEXT) | instid1(VALU_DEP_1)
	v_and_b32_e32 v16, v17, v16
	v_mbcnt_lo_u32_b32 v44, v16, 0
	v_cmp_ne_u32_e64 s18, 0, v16
	s_delay_alu instid0(VALU_DEP_2)
	v_cmp_eq_u32_e64 s17, 0, v44
	s_and_b32 s18, s18, s17
	s_wait_alu 0xfffe
	s_and_saveexec_b32 s17, s18
	s_cbranch_execz .LBB175_125
; %bb.124:
	s_wait_dscnt 0x0
	v_bcnt_u32_b32 v16, v16, v43
	ds_store_b32 v45, v16 offset:64
.LBB175_125:
	s_wait_alu 0xfffe
	s_or_b32 exec_lo, exec_lo, s17
	v_lshrrev_b16 v16, 8, v28
	; wave barrier
	s_delay_alu instid0(VALU_DEP_1) | instskip(NEXT) | instid1(VALU_DEP_1)
	v_and_b32_e32 v16, s19, v16
	v_and_b32_e32 v17, 1, v16
	v_lshlrev_b32_e32 v18, 30, v16
	v_lshlrev_b32_e32 v19, 29, v16
	;; [unrolled: 1-line block ×4, first 2 shown]
	v_add_co_u32 v17, s17, v17, -1
	s_wait_alu 0xf1ff
	v_cndmask_b32_e64 v21, 0, 1, s17
	v_not_b32_e32 v67, v18
	v_cmp_gt_i32_e64 s18, 0, v18
	v_not_b32_e32 v18, v19
	v_lshlrev_b32_e32 v23, 26, v16
	v_cmp_ne_u32_e64 s17, 0, v21
	v_ashrrev_i32_e32 v67, 31, v67
	v_lshlrev_b32_e32 v66, 25, v16
	v_ashrrev_i32_e32 v18, 31, v18
	v_lshlrev_b32_e32 v21, 24, v16
	s_wait_alu 0xf1ff
	v_xor_b32_e32 v17, s17, v17
	v_cmp_gt_i32_e64 s17, 0, v19
	v_not_b32_e32 v19, v20
	v_xor_b32_e32 v67, s18, v67
	v_cmp_gt_i32_e64 s18, 0, v20
	v_and_b32_e32 v17, exec_lo, v17
	v_not_b32_e32 v20, v22
	v_ashrrev_i32_e32 v19, 31, v19
	s_wait_alu 0xf1ff
	v_xor_b32_e32 v18, s17, v18
	v_cmp_gt_i32_e64 s17, 0, v22
	v_and_b32_e32 v17, v17, v67
	v_not_b32_e32 v22, v23
	v_ashrrev_i32_e32 v20, 31, v20
	v_xor_b32_e32 v19, s18, v19
	v_cmp_gt_i32_e64 s18, 0, v23
	v_and_b32_e32 v17, v17, v18
	v_not_b32_e32 v18, v66
	v_ashrrev_i32_e32 v22, 31, v22
	s_wait_alu 0xf1ff
	v_xor_b32_e32 v20, s17, v20
	v_cmp_gt_i32_e64 s17, 0, v66
	v_and_b32_e32 v17, v17, v19
	v_not_b32_e32 v19, v21
	v_ashrrev_i32_e32 v18, 31, v18
	v_xor_b32_e32 v22, s18, v22
	v_cmp_gt_i32_e64 s18, 0, v21
	v_and_b32_e32 v17, v17, v20
	v_ashrrev_i32_e32 v19, 31, v19
	s_wait_alu 0xf1ff
	v_xor_b32_e32 v18, s17, v18
	v_lshl_add_u32 v68, v16, 6, v24
	v_and_b32_e32 v17, v17, v22
	v_xor_b32_e32 v16, s18, v19
	ds_load_b32 v66, v68 offset:64
	v_and_b32_e32 v17, v17, v18
	; wave barrier
	s_delay_alu instid0(VALU_DEP_1) | instskip(NEXT) | instid1(VALU_DEP_1)
	v_and_b32_e32 v16, v17, v16
	v_mbcnt_lo_u32_b32 v67, v16, 0
	v_cmp_ne_u32_e64 s18, 0, v16
	s_delay_alu instid0(VALU_DEP_2)
	v_cmp_eq_u32_e64 s17, 0, v67
	s_and_b32 s18, s18, s17
	s_wait_alu 0xfffe
	s_and_saveexec_b32 s17, s18
	s_cbranch_execz .LBB175_127
; %bb.126:
	s_wait_dscnt 0x0
	v_bcnt_u32_b32 v16, v16, v66
	ds_store_b32 v68, v16 offset:64
.LBB175_127:
	s_wait_alu 0xfffe
	s_or_b32 exec_lo, exec_lo, s17
	v_lshrrev_b16 v16, 8, v29
	; wave barrier
	s_delay_alu instid0(VALU_DEP_1) | instskip(NEXT) | instid1(VALU_DEP_1)
	v_and_b32_e32 v16, s19, v16
	v_and_b32_e32 v17, 1, v16
	v_lshlrev_b32_e32 v18, 30, v16
	v_lshlrev_b32_e32 v19, 29, v16
	;; [unrolled: 1-line block ×4, first 2 shown]
	v_add_co_u32 v17, s17, v17, -1
	s_wait_alu 0xf1ff
	v_cndmask_b32_e64 v21, 0, 1, s17
	v_not_b32_e32 v70, v18
	v_cmp_gt_i32_e64 s18, 0, v18
	v_not_b32_e32 v18, v19
	v_lshlrev_b32_e32 v23, 26, v16
	v_cmp_ne_u32_e64 s17, 0, v21
	v_ashrrev_i32_e32 v70, 31, v70
	v_lshlrev_b32_e32 v69, 25, v16
	v_ashrrev_i32_e32 v18, 31, v18
	v_lshlrev_b32_e32 v21, 24, v16
	s_wait_alu 0xf1ff
	v_xor_b32_e32 v17, s17, v17
	v_cmp_gt_i32_e64 s17, 0, v19
	v_not_b32_e32 v19, v20
	v_xor_b32_e32 v70, s18, v70
	v_cmp_gt_i32_e64 s18, 0, v20
	v_and_b32_e32 v17, exec_lo, v17
	v_not_b32_e32 v20, v22
	v_ashrrev_i32_e32 v19, 31, v19
	s_wait_alu 0xf1ff
	v_xor_b32_e32 v18, s17, v18
	v_cmp_gt_i32_e64 s17, 0, v22
	v_and_b32_e32 v17, v17, v70
	v_not_b32_e32 v22, v23
	v_ashrrev_i32_e32 v20, 31, v20
	v_xor_b32_e32 v19, s18, v19
	v_cmp_gt_i32_e64 s18, 0, v23
	v_and_b32_e32 v17, v17, v18
	v_not_b32_e32 v18, v69
	v_ashrrev_i32_e32 v22, 31, v22
	s_wait_alu 0xf1ff
	v_xor_b32_e32 v20, s17, v20
	v_cmp_gt_i32_e64 s17, 0, v69
	v_and_b32_e32 v17, v17, v19
	v_not_b32_e32 v19, v21
	v_ashrrev_i32_e32 v18, 31, v18
	v_xor_b32_e32 v22, s18, v22
	v_cmp_gt_i32_e64 s18, 0, v21
	v_and_b32_e32 v17, v17, v20
	v_ashrrev_i32_e32 v19, 31, v19
	s_wait_alu 0xf1ff
	v_xor_b32_e32 v18, s17, v18
	v_lshl_add_u32 v71, v16, 6, v24
	v_and_b32_e32 v17, v17, v22
	v_xor_b32_e32 v16, s18, v19
	ds_load_b32 v69, v71 offset:64
	v_and_b32_e32 v17, v17, v18
	; wave barrier
	s_delay_alu instid0(VALU_DEP_1) | instskip(NEXT) | instid1(VALU_DEP_1)
	v_and_b32_e32 v16, v17, v16
	v_mbcnt_lo_u32_b32 v70, v16, 0
	v_cmp_ne_u32_e64 s18, 0, v16
	s_delay_alu instid0(VALU_DEP_2)
	v_cmp_eq_u32_e64 s17, 0, v70
	s_and_b32 s18, s18, s17
	s_wait_alu 0xfffe
	s_and_saveexec_b32 s17, s18
	s_cbranch_execz .LBB175_129
; %bb.128:
	s_wait_dscnt 0x0
	v_bcnt_u32_b32 v16, v16, v69
	ds_store_b32 v71, v16 offset:64
.LBB175_129:
	s_wait_alu 0xfffe
	s_or_b32 exec_lo, exec_lo, s17
	v_lshrrev_b16 v16, 8, v30
	; wave barrier
	s_delay_alu instid0(VALU_DEP_1) | instskip(NEXT) | instid1(VALU_DEP_1)
	v_and_b32_e32 v16, s19, v16
	v_and_b32_e32 v17, 1, v16
	v_lshlrev_b32_e32 v18, 30, v16
	v_lshlrev_b32_e32 v19, 29, v16
	;; [unrolled: 1-line block ×4, first 2 shown]
	v_add_co_u32 v17, s17, v17, -1
	s_wait_alu 0xf1ff
	v_cndmask_b32_e64 v21, 0, 1, s17
	v_not_b32_e32 v73, v18
	v_cmp_gt_i32_e64 s18, 0, v18
	v_not_b32_e32 v18, v19
	v_lshlrev_b32_e32 v23, 26, v16
	v_cmp_ne_u32_e64 s17, 0, v21
	v_ashrrev_i32_e32 v73, 31, v73
	v_lshlrev_b32_e32 v72, 25, v16
	v_ashrrev_i32_e32 v18, 31, v18
	v_lshlrev_b32_e32 v21, 24, v16
	s_wait_alu 0xf1ff
	v_xor_b32_e32 v17, s17, v17
	v_cmp_gt_i32_e64 s17, 0, v19
	v_not_b32_e32 v19, v20
	v_xor_b32_e32 v73, s18, v73
	v_cmp_gt_i32_e64 s18, 0, v20
	v_and_b32_e32 v17, exec_lo, v17
	v_not_b32_e32 v20, v22
	v_ashrrev_i32_e32 v19, 31, v19
	s_wait_alu 0xf1ff
	v_xor_b32_e32 v18, s17, v18
	v_cmp_gt_i32_e64 s17, 0, v22
	v_and_b32_e32 v17, v17, v73
	v_not_b32_e32 v22, v23
	v_ashrrev_i32_e32 v20, 31, v20
	v_xor_b32_e32 v19, s18, v19
	v_cmp_gt_i32_e64 s18, 0, v23
	v_and_b32_e32 v17, v17, v18
	v_not_b32_e32 v18, v72
	v_ashrrev_i32_e32 v22, 31, v22
	s_wait_alu 0xf1ff
	v_xor_b32_e32 v20, s17, v20
	v_cmp_gt_i32_e64 s17, 0, v72
	v_and_b32_e32 v17, v17, v19
	v_not_b32_e32 v19, v21
	v_ashrrev_i32_e32 v18, 31, v18
	v_xor_b32_e32 v22, s18, v22
	v_cmp_gt_i32_e64 s18, 0, v21
	v_and_b32_e32 v17, v17, v20
	v_ashrrev_i32_e32 v19, 31, v19
	s_wait_alu 0xf1ff
	v_xor_b32_e32 v18, s17, v18
	v_lshl_add_u32 v74, v16, 6, v24
	v_and_b32_e32 v17, v17, v22
	v_xor_b32_e32 v16, s18, v19
	ds_load_b32 v72, v74 offset:64
	v_and_b32_e32 v17, v17, v18
	; wave barrier
	s_delay_alu instid0(VALU_DEP_1) | instskip(NEXT) | instid1(VALU_DEP_1)
	v_and_b32_e32 v16, v17, v16
	v_mbcnt_lo_u32_b32 v73, v16, 0
	v_cmp_ne_u32_e64 s18, 0, v16
	s_delay_alu instid0(VALU_DEP_2)
	v_cmp_eq_u32_e64 s17, 0, v73
	s_and_b32 s18, s18, s17
	s_wait_alu 0xfffe
	s_and_saveexec_b32 s17, s18
	s_cbranch_execz .LBB175_131
; %bb.130:
	s_wait_dscnt 0x0
	v_bcnt_u32_b32 v16, v16, v72
	ds_store_b32 v74, v16 offset:64
.LBB175_131:
	s_wait_alu 0xfffe
	s_or_b32 exec_lo, exec_lo, s17
	v_lshrrev_b16 v16, 8, v31
	; wave barrier
	s_delay_alu instid0(VALU_DEP_1) | instskip(NEXT) | instid1(VALU_DEP_1)
	v_and_b32_e32 v16, s19, v16
	v_and_b32_e32 v17, 1, v16
	v_lshlrev_b32_e32 v18, 30, v16
	v_lshlrev_b32_e32 v19, 29, v16
	;; [unrolled: 1-line block ×4, first 2 shown]
	v_add_co_u32 v17, s17, v17, -1
	s_wait_alu 0xf1ff
	v_cndmask_b32_e64 v21, 0, 1, s17
	v_not_b32_e32 v76, v18
	v_cmp_gt_i32_e64 s18, 0, v18
	v_not_b32_e32 v18, v19
	v_lshlrev_b32_e32 v23, 26, v16
	v_cmp_ne_u32_e64 s17, 0, v21
	v_ashrrev_i32_e32 v76, 31, v76
	v_lshlrev_b32_e32 v75, 25, v16
	v_ashrrev_i32_e32 v18, 31, v18
	v_lshlrev_b32_e32 v21, 24, v16
	s_wait_alu 0xf1ff
	v_xor_b32_e32 v17, s17, v17
	v_cmp_gt_i32_e64 s17, 0, v19
	v_not_b32_e32 v19, v20
	v_xor_b32_e32 v76, s18, v76
	v_cmp_gt_i32_e64 s18, 0, v20
	v_and_b32_e32 v17, exec_lo, v17
	v_not_b32_e32 v20, v22
	v_ashrrev_i32_e32 v19, 31, v19
	s_wait_alu 0xf1ff
	v_xor_b32_e32 v18, s17, v18
	v_cmp_gt_i32_e64 s17, 0, v22
	v_and_b32_e32 v17, v17, v76
	v_not_b32_e32 v22, v23
	v_ashrrev_i32_e32 v20, 31, v20
	v_xor_b32_e32 v19, s18, v19
	v_cmp_gt_i32_e64 s18, 0, v23
	v_and_b32_e32 v17, v17, v18
	v_not_b32_e32 v18, v75
	v_ashrrev_i32_e32 v22, 31, v22
	s_wait_alu 0xf1ff
	v_xor_b32_e32 v20, s17, v20
	v_cmp_gt_i32_e64 s17, 0, v75
	v_and_b32_e32 v17, v17, v19
	v_not_b32_e32 v19, v21
	v_ashrrev_i32_e32 v18, 31, v18
	v_xor_b32_e32 v22, s18, v22
	v_cmp_gt_i32_e64 s18, 0, v21
	v_and_b32_e32 v17, v17, v20
	v_ashrrev_i32_e32 v19, 31, v19
	s_wait_alu 0xf1ff
	v_xor_b32_e32 v18, s17, v18
	v_lshl_add_u32 v77, v16, 6, v24
	v_and_b32_e32 v17, v17, v22
	v_xor_b32_e32 v16, s18, v19
	ds_load_b32 v75, v77 offset:64
	v_and_b32_e32 v17, v17, v18
	; wave barrier
	s_delay_alu instid0(VALU_DEP_1) | instskip(NEXT) | instid1(VALU_DEP_1)
	v_and_b32_e32 v16, v17, v16
	v_mbcnt_lo_u32_b32 v76, v16, 0
	v_cmp_ne_u32_e64 s18, 0, v16
	s_delay_alu instid0(VALU_DEP_2)
	v_cmp_eq_u32_e64 s17, 0, v76
	s_and_b32 s18, s18, s17
	s_wait_alu 0xfffe
	s_and_saveexec_b32 s17, s18
	s_cbranch_execz .LBB175_133
; %bb.132:
	s_wait_dscnt 0x0
	v_bcnt_u32_b32 v16, v16, v75
	ds_store_b32 v77, v16 offset:64
.LBB175_133:
	s_wait_alu 0xfffe
	s_or_b32 exec_lo, exec_lo, s17
	v_lshrrev_b16 v16, 8, v32
	; wave barrier
	s_delay_alu instid0(VALU_DEP_1) | instskip(NEXT) | instid1(VALU_DEP_1)
	v_and_b32_e32 v16, s19, v16
	v_and_b32_e32 v17, 1, v16
	v_lshlrev_b32_e32 v18, 30, v16
	v_lshlrev_b32_e32 v19, 29, v16
	;; [unrolled: 1-line block ×4, first 2 shown]
	v_add_co_u32 v17, s17, v17, -1
	s_wait_alu 0xf1ff
	v_cndmask_b32_e64 v21, 0, 1, s17
	v_not_b32_e32 v79, v18
	v_cmp_gt_i32_e64 s18, 0, v18
	v_not_b32_e32 v18, v19
	v_lshlrev_b32_e32 v23, 26, v16
	v_cmp_ne_u32_e64 s17, 0, v21
	v_ashrrev_i32_e32 v79, 31, v79
	v_lshlrev_b32_e32 v78, 25, v16
	v_ashrrev_i32_e32 v18, 31, v18
	v_lshlrev_b32_e32 v21, 24, v16
	s_wait_alu 0xf1ff
	v_xor_b32_e32 v17, s17, v17
	v_cmp_gt_i32_e64 s17, 0, v19
	v_not_b32_e32 v19, v20
	v_xor_b32_e32 v79, s18, v79
	v_cmp_gt_i32_e64 s18, 0, v20
	v_and_b32_e32 v17, exec_lo, v17
	v_not_b32_e32 v20, v22
	v_ashrrev_i32_e32 v19, 31, v19
	s_wait_alu 0xf1ff
	v_xor_b32_e32 v18, s17, v18
	v_cmp_gt_i32_e64 s17, 0, v22
	v_and_b32_e32 v17, v17, v79
	v_not_b32_e32 v22, v23
	v_ashrrev_i32_e32 v20, 31, v20
	v_xor_b32_e32 v19, s18, v19
	v_cmp_gt_i32_e64 s18, 0, v23
	v_and_b32_e32 v17, v17, v18
	v_not_b32_e32 v18, v78
	v_ashrrev_i32_e32 v22, 31, v22
	s_wait_alu 0xf1ff
	v_xor_b32_e32 v20, s17, v20
	v_cmp_gt_i32_e64 s17, 0, v78
	v_and_b32_e32 v17, v17, v19
	v_not_b32_e32 v19, v21
	v_ashrrev_i32_e32 v18, 31, v18
	v_xor_b32_e32 v22, s18, v22
	v_cmp_gt_i32_e64 s18, 0, v21
	v_and_b32_e32 v17, v17, v20
	v_ashrrev_i32_e32 v19, 31, v19
	s_wait_alu 0xf1ff
	v_xor_b32_e32 v18, s17, v18
	v_lshl_add_u32 v79, v16, 6, v24
	v_and_b32_e32 v17, v17, v22
	v_xor_b32_e32 v16, s18, v19
	ds_load_b32 v24, v79 offset:64
	v_and_b32_e32 v17, v17, v18
	; wave barrier
	s_delay_alu instid0(VALU_DEP_1) | instskip(NEXT) | instid1(VALU_DEP_1)
	v_and_b32_e32 v16, v17, v16
	v_mbcnt_lo_u32_b32 v78, v16, 0
	v_cmp_ne_u32_e64 s18, 0, v16
	s_delay_alu instid0(VALU_DEP_2)
	v_cmp_eq_u32_e64 s17, 0, v78
	s_and_b32 s18, s18, s17
	s_wait_alu 0xfffe
	s_and_saveexec_b32 s17, s18
	s_cbranch_execz .LBB175_135
; %bb.134:
	s_wait_dscnt 0x0
	v_bcnt_u32_b32 v16, v16, v24
	ds_store_b32 v79, v16 offset:64
.LBB175_135:
	s_wait_alu 0xfffe
	s_or_b32 exec_lo, exec_lo, s17
	; wave barrier
	s_wait_loadcnt_dscnt 0x0
	s_barrier_signal -1
	s_barrier_wait -1
	global_inv scope:SCOPE_SE
	ds_load_b128 v[20:23], v65 offset:64
	ds_load_b128 v[16:19], v65 offset:80
	s_wait_dscnt 0x1
	v_add_nc_u32_e32 v80, v21, v20
	s_delay_alu instid0(VALU_DEP_1) | instskip(SKIP_1) | instid1(VALU_DEP_1)
	v_add3_u32 v80, v80, v22, v23
	s_wait_dscnt 0x0
	v_add3_u32 v80, v80, v16, v17
	s_delay_alu instid0(VALU_DEP_1) | instskip(NEXT) | instid1(VALU_DEP_1)
	v_add3_u32 v19, v80, v18, v19
	v_mov_b32_dpp v80, v19 row_shr:1 row_mask:0xf bank_mask:0xf
	s_delay_alu instid0(VALU_DEP_1) | instskip(NEXT) | instid1(VALU_DEP_1)
	v_cndmask_b32_e64 v80, v80, 0, vcc_lo
	v_add_nc_u32_e32 v19, v80, v19
	s_delay_alu instid0(VALU_DEP_1) | instskip(NEXT) | instid1(VALU_DEP_1)
	v_mov_b32_dpp v80, v19 row_shr:2 row_mask:0xf bank_mask:0xf
	v_cndmask_b32_e64 v80, 0, v80, s0
	s_delay_alu instid0(VALU_DEP_1) | instskip(NEXT) | instid1(VALU_DEP_1)
	v_add_nc_u32_e32 v19, v19, v80
	v_mov_b32_dpp v80, v19 row_shr:4 row_mask:0xf bank_mask:0xf
	s_delay_alu instid0(VALU_DEP_1) | instskip(NEXT) | instid1(VALU_DEP_1)
	v_cndmask_b32_e64 v80, 0, v80, s1
	v_add_nc_u32_e32 v19, v19, v80
	s_delay_alu instid0(VALU_DEP_1) | instskip(NEXT) | instid1(VALU_DEP_1)
	v_mov_b32_dpp v80, v19 row_shr:8 row_mask:0xf bank_mask:0xf
	v_cndmask_b32_e64 v80, 0, v80, s10
	s_delay_alu instid0(VALU_DEP_1) | instskip(SKIP_3) | instid1(VALU_DEP_1)
	v_add_nc_u32_e32 v19, v19, v80
	ds_swizzle_b32 v80, v19 offset:swizzle(BROADCAST,32,15)
	s_wait_dscnt 0x0
	v_cndmask_b32_e64 v80, v80, 0, s15
	v_add_nc_u32_e32 v19, v19, v80
	s_and_saveexec_b32 s15, s13
; %bb.136:
	ds_store_b32 v34, v19
; %bb.137:
	s_wait_alu 0xfffe
	s_or_b32 exec_lo, exec_lo, s15
	s_wait_loadcnt_dscnt 0x0
	s_barrier_signal -1
	s_barrier_wait -1
	global_inv scope:SCOPE_SE
	s_and_saveexec_b32 s13, s12
	s_cbranch_execz .LBB175_139
; %bb.138:
	ds_load_b32 v34, v33
	s_wait_dscnt 0x0
	v_mov_b32_dpp v80, v34 row_shr:1 row_mask:0xf bank_mask:0xf
	s_delay_alu instid0(VALU_DEP_1) | instskip(NEXT) | instid1(VALU_DEP_1)
	v_cndmask_b32_e64 v80, v80, 0, vcc_lo
	v_add_nc_u32_e32 v34, v80, v34
	s_delay_alu instid0(VALU_DEP_1) | instskip(NEXT) | instid1(VALU_DEP_1)
	v_mov_b32_dpp v80, v34 row_shr:2 row_mask:0xf bank_mask:0xf
	v_cndmask_b32_e64 v80, 0, v80, s0
	s_delay_alu instid0(VALU_DEP_1) | instskip(NEXT) | instid1(VALU_DEP_1)
	v_add_nc_u32_e32 v34, v34, v80
	v_mov_b32_dpp v80, v34 row_shr:4 row_mask:0xf bank_mask:0xf
	s_delay_alu instid0(VALU_DEP_1) | instskip(NEXT) | instid1(VALU_DEP_1)
	v_cndmask_b32_e64 v80, 0, v80, s1
	v_add_nc_u32_e32 v34, v34, v80
	s_delay_alu instid0(VALU_DEP_1) | instskip(NEXT) | instid1(VALU_DEP_1)
	v_mov_b32_dpp v80, v34 row_shr:8 row_mask:0xf bank_mask:0xf
	v_cndmask_b32_e64 v80, 0, v80, s10
	s_delay_alu instid0(VALU_DEP_1)
	v_add_nc_u32_e32 v34, v34, v80
	ds_store_b32 v33, v34
.LBB175_139:
	s_wait_alu 0xfffe
	s_or_b32 exec_lo, exec_lo, s13
	v_mov_b32_e32 v33, 0
	s_wait_loadcnt_dscnt 0x0
	s_barrier_signal -1
	s_barrier_wait -1
	global_inv scope:SCOPE_SE
	s_and_saveexec_b32 s0, s14
; %bb.140:
	ds_load_b32 v33, v35
; %bb.141:
	s_wait_alu 0xfffe
	s_or_b32 exec_lo, exec_lo, s0
	s_wait_dscnt 0x0
	v_add_nc_u32_e32 v19, v33, v19
	ds_bpermute_b32 v19, v36, v19
	s_wait_dscnt 0x0
	v_cndmask_b32_e64 v19, v19, v33, s11
	s_delay_alu instid0(VALU_DEP_1) | instskip(NEXT) | instid1(VALU_DEP_1)
	v_cndmask_b32_e64 v19, v19, 0, s16
	v_add_nc_u32_e32 v20, v19, v20
	s_delay_alu instid0(VALU_DEP_1) | instskip(NEXT) | instid1(VALU_DEP_1)
	v_add_nc_u32_e32 v21, v20, v21
	v_add_nc_u32_e32 v22, v21, v22
	s_delay_alu instid0(VALU_DEP_1) | instskip(NEXT) | instid1(VALU_DEP_1)
	v_add_nc_u32_e32 v33, v22, v23
	;; [unrolled: 3-line block ×3, first 2 shown]
	v_add_nc_u32_e32 v36, v35, v18
	ds_store_b128 v65, v[19:22] offset:64
	ds_store_b128 v65, v[33:36] offset:80
	s_wait_loadcnt_dscnt 0x0
	s_barrier_signal -1
	s_barrier_wait -1
	global_inv scope:SCOPE_SE
	ds_load_b32 v16, v79 offset:64
	ds_load_b32 v17, v77 offset:64
	;; [unrolled: 1-line block ×8, first 2 shown]
	v_lshlrev_b32_e32 v33, 1, v64
	s_wait_loadcnt_dscnt 0x0
	s_barrier_signal -1
	s_barrier_wait -1
	global_inv scope:SCOPE_SE
	v_mad_u32_u24 v38, v41, 48, v33
	v_add3_u32 v34, v78, v24, v16
	v_add3_u32 v35, v76, v75, v17
	;; [unrolled: 1-line block ×3, first 2 shown]
	v_add_nc_u32_e32 v24, v19, v37
	v_add3_u32 v37, v40, v39, v20
	v_add3_u32 v39, v44, v43, v21
	;; [unrolled: 1-line block ×4, first 2 shown]
	v_lshlrev_b32_e32 v16, 1, v24
	v_lshlrev_b32_e32 v17, 1, v37
	;; [unrolled: 1-line block ×8, first 2 shown]
	ds_store_b16 v16, v25
	ds_store_b16 v17, v26
	;; [unrolled: 1-line block ×8, first 2 shown]
	v_mad_co_u64_u32 v[24:25], null, v24, 6, v[16:17]
	v_mad_co_u64_u32 v[16:17], null, v37, 6, v[17:18]
	;; [unrolled: 1-line block ×8, first 2 shown]
	s_wait_loadcnt_dscnt 0x0
	s_barrier_signal -1
	s_barrier_wait -1
	global_inv scope:SCOPE_SE
	ds_load_b128 v[33:36], v33
	s_wait_loadcnt_dscnt 0x0
	s_barrier_signal -1
	s_barrier_wait -1
	global_inv scope:SCOPE_SE
	ds_store_b64 v24, v[4:5]
	ds_store_b64 v16, v[6:7]
	ds_store_b64 v17, v[12:13]
	ds_store_b64 v18, v[14:15]
	ds_store_b64 v19, v[8:9]
	ds_store_b64 v20, v[10:11]
	ds_store_b64 v21, v[0:1]
	ds_store_b64 v22, v[2:3]
	s_wait_loadcnt_dscnt 0x0
	s_barrier_signal -1
	s_barrier_wait -1
	global_inv scope:SCOPE_SE
	ds_load_b128 v[29:32], v38
	ds_load_b128 v[25:28], v38 offset:16
	ds_load_b128 v[21:24], v38 offset:32
	;; [unrolled: 1-line block ×3, first 2 shown]
	v_xor_b32_e32 v0, 0x7fff7fff, v33
	v_xor_b32_e32 v34, 0x7fff7fff, v34
	;; [unrolled: 1-line block ×4, first 2 shown]
.LBB175_142:
	v_mad_co_u64_u32 v[9:10], null, s24, v41, 0
	s_wait_loadcnt_dscnt 0x0
	s_barrier_signal -1
	s_barrier_wait -1
	global_inv scope:SCOPE_SE
	ds_store_2addr_b32 v54, v0, v34 offset1:1
	ds_store_2addr_b32 v54, v33, v35 offset0:2 offset1:3
	s_wait_loadcnt_dscnt 0x0
	v_mov_b32_e32 v0, v10
	s_barrier_signal -1
	s_barrier_wait -1
	global_inv scope:SCOPE_SE
	ds_load_u16 v8, v47 offset:1024
	ds_load_u16 v7, v48 offset:2048
	ds_load_u16 v6, v49 offset:3072
	ds_load_u16 v5, v50 offset:4096
	ds_load_u16 v4, v51 offset:5120
	ds_load_u16 v3, v52 offset:6144
	ds_load_u16 v2, v53 offset:7168
	v_mad_co_u64_u32 v[0:1], null, s25, v41, v[0:1]
	s_delay_alu instid0(VALU_DEP_1) | instskip(NEXT) | instid1(VALU_DEP_1)
	v_mov_b32_e32 v10, v0
	v_lshlrev_b64_e32 v[0:1], 1, v[9:10]
	s_delay_alu instid0(VALU_DEP_1) | instskip(SKIP_1) | instid1(VALU_DEP_2)
	v_add_co_u32 v0, vcc_lo, s28, v0
	s_wait_alu 0xfffd
	v_add_co_ci_u32_e64 v1, null, s29, v1, vcc_lo
	s_and_saveexec_b32 s0, s2
	s_cbranch_execnz .LBB175_161
; %bb.143:
	s_wait_alu 0xfffe
	s_or_b32 exec_lo, exec_lo, s0
	s_and_saveexec_b32 s0, s3
	s_cbranch_execnz .LBB175_162
.LBB175_144:
	s_wait_alu 0xfffe
	s_or_b32 exec_lo, exec_lo, s0
	s_and_saveexec_b32 s0, s4
	s_cbranch_execnz .LBB175_163
.LBB175_145:
	s_wait_alu 0xfffe
	s_or_b32 exec_lo, exec_lo, s0
	s_and_saveexec_b32 s0, s5
	s_cbranch_execnz .LBB175_164
.LBB175_146:
	s_wait_alu 0xfffe
	s_or_b32 exec_lo, exec_lo, s0
	s_and_saveexec_b32 s0, s6
	s_cbranch_execnz .LBB175_165
.LBB175_147:
	s_wait_alu 0xfffe
	s_or_b32 exec_lo, exec_lo, s0
	s_and_saveexec_b32 s0, s7
	s_cbranch_execnz .LBB175_166
.LBB175_148:
	s_wait_alu 0xfffe
	s_or_b32 exec_lo, exec_lo, s0
	s_and_saveexec_b32 s0, s8
	s_cbranch_execnz .LBB175_167
.LBB175_149:
	s_wait_alu 0xfffe
	s_or_b32 exec_lo, exec_lo, s0
	s_and_saveexec_b32 s0, s9
	s_cbranch_execz .LBB175_151
.LBB175_150:
	v_mad_co_u64_u32 v[0:1], null, 0x1c00, s24, v[0:1]
	s_wait_dscnt 0x0
	s_delay_alu instid0(VALU_DEP_1) | instskip(NEXT) | instid1(VALU_DEP_1)
	v_mad_co_u64_u32 v[3:4], null, 0x1c00, s25, v[1:2]
	v_mov_b32_e32 v1, v3
	global_store_b16 v[0:1], v2, off
.LBB175_151:
	s_wait_alu 0xfffe
	s_or_b32 exec_lo, exec_lo, s0
	s_wait_dscnt 0x0
	v_mad_co_u64_u32 v[2:3], null, s26, v41, 0
	s_wait_loadcnt 0x0
	s_wait_storecnt 0x0
	s_barrier_signal -1
	s_barrier_wait -1
	global_inv scope:SCOPE_SE
	ds_store_2addr_b64 v63, v[29:30], v[31:32] offset1:1
	ds_store_2addr_b64 v63, v[25:26], v[27:28] offset0:2 offset1:3
	ds_store_2addr_b64 v63, v[21:22], v[23:24] offset0:4 offset1:5
	;; [unrolled: 1-line block ×3, first 2 shown]
	s_wait_loadcnt_dscnt 0x0
	v_mov_b32_e32 v0, v3
	s_barrier_signal -1
	s_barrier_wait -1
	global_inv scope:SCOPE_SE
	v_mad_co_u64_u32 v[3:4], null, s27, v41, v[0:1]
	ds_load_b64 v[14:15], v56 offset:4096
	ds_load_b64 v[12:13], v57 offset:8192
	;; [unrolled: 1-line block ×7, first 2 shown]
	v_lshlrev_b64_e32 v[2:3], 3, v[2:3]
	s_delay_alu instid0(VALU_DEP_1) | instskip(SKIP_1) | instid1(VALU_DEP_2)
	v_add_co_u32 v2, vcc_lo, s30, v2
	s_wait_alu 0xfffd
	v_add_co_ci_u32_e64 v3, null, s31, v3, vcc_lo
	s_and_saveexec_b32 s0, s2
	s_cbranch_execnz .LBB175_168
; %bb.152:
	s_wait_alu 0xfffe
	s_or_b32 exec_lo, exec_lo, s0
	s_and_saveexec_b32 s0, s3
	s_cbranch_execnz .LBB175_169
.LBB175_153:
	s_wait_alu 0xfffe
	s_or_b32 exec_lo, exec_lo, s0
	s_and_saveexec_b32 s0, s4
	s_cbranch_execnz .LBB175_170
.LBB175_154:
	s_wait_alu 0xfffe
	s_or_b32 exec_lo, exec_lo, s0
	s_and_saveexec_b32 s0, s5
	s_cbranch_execnz .LBB175_171
.LBB175_155:
	s_wait_alu 0xfffe
	s_or_b32 exec_lo, exec_lo, s0
	s_and_saveexec_b32 s0, s6
	s_cbranch_execnz .LBB175_172
.LBB175_156:
	s_wait_alu 0xfffe
	s_or_b32 exec_lo, exec_lo, s0
	s_and_saveexec_b32 s0, s7
	s_cbranch_execnz .LBB175_173
.LBB175_157:
	s_wait_alu 0xfffe
	s_or_b32 exec_lo, exec_lo, s0
	s_and_saveexec_b32 s0, s8
	s_cbranch_execnz .LBB175_174
.LBB175_158:
	s_wait_alu 0xfffe
	s_or_b32 exec_lo, exec_lo, s0
	s_and_saveexec_b32 s0, s9
	s_cbranch_execz .LBB175_160
.LBB175_159:
	v_mad_co_u64_u32 v[2:3], null, 0x7000, s26, v[2:3]
	s_wait_dscnt 0x1
	s_delay_alu instid0(VALU_DEP_1)
	v_mad_co_u64_u32 v[3:4], null, 0x7000, s27, v[3:4]
	s_wait_dscnt 0x0
	global_store_b64 v[2:3], v[0:1], off
.LBB175_160:
	s_nop 0
	s_sendmsg sendmsg(MSG_DEALLOC_VGPRS)
	s_endpgm
.LBB175_161:
	ds_load_u16 v9, v46
	s_wait_dscnt 0x0
	global_store_b16 v[0:1], v9, off
	s_wait_alu 0xfffe
	s_or_b32 exec_lo, exec_lo, s0
	s_and_saveexec_b32 s0, s3
	s_cbranch_execz .LBB175_144
.LBB175_162:
	s_lshl_b64 s[10:11], s[24:25], 10
	s_wait_alu 0xfffe
	v_add_co_u32 v9, vcc_lo, v0, s10
	s_wait_alu 0xfffd
	v_add_co_ci_u32_e64 v10, null, s11, v1, vcc_lo
	s_wait_dscnt 0x6
	global_store_b16 v[9:10], v8, off
	s_or_b32 exec_lo, exec_lo, s0
	s_and_saveexec_b32 s0, s4
	s_cbranch_execz .LBB175_145
.LBB175_163:
	s_lshl_b64 s[10:11], s[24:25], 11
	s_wait_dscnt 0x6
	s_wait_alu 0xfffe
	v_add_co_u32 v8, vcc_lo, v0, s10
	s_wait_alu 0xfffd
	v_add_co_ci_u32_e64 v9, null, s11, v1, vcc_lo
	s_wait_dscnt 0x5
	global_store_b16 v[8:9], v7, off
	s_or_b32 exec_lo, exec_lo, s0
	s_and_saveexec_b32 s0, s5
	s_cbranch_execz .LBB175_146
.LBB175_164:
	s_wait_dscnt 0x5
	v_mad_co_u64_u32 v[7:8], null, 0xc00, s24, v[0:1]
	s_delay_alu instid0(VALU_DEP_1)
	v_mad_co_u64_u32 v[8:9], null, 0xc00, s25, v[8:9]
	s_wait_dscnt 0x4
	global_store_b16 v[7:8], v6, off
	s_wait_alu 0xfffe
	s_or_b32 exec_lo, exec_lo, s0
	s_and_saveexec_b32 s0, s6
	s_cbranch_execz .LBB175_147
.LBB175_165:
	s_lshl_b64 s[10:11], s[24:25], 12
	s_wait_dscnt 0x4
	s_wait_alu 0xfffe
	v_add_co_u32 v6, vcc_lo, v0, s10
	s_wait_alu 0xfffd
	v_add_co_ci_u32_e64 v7, null, s11, v1, vcc_lo
	s_wait_dscnt 0x3
	global_store_b16 v[6:7], v5, off
	s_or_b32 exec_lo, exec_lo, s0
	s_and_saveexec_b32 s0, s7
	s_cbranch_execz .LBB175_148
.LBB175_166:
	s_wait_dscnt 0x3
	v_mad_co_u64_u32 v[5:6], null, 0x1400, s24, v[0:1]
	s_delay_alu instid0(VALU_DEP_1)
	v_mad_co_u64_u32 v[6:7], null, 0x1400, s25, v[6:7]
	s_wait_dscnt 0x2
	global_store_b16 v[5:6], v4, off
	s_wait_alu 0xfffe
	s_or_b32 exec_lo, exec_lo, s0
	s_and_saveexec_b32 s0, s8
	s_cbranch_execz .LBB175_149
.LBB175_167:
	s_wait_dscnt 0x2
	v_mad_co_u64_u32 v[4:5], null, 0x1800, s24, v[0:1]
	s_delay_alu instid0(VALU_DEP_1)
	v_mad_co_u64_u32 v[5:6], null, 0x1800, s25, v[5:6]
	s_wait_dscnt 0x1
	global_store_b16 v[4:5], v3, off
	s_wait_alu 0xfffe
	s_or_b32 exec_lo, exec_lo, s0
	s_and_saveexec_b32 s0, s9
	s_cbranch_execnz .LBB175_150
	s_branch .LBB175_151
.LBB175_168:
	ds_load_b64 v[16:17], v55
	s_wait_dscnt 0x0
	global_store_b64 v[2:3], v[16:17], off
	s_wait_alu 0xfffe
	s_or_b32 exec_lo, exec_lo, s0
	s_and_saveexec_b32 s0, s3
	s_cbranch_execz .LBB175_153
.LBB175_169:
	s_lshl_b64 s[2:3], s[26:27], 12
	s_wait_alu 0xfffe
	v_add_co_u32 v16, vcc_lo, v2, s2
	s_wait_alu 0xfffd
	v_add_co_ci_u32_e64 v17, null, s3, v3, vcc_lo
	s_wait_dscnt 0x6
	global_store_b64 v[16:17], v[14:15], off
	s_or_b32 exec_lo, exec_lo, s0
	s_and_saveexec_b32 s0, s4
	s_cbranch_execz .LBB175_154
.LBB175_170:
	s_lshl_b64 s[2:3], s[26:27], 13
	s_wait_dscnt 0x6
	s_wait_alu 0xfffe
	v_add_co_u32 v14, vcc_lo, v2, s2
	s_wait_alu 0xfffd
	v_add_co_ci_u32_e64 v15, null, s3, v3, vcc_lo
	s_wait_dscnt 0x5
	global_store_b64 v[14:15], v[12:13], off
	s_or_b32 exec_lo, exec_lo, s0
	s_and_saveexec_b32 s0, s5
	s_cbranch_execz .LBB175_155
.LBB175_171:
	s_wait_dscnt 0x5
	v_mad_co_u64_u32 v[12:13], null, 0x3000, s26, v[2:3]
	s_delay_alu instid0(VALU_DEP_1)
	v_mad_co_u64_u32 v[13:14], null, 0x3000, s27, v[13:14]
	s_wait_dscnt 0x4
	global_store_b64 v[12:13], v[10:11], off
	s_wait_alu 0xfffe
	s_or_b32 exec_lo, exec_lo, s0
	s_and_saveexec_b32 s0, s6
	s_cbranch_execz .LBB175_156
.LBB175_172:
	s_lshl_b64 s[2:3], s[26:27], 14
	s_wait_dscnt 0x4
	s_wait_alu 0xfffe
	v_add_co_u32 v10, vcc_lo, v2, s2
	s_wait_alu 0xfffd
	v_add_co_ci_u32_e64 v11, null, s3, v3, vcc_lo
	s_wait_dscnt 0x3
	global_store_b64 v[10:11], v[8:9], off
	s_or_b32 exec_lo, exec_lo, s0
	s_and_saveexec_b32 s0, s7
	s_cbranch_execz .LBB175_157
.LBB175_173:
	s_wait_dscnt 0x3
	v_mad_co_u64_u32 v[8:9], null, 0x5000, s26, v[2:3]
	s_delay_alu instid0(VALU_DEP_1)
	v_mad_co_u64_u32 v[9:10], null, 0x5000, s27, v[9:10]
	s_wait_dscnt 0x2
	global_store_b64 v[8:9], v[6:7], off
	s_wait_alu 0xfffe
	s_or_b32 exec_lo, exec_lo, s0
	s_and_saveexec_b32 s0, s8
	s_cbranch_execz .LBB175_158
.LBB175_174:
	s_wait_dscnt 0x2
	v_mad_co_u64_u32 v[6:7], null, 0x6000, s26, v[2:3]
	s_delay_alu instid0(VALU_DEP_1)
	v_mad_co_u64_u32 v[7:8], null, 0x6000, s27, v[7:8]
	s_wait_dscnt 0x1
	global_store_b64 v[6:7], v[4:5], off
	s_wait_alu 0xfffe
	s_or_b32 exec_lo, exec_lo, s0
	s_and_saveexec_b32 s0, s9
	s_cbranch_execnz .LBB175_159
	s_branch .LBB175_160
	.section	.rodata,"a",@progbits
	.p2align	6, 0x0
	.amdhsa_kernel _ZN2at6native18radixSortKVInPlaceILin1ELin1ELi512ELi8EslmEEvNS_4cuda6detail10TensorInfoIT3_T5_EES6_S6_S6_NS4_IT4_S6_EES6_b
		.amdhsa_group_segment_fixed_size 33792
		.amdhsa_private_segment_fixed_size 0
		.amdhsa_kernarg_size 1128
		.amdhsa_user_sgpr_count 2
		.amdhsa_user_sgpr_dispatch_ptr 0
		.amdhsa_user_sgpr_queue_ptr 0
		.amdhsa_user_sgpr_kernarg_segment_ptr 1
		.amdhsa_user_sgpr_dispatch_id 0
		.amdhsa_user_sgpr_private_segment_size 0
		.amdhsa_wavefront_size32 1
		.amdhsa_uses_dynamic_stack 0
		.amdhsa_enable_private_segment 0
		.amdhsa_system_sgpr_workgroup_id_x 1
		.amdhsa_system_sgpr_workgroup_id_y 1
		.amdhsa_system_sgpr_workgroup_id_z 1
		.amdhsa_system_sgpr_workgroup_info 0
		.amdhsa_system_vgpr_workitem_id 2
		.amdhsa_next_free_vgpr 115
		.amdhsa_next_free_sgpr 36
		.amdhsa_reserve_vcc 1
		.amdhsa_float_round_mode_32 0
		.amdhsa_float_round_mode_16_64 0
		.amdhsa_float_denorm_mode_32 3
		.amdhsa_float_denorm_mode_16_64 3
		.amdhsa_fp16_overflow 0
		.amdhsa_workgroup_processor_mode 1
		.amdhsa_memory_ordered 1
		.amdhsa_forward_progress 1
		.amdhsa_inst_pref_size 179
		.amdhsa_round_robin_scheduling 0
		.amdhsa_exception_fp_ieee_invalid_op 0
		.amdhsa_exception_fp_denorm_src 0
		.amdhsa_exception_fp_ieee_div_zero 0
		.amdhsa_exception_fp_ieee_overflow 0
		.amdhsa_exception_fp_ieee_underflow 0
		.amdhsa_exception_fp_ieee_inexact 0
		.amdhsa_exception_int_div_zero 0
	.end_amdhsa_kernel
	.section	.text._ZN2at6native18radixSortKVInPlaceILin1ELin1ELi512ELi8EslmEEvNS_4cuda6detail10TensorInfoIT3_T5_EES6_S6_S6_NS4_IT4_S6_EES6_b,"axG",@progbits,_ZN2at6native18radixSortKVInPlaceILin1ELin1ELi512ELi8EslmEEvNS_4cuda6detail10TensorInfoIT3_T5_EES6_S6_S6_NS4_IT4_S6_EES6_b,comdat
.Lfunc_end175:
	.size	_ZN2at6native18radixSortKVInPlaceILin1ELin1ELi512ELi8EslmEEvNS_4cuda6detail10TensorInfoIT3_T5_EES6_S6_S6_NS4_IT4_S6_EES6_b, .Lfunc_end175-_ZN2at6native18radixSortKVInPlaceILin1ELin1ELi512ELi8EslmEEvNS_4cuda6detail10TensorInfoIT3_T5_EES6_S6_S6_NS4_IT4_S6_EES6_b
                                        ; -- End function
	.set _ZN2at6native18radixSortKVInPlaceILin1ELin1ELi512ELi8EslmEEvNS_4cuda6detail10TensorInfoIT3_T5_EES6_S6_S6_NS4_IT4_S6_EES6_b.num_vgpr, 115
	.set _ZN2at6native18radixSortKVInPlaceILin1ELin1ELi512ELi8EslmEEvNS_4cuda6detail10TensorInfoIT3_T5_EES6_S6_S6_NS4_IT4_S6_EES6_b.num_agpr, 0
	.set _ZN2at6native18radixSortKVInPlaceILin1ELin1ELi512ELi8EslmEEvNS_4cuda6detail10TensorInfoIT3_T5_EES6_S6_S6_NS4_IT4_S6_EES6_b.numbered_sgpr, 36
	.set _ZN2at6native18radixSortKVInPlaceILin1ELin1ELi512ELi8EslmEEvNS_4cuda6detail10TensorInfoIT3_T5_EES6_S6_S6_NS4_IT4_S6_EES6_b.num_named_barrier, 0
	.set _ZN2at6native18radixSortKVInPlaceILin1ELin1ELi512ELi8EslmEEvNS_4cuda6detail10TensorInfoIT3_T5_EES6_S6_S6_NS4_IT4_S6_EES6_b.private_seg_size, 0
	.set _ZN2at6native18radixSortKVInPlaceILin1ELin1ELi512ELi8EslmEEvNS_4cuda6detail10TensorInfoIT3_T5_EES6_S6_S6_NS4_IT4_S6_EES6_b.uses_vcc, 1
	.set _ZN2at6native18radixSortKVInPlaceILin1ELin1ELi512ELi8EslmEEvNS_4cuda6detail10TensorInfoIT3_T5_EES6_S6_S6_NS4_IT4_S6_EES6_b.uses_flat_scratch, 0
	.set _ZN2at6native18radixSortKVInPlaceILin1ELin1ELi512ELi8EslmEEvNS_4cuda6detail10TensorInfoIT3_T5_EES6_S6_S6_NS4_IT4_S6_EES6_b.has_dyn_sized_stack, 0
	.set _ZN2at6native18radixSortKVInPlaceILin1ELin1ELi512ELi8EslmEEvNS_4cuda6detail10TensorInfoIT3_T5_EES6_S6_S6_NS4_IT4_S6_EES6_b.has_recursion, 0
	.set _ZN2at6native18radixSortKVInPlaceILin1ELin1ELi512ELi8EslmEEvNS_4cuda6detail10TensorInfoIT3_T5_EES6_S6_S6_NS4_IT4_S6_EES6_b.has_indirect_call, 0
	.section	.AMDGPU.csdata,"",@progbits
; Kernel info:
; codeLenInByte = 22872
; TotalNumSgprs: 38
; NumVgprs: 115
; ScratchSize: 0
; MemoryBound: 0
; FloatMode: 240
; IeeeMode: 1
; LDSByteSize: 33792 bytes/workgroup (compile time only)
; SGPRBlocks: 0
; VGPRBlocks: 14
; NumSGPRsForWavesPerEU: 38
; NumVGPRsForWavesPerEU: 115
; Occupancy: 12
; WaveLimiterHint : 1
; COMPUTE_PGM_RSRC2:SCRATCH_EN: 0
; COMPUTE_PGM_RSRC2:USER_SGPR: 2
; COMPUTE_PGM_RSRC2:TRAP_HANDLER: 0
; COMPUTE_PGM_RSRC2:TGID_X_EN: 1
; COMPUTE_PGM_RSRC2:TGID_Y_EN: 1
; COMPUTE_PGM_RSRC2:TGID_Z_EN: 1
; COMPUTE_PGM_RSRC2:TIDIG_COMP_CNT: 2
	.section	.text._ZN2at6native18radixSortKVInPlaceILin1ELin1ELi256ELi8EslmEEvNS_4cuda6detail10TensorInfoIT3_T5_EES6_S6_S6_NS4_IT4_S6_EES6_b,"axG",@progbits,_ZN2at6native18radixSortKVInPlaceILin1ELin1ELi256ELi8EslmEEvNS_4cuda6detail10TensorInfoIT3_T5_EES6_S6_S6_NS4_IT4_S6_EES6_b,comdat
	.protected	_ZN2at6native18radixSortKVInPlaceILin1ELin1ELi256ELi8EslmEEvNS_4cuda6detail10TensorInfoIT3_T5_EES6_S6_S6_NS4_IT4_S6_EES6_b ; -- Begin function _ZN2at6native18radixSortKVInPlaceILin1ELin1ELi256ELi8EslmEEvNS_4cuda6detail10TensorInfoIT3_T5_EES6_S6_S6_NS4_IT4_S6_EES6_b
	.globl	_ZN2at6native18radixSortKVInPlaceILin1ELin1ELi256ELi8EslmEEvNS_4cuda6detail10TensorInfoIT3_T5_EES6_S6_S6_NS4_IT4_S6_EES6_b
	.p2align	8
	.type	_ZN2at6native18radixSortKVInPlaceILin1ELin1ELi256ELi8EslmEEvNS_4cuda6detail10TensorInfoIT3_T5_EES6_S6_S6_NS4_IT4_S6_EES6_b,@function
_ZN2at6native18radixSortKVInPlaceILin1ELin1ELi256ELi8EslmEEvNS_4cuda6detail10TensorInfoIT3_T5_EES6_S6_S6_NS4_IT4_S6_EES6_b: ; @_ZN2at6native18radixSortKVInPlaceILin1ELin1ELi256ELi8EslmEEvNS_4cuda6detail10TensorInfoIT3_T5_EES6_S6_S6_NS4_IT4_S6_EES6_b
; %bb.0:
	s_clause 0x1
	s_load_b64 s[2:3], s[0:1], 0x368
	s_load_b128 s[8:11], s[0:1], 0x1a0
	s_lshr_b32 s4, ttmp7, 16
	s_and_b32 s5, ttmp7, 0xffff
	s_wait_kmcnt 0x0
	s_mul_i32 s3, s3, s4
	s_delay_alu instid0(SALU_CYCLE_1) | instskip(NEXT) | instid1(SALU_CYCLE_1)
	s_add_co_i32 s3, s3, s5
	s_mul_i32 s2, s3, s2
	s_mov_b32 s3, 0
	s_add_co_i32 s2, s2, ttmp9
	s_delay_alu instid0(SALU_CYCLE_1)
	v_cmp_le_u64_e64 s4, s[8:9], s[2:3]
	s_and_b32 vcc_lo, exec_lo, s4
	s_cbranch_vccnz .LBB176_160
; %bb.1:
	s_clause 0x1
	s_load_b32 s7, s[0:1], 0x198
	s_load_b64 s[22:23], s[0:1], 0x1b0
	s_mov_b64 s[8:9], 0
	s_mov_b64 s[4:5], s[2:3]
	s_wait_kmcnt 0x0
	s_cmp_lt_i32 s7, 2
	s_cbranch_scc1 .LBB176_9
; %bb.2:
	s_mov_b32 s6, 0
	s_add_co_i32 s4, s7, -1
	s_mov_b32 s5, s6
	s_add_co_i32 s11, s7, 1
	s_lshl_b64 s[4:5], s[4:5], 3
	s_mov_b64 s[14:15], s[2:3]
	s_add_nc_u64 s[4:5], s[0:1], s[4:5]
	s_delay_alu instid0(SALU_CYCLE_1)
	s_add_nc_u64 s[12:13], s[4:5], 8
.LBB176_3:                              ; =>This Inner Loop Header: Depth=1
	s_load_b64 s[16:17], s[12:13], 0x0
	s_wait_kmcnt 0x0
	s_or_b64 s[4:5], s[14:15], s[16:17]
	s_wait_alu 0xfffe
	s_mov_b32 s7, s5
                                        ; implicit-def: $sgpr4_sgpr5
	s_delay_alu instid0(SALU_CYCLE_1)
	s_cmp_lg_u64 s[6:7], 0
	s_mov_b32 s7, -1
	s_cbranch_scc0 .LBB176_5
; %bb.4:                                ;   in Loop: Header=BB176_3 Depth=1
	s_cvt_f32_u32 s4, s16
	s_cvt_f32_u32 s5, s17
	s_sub_nc_u64 s[18:19], 0, s[16:17]
	s_mov_b32 s21, s6
	s_mov_b32 s27, s6
	s_wait_alu 0xfffe
	s_fmamk_f32 s4, s5, 0x4f800000, s4
	s_wait_alu 0xfffe
	s_delay_alu instid0(SALU_CYCLE_2) | instskip(NEXT) | instid1(TRANS32_DEP_1)
	v_s_rcp_f32 s4, s4
	s_mul_f32 s4, s4, 0x5f7ffffc
	s_wait_alu 0xfffe
	s_delay_alu instid0(SALU_CYCLE_2) | instskip(SKIP_1) | instid1(SALU_CYCLE_2)
	s_mul_f32 s5, s4, 0x2f800000
	s_wait_alu 0xfffe
	s_trunc_f32 s5, s5
	s_wait_alu 0xfffe
	s_delay_alu instid0(SALU_CYCLE_2) | instskip(SKIP_2) | instid1(SALU_CYCLE_1)
	s_fmamk_f32 s4, s5, 0xcf800000, s4
	s_cvt_u32_f32 s5, s5
	s_wait_alu 0xfffe
	s_cvt_u32_f32 s4, s4
	s_wait_alu 0xfffe
	s_delay_alu instid0(SALU_CYCLE_2) | instskip(NEXT) | instid1(SALU_CYCLE_1)
	s_mul_u64 s[24:25], s[18:19], s[4:5]
	s_mul_hi_u32 s29, s4, s25
	s_mul_i32 s28, s4, s25
	s_mul_hi_u32 s20, s4, s24
	s_mul_i32 s26, s5, s24
	s_add_nc_u64 s[20:21], s[20:21], s[28:29]
	s_mul_hi_u32 s7, s5, s24
	s_mul_hi_u32 s30, s5, s25
	s_add_co_u32 s20, s20, s26
	s_add_co_ci_u32 s26, s21, s7
	s_mul_i32 s24, s5, s25
	s_add_co_ci_u32 s25, s30, 0
	s_delay_alu instid0(SALU_CYCLE_1) | instskip(SKIP_3) | instid1(SALU_CYCLE_1)
	s_add_nc_u64 s[20:21], s[26:27], s[24:25]
	s_mov_b32 s25, s6
	s_add_co_u32 s4, s4, s20
	s_cselect_b32 s7, -1, 0
	s_cmp_lg_u32 s7, 0
	s_add_co_ci_u32 s5, s5, s21
	s_mov_b32 s21, s6
	s_wait_alu 0xfffe
	s_mul_u64 s[18:19], s[18:19], s[4:5]
	s_delay_alu instid0(SALU_CYCLE_1)
	s_mul_hi_u32 s27, s4, s19
	s_mul_i32 s26, s4, s19
	s_mul_hi_u32 s20, s4, s18
	s_mul_i32 s24, s5, s18
	s_add_nc_u64 s[20:21], s[20:21], s[26:27]
	s_mul_hi_u32 s7, s5, s18
	s_mul_hi_u32 s28, s5, s19
	s_mul_i32 s18, s5, s19
	s_add_co_u32 s19, s20, s24
	s_add_co_ci_u32 s24, s21, s7
	s_add_co_ci_u32 s19, s28, 0
	s_mov_b32 s21, s6
	s_add_nc_u64 s[18:19], s[24:25], s[18:19]
	s_delay_alu instid0(SALU_CYCLE_1)
	s_add_co_u32 s4, s4, s18
	s_cselect_b32 s7, -1, 0
	s_wait_alu 0xfffe
	s_mul_hi_u32 s20, s14, s4
	s_cmp_lg_u32 s7, 0
	s_mul_hi_u32 s7, s15, s4
	s_add_co_ci_u32 s18, s5, s19
	s_mul_i32 s19, s15, s4
	s_mul_hi_u32 s5, s14, s18
	s_mul_i32 s4, s14, s18
	s_mul_hi_u32 s26, s15, s18
	s_wait_alu 0xfffe
	s_add_nc_u64 s[4:5], s[20:21], s[4:5]
	s_mul_i32 s18, s15, s18
	s_wait_alu 0xfffe
	s_add_co_u32 s4, s4, s19
	s_add_co_ci_u32 s24, s5, s7
	s_add_co_ci_u32 s19, s26, 0
	s_delay_alu instid0(SALU_CYCLE_1) | instskip(SKIP_2) | instid1(SALU_CYCLE_1)
	s_add_nc_u64 s[4:5], s[24:25], s[18:19]
	s_wait_alu 0xfffe
	s_mul_u64 s[18:19], s[16:17], s[4:5]
	s_sub_co_u32 s7, s14, s18
	s_cselect_b32 s18, -1, 0
	s_sub_co_i32 s20, s15, s19
	s_cmp_lg_u32 s18, 0
	s_sub_co_ci_u32 s20, s20, s17
	s_sub_co_u32 s21, s7, s16
	s_cselect_b32 s24, -1, 0
	s_delay_alu instid0(SALU_CYCLE_1) | instskip(SKIP_1) | instid1(SALU_CYCLE_1)
	s_cmp_lg_u32 s24, 0
	s_sub_co_ci_u32 s20, s20, 0
	s_cmp_ge_u32 s20, s17
	s_cselect_b32 s24, -1, 0
	s_cmp_ge_u32 s21, s16
	s_cselect_b32 s25, -1, 0
	s_cmp_eq_u32 s20, s17
	s_add_nc_u64 s[20:21], s[4:5], 1
	s_cselect_b32 s26, s25, s24
	s_add_nc_u64 s[24:25], s[4:5], 2
	s_cmp_lg_u32 s26, 0
	s_cselect_b32 s20, s24, s20
	s_cselect_b32 s21, s25, s21
	s_cmp_lg_u32 s18, 0
	s_sub_co_ci_u32 s18, s15, s19
	s_delay_alu instid0(SALU_CYCLE_1)
	s_cmp_ge_u32 s18, s17
	s_cselect_b32 s19, -1, 0
	s_cmp_ge_u32 s7, s16
	s_cselect_b32 s7, -1, 0
	s_cmp_eq_u32 s18, s17
	s_cselect_b32 s7, s7, s19
	s_delay_alu instid0(SALU_CYCLE_1)
	s_cmp_lg_u32 s7, 0
	s_mov_b32 s7, 0
	s_cselect_b32 s5, s21, s5
	s_cselect_b32 s4, s20, s4
.LBB176_5:                              ;   in Loop: Header=BB176_3 Depth=1
	s_and_not1_b32 vcc_lo, exec_lo, s7
	s_cbranch_vccnz .LBB176_7
; %bb.6:                                ;   in Loop: Header=BB176_3 Depth=1
	v_cvt_f32_u32_e32 v1, s16
	s_sub_co_i32 s5, 0, s16
	s_delay_alu instid0(VALU_DEP_1) | instskip(NEXT) | instid1(TRANS32_DEP_1)
	v_rcp_iflag_f32_e32 v1, v1
	v_mul_f32_e32 v1, 0x4f7ffffe, v1
	s_delay_alu instid0(VALU_DEP_1) | instskip(NEXT) | instid1(VALU_DEP_1)
	v_cvt_u32_f32_e32 v1, v1
	v_readfirstlane_b32 s4, v1
	s_wait_alu 0xfffe
	s_mul_i32 s5, s5, s4
	s_wait_alu 0xfffe
	s_mul_hi_u32 s5, s4, s5
	s_wait_alu 0xfffe
	s_add_co_i32 s4, s4, s5
	s_wait_alu 0xfffe
	s_mul_hi_u32 s4, s14, s4
	s_wait_alu 0xfffe
	s_mul_i32 s5, s4, s16
	s_add_co_i32 s7, s4, 1
	s_wait_alu 0xfffe
	s_sub_co_i32 s5, s14, s5
	s_wait_alu 0xfffe
	s_sub_co_i32 s18, s5, s16
	s_cmp_ge_u32 s5, s16
	s_cselect_b32 s4, s7, s4
	s_cselect_b32 s5, s18, s5
	s_wait_alu 0xfffe
	s_add_co_i32 s7, s4, 1
	s_cmp_ge_u32 s5, s16
	s_mov_b32 s5, s6
	s_cselect_b32 s4, s7, s4
.LBB176_7:                              ;   in Loop: Header=BB176_3 Depth=1
	s_load_b64 s[18:19], s[12:13], 0xc8
	s_mul_u64 s[16:17], s[4:5], s[16:17]
	s_add_co_i32 s11, s11, -1
	s_wait_alu 0xfffe
	s_sub_nc_u64 s[14:15], s[14:15], s[16:17]
	s_cmp_gt_u32 s11, 2
	s_add_nc_u64 s[12:13], s[12:13], -8
	s_wait_kmcnt 0x0
	s_mul_u64 s[14:15], s[18:19], s[14:15]
	s_delay_alu instid0(SALU_CYCLE_1)
	s_add_nc_u64 s[8:9], s[14:15], s[8:9]
	s_cbranch_scc0 .LBB176_9
; %bb.8:                                ;   in Loop: Header=BB176_3 Depth=1
	s_mov_b64 s[14:15], s[4:5]
	s_branch .LBB176_3
.LBB176_9:
	s_load_b32 s7, s[0:1], 0x350
	s_add_nc_u64 s[36:37], s[0:1], 0x368
	s_mov_b64 s[12:13], 0
	s_wait_kmcnt 0x0
	s_cmp_lt_i32 s7, 2
	s_cbranch_scc1 .LBB176_17
; %bb.10:
	s_mov_b32 s6, 0
	s_add_co_i32 s12, s7, -1
	s_mov_b32 s13, s6
	s_add_co_i32 s11, s7, 1
	s_lshl_b64 s[12:13], s[12:13], 3
	s_delay_alu instid0(SALU_CYCLE_1) | instskip(NEXT) | instid1(SALU_CYCLE_1)
	s_add_nc_u64 s[12:13], s[0:1], s[12:13]
	s_add_nc_u64 s[16:17], s[12:13], 0x1c0
	s_mov_b64 s[12:13], 0
.LBB176_11:                             ; =>This Inner Loop Header: Depth=1
	s_load_b64 s[18:19], s[16:17], 0x0
	s_wait_kmcnt 0x0
	s_or_b64 s[14:15], s[2:3], s[18:19]
	s_delay_alu instid0(SALU_CYCLE_1)
	s_mov_b32 s7, s15
                                        ; implicit-def: $sgpr14_sgpr15
	s_wait_alu 0xfffe
	s_cmp_lg_u64 s[6:7], 0
	s_mov_b32 s7, -1
	s_cbranch_scc0 .LBB176_13
; %bb.12:                               ;   in Loop: Header=BB176_11 Depth=1
	s_cvt_f32_u32 s7, s18
	s_cvt_f32_u32 s14, s19
	s_sub_nc_u64 s[20:21], 0, s[18:19]
	s_mov_b32 s25, s6
	s_mov_b32 s29, s6
	s_wait_alu 0xfffe
	s_fmamk_f32 s7, s14, 0x4f800000, s7
	s_wait_alu 0xfffe
	s_delay_alu instid0(SALU_CYCLE_2) | instskip(NEXT) | instid1(TRANS32_DEP_1)
	v_s_rcp_f32 s7, s7
	s_mul_f32 s7, s7, 0x5f7ffffc
	s_wait_alu 0xfffe
	s_delay_alu instid0(SALU_CYCLE_2) | instskip(NEXT) | instid1(SALU_CYCLE_3)
	s_mul_f32 s14, s7, 0x2f800000
	s_trunc_f32 s14, s14
	s_delay_alu instid0(SALU_CYCLE_3) | instskip(SKIP_2) | instid1(SALU_CYCLE_1)
	s_fmamk_f32 s7, s14, 0xcf800000, s7
	s_cvt_u32_f32 s15, s14
	s_wait_alu 0xfffe
	s_cvt_u32_f32 s14, s7
	s_delay_alu instid0(SALU_CYCLE_3) | instskip(NEXT) | instid1(SALU_CYCLE_1)
	s_mul_u64 s[26:27], s[20:21], s[14:15]
	s_mul_hi_u32 s31, s14, s27
	s_mul_i32 s30, s14, s27
	s_mul_hi_u32 s24, s14, s26
	s_mul_i32 s28, s15, s26
	s_add_nc_u64 s[24:25], s[24:25], s[30:31]
	s_mul_hi_u32 s7, s15, s26
	s_mul_hi_u32 s33, s15, s27
	s_add_co_u32 s24, s24, s28
	s_wait_alu 0xfffe
	s_add_co_ci_u32 s28, s25, s7
	s_mul_i32 s26, s15, s27
	s_add_co_ci_u32 s27, s33, 0
	s_delay_alu instid0(SALU_CYCLE_1)
	s_add_nc_u64 s[24:25], s[28:29], s[26:27]
	s_mov_b32 s27, s6
	s_add_co_u32 s14, s14, s24
	s_cselect_b32 s7, -1, 0
	s_wait_alu 0xfffe
	s_cmp_lg_u32 s7, 0
	s_add_co_ci_u32 s15, s15, s25
	s_mov_b32 s25, s6
	s_mul_u64 s[20:21], s[20:21], s[14:15]
	s_delay_alu instid0(SALU_CYCLE_1)
	s_mul_hi_u32 s29, s14, s21
	s_mul_i32 s28, s14, s21
	s_mul_hi_u32 s24, s14, s20
	s_mul_i32 s26, s15, s20
	s_add_nc_u64 s[24:25], s[24:25], s[28:29]
	s_mul_hi_u32 s7, s15, s20
	s_mul_hi_u32 s30, s15, s21
	s_mul_i32 s20, s15, s21
	s_add_co_u32 s21, s24, s26
	s_wait_alu 0xfffe
	s_add_co_ci_u32 s26, s25, s7
	s_add_co_ci_u32 s21, s30, 0
	s_mov_b32 s25, s6
	s_add_nc_u64 s[20:21], s[26:27], s[20:21]
	s_delay_alu instid0(SALU_CYCLE_1)
	s_add_co_u32 s7, s14, s20
	s_cselect_b32 s14, -1, 0
	s_wait_alu 0xfffe
	s_mul_hi_u32 s24, s2, s7
	s_cmp_lg_u32 s14, 0
	s_mul_hi_u32 s26, s3, s7
	s_add_co_ci_u32 s20, s15, s21
	s_mul_i32 s7, s3, s7
	s_mul_hi_u32 s15, s2, s20
	s_mul_i32 s14, s2, s20
	s_mul_hi_u32 s21, s3, s20
	s_add_nc_u64 s[14:15], s[24:25], s[14:15]
	s_mul_i32 s20, s3, s20
	s_wait_alu 0xfffe
	s_add_co_u32 s7, s14, s7
	s_add_co_ci_u32 s26, s15, s26
	s_add_co_ci_u32 s21, s21, 0
	s_delay_alu instid0(SALU_CYCLE_1) | instskip(NEXT) | instid1(SALU_CYCLE_1)
	s_add_nc_u64 s[14:15], s[26:27], s[20:21]
	s_mul_u64 s[20:21], s[18:19], s[14:15]
	s_delay_alu instid0(SALU_CYCLE_1)
	s_sub_co_u32 s7, s2, s20
	s_cselect_b32 s20, -1, 0
	s_sub_co_i32 s24, s3, s21
	s_cmp_lg_u32 s20, 0
	s_sub_co_ci_u32 s24, s24, s19
	s_wait_alu 0xfffe
	s_sub_co_u32 s25, s7, s18
	s_cselect_b32 s26, -1, 0
	s_delay_alu instid0(SALU_CYCLE_1) | instskip(SKIP_1) | instid1(SALU_CYCLE_1)
	s_cmp_lg_u32 s26, 0
	s_sub_co_ci_u32 s24, s24, 0
	s_cmp_ge_u32 s24, s19
	s_cselect_b32 s26, -1, 0
	s_cmp_ge_u32 s25, s18
	s_cselect_b32 s27, -1, 0
	s_cmp_eq_u32 s24, s19
	s_add_nc_u64 s[24:25], s[14:15], 1
	s_cselect_b32 s28, s27, s26
	s_add_nc_u64 s[26:27], s[14:15], 2
	s_cmp_lg_u32 s28, 0
	s_cselect_b32 s24, s26, s24
	s_cselect_b32 s25, s27, s25
	s_cmp_lg_u32 s20, 0
	s_sub_co_ci_u32 s20, s3, s21
	s_delay_alu instid0(SALU_CYCLE_1)
	s_cmp_ge_u32 s20, s19
	s_cselect_b32 s21, -1, 0
	s_cmp_ge_u32 s7, s18
	s_cselect_b32 s7, -1, 0
	s_cmp_eq_u32 s20, s19
	s_wait_alu 0xfffe
	s_cselect_b32 s7, s7, s21
	s_wait_alu 0xfffe
	s_cmp_lg_u32 s7, 0
	s_mov_b32 s7, 0
	s_cselect_b32 s15, s25, s15
	s_cselect_b32 s14, s24, s14
.LBB176_13:                             ;   in Loop: Header=BB176_11 Depth=1
	s_wait_alu 0xfffe
	s_and_not1_b32 vcc_lo, exec_lo, s7
	s_cbranch_vccnz .LBB176_15
; %bb.14:                               ;   in Loop: Header=BB176_11 Depth=1
	v_cvt_f32_u32_e32 v1, s18
	s_sub_co_i32 s14, 0, s18
	s_delay_alu instid0(VALU_DEP_1) | instskip(NEXT) | instid1(TRANS32_DEP_1)
	v_rcp_iflag_f32_e32 v1, v1
	v_mul_f32_e32 v1, 0x4f7ffffe, v1
	s_delay_alu instid0(VALU_DEP_1) | instskip(NEXT) | instid1(VALU_DEP_1)
	v_cvt_u32_f32_e32 v1, v1
	v_readfirstlane_b32 s7, v1
	s_mul_i32 s14, s14, s7
	s_delay_alu instid0(SALU_CYCLE_1) | instskip(NEXT) | instid1(SALU_CYCLE_1)
	s_mul_hi_u32 s14, s7, s14
	s_add_co_i32 s7, s7, s14
	s_wait_alu 0xfffe
	s_mul_hi_u32 s7, s2, s7
	s_wait_alu 0xfffe
	s_mul_i32 s14, s7, s18
	s_add_co_i32 s15, s7, 1
	s_sub_co_i32 s14, s2, s14
	s_delay_alu instid0(SALU_CYCLE_1)
	s_sub_co_i32 s20, s14, s18
	s_cmp_ge_u32 s14, s18
	s_cselect_b32 s7, s15, s7
	s_cselect_b32 s14, s20, s14
	s_wait_alu 0xfffe
	s_add_co_i32 s15, s7, 1
	s_cmp_ge_u32 s14, s18
	s_cselect_b32 s14, s15, s7
	s_mov_b32 s15, s6
.LBB176_15:                             ;   in Loop: Header=BB176_11 Depth=1
	s_load_b64 s[20:21], s[16:17], 0xc8
	s_mul_u64 s[18:19], s[14:15], s[18:19]
	s_add_co_i32 s11, s11, -1
	s_wait_alu 0xfffe
	s_sub_nc_u64 s[2:3], s[2:3], s[18:19]
	s_cmp_gt_u32 s11, 2
	s_add_nc_u64 s[16:17], s[16:17], -8
	s_wait_kmcnt 0x0
	s_wait_alu 0xfffe
	s_mul_u64 s[2:3], s[20:21], s[2:3]
	s_wait_alu 0xfffe
	s_add_nc_u64 s[12:13], s[2:3], s[12:13]
	s_cbranch_scc0 .LBB176_18
; %bb.16:                               ;   in Loop: Header=BB176_11 Depth=1
	s_mov_b64 s[2:3], s[14:15]
	s_branch .LBB176_11
.LBB176_17:
	s_mov_b64 s[14:15], s[2:3]
.LBB176_18:
	s_clause 0x2
	s_load_b64 s[2:3], s[0:1], 0xd0
	s_load_b32 s11, s[0:1], 0x360
	s_load_b64 s[16:17], s[0:1], 0x0
	s_wait_kmcnt 0x0
	s_mul_u64 s[6:7], s[2:3], s[4:5]
	s_bitcmp1_b32 s11, 0
	s_mov_b32 s2, 0x8000
	s_cselect_b32 s11, -1, 0
	s_delay_alu instid0(SALU_CYCLE_1)
	s_and_b32 s3, s11, exec_lo
	s_wait_alu 0xfffe
	s_cselect_b32 s3, s2, 0x7fff
	s_lshl_b64 s[18:19], s[6:7], 1
	s_wait_alu 0xfffe
	s_pack_ll_b32_b16 s4, s3, s3
	v_mov_b32_e32 v5, s3
	s_wait_alu 0xfffe
	s_mov_b32 s5, s4
	s_mov_b32 s6, s4
	;; [unrolled: 1-line block ×3, first 2 shown]
	v_and_b32_e32 v41, 0x3ff, v0
	s_wait_alu 0xfffe
	v_dual_mov_b32 v1, s4 :: v_dual_mov_b32 v4, s7
	v_dual_mov_b32 v2, s5 :: v_dual_mov_b32 v3, s6
	s_delay_alu instid0(VALU_DEP_3)
	v_cmp_gt_u32_e64 s2, s10, v41
	s_add_nc_u64 s[16:17], s[16:17], s[18:19]
	s_lshl_b64 s[6:7], s[8:9], 1
	s_wait_alu 0xfffe
	s_add_nc_u64 s[30:31], s[16:17], s[6:7]
	s_and_saveexec_b32 s3, s2
	s_cbranch_execz .LBB176_20
; %bb.19:
	v_mad_co_u64_u32 v[1:2], null, s22, v41, 0
	v_mov_b32_e32 v4, s4
	s_delay_alu instid0(VALU_DEP_2) | instskip(SKIP_1) | instid1(VALU_DEP_2)
	v_mad_co_u64_u32 v[2:3], null, s23, v41, v[2:3]
	v_mov_b32_e32 v3, s4
	v_lshlrev_b64_e32 v[1:2], 1, v[1:2]
	s_delay_alu instid0(VALU_DEP_1) | instskip(NEXT) | instid1(VALU_DEP_1)
	v_add_co_u32 v1, vcc_lo, s30, v1
	v_add_co_ci_u32_e64 v2, null, s31, v2, vcc_lo
	global_load_u16 v5, v[1:2], off
	v_mov_b32_e32 v2, s4
	s_wait_loadcnt 0x0
	v_bfi_b32 v1, 0xffff, v5, s4
.LBB176_20:
	s_wait_alu 0xfffe
	s_or_b32 exec_lo, exec_lo, s3
	v_add_nc_u32_e32 v17, 0x100, v41
	s_delay_alu instid0(VALU_DEP_1)
	v_cmp_gt_u32_e64 s3, s10, v17
	s_and_saveexec_b32 s4, s3
	s_cbranch_execz .LBB176_22
; %bb.21:
	v_mad_co_u64_u32 v[6:7], null, s22, v17, 0
	s_delay_alu instid0(VALU_DEP_1) | instskip(NEXT) | instid1(VALU_DEP_1)
	v_mad_co_u64_u32 v[7:8], null, s23, v17, v[7:8]
	v_lshlrev_b64_e32 v[6:7], 1, v[6:7]
	s_delay_alu instid0(VALU_DEP_1) | instskip(SKIP_1) | instid1(VALU_DEP_2)
	v_add_co_u32 v6, vcc_lo, s30, v6
	s_wait_alu 0xfffd
	v_add_co_ci_u32_e64 v7, null, s31, v7, vcc_lo
	global_load_d16_hi_b16 v1, v[6:7], off
.LBB176_22:
	s_wait_alu 0xfffe
	s_or_b32 exec_lo, exec_lo, s4
	v_add_nc_u32_e32 v18, 0x200, v41
	s_delay_alu instid0(VALU_DEP_1)
	v_cmp_gt_u32_e64 s4, s10, v18
	s_and_saveexec_b32 s5, s4
	s_cbranch_execz .LBB176_24
; %bb.23:
	v_mad_co_u64_u32 v[6:7], null, s22, v18, 0
	s_delay_alu instid0(VALU_DEP_1) | instskip(NEXT) | instid1(VALU_DEP_1)
	v_mad_co_u64_u32 v[7:8], null, s23, v18, v[7:8]
	v_lshlrev_b64_e32 v[6:7], 1, v[6:7]
	s_delay_alu instid0(VALU_DEP_1) | instskip(SKIP_1) | instid1(VALU_DEP_2)
	v_add_co_u32 v6, vcc_lo, s30, v6
	s_wait_alu 0xfffd
	v_add_co_ci_u32_e64 v7, null, s31, v7, vcc_lo
	global_load_d16_b16 v2, v[6:7], off
.LBB176_24:
	s_wait_alu 0xfffe
	s_or_b32 exec_lo, exec_lo, s5
	v_add_nc_u32_e32 v19, 0x300, v41
	s_delay_alu instid0(VALU_DEP_1)
	v_cmp_gt_u32_e64 s5, s10, v19
	s_and_saveexec_b32 s6, s5
	s_cbranch_execz .LBB176_26
; %bb.25:
	v_mad_co_u64_u32 v[6:7], null, s22, v19, 0
	s_delay_alu instid0(VALU_DEP_1) | instskip(NEXT) | instid1(VALU_DEP_1)
	v_mad_co_u64_u32 v[7:8], null, s23, v19, v[7:8]
	v_lshlrev_b64_e32 v[6:7], 1, v[6:7]
	s_delay_alu instid0(VALU_DEP_1) | instskip(SKIP_1) | instid1(VALU_DEP_2)
	v_add_co_u32 v6, vcc_lo, s30, v6
	s_wait_alu 0xfffd
	v_add_co_ci_u32_e64 v7, null, s31, v7, vcc_lo
	s_wait_loadcnt 0x0
	global_load_d16_hi_b16 v2, v[6:7], off
.LBB176_26:
	s_wait_alu 0xfffe
	s_or_b32 exec_lo, exec_lo, s6
	v_or_b32_e32 v20, 0x400, v41
	s_delay_alu instid0(VALU_DEP_1)
	v_cmp_gt_u32_e64 s6, s10, v20
	s_and_saveexec_b32 s7, s6
	s_cbranch_execz .LBB176_28
; %bb.27:
	v_mad_co_u64_u32 v[6:7], null, s22, v20, 0
	s_delay_alu instid0(VALU_DEP_1) | instskip(NEXT) | instid1(VALU_DEP_1)
	v_mad_co_u64_u32 v[7:8], null, s23, v20, v[7:8]
	v_lshlrev_b64_e32 v[6:7], 1, v[6:7]
	s_delay_alu instid0(VALU_DEP_1) | instskip(SKIP_1) | instid1(VALU_DEP_2)
	v_add_co_u32 v6, vcc_lo, s30, v6
	s_wait_alu 0xfffd
	v_add_co_ci_u32_e64 v7, null, s31, v7, vcc_lo
	global_load_d16_b16 v3, v[6:7], off
.LBB176_28:
	s_wait_alu 0xfffe
	s_or_b32 exec_lo, exec_lo, s7
	v_add_nc_u32_e32 v21, 0x500, v41
	s_delay_alu instid0(VALU_DEP_1)
	v_cmp_gt_u32_e64 s7, s10, v21
	s_and_saveexec_b32 s8, s7
	s_cbranch_execz .LBB176_30
; %bb.29:
	v_mad_co_u64_u32 v[6:7], null, s22, v21, 0
	s_delay_alu instid0(VALU_DEP_1) | instskip(NEXT) | instid1(VALU_DEP_1)
	v_mad_co_u64_u32 v[7:8], null, s23, v21, v[7:8]
	v_lshlrev_b64_e32 v[6:7], 1, v[6:7]
	s_delay_alu instid0(VALU_DEP_1) | instskip(SKIP_1) | instid1(VALU_DEP_2)
	v_add_co_u32 v6, vcc_lo, s30, v6
	s_wait_alu 0xfffd
	v_add_co_ci_u32_e64 v7, null, s31, v7, vcc_lo
	s_wait_loadcnt 0x0
	global_load_d16_hi_b16 v3, v[6:7], off
.LBB176_30:
	s_wait_alu 0xfffe
	s_or_b32 exec_lo, exec_lo, s8
	v_add_nc_u32_e32 v22, 0x600, v41
	s_delay_alu instid0(VALU_DEP_1)
	v_cmp_gt_u32_e64 s8, s10, v22
	s_and_saveexec_b32 s9, s8
	s_cbranch_execz .LBB176_32
; %bb.31:
	v_mad_co_u64_u32 v[6:7], null, s22, v22, 0
	s_delay_alu instid0(VALU_DEP_1) | instskip(NEXT) | instid1(VALU_DEP_1)
	v_mad_co_u64_u32 v[7:8], null, s23, v22, v[7:8]
	v_lshlrev_b64_e32 v[6:7], 1, v[6:7]
	s_delay_alu instid0(VALU_DEP_1) | instskip(SKIP_1) | instid1(VALU_DEP_2)
	v_add_co_u32 v6, vcc_lo, s30, v6
	s_wait_alu 0xfffd
	v_add_co_ci_u32_e64 v7, null, s31, v7, vcc_lo
	global_load_d16_b16 v4, v[6:7], off
.LBB176_32:
	s_wait_alu 0xfffe
	s_or_b32 exec_lo, exec_lo, s9
	s_clause 0x1
	s_load_b64 s[18:19], s[0:1], 0x288
	s_load_b64 s[16:17], s[0:1], 0x1b8
	v_add_nc_u32_e32 v23, 0x700, v41
	s_delay_alu instid0(VALU_DEP_1)
	v_cmp_gt_u32_e64 s9, s10, v23
	s_and_saveexec_b32 s10, s9
	s_cbranch_execz .LBB176_34
; %bb.33:
	v_mad_co_u64_u32 v[6:7], null, s22, v23, 0
	s_delay_alu instid0(VALU_DEP_1) | instskip(NEXT) | instid1(VALU_DEP_1)
	v_mad_co_u64_u32 v[7:8], null, s23, v23, v[7:8]
	v_lshlrev_b64_e32 v[6:7], 1, v[6:7]
	s_delay_alu instid0(VALU_DEP_1) | instskip(SKIP_1) | instid1(VALU_DEP_2)
	v_add_co_u32 v6, vcc_lo, s30, v6
	s_wait_alu 0xfffd
	v_add_co_ci_u32_e64 v7, null, s31, v7, vcc_lo
	s_wait_loadcnt 0x0
	global_load_d16_hi_b16 v4, v[6:7], off
.LBB176_34:
	s_wait_alu 0xfffe
	s_or_b32 exec_lo, exec_lo, s10
	v_lshrrev_b32_e32 v6, 4, v41
	v_lshrrev_b32_e32 v7, 4, v17
	v_lshrrev_b32_e32 v8, 4, v18
	v_lshlrev_b32_e32 v9, 1, v41
	v_lshrrev_b32_e32 v10, 4, v19
	v_and_b32_e32 v6, 60, v6
	v_and_b32_e32 v7, 0x7c, v7
	;; [unrolled: 1-line block ×3, first 2 shown]
	v_lshrrev_b32_e32 v11, 4, v23
	s_load_b64 s[28:29], s[0:1], 0x358
	v_add_nc_u32_e32 v46, v6, v9
	v_add_nc_u32_e32 v47, v7, v9
	;; [unrolled: 1-line block ×3, first 2 shown]
	v_and_b32_e32 v6, 0x7c, v10
	v_lshrrev_b32_e32 v7, 4, v20
	v_lshrrev_b32_e32 v8, 4, v21
	;; [unrolled: 1-line block ×3, first 2 shown]
	s_wait_kmcnt 0x0
	s_mul_u64 s[14:15], s[18:19], s[14:15]
	v_add_nc_u32_e32 v49, v6, v9
	v_and_b32_e32 v6, 0x7c, v7
	v_and_b32_e32 v7, 0xfc, v8
	;; [unrolled: 1-line block ×4, first 2 shown]
	v_lshrrev_b32_e32 v11, 1, v41
	v_add_nc_u32_e32 v50, v6, v9
	v_add_nc_u32_e32 v51, v7, v9
	v_add_nc_u32_e32 v52, v8, v9
	s_lshl_b64 s[14:15], s[14:15], 3
	v_dual_mov_b32 v11, 0 :: v_dual_and_b32 v6, 0x1fc, v11
	v_dual_mov_b32 v12, 0 :: v_dual_add_nc_u32 v53, v10, v9
	ds_store_b16 v46, v5
	s_wait_loadcnt 0x0
	ds_store_b16_d16_hi v47, v1 offset:512
	ds_store_b16 v48, v2 offset:1024
	ds_store_b16_d16_hi v49, v2 offset:1536
	ds_store_b16 v50, v3 offset:2048
	;; [unrolled: 2-line block ×3, first 2 shown]
	ds_store_b16_d16_hi v53, v4 offset:3584
	v_lshl_add_u32 v54, v41, 4, v6
	s_wait_dscnt 0x0
	s_barrier_signal -1
	s_barrier_wait -1
	global_inv scope:SCOPE_SE
	ds_load_2addr_b32 v[44:45], v54 offset1:1
	ds_load_2addr_b32 v[42:43], v54 offset0:2 offset1:3
	v_mov_b32_e32 v1, 0
	s_add_nc_u64 s[14:15], s[16:17], s[14:15]
	s_lshl_b64 s[12:13], s[12:13], 3
	s_wait_loadcnt_dscnt 0x0
	s_add_nc_u64 s[34:35], s[14:15], s[12:13]
	v_dual_mov_b32 v2, v1 :: v_dual_mov_b32 v13, v1
	v_dual_mov_b32 v14, v1 :: v_dual_mov_b32 v15, v1
	;; [unrolled: 1-line block ×6, first 2 shown]
	v_mov_b32_e32 v10, v1
	s_barrier_signal -1
	s_barrier_wait -1
	global_inv scope:SCOPE_SE
	s_and_saveexec_b32 s0, s2
	s_cbranch_execnz .LBB176_90
; %bb.35:
	s_or_b32 exec_lo, exec_lo, s0
	s_and_saveexec_b32 s0, s3
	s_cbranch_execnz .LBB176_91
.LBB176_36:
	s_or_b32 exec_lo, exec_lo, s0
	s_and_saveexec_b32 s0, s4
	s_cbranch_execnz .LBB176_92
.LBB176_37:
	s_or_b32 exec_lo, exec_lo, s0
	s_and_saveexec_b32 s0, s5
	s_cbranch_execnz .LBB176_93
.LBB176_38:
	s_or_b32 exec_lo, exec_lo, s0
	s_and_saveexec_b32 s0, s6
	s_cbranch_execnz .LBB176_94
.LBB176_39:
	s_or_b32 exec_lo, exec_lo, s0
	s_and_saveexec_b32 s0, s7
	s_cbranch_execnz .LBB176_95
.LBB176_40:
	s_or_b32 exec_lo, exec_lo, s0
	s_and_saveexec_b32 s0, s8
	s_cbranch_execz .LBB176_42
.LBB176_41:
	v_mad_co_u64_u32 v[7:8], null, s28, v22, 0
	s_delay_alu instid0(VALU_DEP_1) | instskip(NEXT) | instid1(VALU_DEP_1)
	v_mad_co_u64_u32 v[24:25], null, s29, v22, v[8:9]
	v_mov_b32_e32 v8, v24
	s_delay_alu instid0(VALU_DEP_1) | instskip(NEXT) | instid1(VALU_DEP_1)
	v_lshlrev_b64_e32 v[7:8], 3, v[7:8]
	v_add_co_u32 v7, vcc_lo, s34, v7
	s_wait_alu 0xfffd
	s_delay_alu instid0(VALU_DEP_2)
	v_add_co_ci_u32_e64 v8, null, s35, v8, vcc_lo
	global_load_b64 v[7:8], v[7:8], off
.LBB176_42:
	s_or_b32 exec_lo, exec_lo, s0
	v_lshrrev_b32_e32 v67, 5, v41
	v_lshrrev_b32_e32 v27, 5, v17
	v_lshrrev_b32_e32 v26, 5, v18
	v_lshrrev_b32_e32 v25, 5, v19
	v_lshrrev_b32_e32 v24, 5, v20
	v_lshrrev_b32_e32 v20, 5, v21
	v_lshrrev_b32_e32 v19, 5, v22
	v_lshrrev_b32_e32 v18, 5, v23
	v_lshlrev_b32_e32 v64, 3, v41
	v_lshrrev_b32_e32 v17, 2, v41
	s_xor_b32 s0, s11, -1
	s_and_saveexec_b32 s1, s9
	s_cbranch_execz .LBB176_44
; %bb.43:
	v_mad_co_u64_u32 v[9:10], null, s28, v23, 0
	s_wait_loadcnt 0x0
	s_delay_alu instid0(VALU_DEP_1) | instskip(NEXT) | instid1(VALU_DEP_1)
	v_mad_co_u64_u32 v[21:22], null, s29, v23, v[10:11]
	v_mov_b32_e32 v10, v21
	s_delay_alu instid0(VALU_DEP_1) | instskip(NEXT) | instid1(VALU_DEP_1)
	v_lshlrev_b64_e32 v[9:10], 3, v[9:10]
	v_add_co_u32 v9, vcc_lo, s34, v9
	s_wait_alu 0xfffd
	s_delay_alu instid0(VALU_DEP_2)
	v_add_co_ci_u32_e64 v10, null, s35, v10, vcc_lo
	global_load_b64 v[9:10], v[9:10], off
.LBB176_44:
	s_or_b32 exec_lo, exec_lo, s1
	v_lshl_add_u32 v55, v67, 3, v64
	v_lshl_add_u32 v56, v27, 3, v64
	;; [unrolled: 1-line block ×5, first 2 shown]
	s_wait_loadcnt 0x0
	ds_store_b64 v55, v[11:12]
	ds_store_b64 v56, v[1:2] offset:2048
	ds_store_b64 v57, v[13:14] offset:4096
	;; [unrolled: 1-line block ×3, first 2 shown]
	v_lshlrev_b32_e32 v1, 3, v64
	v_lshl_add_u32 v60, v20, 3, v64
	v_lshl_add_u32 v61, v19, 3, v64
	;; [unrolled: 1-line block ×3, first 2 shown]
	ds_store_b64 v59, v[3:4] offset:8192
	ds_store_b64 v60, v[5:6] offset:10240
	;; [unrolled: 1-line block ×4, first 2 shown]
	v_lshl_add_u32 v63, v17, 3, v1
	s_wait_dscnt 0x0
	s_barrier_signal -1
	s_barrier_wait -1
	global_inv scope:SCOPE_SE
	ds_load_2addr_b64 v[5:8], v63 offset1:1
	ds_load_2addr_b64 v[1:4], v63 offset0:2 offset1:3
	v_mbcnt_lo_u32_b32 v68, -1, 0
	v_and_b32_e32 v17, 0x1f00, v64
	ds_load_2addr_b64 v[13:16], v63 offset0:4 offset1:5
	ds_load_2addr_b64 v[9:12], v63 offset0:6 offset1:7
	v_and_b32_e32 v70, 0x3e0, v41
	v_bfe_u32 v71, v0, 10, 10
	v_bfe_u32 v72, v0, 20, 10
	v_or_b32_e32 v69, v68, v17
	v_lshlrev_b32_e32 v65, 2, v64
	v_or_b32_e32 v18, v68, v70
	s_mov_b32 s12, 0
	s_and_b32 vcc_lo, exec_lo, s0
	v_lshlrev_b32_e32 v66, 1, v69
	s_mov_b32 s0, -1
	v_lshlrev_b32_e32 v74, 3, v18
	v_lshlrev_b32_e32 v75, 4, v18
	s_wait_loadcnt_dscnt 0x0
	v_mad_u32_u24 v73, v69, 6, v66
	s_barrier_signal -1
	s_barrier_wait -1
	global_inv scope:SCOPE_SE
	s_wait_alu 0xfffe
	s_cbranch_vccz .LBB176_96
; %bb.45:
	v_xor_b32_e32 v17, 0x80008000, v44
	v_xor_b32_e32 v18, 0x80008000, v45
	;; [unrolled: 1-line block ×4, first 2 shown]
	s_getpc_b64 s[0:1]
	s_sext_i32_i16 s1, s1
	s_add_co_u32 s0, s0, _ZN7rocprim17ROCPRIM_400000_NS16block_radix_sortIsLj256ELj8ElLj1ELj1ELj0ELNS0_26block_radix_rank_algorithmE1ELNS0_18block_padding_hintE2ELNS0_4arch9wavefront6targetE0EE19radix_bits_per_passE@rel32@lo+8
	s_add_co_ci_u32 s1, s1, _ZN7rocprim17ROCPRIM_400000_NS16block_radix_sortIsLj256ELj8ElLj1ELj1ELj0ELNS0_26block_radix_rank_algorithmE1ELNS0_18block_padding_hintE2ELNS0_4arch9wavefront6targetE0EE19radix_bits_per_passE@rel32@hi+16
	s_mov_b32 s13, s12
	s_load_b32 s20, s[0:1], 0x0
	s_mov_b32 s14, s12
	ds_store_b128 v75, v[17:20]
	; wave barrier
	ds_load_u16 v76, v66
	s_mov_b32 s15, s12
	v_lshlrev_b32_e32 v0, 3, v74
	ds_load_u16 v77, v66 offset:64
	ds_load_u16 v78, v66 offset:128
	;; [unrolled: 1-line block ×7, first 2 shown]
	s_wait_loadcnt_dscnt 0x0
	s_barrier_signal -1
	s_barrier_wait -1
	global_inv scope:SCOPE_SE
	ds_store_b128 v0, v[5:8]
	ds_store_b128 v0, v[1:4] offset:16
	ds_store_b128 v0, v[13:16] offset:32
	;; [unrolled: 1-line block ×3, first 2 shown]
	; wave barrier
	s_wait_kmcnt 0x0
	s_min_u32 s0, s20, 16
	s_delay_alu instid0(SALU_CYCLE_1) | instskip(NEXT) | instid1(SALU_CYCLE_1)
	s_lshl_b32 s0, -1, s0
	s_not_b32 s1, s0
	v_and_b32_e32 v17, 0xffff, v76
	s_delay_alu instid0(VALU_DEP_1)
	v_and_b32_e32 v40, s1, v17
	ds_load_2addr_b64 v[21:24], v73 offset1:32
	ds_load_2addr_b64 v[17:20], v73 offset0:64 offset1:96
	ds_load_2addr_b64 v[29:32], v73 offset0:128 offset1:160
	;; [unrolled: 1-line block ×3, first 2 shown]
	s_wait_loadcnt_dscnt 0x0
	s_barrier_signal -1
	v_and_b32_e32 v0, 1, v40
	v_lshlrev_b32_e32 v33, 30, v40
	v_lshlrev_b32_e32 v36, 28, v40
	;; [unrolled: 1-line block ×3, first 2 shown]
	s_barrier_wait -1
	v_add_co_u32 v0, s0, v0, -1
	s_wait_alu 0xf1ff
	v_cndmask_b32_e64 v34, 0, 1, s0
	v_not_b32_e32 v35, v33
	v_cmp_gt_i32_e64 s0, 0, v33
	global_inv scope:SCOPE_SE
	v_cmp_ne_u32_e32 vcc_lo, 0, v34
	v_lshlrev_b32_e32 v34, 29, v40
	v_ashrrev_i32_e32 v33, 31, v35
	s_wait_alu 0xfffd
	v_xor_b32_e32 v0, vcc_lo, v0
	s_delay_alu instid0(VALU_DEP_3)
	v_not_b32_e32 v35, v34
	v_cmp_gt_i32_e32 vcc_lo, 0, v34
	s_wait_alu 0xf1ff
	v_xor_b32_e32 v33, s0, v33
	s_load_b32 s0, s[36:37], 0xc
	v_and_b32_e32 v0, exec_lo, v0
	v_ashrrev_i32_e32 v34, 31, v35
	v_not_b32_e32 v35, v36
	s_delay_alu instid0(VALU_DEP_3) | instskip(NEXT) | instid1(VALU_DEP_3)
	v_and_b32_e32 v0, v0, v33
	v_xor_b32_e32 v33, vcc_lo, v34
	v_cmp_gt_i32_e32 vcc_lo, 0, v36
	s_delay_alu instid0(VALU_DEP_4) | instskip(SKIP_1) | instid1(VALU_DEP_4)
	v_ashrrev_i32_e32 v34, 31, v35
	v_not_b32_e32 v35, v37
	v_and_b32_e32 v0, v0, v33
	v_lshlrev_b32_e32 v33, 26, v40
	s_wait_alu 0xfffd
	v_xor_b32_e32 v34, vcc_lo, v34
	v_cmp_gt_i32_e32 vcc_lo, 0, v37
	v_ashrrev_i32_e32 v35, 31, v35
	v_not_b32_e32 v36, v33
	s_delay_alu instid0(VALU_DEP_4)
	v_and_b32_e32 v0, v0, v34
	v_lshlrev_b32_e32 v34, 25, v40
	s_wait_alu 0xfffd
	v_xor_b32_e32 v35, vcc_lo, v35
	v_cmp_gt_i32_e32 vcc_lo, 0, v33
	v_ashrrev_i32_e32 v33, 31, v36
	s_wait_kmcnt 0x0
	s_lshr_b32 s10, s0, 16
	v_not_b32_e32 v36, v34
	v_and_b32_e32 v0, v0, v35
	v_lshlrev_b32_e32 v35, 24, v40
	s_wait_alu 0xfffd
	v_xor_b32_e32 v33, vcc_lo, v33
	v_cmp_gt_i32_e32 vcc_lo, 0, v34
	v_ashrrev_i32_e32 v34, 31, v36
	s_wait_alu 0xfffe
	v_mad_u32_u24 v37, v72, s10, v71
	v_not_b32_e32 v36, v35
	v_and_b32_e32 v0, v0, v33
	s_and_b32 s0, s0, 0xffff
	s_wait_alu 0xfffd
	v_xor_b32_e32 v33, vcc_lo, v34
	v_cmp_gt_i32_e32 vcc_lo, 0, v35
	v_ashrrev_i32_e32 v34, 31, v36
	s_wait_alu 0xfffe
	v_mad_co_u64_u32 v[38:39], null, v37, s0, v[41:42]
	v_and_b32_e32 v0, v0, v33
	s_wait_alu 0xfffd
	v_xor_b32_e32 v33, vcc_lo, v34
	v_dual_mov_b32 v37, s15 :: v_dual_mov_b32 v36, s14
	v_dual_mov_b32 v35, s13 :: v_dual_mov_b32 v34, s12
	s_delay_alu instid0(VALU_DEP_3)
	v_and_b32_e32 v33, v0, v33
	v_lshrrev_b32_e32 v0, 5, v38
	ds_store_b128 v65, v[34:37] offset:32
	ds_store_b128 v65, v[34:37] offset:48
	v_mbcnt_lo_u32_b32 v88, v33, 0
	v_lshlrev_b32_e32 v0, 2, v0
	v_lshlrev_b32_e32 v34, 5, v40
	v_cmp_ne_u32_e64 s0, 0, v33
	s_wait_loadcnt_dscnt 0x0
	v_cmp_eq_u32_e32 vcc_lo, 0, v88
	s_barrier_signal -1
	v_add_nc_u32_e32 v89, v0, v34
	s_barrier_wait -1
	global_inv scope:SCOPE_SE
	s_and_b32 s10, s0, vcc_lo
	; wave barrier
	s_wait_alu 0xfffe
	s_and_saveexec_b32 s0, s10
; %bb.46:
	v_bcnt_u32_b32 v33, v33, 0
	ds_store_b32 v89, v33 offset:32
; %bb.47:
	s_wait_alu 0xfffe
	s_or_b32 exec_lo, exec_lo, s0
	v_and_b32_e32 v33, 0xffff, v77
	; wave barrier
	s_delay_alu instid0(VALU_DEP_1) | instskip(NEXT) | instid1(VALU_DEP_1)
	v_and_b32_e32 v33, s1, v33
	v_and_b32_e32 v34, 1, v33
	v_lshlrev_b32_e32 v35, 30, v33
	v_lshlrev_b32_e32 v36, 29, v33
	;; [unrolled: 1-line block ×4, first 2 shown]
	v_add_co_u32 v34, s0, v34, -1
	s_wait_alu 0xf1ff
	v_cndmask_b32_e64 v38, 0, 1, s0
	v_not_b32_e32 v85, v35
	v_cmp_gt_i32_e64 s0, 0, v35
	v_not_b32_e32 v35, v36
	v_lshlrev_b32_e32 v40, 26, v33
	v_cmp_ne_u32_e32 vcc_lo, 0, v38
	v_ashrrev_i32_e32 v85, 31, v85
	v_lshlrev_b32_e32 v84, 25, v33
	v_ashrrev_i32_e32 v35, 31, v35
	v_lshlrev_b32_e32 v38, 24, v33
	s_wait_alu 0xfffd
	v_xor_b32_e32 v34, vcc_lo, v34
	v_cmp_gt_i32_e32 vcc_lo, 0, v36
	v_not_b32_e32 v36, v37
	s_wait_alu 0xf1ff
	v_xor_b32_e32 v85, s0, v85
	v_cmp_gt_i32_e64 s0, 0, v37
	v_and_b32_e32 v34, exec_lo, v34
	v_not_b32_e32 v37, v39
	v_ashrrev_i32_e32 v36, 31, v36
	s_wait_alu 0xfffd
	v_xor_b32_e32 v35, vcc_lo, v35
	v_cmp_gt_i32_e32 vcc_lo, 0, v39
	v_and_b32_e32 v34, v34, v85
	v_not_b32_e32 v39, v40
	v_ashrrev_i32_e32 v37, 31, v37
	s_wait_alu 0xf1ff
	v_xor_b32_e32 v36, s0, v36
	v_cmp_gt_i32_e64 s0, 0, v40
	v_and_b32_e32 v34, v34, v35
	v_not_b32_e32 v35, v84
	v_ashrrev_i32_e32 v39, 31, v39
	s_wait_alu 0xfffd
	v_xor_b32_e32 v37, vcc_lo, v37
	v_cmp_gt_i32_e32 vcc_lo, 0, v84
	v_and_b32_e32 v34, v34, v36
	v_not_b32_e32 v36, v38
	v_ashrrev_i32_e32 v35, 31, v35
	s_wait_alu 0xf1ff
	v_xor_b32_e32 v39, s0, v39
	v_lshlrev_b32_e32 v33, 5, v33
	v_and_b32_e32 v34, v34, v37
	v_cmp_gt_i32_e64 s0, 0, v38
	v_ashrrev_i32_e32 v36, 31, v36
	s_wait_alu 0xfffd
	v_xor_b32_e32 v35, vcc_lo, v35
	v_add_nc_u32_e32 v92, v0, v33
	v_and_b32_e32 v34, v34, v39
	s_wait_alu 0xf1ff
	v_xor_b32_e32 v33, s0, v36
	ds_load_b32 v90, v92 offset:32
	v_and_b32_e32 v34, v34, v35
	; wave barrier
	s_delay_alu instid0(VALU_DEP_1) | instskip(NEXT) | instid1(VALU_DEP_1)
	v_and_b32_e32 v33, v34, v33
	v_mbcnt_lo_u32_b32 v91, v33, 0
	v_cmp_ne_u32_e64 s0, 0, v33
	s_delay_alu instid0(VALU_DEP_2)
	v_cmp_eq_u32_e32 vcc_lo, 0, v91
	s_and_b32 s10, s0, vcc_lo
	s_wait_alu 0xfffe
	s_and_saveexec_b32 s0, s10
	s_cbranch_execz .LBB176_49
; %bb.48:
	s_wait_dscnt 0x0
	v_bcnt_u32_b32 v33, v33, v90
	ds_store_b32 v92, v33 offset:32
.LBB176_49:
	s_wait_alu 0xfffe
	s_or_b32 exec_lo, exec_lo, s0
	v_and_b32_e32 v33, 0xffff, v78
	; wave barrier
	s_delay_alu instid0(VALU_DEP_1) | instskip(NEXT) | instid1(VALU_DEP_1)
	v_and_b32_e32 v33, s1, v33
	v_and_b32_e32 v34, 1, v33
	v_lshlrev_b32_e32 v35, 30, v33
	v_lshlrev_b32_e32 v36, 29, v33
	;; [unrolled: 1-line block ×4, first 2 shown]
	v_add_co_u32 v34, s0, v34, -1
	s_wait_alu 0xf1ff
	v_cndmask_b32_e64 v38, 0, 1, s0
	v_not_b32_e32 v85, v35
	v_cmp_gt_i32_e64 s0, 0, v35
	v_not_b32_e32 v35, v36
	v_lshlrev_b32_e32 v40, 26, v33
	v_cmp_ne_u32_e32 vcc_lo, 0, v38
	v_ashrrev_i32_e32 v85, 31, v85
	v_lshlrev_b32_e32 v84, 25, v33
	v_ashrrev_i32_e32 v35, 31, v35
	v_lshlrev_b32_e32 v38, 24, v33
	s_wait_alu 0xfffd
	v_xor_b32_e32 v34, vcc_lo, v34
	v_cmp_gt_i32_e32 vcc_lo, 0, v36
	v_not_b32_e32 v36, v37
	s_wait_alu 0xf1ff
	v_xor_b32_e32 v85, s0, v85
	v_cmp_gt_i32_e64 s0, 0, v37
	v_and_b32_e32 v34, exec_lo, v34
	v_not_b32_e32 v37, v39
	v_ashrrev_i32_e32 v36, 31, v36
	s_wait_alu 0xfffd
	v_xor_b32_e32 v35, vcc_lo, v35
	v_cmp_gt_i32_e32 vcc_lo, 0, v39
	v_and_b32_e32 v34, v34, v85
	v_not_b32_e32 v39, v40
	v_ashrrev_i32_e32 v37, 31, v37
	s_wait_alu 0xf1ff
	v_xor_b32_e32 v36, s0, v36
	v_cmp_gt_i32_e64 s0, 0, v40
	v_and_b32_e32 v34, v34, v35
	v_not_b32_e32 v35, v84
	v_ashrrev_i32_e32 v39, 31, v39
	s_wait_alu 0xfffd
	v_xor_b32_e32 v37, vcc_lo, v37
	v_cmp_gt_i32_e32 vcc_lo, 0, v84
	v_and_b32_e32 v34, v34, v36
	v_not_b32_e32 v36, v38
	v_ashrrev_i32_e32 v35, 31, v35
	s_wait_alu 0xf1ff
	v_xor_b32_e32 v39, s0, v39
	v_lshlrev_b32_e32 v33, 5, v33
	v_and_b32_e32 v34, v34, v37
	v_cmp_gt_i32_e64 s0, 0, v38
	v_ashrrev_i32_e32 v36, 31, v36
	s_wait_alu 0xfffd
	v_xor_b32_e32 v35, vcc_lo, v35
	v_add_nc_u32_e32 v95, v0, v33
	v_and_b32_e32 v34, v34, v39
	s_wait_alu 0xf1ff
	v_xor_b32_e32 v33, s0, v36
	ds_load_b32 v93, v95 offset:32
	v_and_b32_e32 v34, v34, v35
	; wave barrier
	s_delay_alu instid0(VALU_DEP_1) | instskip(NEXT) | instid1(VALU_DEP_1)
	v_and_b32_e32 v33, v34, v33
	v_mbcnt_lo_u32_b32 v94, v33, 0
	v_cmp_ne_u32_e64 s0, 0, v33
	s_delay_alu instid0(VALU_DEP_2)
	v_cmp_eq_u32_e32 vcc_lo, 0, v94
	s_and_b32 s10, s0, vcc_lo
	s_wait_alu 0xfffe
	s_and_saveexec_b32 s0, s10
	s_cbranch_execz .LBB176_51
; %bb.50:
	s_wait_dscnt 0x0
	v_bcnt_u32_b32 v33, v33, v93
	ds_store_b32 v95, v33 offset:32
.LBB176_51:
	s_wait_alu 0xfffe
	s_or_b32 exec_lo, exec_lo, s0
	v_and_b32_e32 v33, 0xffff, v79
	; wave barrier
	s_delay_alu instid0(VALU_DEP_1) | instskip(NEXT) | instid1(VALU_DEP_1)
	v_and_b32_e32 v33, s1, v33
	v_and_b32_e32 v34, 1, v33
	v_lshlrev_b32_e32 v35, 30, v33
	v_lshlrev_b32_e32 v36, 29, v33
	;; [unrolled: 1-line block ×4, first 2 shown]
	v_add_co_u32 v34, s0, v34, -1
	s_wait_alu 0xf1ff
	v_cndmask_b32_e64 v38, 0, 1, s0
	v_not_b32_e32 v85, v35
	v_cmp_gt_i32_e64 s0, 0, v35
	v_not_b32_e32 v35, v36
	v_lshlrev_b32_e32 v40, 26, v33
	v_cmp_ne_u32_e32 vcc_lo, 0, v38
	v_ashrrev_i32_e32 v85, 31, v85
	v_lshlrev_b32_e32 v84, 25, v33
	v_ashrrev_i32_e32 v35, 31, v35
	v_lshlrev_b32_e32 v38, 24, v33
	s_wait_alu 0xfffd
	v_xor_b32_e32 v34, vcc_lo, v34
	v_cmp_gt_i32_e32 vcc_lo, 0, v36
	v_not_b32_e32 v36, v37
	s_wait_alu 0xf1ff
	v_xor_b32_e32 v85, s0, v85
	v_cmp_gt_i32_e64 s0, 0, v37
	v_and_b32_e32 v34, exec_lo, v34
	v_not_b32_e32 v37, v39
	v_ashrrev_i32_e32 v36, 31, v36
	s_wait_alu 0xfffd
	v_xor_b32_e32 v35, vcc_lo, v35
	v_cmp_gt_i32_e32 vcc_lo, 0, v39
	v_and_b32_e32 v34, v34, v85
	v_not_b32_e32 v39, v40
	v_ashrrev_i32_e32 v37, 31, v37
	s_wait_alu 0xf1ff
	v_xor_b32_e32 v36, s0, v36
	v_cmp_gt_i32_e64 s0, 0, v40
	v_and_b32_e32 v34, v34, v35
	v_not_b32_e32 v35, v84
	v_ashrrev_i32_e32 v39, 31, v39
	s_wait_alu 0xfffd
	v_xor_b32_e32 v37, vcc_lo, v37
	v_cmp_gt_i32_e32 vcc_lo, 0, v84
	v_and_b32_e32 v34, v34, v36
	v_not_b32_e32 v36, v38
	v_ashrrev_i32_e32 v35, 31, v35
	s_wait_alu 0xf1ff
	v_xor_b32_e32 v39, s0, v39
	v_lshlrev_b32_e32 v33, 5, v33
	v_and_b32_e32 v34, v34, v37
	v_cmp_gt_i32_e64 s0, 0, v38
	v_ashrrev_i32_e32 v36, 31, v36
	s_wait_alu 0xfffd
	v_xor_b32_e32 v35, vcc_lo, v35
	v_add_nc_u32_e32 v98, v0, v33
	v_and_b32_e32 v34, v34, v39
	s_wait_alu 0xf1ff
	v_xor_b32_e32 v33, s0, v36
	ds_load_b32 v96, v98 offset:32
	v_and_b32_e32 v34, v34, v35
	; wave barrier
	s_delay_alu instid0(VALU_DEP_1) | instskip(NEXT) | instid1(VALU_DEP_1)
	v_and_b32_e32 v33, v34, v33
	v_mbcnt_lo_u32_b32 v97, v33, 0
	v_cmp_ne_u32_e64 s0, 0, v33
	s_delay_alu instid0(VALU_DEP_2)
	v_cmp_eq_u32_e32 vcc_lo, 0, v97
	s_and_b32 s10, s0, vcc_lo
	s_wait_alu 0xfffe
	s_and_saveexec_b32 s0, s10
	s_cbranch_execz .LBB176_53
; %bb.52:
	s_wait_dscnt 0x0
	v_bcnt_u32_b32 v33, v33, v96
	ds_store_b32 v98, v33 offset:32
.LBB176_53:
	s_wait_alu 0xfffe
	s_or_b32 exec_lo, exec_lo, s0
	v_and_b32_e32 v33, 0xffff, v80
	; wave barrier
	s_delay_alu instid0(VALU_DEP_1) | instskip(NEXT) | instid1(VALU_DEP_1)
	v_and_b32_e32 v33, s1, v33
	v_and_b32_e32 v34, 1, v33
	v_lshlrev_b32_e32 v35, 30, v33
	v_lshlrev_b32_e32 v36, 29, v33
	;; [unrolled: 1-line block ×4, first 2 shown]
	v_add_co_u32 v34, s0, v34, -1
	s_wait_alu 0xf1ff
	v_cndmask_b32_e64 v38, 0, 1, s0
	v_not_b32_e32 v85, v35
	v_cmp_gt_i32_e64 s0, 0, v35
	v_not_b32_e32 v35, v36
	v_lshlrev_b32_e32 v40, 26, v33
	v_cmp_ne_u32_e32 vcc_lo, 0, v38
	v_ashrrev_i32_e32 v85, 31, v85
	v_lshlrev_b32_e32 v84, 25, v33
	v_ashrrev_i32_e32 v35, 31, v35
	v_lshlrev_b32_e32 v38, 24, v33
	s_wait_alu 0xfffd
	v_xor_b32_e32 v34, vcc_lo, v34
	v_cmp_gt_i32_e32 vcc_lo, 0, v36
	v_not_b32_e32 v36, v37
	s_wait_alu 0xf1ff
	v_xor_b32_e32 v85, s0, v85
	v_cmp_gt_i32_e64 s0, 0, v37
	v_and_b32_e32 v34, exec_lo, v34
	v_not_b32_e32 v37, v39
	v_ashrrev_i32_e32 v36, 31, v36
	s_wait_alu 0xfffd
	v_xor_b32_e32 v35, vcc_lo, v35
	v_cmp_gt_i32_e32 vcc_lo, 0, v39
	v_and_b32_e32 v34, v34, v85
	v_not_b32_e32 v39, v40
	v_ashrrev_i32_e32 v37, 31, v37
	s_wait_alu 0xf1ff
	v_xor_b32_e32 v36, s0, v36
	v_cmp_gt_i32_e64 s0, 0, v40
	v_and_b32_e32 v34, v34, v35
	v_not_b32_e32 v35, v84
	v_ashrrev_i32_e32 v39, 31, v39
	s_wait_alu 0xfffd
	v_xor_b32_e32 v37, vcc_lo, v37
	v_cmp_gt_i32_e32 vcc_lo, 0, v84
	v_and_b32_e32 v34, v34, v36
	v_not_b32_e32 v36, v38
	v_ashrrev_i32_e32 v35, 31, v35
	s_wait_alu 0xf1ff
	v_xor_b32_e32 v39, s0, v39
	v_lshlrev_b32_e32 v33, 5, v33
	v_and_b32_e32 v34, v34, v37
	v_cmp_gt_i32_e64 s0, 0, v38
	v_ashrrev_i32_e32 v36, 31, v36
	s_wait_alu 0xfffd
	v_xor_b32_e32 v35, vcc_lo, v35
	v_add_nc_u32_e32 v101, v0, v33
	v_and_b32_e32 v34, v34, v39
	s_wait_alu 0xf1ff
	v_xor_b32_e32 v33, s0, v36
	ds_load_b32 v99, v101 offset:32
	v_and_b32_e32 v34, v34, v35
	; wave barrier
	s_delay_alu instid0(VALU_DEP_1) | instskip(NEXT) | instid1(VALU_DEP_1)
	v_and_b32_e32 v33, v34, v33
	v_mbcnt_lo_u32_b32 v100, v33, 0
	v_cmp_ne_u32_e64 s0, 0, v33
	s_delay_alu instid0(VALU_DEP_2)
	v_cmp_eq_u32_e32 vcc_lo, 0, v100
	s_and_b32 s10, s0, vcc_lo
	s_wait_alu 0xfffe
	s_and_saveexec_b32 s0, s10
	s_cbranch_execz .LBB176_55
; %bb.54:
	s_wait_dscnt 0x0
	v_bcnt_u32_b32 v33, v33, v99
	ds_store_b32 v101, v33 offset:32
.LBB176_55:
	s_wait_alu 0xfffe
	s_or_b32 exec_lo, exec_lo, s0
	v_and_b32_e32 v33, 0xffff, v81
	; wave barrier
	s_delay_alu instid0(VALU_DEP_1) | instskip(NEXT) | instid1(VALU_DEP_1)
	v_and_b32_e32 v33, s1, v33
	v_and_b32_e32 v34, 1, v33
	v_lshlrev_b32_e32 v35, 30, v33
	v_lshlrev_b32_e32 v36, 29, v33
	;; [unrolled: 1-line block ×4, first 2 shown]
	v_add_co_u32 v34, s0, v34, -1
	s_wait_alu 0xf1ff
	v_cndmask_b32_e64 v38, 0, 1, s0
	v_not_b32_e32 v85, v35
	v_cmp_gt_i32_e64 s0, 0, v35
	v_not_b32_e32 v35, v36
	v_lshlrev_b32_e32 v40, 26, v33
	v_cmp_ne_u32_e32 vcc_lo, 0, v38
	v_ashrrev_i32_e32 v85, 31, v85
	v_lshlrev_b32_e32 v84, 25, v33
	v_ashrrev_i32_e32 v35, 31, v35
	v_lshlrev_b32_e32 v38, 24, v33
	s_wait_alu 0xfffd
	v_xor_b32_e32 v34, vcc_lo, v34
	v_cmp_gt_i32_e32 vcc_lo, 0, v36
	v_not_b32_e32 v36, v37
	s_wait_alu 0xf1ff
	v_xor_b32_e32 v85, s0, v85
	v_cmp_gt_i32_e64 s0, 0, v37
	v_and_b32_e32 v34, exec_lo, v34
	v_not_b32_e32 v37, v39
	v_ashrrev_i32_e32 v36, 31, v36
	s_wait_alu 0xfffd
	v_xor_b32_e32 v35, vcc_lo, v35
	v_cmp_gt_i32_e32 vcc_lo, 0, v39
	v_and_b32_e32 v34, v34, v85
	v_not_b32_e32 v39, v40
	v_ashrrev_i32_e32 v37, 31, v37
	s_wait_alu 0xf1ff
	v_xor_b32_e32 v36, s0, v36
	v_cmp_gt_i32_e64 s0, 0, v40
	v_and_b32_e32 v34, v34, v35
	v_not_b32_e32 v35, v84
	v_ashrrev_i32_e32 v39, 31, v39
	s_wait_alu 0xfffd
	v_xor_b32_e32 v37, vcc_lo, v37
	v_cmp_gt_i32_e32 vcc_lo, 0, v84
	v_and_b32_e32 v34, v34, v36
	v_not_b32_e32 v36, v38
	v_ashrrev_i32_e32 v35, 31, v35
	s_wait_alu 0xf1ff
	v_xor_b32_e32 v39, s0, v39
	v_lshlrev_b32_e32 v33, 5, v33
	v_and_b32_e32 v34, v34, v37
	v_cmp_gt_i32_e64 s0, 0, v38
	v_ashrrev_i32_e32 v36, 31, v36
	s_wait_alu 0xfffd
	v_xor_b32_e32 v35, vcc_lo, v35
	v_add_nc_u32_e32 v104, v0, v33
	v_and_b32_e32 v34, v34, v39
	s_wait_alu 0xf1ff
	v_xor_b32_e32 v33, s0, v36
	ds_load_b32 v102, v104 offset:32
	v_and_b32_e32 v34, v34, v35
	; wave barrier
	s_delay_alu instid0(VALU_DEP_1) | instskip(NEXT) | instid1(VALU_DEP_1)
	v_and_b32_e32 v33, v34, v33
	v_mbcnt_lo_u32_b32 v103, v33, 0
	v_cmp_ne_u32_e64 s0, 0, v33
	s_delay_alu instid0(VALU_DEP_2)
	v_cmp_eq_u32_e32 vcc_lo, 0, v103
	s_and_b32 s10, s0, vcc_lo
	s_wait_alu 0xfffe
	s_and_saveexec_b32 s0, s10
	s_cbranch_execz .LBB176_57
; %bb.56:
	s_wait_dscnt 0x0
	v_bcnt_u32_b32 v33, v33, v102
	ds_store_b32 v104, v33 offset:32
.LBB176_57:
	s_wait_alu 0xfffe
	s_or_b32 exec_lo, exec_lo, s0
	v_and_b32_e32 v33, 0xffff, v82
	; wave barrier
	s_delay_alu instid0(VALU_DEP_1) | instskip(NEXT) | instid1(VALU_DEP_1)
	v_and_b32_e32 v33, s1, v33
	v_and_b32_e32 v34, 1, v33
	v_lshlrev_b32_e32 v35, 30, v33
	v_lshlrev_b32_e32 v36, 29, v33
	;; [unrolled: 1-line block ×4, first 2 shown]
	v_add_co_u32 v34, s0, v34, -1
	s_wait_alu 0xf1ff
	v_cndmask_b32_e64 v38, 0, 1, s0
	v_not_b32_e32 v85, v35
	v_cmp_gt_i32_e64 s0, 0, v35
	v_not_b32_e32 v35, v36
	v_lshlrev_b32_e32 v40, 26, v33
	v_cmp_ne_u32_e32 vcc_lo, 0, v38
	v_ashrrev_i32_e32 v85, 31, v85
	v_lshlrev_b32_e32 v84, 25, v33
	v_ashrrev_i32_e32 v35, 31, v35
	v_lshlrev_b32_e32 v38, 24, v33
	s_wait_alu 0xfffd
	v_xor_b32_e32 v34, vcc_lo, v34
	v_cmp_gt_i32_e32 vcc_lo, 0, v36
	v_not_b32_e32 v36, v37
	s_wait_alu 0xf1ff
	v_xor_b32_e32 v85, s0, v85
	v_cmp_gt_i32_e64 s0, 0, v37
	v_and_b32_e32 v34, exec_lo, v34
	v_not_b32_e32 v37, v39
	v_ashrrev_i32_e32 v36, 31, v36
	s_wait_alu 0xfffd
	v_xor_b32_e32 v35, vcc_lo, v35
	v_cmp_gt_i32_e32 vcc_lo, 0, v39
	v_and_b32_e32 v34, v34, v85
	v_not_b32_e32 v39, v40
	v_ashrrev_i32_e32 v37, 31, v37
	s_wait_alu 0xf1ff
	v_xor_b32_e32 v36, s0, v36
	v_cmp_gt_i32_e64 s0, 0, v40
	v_and_b32_e32 v34, v34, v35
	v_not_b32_e32 v35, v84
	v_ashrrev_i32_e32 v39, 31, v39
	s_wait_alu 0xfffd
	v_xor_b32_e32 v37, vcc_lo, v37
	v_cmp_gt_i32_e32 vcc_lo, 0, v84
	v_and_b32_e32 v34, v34, v36
	v_not_b32_e32 v36, v38
	v_ashrrev_i32_e32 v35, 31, v35
	s_wait_alu 0xf1ff
	v_xor_b32_e32 v39, s0, v39
	v_lshlrev_b32_e32 v33, 5, v33
	v_and_b32_e32 v34, v34, v37
	v_cmp_gt_i32_e64 s0, 0, v38
	v_ashrrev_i32_e32 v36, 31, v36
	s_wait_alu 0xfffd
	v_xor_b32_e32 v35, vcc_lo, v35
	v_add_nc_u32_e32 v107, v0, v33
	v_and_b32_e32 v34, v34, v39
	s_wait_alu 0xf1ff
	v_xor_b32_e32 v33, s0, v36
	ds_load_b32 v105, v107 offset:32
	v_and_b32_e32 v34, v34, v35
	; wave barrier
	s_delay_alu instid0(VALU_DEP_1) | instskip(NEXT) | instid1(VALU_DEP_1)
	v_and_b32_e32 v33, v34, v33
	v_mbcnt_lo_u32_b32 v106, v33, 0
	v_cmp_ne_u32_e64 s0, 0, v33
	s_delay_alu instid0(VALU_DEP_2)
	v_cmp_eq_u32_e32 vcc_lo, 0, v106
	s_and_b32 s10, s0, vcc_lo
	s_wait_alu 0xfffe
	s_and_saveexec_b32 s0, s10
	s_cbranch_execz .LBB176_59
; %bb.58:
	s_wait_dscnt 0x0
	v_bcnt_u32_b32 v33, v33, v105
	ds_store_b32 v107, v33 offset:32
.LBB176_59:
	s_wait_alu 0xfffe
	s_or_b32 exec_lo, exec_lo, s0
	v_and_b32_e32 v33, 0xffff, v83
	; wave barrier
	s_delay_alu instid0(VALU_DEP_1) | instskip(NEXT) | instid1(VALU_DEP_1)
	v_and_b32_e32 v33, s1, v33
	v_and_b32_e32 v34, 1, v33
	v_lshlrev_b32_e32 v35, 30, v33
	v_lshlrev_b32_e32 v36, 29, v33
	;; [unrolled: 1-line block ×4, first 2 shown]
	v_add_co_u32 v34, s0, v34, -1
	s_wait_alu 0xf1ff
	v_cndmask_b32_e64 v38, 0, 1, s0
	v_not_b32_e32 v85, v35
	v_cmp_gt_i32_e64 s0, 0, v35
	v_not_b32_e32 v35, v36
	v_lshlrev_b32_e32 v40, 26, v33
	v_cmp_ne_u32_e32 vcc_lo, 0, v38
	v_ashrrev_i32_e32 v85, 31, v85
	v_lshlrev_b32_e32 v84, 25, v33
	v_ashrrev_i32_e32 v35, 31, v35
	v_lshlrev_b32_e32 v38, 24, v33
	s_wait_alu 0xfffd
	v_xor_b32_e32 v34, vcc_lo, v34
	v_cmp_gt_i32_e32 vcc_lo, 0, v36
	v_not_b32_e32 v36, v37
	s_wait_alu 0xf1ff
	v_xor_b32_e32 v85, s0, v85
	v_cmp_gt_i32_e64 s0, 0, v37
	v_and_b32_e32 v34, exec_lo, v34
	v_not_b32_e32 v37, v39
	v_ashrrev_i32_e32 v36, 31, v36
	s_wait_alu 0xfffd
	v_xor_b32_e32 v35, vcc_lo, v35
	v_cmp_gt_i32_e32 vcc_lo, 0, v39
	v_and_b32_e32 v34, v34, v85
	v_not_b32_e32 v39, v40
	v_ashrrev_i32_e32 v37, 31, v37
	s_wait_alu 0xf1ff
	v_xor_b32_e32 v36, s0, v36
	v_cmp_gt_i32_e64 s0, 0, v40
	v_and_b32_e32 v34, v34, v35
	v_not_b32_e32 v35, v84
	v_ashrrev_i32_e32 v39, 31, v39
	s_wait_alu 0xfffd
	v_xor_b32_e32 v37, vcc_lo, v37
	v_cmp_gt_i32_e32 vcc_lo, 0, v84
	v_and_b32_e32 v34, v34, v36
	v_not_b32_e32 v36, v38
	v_ashrrev_i32_e32 v35, 31, v35
	s_wait_alu 0xf1ff
	v_xor_b32_e32 v39, s0, v39
	v_lshlrev_b32_e32 v33, 5, v33
	v_and_b32_e32 v34, v34, v37
	v_cmp_gt_i32_e64 s0, 0, v38
	v_ashrrev_i32_e32 v36, 31, v36
	s_wait_alu 0xfffd
	v_xor_b32_e32 v35, vcc_lo, v35
	v_add_nc_u32_e32 v110, v0, v33
	v_and_b32_e32 v34, v34, v39
	v_min_u32_e32 v84, 0xe0, v70
	s_wait_alu 0xf1ff
	v_xor_b32_e32 v33, s0, v36
	ds_load_b32 v108, v110 offset:32
	v_and_b32_e32 v34, v34, v35
	; wave barrier
	s_delay_alu instid0(VALU_DEP_1) | instskip(NEXT) | instid1(VALU_DEP_1)
	v_and_b32_e32 v33, v34, v33
	v_mbcnt_lo_u32_b32 v109, v33, 0
	v_cmp_ne_u32_e64 s0, 0, v33
	s_delay_alu instid0(VALU_DEP_2)
	v_cmp_eq_u32_e32 vcc_lo, 0, v109
	s_and_b32 s1, s0, vcc_lo
	s_wait_alu 0xfffe
	s_and_saveexec_b32 s0, s1
	s_cbranch_execz .LBB176_61
; %bb.60:
	s_wait_dscnt 0x0
	v_bcnt_u32_b32 v33, v33, v108
	ds_store_b32 v110, v33 offset:32
.LBB176_61:
	s_wait_alu 0xfffe
	s_or_b32 exec_lo, exec_lo, s0
	; wave barrier
	s_wait_loadcnt_dscnt 0x0
	s_barrier_signal -1
	s_barrier_wait -1
	global_inv scope:SCOPE_SE
	ds_load_b128 v[37:40], v65 offset:32
	ds_load_b128 v[33:36], v65 offset:48
	v_and_b32_e32 v87, 16, v68
	v_or_b32_e32 v84, 31, v84
	s_delay_alu instid0(VALU_DEP_2) | instskip(NEXT) | instid1(VALU_DEP_2)
	v_cmp_eq_u32_e64 s17, 0, v87
	v_cmp_eq_u32_e64 s15, v41, v84
	s_wait_dscnt 0x1
	v_add_nc_u32_e32 v85, v38, v37
	s_delay_alu instid0(VALU_DEP_1) | instskip(SKIP_1) | instid1(VALU_DEP_1)
	v_add3_u32 v85, v85, v39, v40
	s_wait_dscnt 0x0
	v_add3_u32 v85, v85, v33, v34
	s_delay_alu instid0(VALU_DEP_1) | instskip(SKIP_1) | instid1(VALU_DEP_2)
	v_add3_u32 v36, v85, v35, v36
	v_and_b32_e32 v85, 15, v68
	v_mov_b32_dpp v86, v36 row_shr:1 row_mask:0xf bank_mask:0xf
	s_delay_alu instid0(VALU_DEP_2)
	v_cmp_eq_u32_e64 s1, 0, v85
	v_cmp_lt_u32_e64 s11, 1, v85
	v_cmp_lt_u32_e64 s12, 3, v85
	;; [unrolled: 1-line block ×3, first 2 shown]
	s_wait_alu 0xf1ff
	v_cndmask_b32_e64 v86, v86, 0, s1
	s_delay_alu instid0(VALU_DEP_1) | instskip(NEXT) | instid1(VALU_DEP_1)
	v_add_nc_u32_e32 v36, v86, v36
	v_mov_b32_dpp v86, v36 row_shr:2 row_mask:0xf bank_mask:0xf
	s_delay_alu instid0(VALU_DEP_1) | instskip(NEXT) | instid1(VALU_DEP_1)
	v_cndmask_b32_e64 v86, 0, v86, s11
	v_add_nc_u32_e32 v36, v36, v86
	s_delay_alu instid0(VALU_DEP_1) | instskip(NEXT) | instid1(VALU_DEP_1)
	v_mov_b32_dpp v86, v36 row_shr:4 row_mask:0xf bank_mask:0xf
	v_cndmask_b32_e64 v86, 0, v86, s12
	s_delay_alu instid0(VALU_DEP_1) | instskip(NEXT) | instid1(VALU_DEP_1)
	v_add_nc_u32_e32 v36, v36, v86
	v_mov_b32_dpp v86, v36 row_shr:8 row_mask:0xf bank_mask:0xf
	s_delay_alu instid0(VALU_DEP_1) | instskip(NEXT) | instid1(VALU_DEP_1)
	v_cndmask_b32_e64 v85, 0, v86, s14
	v_add_nc_u32_e32 v86, v36, v85
	v_bfe_i32 v85, v68, 4, 1
	ds_swizzle_b32 v36, v86 offset:swizzle(BROADCAST,32,15)
	s_wait_dscnt 0x0
	v_and_b32_e32 v111, v85, v36
	v_mul_i32_i24_e32 v36, 0xffffffe4, v41
	v_lshlrev_b32_e32 v85, 2, v67
	s_delay_alu instid0(VALU_DEP_3)
	v_add_nc_u32_e32 v87, v86, v111
	s_and_saveexec_b32 s0, s15
; %bb.62:
	ds_store_b32 v85, v87
; %bb.63:
	s_wait_alu 0xfffe
	s_or_b32 exec_lo, exec_lo, s0
	v_and_b32_e32 v84, 7, v68
	v_cmp_gt_u32_e64 s16, 8, v41
	s_wait_loadcnt_dscnt 0x0
	s_barrier_signal -1
	s_barrier_wait -1
	v_cmp_eq_u32_e64 s13, 0, v84
	v_cmp_lt_u32_e64 s10, 1, v84
	v_cmp_lt_u32_e32 vcc_lo, 3, v84
	v_add_nc_u32_e32 v84, v65, v36
	global_inv scope:SCOPE_SE
	s_and_saveexec_b32 s0, s16
	s_cbranch_execz .LBB176_65
; %bb.64:
	ds_load_b32 v36, v84
	s_wait_dscnt 0x0
	v_mov_b32_dpp v86, v36 row_shr:1 row_mask:0xf bank_mask:0xf
	s_delay_alu instid0(VALU_DEP_1) | instskip(NEXT) | instid1(VALU_DEP_1)
	v_cndmask_b32_e64 v86, v86, 0, s13
	v_add_nc_u32_e32 v36, v86, v36
	s_delay_alu instid0(VALU_DEP_1) | instskip(NEXT) | instid1(VALU_DEP_1)
	v_mov_b32_dpp v86, v36 row_shr:2 row_mask:0xf bank_mask:0xf
	v_cndmask_b32_e64 v86, 0, v86, s10
	s_delay_alu instid0(VALU_DEP_1) | instskip(NEXT) | instid1(VALU_DEP_1)
	v_add_nc_u32_e32 v36, v36, v86
	v_mov_b32_dpp v86, v36 row_shr:4 row_mask:0xf bank_mask:0xf
	s_wait_alu 0xfffd
	s_delay_alu instid0(VALU_DEP_1) | instskip(NEXT) | instid1(VALU_DEP_1)
	v_cndmask_b32_e32 v86, 0, v86, vcc_lo
	v_add_nc_u32_e32 v36, v36, v86
	ds_store_b32 v84, v36
.LBB176_65:
	s_wait_alu 0xfffe
	s_or_b32 exec_lo, exec_lo, s0
	v_sub_co_u32 v111, s0, v68, 1
	v_mul_u32_u24_e32 v36, 6, v69
	v_cmp_lt_u32_e64 s18, 31, v41
	v_add_nc_u32_e32 v86, -4, v85
	v_mov_b32_e32 v112, 0
	s_wait_loadcnt_dscnt 0x0
	s_barrier_signal -1
	s_barrier_wait -1
	global_inv scope:SCOPE_SE
	s_and_saveexec_b32 s19, s18
; %bb.66:
	ds_load_b32 v112, v86
; %bb.67:
	s_wait_alu 0xfffe
	s_or_b32 exec_lo, exec_lo, s19
	v_cmp_gt_i32_e64 s19, 0, v111
	s_mov_b32 s24, 0
	s_min_u32 s20, s20, 8
	s_mov_b32 s25, s24
	s_mov_b32 s26, s24
	s_wait_alu 0xf1ff
	v_cndmask_b32_e64 v111, v111, v68, s19
	s_mov_b32 s27, s24
	s_wait_dscnt 0x0
	v_add_nc_u32_e32 v113, v112, v87
	v_cmp_eq_u32_e64 s19, 0, v41
	s_lshl_b32 s20, -1, s20
	v_lshlrev_b32_e32 v87, 2, v111
	s_not_b32 s33, s20
	ds_bpermute_b32 v111, v87, v113
	s_wait_dscnt 0x0
	v_cndmask_b32_e64 v111, v111, v112, s0
	s_wait_alu 0xf1ff
	s_delay_alu instid0(VALU_DEP_1) | instskip(NEXT) | instid1(VALU_DEP_1)
	v_cndmask_b32_e64 v111, v111, 0, s19
	v_add_nc_u32_e32 v112, v111, v37
	s_delay_alu instid0(VALU_DEP_1) | instskip(NEXT) | instid1(VALU_DEP_1)
	v_add_nc_u32_e32 v113, v112, v38
	v_add_nc_u32_e32 v114, v113, v39
	s_delay_alu instid0(VALU_DEP_1) | instskip(NEXT) | instid1(VALU_DEP_1)
	v_add_nc_u32_e32 v37, v114, v40
	;; [unrolled: 3-line block ×3, first 2 shown]
	v_add_nc_u32_e32 v40, v39, v35
	ds_store_b128 v65, v[111:114] offset:32
	ds_store_b128 v65, v[37:40] offset:48
	s_wait_loadcnt_dscnt 0x0
	s_barrier_signal -1
	s_barrier_wait -1
	global_inv scope:SCOPE_SE
	ds_load_b32 v33, v89 offset:32
	ds_load_b32 v34, v92 offset:32
	;; [unrolled: 1-line block ×8, first 2 shown]
	v_add_nc_u32_e32 v92, v66, v36
	s_wait_loadcnt_dscnt 0x0
	s_barrier_signal -1
	s_barrier_wait -1
	global_inv scope:SCOPE_SE
	v_add_nc_u32_e32 v88, v33, v88
	v_add3_u32 v90, v91, v90, v34
	v_add3_u32 v91, v94, v93, v35
	;; [unrolled: 1-line block ×7, first 2 shown]
	v_lshlrev_b32_e32 v33, 1, v88
	v_lshlrev_b32_e32 v34, 1, v90
	;; [unrolled: 1-line block ×8, first 2 shown]
	ds_store_b16 v33, v76
	ds_store_b16 v34, v77
	ds_store_b16 v35, v78
	ds_store_b16 v36, v79
	ds_store_b16 v37, v80
	ds_store_b16 v38, v81
	ds_store_b16 v39, v82
	ds_store_b16 v40, v83
	s_wait_loadcnt_dscnt 0x0
	s_barrier_signal -1
	s_barrier_wait -1
	global_inv scope:SCOPE_SE
	ds_load_u16 v76, v66
	ds_load_u16 v77, v66 offset:64
	ds_load_u16 v78, v66 offset:128
	;; [unrolled: 1-line block ×7, first 2 shown]
	v_mad_co_u64_u32 v[88:89], null, v88, 6, v[33:34]
	v_mad_co_u64_u32 v[33:34], null, v90, 6, v[34:35]
	;; [unrolled: 1-line block ×3, first 2 shown]
	s_wait_loadcnt_dscnt 0x0
	s_barrier_signal -1
	s_barrier_wait -1
	global_inv scope:SCOPE_SE
	v_mad_co_u64_u32 v[35:36], null, v93, 6, v[36:37]
	v_lshrrev_b16 v89, 8, v76
	ds_store_b64 v88, v[21:22]
	v_mad_co_u64_u32 v[36:37], null, v94, 6, v[37:38]
	v_mad_co_u64_u32 v[37:38], null, v95, 6, v[38:39]
	v_and_b32_e32 v21, 0xffff, v89
	v_mad_co_u64_u32 v[38:39], null, v96, 6, v[39:40]
	v_mad_co_u64_u32 v[39:40], null, v97, 6, v[40:41]
	s_delay_alu instid0(VALU_DEP_3)
	v_and_b32_e32 v40, s33, v21
	ds_store_b64 v33, v[23:24]
	ds_store_b64 v34, v[17:18]
	;; [unrolled: 1-line block ×7, first 2 shown]
	v_and_b32_e32 v17, 1, v40
	v_lshlrev_b32_e32 v18, 30, v40
	v_lshlrev_b32_e32 v19, 29, v40
	;; [unrolled: 1-line block ×4, first 2 shown]
	v_add_co_u32 v17, s20, v17, -1
	s_delay_alu instid0(VALU_DEP_1)
	v_cndmask_b32_e64 v21, 0, 1, s20
	v_not_b32_e32 v25, v18
	v_cmp_gt_i32_e64 s21, 0, v18
	v_not_b32_e32 v18, v19
	v_lshlrev_b32_e32 v23, 26, v40
	v_cmp_ne_u32_e64 s20, 0, v21
	v_ashrrev_i32_e32 v25, 31, v25
	v_lshlrev_b32_e32 v24, 25, v40
	v_ashrrev_i32_e32 v18, 31, v18
	v_lshlrev_b32_e32 v21, 24, v40
	s_wait_alu 0xf1ff
	v_xor_b32_e32 v17, s20, v17
	v_cmp_gt_i32_e64 s20, 0, v19
	v_not_b32_e32 v19, v20
	v_xor_b32_e32 v25, s21, v25
	v_cmp_gt_i32_e64 s21, 0, v20
	v_and_b32_e32 v17, exec_lo, v17
	v_not_b32_e32 v20, v22
	v_ashrrev_i32_e32 v19, 31, v19
	s_wait_alu 0xf1ff
	v_xor_b32_e32 v18, s20, v18
	v_cmp_gt_i32_e64 s20, 0, v22
	v_and_b32_e32 v17, v17, v25
	v_not_b32_e32 v22, v23
	v_ashrrev_i32_e32 v20, 31, v20
	v_xor_b32_e32 v19, s21, v19
	v_cmp_gt_i32_e64 s21, 0, v23
	v_and_b32_e32 v17, v17, v18
	v_not_b32_e32 v18, v24
	v_ashrrev_i32_e32 v22, 31, v22
	s_wait_alu 0xf1ff
	v_xor_b32_e32 v20, s20, v20
	v_cmp_gt_i32_e64 s20, 0, v24
	v_and_b32_e32 v17, v17, v19
	v_not_b32_e32 v19, v21
	v_ashrrev_i32_e32 v18, 31, v18
	v_xor_b32_e32 v22, s21, v22
	v_cmp_gt_i32_e64 s21, 0, v21
	v_and_b32_e32 v17, v17, v20
	v_ashrrev_i32_e32 v19, 31, v19
	s_wait_alu 0xf1ff
	v_xor_b32_e32 v18, s20, v18
	s_wait_loadcnt_dscnt 0x0
	s_barrier_signal -1
	v_and_b32_e32 v17, v17, v22
	v_xor_b32_e32 v33, s21, v19
	s_barrier_wait -1
	global_inv scope:SCOPE_SE
	ds_load_2addr_b64 v[21:24], v92 offset1:32
	v_and_b32_e32 v38, v17, v18
	ds_load_2addr_b64 v[29:32], v92 offset0:64 offset1:96
	ds_load_2addr_b64 v[25:28], v92 offset0:128 offset1:160
	;; [unrolled: 1-line block ×3, first 2 shown]
	v_dual_mov_b32 v37, s27 :: v_dual_mov_b32 v36, s26
	v_mov_b32_e32 v35, s25
	v_dual_mov_b32 v34, s24 :: v_dual_and_b32 v33, v38, v33
	v_lshl_add_u32 v89, v40, 5, v0
	s_wait_loadcnt_dscnt 0x0
	s_barrier_signal -1
	s_delay_alu instid0(VALU_DEP_2)
	v_mbcnt_lo_u32_b32 v88, v33, 0
	v_cmp_ne_u32_e64 s21, 0, v33
	s_barrier_wait -1
	global_inv scope:SCOPE_SE
	ds_store_b128 v65, v[34:37] offset:32
	ds_store_b128 v65, v[34:37] offset:48
	v_cmp_eq_u32_e64 s20, 0, v88
	s_wait_loadcnt_dscnt 0x0
	s_barrier_signal -1
	s_barrier_wait -1
	global_inv scope:SCOPE_SE
	s_and_b32 s21, s21, s20
	; wave barrier
	s_wait_alu 0xfffe
	s_and_saveexec_b32 s20, s21
; %bb.68:
	v_bcnt_u32_b32 v33, v33, 0
	ds_store_b32 v89, v33 offset:32
; %bb.69:
	s_wait_alu 0xfffe
	s_or_b32 exec_lo, exec_lo, s20
	v_lshrrev_b16 v33, 8, v77
	; wave barrier
	s_delay_alu instid0(VALU_DEP_1) | instskip(NEXT) | instid1(VALU_DEP_1)
	v_and_b32_e32 v33, s33, v33
	v_and_b32_e32 v34, 1, v33
	v_lshlrev_b32_e32 v35, 30, v33
	v_lshlrev_b32_e32 v36, 29, v33
	;; [unrolled: 1-line block ×4, first 2 shown]
	v_add_co_u32 v34, s20, v34, -1
	s_wait_alu 0xf1ff
	v_cndmask_b32_e64 v38, 0, 1, s20
	v_not_b32_e32 v91, v35
	v_cmp_gt_i32_e64 s21, 0, v35
	v_not_b32_e32 v35, v36
	v_lshlrev_b32_e32 v40, 26, v33
	v_cmp_ne_u32_e64 s20, 0, v38
	v_ashrrev_i32_e32 v91, 31, v91
	v_lshlrev_b32_e32 v90, 25, v33
	v_ashrrev_i32_e32 v35, 31, v35
	v_lshlrev_b32_e32 v38, 24, v33
	s_wait_alu 0xf1ff
	v_xor_b32_e32 v34, s20, v34
	v_cmp_gt_i32_e64 s20, 0, v36
	v_not_b32_e32 v36, v37
	v_xor_b32_e32 v91, s21, v91
	v_cmp_gt_i32_e64 s21, 0, v37
	v_and_b32_e32 v34, exec_lo, v34
	v_not_b32_e32 v37, v39
	v_ashrrev_i32_e32 v36, 31, v36
	s_wait_alu 0xf1ff
	v_xor_b32_e32 v35, s20, v35
	v_cmp_gt_i32_e64 s20, 0, v39
	v_and_b32_e32 v34, v34, v91
	v_not_b32_e32 v39, v40
	v_ashrrev_i32_e32 v37, 31, v37
	v_xor_b32_e32 v36, s21, v36
	v_cmp_gt_i32_e64 s21, 0, v40
	v_and_b32_e32 v34, v34, v35
	v_not_b32_e32 v35, v90
	v_ashrrev_i32_e32 v39, 31, v39
	s_wait_alu 0xf1ff
	v_xor_b32_e32 v37, s20, v37
	v_cmp_gt_i32_e64 s20, 0, v90
	v_and_b32_e32 v34, v34, v36
	v_not_b32_e32 v36, v38
	v_ashrrev_i32_e32 v35, 31, v35
	v_xor_b32_e32 v39, s21, v39
	v_cmp_gt_i32_e64 s21, 0, v38
	v_and_b32_e32 v34, v34, v37
	v_ashrrev_i32_e32 v36, 31, v36
	s_wait_alu 0xf1ff
	v_xor_b32_e32 v35, s20, v35
	v_lshl_add_u32 v92, v33, 5, v0
	v_and_b32_e32 v34, v34, v39
	v_xor_b32_e32 v33, s21, v36
	ds_load_b32 v90, v92 offset:32
	v_and_b32_e32 v34, v34, v35
	; wave barrier
	s_delay_alu instid0(VALU_DEP_1) | instskip(NEXT) | instid1(VALU_DEP_1)
	v_and_b32_e32 v33, v34, v33
	v_mbcnt_lo_u32_b32 v91, v33, 0
	v_cmp_ne_u32_e64 s21, 0, v33
	s_delay_alu instid0(VALU_DEP_2)
	v_cmp_eq_u32_e64 s20, 0, v91
	s_and_b32 s21, s21, s20
	s_wait_alu 0xfffe
	s_and_saveexec_b32 s20, s21
	s_cbranch_execz .LBB176_71
; %bb.70:
	s_wait_dscnt 0x0
	v_bcnt_u32_b32 v33, v33, v90
	ds_store_b32 v92, v33 offset:32
.LBB176_71:
	s_wait_alu 0xfffe
	s_or_b32 exec_lo, exec_lo, s20
	v_lshrrev_b16 v33, 8, v78
	; wave barrier
	s_delay_alu instid0(VALU_DEP_1) | instskip(NEXT) | instid1(VALU_DEP_1)
	v_and_b32_e32 v33, s33, v33
	v_and_b32_e32 v34, 1, v33
	v_lshlrev_b32_e32 v35, 30, v33
	v_lshlrev_b32_e32 v36, 29, v33
	;; [unrolled: 1-line block ×4, first 2 shown]
	v_add_co_u32 v34, s20, v34, -1
	s_wait_alu 0xf1ff
	v_cndmask_b32_e64 v38, 0, 1, s20
	v_not_b32_e32 v94, v35
	v_cmp_gt_i32_e64 s21, 0, v35
	v_not_b32_e32 v35, v36
	v_lshlrev_b32_e32 v40, 26, v33
	v_cmp_ne_u32_e64 s20, 0, v38
	v_ashrrev_i32_e32 v94, 31, v94
	v_lshlrev_b32_e32 v93, 25, v33
	v_ashrrev_i32_e32 v35, 31, v35
	v_lshlrev_b32_e32 v38, 24, v33
	s_wait_alu 0xf1ff
	v_xor_b32_e32 v34, s20, v34
	v_cmp_gt_i32_e64 s20, 0, v36
	v_not_b32_e32 v36, v37
	v_xor_b32_e32 v94, s21, v94
	v_cmp_gt_i32_e64 s21, 0, v37
	v_and_b32_e32 v34, exec_lo, v34
	v_not_b32_e32 v37, v39
	v_ashrrev_i32_e32 v36, 31, v36
	s_wait_alu 0xf1ff
	v_xor_b32_e32 v35, s20, v35
	v_cmp_gt_i32_e64 s20, 0, v39
	v_and_b32_e32 v34, v34, v94
	v_not_b32_e32 v39, v40
	v_ashrrev_i32_e32 v37, 31, v37
	v_xor_b32_e32 v36, s21, v36
	v_cmp_gt_i32_e64 s21, 0, v40
	v_and_b32_e32 v34, v34, v35
	v_not_b32_e32 v35, v93
	v_ashrrev_i32_e32 v39, 31, v39
	s_wait_alu 0xf1ff
	v_xor_b32_e32 v37, s20, v37
	v_cmp_gt_i32_e64 s20, 0, v93
	v_and_b32_e32 v34, v34, v36
	v_not_b32_e32 v36, v38
	v_ashrrev_i32_e32 v35, 31, v35
	v_xor_b32_e32 v39, s21, v39
	v_cmp_gt_i32_e64 s21, 0, v38
	v_and_b32_e32 v34, v34, v37
	v_ashrrev_i32_e32 v36, 31, v36
	s_wait_alu 0xf1ff
	v_xor_b32_e32 v35, s20, v35
	v_lshl_add_u32 v95, v33, 5, v0
	v_and_b32_e32 v34, v34, v39
	v_xor_b32_e32 v33, s21, v36
	ds_load_b32 v93, v95 offset:32
	v_and_b32_e32 v34, v34, v35
	; wave barrier
	s_delay_alu instid0(VALU_DEP_1) | instskip(NEXT) | instid1(VALU_DEP_1)
	v_and_b32_e32 v33, v34, v33
	v_mbcnt_lo_u32_b32 v94, v33, 0
	v_cmp_ne_u32_e64 s21, 0, v33
	s_delay_alu instid0(VALU_DEP_2)
	v_cmp_eq_u32_e64 s20, 0, v94
	s_and_b32 s21, s21, s20
	s_wait_alu 0xfffe
	s_and_saveexec_b32 s20, s21
	s_cbranch_execz .LBB176_73
; %bb.72:
	s_wait_dscnt 0x0
	v_bcnt_u32_b32 v33, v33, v93
	ds_store_b32 v95, v33 offset:32
.LBB176_73:
	s_wait_alu 0xfffe
	s_or_b32 exec_lo, exec_lo, s20
	v_lshrrev_b16 v33, 8, v79
	; wave barrier
	s_delay_alu instid0(VALU_DEP_1) | instskip(NEXT) | instid1(VALU_DEP_1)
	v_and_b32_e32 v33, s33, v33
	v_and_b32_e32 v34, 1, v33
	v_lshlrev_b32_e32 v35, 30, v33
	v_lshlrev_b32_e32 v36, 29, v33
	;; [unrolled: 1-line block ×4, first 2 shown]
	v_add_co_u32 v34, s20, v34, -1
	s_wait_alu 0xf1ff
	v_cndmask_b32_e64 v38, 0, 1, s20
	v_not_b32_e32 v97, v35
	v_cmp_gt_i32_e64 s21, 0, v35
	v_not_b32_e32 v35, v36
	v_lshlrev_b32_e32 v40, 26, v33
	v_cmp_ne_u32_e64 s20, 0, v38
	v_ashrrev_i32_e32 v97, 31, v97
	v_lshlrev_b32_e32 v96, 25, v33
	v_ashrrev_i32_e32 v35, 31, v35
	v_lshlrev_b32_e32 v38, 24, v33
	s_wait_alu 0xf1ff
	v_xor_b32_e32 v34, s20, v34
	v_cmp_gt_i32_e64 s20, 0, v36
	v_not_b32_e32 v36, v37
	v_xor_b32_e32 v97, s21, v97
	v_cmp_gt_i32_e64 s21, 0, v37
	v_and_b32_e32 v34, exec_lo, v34
	v_not_b32_e32 v37, v39
	v_ashrrev_i32_e32 v36, 31, v36
	s_wait_alu 0xf1ff
	v_xor_b32_e32 v35, s20, v35
	v_cmp_gt_i32_e64 s20, 0, v39
	v_and_b32_e32 v34, v34, v97
	v_not_b32_e32 v39, v40
	v_ashrrev_i32_e32 v37, 31, v37
	v_xor_b32_e32 v36, s21, v36
	v_cmp_gt_i32_e64 s21, 0, v40
	v_and_b32_e32 v34, v34, v35
	v_not_b32_e32 v35, v96
	v_ashrrev_i32_e32 v39, 31, v39
	s_wait_alu 0xf1ff
	v_xor_b32_e32 v37, s20, v37
	v_cmp_gt_i32_e64 s20, 0, v96
	v_and_b32_e32 v34, v34, v36
	v_not_b32_e32 v36, v38
	v_ashrrev_i32_e32 v35, 31, v35
	v_xor_b32_e32 v39, s21, v39
	v_cmp_gt_i32_e64 s21, 0, v38
	v_and_b32_e32 v34, v34, v37
	v_ashrrev_i32_e32 v36, 31, v36
	s_wait_alu 0xf1ff
	v_xor_b32_e32 v35, s20, v35
	v_lshl_add_u32 v98, v33, 5, v0
	v_and_b32_e32 v34, v34, v39
	v_xor_b32_e32 v33, s21, v36
	ds_load_b32 v96, v98 offset:32
	v_and_b32_e32 v34, v34, v35
	; wave barrier
	s_delay_alu instid0(VALU_DEP_1) | instskip(NEXT) | instid1(VALU_DEP_1)
	v_and_b32_e32 v33, v34, v33
	v_mbcnt_lo_u32_b32 v97, v33, 0
	v_cmp_ne_u32_e64 s21, 0, v33
	s_delay_alu instid0(VALU_DEP_2)
	v_cmp_eq_u32_e64 s20, 0, v97
	s_and_b32 s21, s21, s20
	s_wait_alu 0xfffe
	s_and_saveexec_b32 s20, s21
	s_cbranch_execz .LBB176_75
; %bb.74:
	s_wait_dscnt 0x0
	v_bcnt_u32_b32 v33, v33, v96
	ds_store_b32 v98, v33 offset:32
.LBB176_75:
	s_wait_alu 0xfffe
	s_or_b32 exec_lo, exec_lo, s20
	v_lshrrev_b16 v33, 8, v80
	; wave barrier
	s_delay_alu instid0(VALU_DEP_1) | instskip(NEXT) | instid1(VALU_DEP_1)
	v_and_b32_e32 v33, s33, v33
	v_and_b32_e32 v34, 1, v33
	v_lshlrev_b32_e32 v35, 30, v33
	v_lshlrev_b32_e32 v36, 29, v33
	;; [unrolled: 1-line block ×4, first 2 shown]
	v_add_co_u32 v34, s20, v34, -1
	s_wait_alu 0xf1ff
	v_cndmask_b32_e64 v38, 0, 1, s20
	v_not_b32_e32 v100, v35
	v_cmp_gt_i32_e64 s21, 0, v35
	v_not_b32_e32 v35, v36
	v_lshlrev_b32_e32 v40, 26, v33
	v_cmp_ne_u32_e64 s20, 0, v38
	v_ashrrev_i32_e32 v100, 31, v100
	v_lshlrev_b32_e32 v99, 25, v33
	v_ashrrev_i32_e32 v35, 31, v35
	v_lshlrev_b32_e32 v38, 24, v33
	s_wait_alu 0xf1ff
	v_xor_b32_e32 v34, s20, v34
	v_cmp_gt_i32_e64 s20, 0, v36
	v_not_b32_e32 v36, v37
	v_xor_b32_e32 v100, s21, v100
	v_cmp_gt_i32_e64 s21, 0, v37
	v_and_b32_e32 v34, exec_lo, v34
	v_not_b32_e32 v37, v39
	v_ashrrev_i32_e32 v36, 31, v36
	s_wait_alu 0xf1ff
	v_xor_b32_e32 v35, s20, v35
	v_cmp_gt_i32_e64 s20, 0, v39
	v_and_b32_e32 v34, v34, v100
	v_not_b32_e32 v39, v40
	v_ashrrev_i32_e32 v37, 31, v37
	v_xor_b32_e32 v36, s21, v36
	v_cmp_gt_i32_e64 s21, 0, v40
	v_and_b32_e32 v34, v34, v35
	v_not_b32_e32 v35, v99
	v_ashrrev_i32_e32 v39, 31, v39
	s_wait_alu 0xf1ff
	v_xor_b32_e32 v37, s20, v37
	v_cmp_gt_i32_e64 s20, 0, v99
	v_and_b32_e32 v34, v34, v36
	v_not_b32_e32 v36, v38
	v_ashrrev_i32_e32 v35, 31, v35
	v_xor_b32_e32 v39, s21, v39
	v_cmp_gt_i32_e64 s21, 0, v38
	v_and_b32_e32 v34, v34, v37
	v_ashrrev_i32_e32 v36, 31, v36
	s_wait_alu 0xf1ff
	v_xor_b32_e32 v35, s20, v35
	v_lshl_add_u32 v101, v33, 5, v0
	v_and_b32_e32 v34, v34, v39
	v_xor_b32_e32 v33, s21, v36
	ds_load_b32 v99, v101 offset:32
	v_and_b32_e32 v34, v34, v35
	; wave barrier
	s_delay_alu instid0(VALU_DEP_1) | instskip(NEXT) | instid1(VALU_DEP_1)
	v_and_b32_e32 v33, v34, v33
	v_mbcnt_lo_u32_b32 v100, v33, 0
	v_cmp_ne_u32_e64 s21, 0, v33
	s_delay_alu instid0(VALU_DEP_2)
	v_cmp_eq_u32_e64 s20, 0, v100
	s_and_b32 s21, s21, s20
	s_wait_alu 0xfffe
	s_and_saveexec_b32 s20, s21
	s_cbranch_execz .LBB176_77
; %bb.76:
	s_wait_dscnt 0x0
	v_bcnt_u32_b32 v33, v33, v99
	ds_store_b32 v101, v33 offset:32
.LBB176_77:
	s_wait_alu 0xfffe
	s_or_b32 exec_lo, exec_lo, s20
	v_lshrrev_b16 v33, 8, v81
	; wave barrier
	s_delay_alu instid0(VALU_DEP_1) | instskip(NEXT) | instid1(VALU_DEP_1)
	v_and_b32_e32 v33, s33, v33
	v_and_b32_e32 v34, 1, v33
	v_lshlrev_b32_e32 v35, 30, v33
	v_lshlrev_b32_e32 v36, 29, v33
	;; [unrolled: 1-line block ×4, first 2 shown]
	v_add_co_u32 v34, s20, v34, -1
	s_wait_alu 0xf1ff
	v_cndmask_b32_e64 v38, 0, 1, s20
	v_not_b32_e32 v103, v35
	v_cmp_gt_i32_e64 s21, 0, v35
	v_not_b32_e32 v35, v36
	v_lshlrev_b32_e32 v40, 26, v33
	v_cmp_ne_u32_e64 s20, 0, v38
	v_ashrrev_i32_e32 v103, 31, v103
	v_lshlrev_b32_e32 v102, 25, v33
	v_ashrrev_i32_e32 v35, 31, v35
	v_lshlrev_b32_e32 v38, 24, v33
	s_wait_alu 0xf1ff
	v_xor_b32_e32 v34, s20, v34
	v_cmp_gt_i32_e64 s20, 0, v36
	v_not_b32_e32 v36, v37
	v_xor_b32_e32 v103, s21, v103
	v_cmp_gt_i32_e64 s21, 0, v37
	v_and_b32_e32 v34, exec_lo, v34
	v_not_b32_e32 v37, v39
	v_ashrrev_i32_e32 v36, 31, v36
	s_wait_alu 0xf1ff
	v_xor_b32_e32 v35, s20, v35
	v_cmp_gt_i32_e64 s20, 0, v39
	v_and_b32_e32 v34, v34, v103
	v_not_b32_e32 v39, v40
	v_ashrrev_i32_e32 v37, 31, v37
	v_xor_b32_e32 v36, s21, v36
	v_cmp_gt_i32_e64 s21, 0, v40
	v_and_b32_e32 v34, v34, v35
	v_not_b32_e32 v35, v102
	v_ashrrev_i32_e32 v39, 31, v39
	s_wait_alu 0xf1ff
	v_xor_b32_e32 v37, s20, v37
	v_cmp_gt_i32_e64 s20, 0, v102
	v_and_b32_e32 v34, v34, v36
	v_not_b32_e32 v36, v38
	v_ashrrev_i32_e32 v35, 31, v35
	v_xor_b32_e32 v39, s21, v39
	v_cmp_gt_i32_e64 s21, 0, v38
	v_and_b32_e32 v34, v34, v37
	v_ashrrev_i32_e32 v36, 31, v36
	s_wait_alu 0xf1ff
	v_xor_b32_e32 v35, s20, v35
	v_lshl_add_u32 v104, v33, 5, v0
	v_and_b32_e32 v34, v34, v39
	v_xor_b32_e32 v33, s21, v36
	ds_load_b32 v102, v104 offset:32
	v_and_b32_e32 v34, v34, v35
	; wave barrier
	s_delay_alu instid0(VALU_DEP_1) | instskip(NEXT) | instid1(VALU_DEP_1)
	v_and_b32_e32 v33, v34, v33
	v_mbcnt_lo_u32_b32 v103, v33, 0
	v_cmp_ne_u32_e64 s21, 0, v33
	s_delay_alu instid0(VALU_DEP_2)
	v_cmp_eq_u32_e64 s20, 0, v103
	s_and_b32 s21, s21, s20
	s_wait_alu 0xfffe
	s_and_saveexec_b32 s20, s21
	s_cbranch_execz .LBB176_79
; %bb.78:
	s_wait_dscnt 0x0
	v_bcnt_u32_b32 v33, v33, v102
	ds_store_b32 v104, v33 offset:32
.LBB176_79:
	s_wait_alu 0xfffe
	s_or_b32 exec_lo, exec_lo, s20
	v_lshrrev_b16 v33, 8, v82
	; wave barrier
	s_delay_alu instid0(VALU_DEP_1) | instskip(NEXT) | instid1(VALU_DEP_1)
	v_and_b32_e32 v33, s33, v33
	v_and_b32_e32 v34, 1, v33
	v_lshlrev_b32_e32 v35, 30, v33
	v_lshlrev_b32_e32 v36, 29, v33
	v_lshlrev_b32_e32 v37, 28, v33
	v_lshlrev_b32_e32 v39, 27, v33
	v_add_co_u32 v34, s20, v34, -1
	s_wait_alu 0xf1ff
	v_cndmask_b32_e64 v38, 0, 1, s20
	v_not_b32_e32 v106, v35
	v_cmp_gt_i32_e64 s21, 0, v35
	v_not_b32_e32 v35, v36
	v_lshlrev_b32_e32 v40, 26, v33
	v_cmp_ne_u32_e64 s20, 0, v38
	v_ashrrev_i32_e32 v106, 31, v106
	v_lshlrev_b32_e32 v105, 25, v33
	v_ashrrev_i32_e32 v35, 31, v35
	v_lshlrev_b32_e32 v38, 24, v33
	s_wait_alu 0xf1ff
	v_xor_b32_e32 v34, s20, v34
	v_cmp_gt_i32_e64 s20, 0, v36
	v_not_b32_e32 v36, v37
	v_xor_b32_e32 v106, s21, v106
	v_cmp_gt_i32_e64 s21, 0, v37
	v_and_b32_e32 v34, exec_lo, v34
	v_not_b32_e32 v37, v39
	v_ashrrev_i32_e32 v36, 31, v36
	s_wait_alu 0xf1ff
	v_xor_b32_e32 v35, s20, v35
	v_cmp_gt_i32_e64 s20, 0, v39
	v_and_b32_e32 v34, v34, v106
	v_not_b32_e32 v39, v40
	v_ashrrev_i32_e32 v37, 31, v37
	v_xor_b32_e32 v36, s21, v36
	v_cmp_gt_i32_e64 s21, 0, v40
	v_and_b32_e32 v34, v34, v35
	v_not_b32_e32 v35, v105
	v_ashrrev_i32_e32 v39, 31, v39
	s_wait_alu 0xf1ff
	v_xor_b32_e32 v37, s20, v37
	v_cmp_gt_i32_e64 s20, 0, v105
	v_and_b32_e32 v34, v34, v36
	v_not_b32_e32 v36, v38
	v_ashrrev_i32_e32 v35, 31, v35
	v_xor_b32_e32 v39, s21, v39
	v_cmp_gt_i32_e64 s21, 0, v38
	v_and_b32_e32 v34, v34, v37
	v_ashrrev_i32_e32 v36, 31, v36
	s_wait_alu 0xf1ff
	v_xor_b32_e32 v35, s20, v35
	v_lshl_add_u32 v107, v33, 5, v0
	v_and_b32_e32 v34, v34, v39
	v_xor_b32_e32 v33, s21, v36
	ds_load_b32 v105, v107 offset:32
	v_and_b32_e32 v34, v34, v35
	; wave barrier
	s_delay_alu instid0(VALU_DEP_1) | instskip(NEXT) | instid1(VALU_DEP_1)
	v_and_b32_e32 v33, v34, v33
	v_mbcnt_lo_u32_b32 v106, v33, 0
	v_cmp_ne_u32_e64 s21, 0, v33
	s_delay_alu instid0(VALU_DEP_2)
	v_cmp_eq_u32_e64 s20, 0, v106
	s_and_b32 s21, s21, s20
	s_wait_alu 0xfffe
	s_and_saveexec_b32 s20, s21
	s_cbranch_execz .LBB176_81
; %bb.80:
	s_wait_dscnt 0x0
	v_bcnt_u32_b32 v33, v33, v105
	ds_store_b32 v107, v33 offset:32
.LBB176_81:
	s_wait_alu 0xfffe
	s_or_b32 exec_lo, exec_lo, s20
	v_lshrrev_b16 v33, 8, v83
	; wave barrier
	s_delay_alu instid0(VALU_DEP_1) | instskip(NEXT) | instid1(VALU_DEP_1)
	v_and_b32_e32 v33, s33, v33
	v_and_b32_e32 v34, 1, v33
	v_lshlrev_b32_e32 v35, 30, v33
	v_lshlrev_b32_e32 v36, 29, v33
	;; [unrolled: 1-line block ×4, first 2 shown]
	v_add_co_u32 v34, s20, v34, -1
	s_wait_alu 0xf1ff
	v_cndmask_b32_e64 v38, 0, 1, s20
	v_not_b32_e32 v109, v35
	v_cmp_gt_i32_e64 s21, 0, v35
	v_not_b32_e32 v35, v36
	v_lshlrev_b32_e32 v40, 26, v33
	v_cmp_ne_u32_e64 s20, 0, v38
	v_ashrrev_i32_e32 v109, 31, v109
	v_lshlrev_b32_e32 v108, 25, v33
	v_ashrrev_i32_e32 v35, 31, v35
	v_lshlrev_b32_e32 v38, 24, v33
	s_wait_alu 0xf1ff
	v_xor_b32_e32 v34, s20, v34
	v_cmp_gt_i32_e64 s20, 0, v36
	v_not_b32_e32 v36, v37
	v_xor_b32_e32 v109, s21, v109
	v_cmp_gt_i32_e64 s21, 0, v37
	v_and_b32_e32 v34, exec_lo, v34
	v_not_b32_e32 v37, v39
	v_ashrrev_i32_e32 v36, 31, v36
	s_wait_alu 0xf1ff
	v_xor_b32_e32 v35, s20, v35
	v_cmp_gt_i32_e64 s20, 0, v39
	v_and_b32_e32 v34, v34, v109
	v_not_b32_e32 v39, v40
	v_ashrrev_i32_e32 v37, 31, v37
	v_xor_b32_e32 v36, s21, v36
	v_cmp_gt_i32_e64 s21, 0, v40
	v_and_b32_e32 v34, v34, v35
	v_not_b32_e32 v35, v108
	v_ashrrev_i32_e32 v39, 31, v39
	s_wait_alu 0xf1ff
	v_xor_b32_e32 v37, s20, v37
	v_cmp_gt_i32_e64 s20, 0, v108
	v_and_b32_e32 v34, v34, v36
	v_not_b32_e32 v36, v38
	v_ashrrev_i32_e32 v35, 31, v35
	v_xor_b32_e32 v39, s21, v39
	v_cmp_gt_i32_e64 s21, 0, v38
	v_and_b32_e32 v34, v34, v37
	v_ashrrev_i32_e32 v36, 31, v36
	s_wait_alu 0xf1ff
	v_xor_b32_e32 v35, s20, v35
	v_lshl_add_u32 v109, v33, 5, v0
	v_and_b32_e32 v34, v34, v39
	v_xor_b32_e32 v33, s21, v36
	ds_load_b32 v0, v109 offset:32
	v_and_b32_e32 v34, v34, v35
	; wave barrier
	s_delay_alu instid0(VALU_DEP_1) | instskip(NEXT) | instid1(VALU_DEP_1)
	v_and_b32_e32 v33, v34, v33
	v_mbcnt_lo_u32_b32 v108, v33, 0
	v_cmp_ne_u32_e64 s21, 0, v33
	s_delay_alu instid0(VALU_DEP_2)
	v_cmp_eq_u32_e64 s20, 0, v108
	s_and_b32 s21, s21, s20
	s_wait_alu 0xfffe
	s_and_saveexec_b32 s20, s21
	s_cbranch_execz .LBB176_83
; %bb.82:
	s_wait_dscnt 0x0
	v_bcnt_u32_b32 v33, v33, v0
	ds_store_b32 v109, v33 offset:32
.LBB176_83:
	s_wait_alu 0xfffe
	s_or_b32 exec_lo, exec_lo, s20
	; wave barrier
	s_wait_loadcnt_dscnt 0x0
	s_barrier_signal -1
	s_barrier_wait -1
	global_inv scope:SCOPE_SE
	ds_load_b128 v[37:40], v65 offset:32
	ds_load_b128 v[33:36], v65 offset:48
	s_wait_dscnt 0x1
	v_add_nc_u32_e32 v110, v38, v37
	s_delay_alu instid0(VALU_DEP_1) | instskip(SKIP_1) | instid1(VALU_DEP_1)
	v_add3_u32 v110, v110, v39, v40
	s_wait_dscnt 0x0
	v_add3_u32 v110, v110, v33, v34
	s_delay_alu instid0(VALU_DEP_1) | instskip(NEXT) | instid1(VALU_DEP_1)
	v_add3_u32 v36, v110, v35, v36
	v_mov_b32_dpp v110, v36 row_shr:1 row_mask:0xf bank_mask:0xf
	s_delay_alu instid0(VALU_DEP_1) | instskip(NEXT) | instid1(VALU_DEP_1)
	v_cndmask_b32_e64 v110, v110, 0, s1
	v_add_nc_u32_e32 v36, v110, v36
	s_delay_alu instid0(VALU_DEP_1) | instskip(NEXT) | instid1(VALU_DEP_1)
	v_mov_b32_dpp v110, v36 row_shr:2 row_mask:0xf bank_mask:0xf
	v_cndmask_b32_e64 v110, 0, v110, s11
	s_delay_alu instid0(VALU_DEP_1) | instskip(NEXT) | instid1(VALU_DEP_1)
	v_add_nc_u32_e32 v36, v36, v110
	v_mov_b32_dpp v110, v36 row_shr:4 row_mask:0xf bank_mask:0xf
	s_delay_alu instid0(VALU_DEP_1) | instskip(NEXT) | instid1(VALU_DEP_1)
	v_cndmask_b32_e64 v110, 0, v110, s12
	v_add_nc_u32_e32 v36, v36, v110
	s_delay_alu instid0(VALU_DEP_1) | instskip(NEXT) | instid1(VALU_DEP_1)
	v_mov_b32_dpp v110, v36 row_shr:8 row_mask:0xf bank_mask:0xf
	v_cndmask_b32_e64 v110, 0, v110, s14
	s_delay_alu instid0(VALU_DEP_1) | instskip(SKIP_3) | instid1(VALU_DEP_1)
	v_add_nc_u32_e32 v36, v36, v110
	ds_swizzle_b32 v110, v36 offset:swizzle(BROADCAST,32,15)
	s_wait_dscnt 0x0
	v_cndmask_b32_e64 v110, v110, 0, s17
	v_add_nc_u32_e32 v36, v36, v110
	s_and_saveexec_b32 s1, s15
; %bb.84:
	ds_store_b32 v85, v36
; %bb.85:
	s_wait_alu 0xfffe
	s_or_b32 exec_lo, exec_lo, s1
	s_wait_loadcnt_dscnt 0x0
	s_barrier_signal -1
	s_barrier_wait -1
	global_inv scope:SCOPE_SE
	s_and_saveexec_b32 s1, s16
	s_cbranch_execz .LBB176_87
; %bb.86:
	ds_load_b32 v85, v84
	s_wait_dscnt 0x0
	v_mov_b32_dpp v110, v85 row_shr:1 row_mask:0xf bank_mask:0xf
	s_delay_alu instid0(VALU_DEP_1) | instskip(NEXT) | instid1(VALU_DEP_1)
	v_cndmask_b32_e64 v110, v110, 0, s13
	v_add_nc_u32_e32 v85, v110, v85
	s_delay_alu instid0(VALU_DEP_1) | instskip(NEXT) | instid1(VALU_DEP_1)
	v_mov_b32_dpp v110, v85 row_shr:2 row_mask:0xf bank_mask:0xf
	v_cndmask_b32_e64 v110, 0, v110, s10
	s_delay_alu instid0(VALU_DEP_1) | instskip(NEXT) | instid1(VALU_DEP_1)
	v_add_nc_u32_e32 v85, v85, v110
	v_mov_b32_dpp v110, v85 row_shr:4 row_mask:0xf bank_mask:0xf
	s_wait_alu 0xfffd
	s_delay_alu instid0(VALU_DEP_1) | instskip(NEXT) | instid1(VALU_DEP_1)
	v_cndmask_b32_e32 v110, 0, v110, vcc_lo
	v_add_nc_u32_e32 v85, v85, v110
	ds_store_b32 v84, v85
.LBB176_87:
	s_wait_alu 0xfffe
	s_or_b32 exec_lo, exec_lo, s1
	v_mov_b32_e32 v84, 0
	s_wait_loadcnt_dscnt 0x0
	s_barrier_signal -1
	s_barrier_wait -1
	global_inv scope:SCOPE_SE
	s_and_saveexec_b32 s1, s18
; %bb.88:
	ds_load_b32 v84, v86
; %bb.89:
	s_wait_alu 0xfffe
	s_or_b32 exec_lo, exec_lo, s1
	s_wait_dscnt 0x0
	v_add_nc_u32_e32 v36, v84, v36
	ds_bpermute_b32 v36, v87, v36
	s_wait_dscnt 0x0
	v_cndmask_b32_e64 v36, v36, v84, s0
	s_delay_alu instid0(VALU_DEP_1) | instskip(NEXT) | instid1(VALU_DEP_1)
	v_cndmask_b32_e64 v36, v36, 0, s19
	v_add_nc_u32_e32 v37, v36, v37
	s_delay_alu instid0(VALU_DEP_1) | instskip(NEXT) | instid1(VALU_DEP_1)
	v_add_nc_u32_e32 v38, v37, v38
	v_add_nc_u32_e32 v39, v38, v39
	s_delay_alu instid0(VALU_DEP_1) | instskip(NEXT) | instid1(VALU_DEP_1)
	v_add_nc_u32_e32 v84, v39, v40
	;; [unrolled: 3-line block ×3, first 2 shown]
	v_add_nc_u32_e32 v87, v86, v35
	ds_store_b128 v65, v[36:39] offset:32
	ds_store_b128 v65, v[84:87] offset:48
	s_wait_loadcnt_dscnt 0x0
	s_barrier_signal -1
	s_barrier_wait -1
	global_inv scope:SCOPE_SE
	ds_load_b32 v33, v109 offset:32
	ds_load_b32 v34, v107 offset:32
	;; [unrolled: 1-line block ×8, first 2 shown]
	v_lshlrev_b32_e32 v84, 1, v64
	s_wait_loadcnt_dscnt 0x0
	s_barrier_signal -1
	s_barrier_wait -1
	global_inv scope:SCOPE_SE
	v_mad_u32_u24 v85, v41, 48, v84
	v_add3_u32 v86, v108, v0, v33
	v_add3_u32 v87, v106, v105, v34
	;; [unrolled: 1-line block ×3, first 2 shown]
	v_add_nc_u32_e32 v88, v36, v88
	v_add3_u32 v90, v91, v90, v37
	v_add3_u32 v91, v94, v93, v38
	;; [unrolled: 1-line block ×4, first 2 shown]
	v_lshlrev_b32_e32 v0, 1, v88
	v_lshlrev_b32_e32 v33, 1, v90
	;; [unrolled: 1-line block ×8, first 2 shown]
	ds_store_b16 v0, v76
	ds_store_b16 v33, v77
	;; [unrolled: 1-line block ×8, first 2 shown]
	v_mad_co_u64_u32 v[76:77], null, v88, 6, v[0:1]
	v_mad_co_u64_u32 v[77:78], null, v90, 6, v[33:34]
	;; [unrolled: 1-line block ×5, first 2 shown]
	s_wait_loadcnt_dscnt 0x0
	s_barrier_signal -1
	s_barrier_wait -1
	global_inv scope:SCOPE_SE
	v_mad_co_u64_u32 v[81:82], null, v89, 6, v[37:38]
	ds_load_b128 v[33:36], v84
	v_mad_co_u64_u32 v[37:38], null, v87, 6, v[38:39]
	v_mad_co_u64_u32 v[38:39], null, v86, 6, v[39:40]
	s_wait_loadcnt_dscnt 0x0
	s_barrier_signal -1
	s_barrier_wait -1
	global_inv scope:SCOPE_SE
	ds_store_b64 v76, v[21:22]
	ds_store_b64 v77, v[23:24]
	ds_store_b64 v78, v[29:30]
	ds_store_b64 v79, v[31:32]
	ds_store_b64 v80, v[25:26]
	ds_store_b64 v81, v[27:28]
	ds_store_b64 v37, v[17:18]
	ds_store_b64 v38, v[19:20]
	s_wait_loadcnt_dscnt 0x0
	s_barrier_signal -1
	s_barrier_wait -1
	global_inv scope:SCOPE_SE
	ds_load_b128 v[29:32], v85
	ds_load_b128 v[25:28], v85 offset:16
	ds_load_b128 v[21:24], v85 offset:32
	;; [unrolled: 1-line block ×3, first 2 shown]
	v_xor_b32_e32 v0, 0x80008000, v33
	v_xor_b32_e32 v34, 0x80008000, v34
	;; [unrolled: 1-line block ×4, first 2 shown]
	s_branch .LBB176_142
.LBB176_90:
	v_mad_co_u64_u32 v[2:3], null, s28, v41, 0
	v_dual_mov_b32 v14, v1 :: v_dual_mov_b32 v15, v1
	v_mov_b32_e32 v16, v1
	v_dual_mov_b32 v6, v1 :: v_dual_mov_b32 v7, v1
	v_dual_mov_b32 v8, v1 :: v_dual_mov_b32 v9, v1
	v_mad_co_u64_u32 v[3:4], null, s29, v41, v[3:4]
	v_dual_mov_b32 v4, v1 :: v_dual_mov_b32 v5, v1
	v_dual_mov_b32 v10, v1 :: v_dual_mov_b32 v13, v1
	s_delay_alu instid0(VALU_DEP_3) | instskip(NEXT) | instid1(VALU_DEP_1)
	v_lshlrev_b64_e32 v[2:3], 3, v[2:3]
	v_add_co_u32 v2, vcc_lo, s34, v2
	s_wait_alu 0xfffd
	s_delay_alu instid0(VALU_DEP_2)
	v_add_co_ci_u32_e64 v3, null, s35, v3, vcc_lo
	global_load_b64 v[11:12], v[2:3], off
	v_dual_mov_b32 v2, v1 :: v_dual_mov_b32 v3, v1
	s_or_b32 exec_lo, exec_lo, s0
	s_and_saveexec_b32 s0, s3
	s_cbranch_execz .LBB176_36
.LBB176_91:
	v_mad_co_u64_u32 v[1:2], null, s28, v17, 0
	s_delay_alu instid0(VALU_DEP_1) | instskip(NEXT) | instid1(VALU_DEP_1)
	v_mad_co_u64_u32 v[24:25], null, s29, v17, v[2:3]
	v_mov_b32_e32 v2, v24
	s_delay_alu instid0(VALU_DEP_1) | instskip(NEXT) | instid1(VALU_DEP_1)
	v_lshlrev_b64_e32 v[1:2], 3, v[1:2]
	v_add_co_u32 v1, vcc_lo, s34, v1
	s_wait_alu 0xfffd
	s_delay_alu instid0(VALU_DEP_2)
	v_add_co_ci_u32_e64 v2, null, s35, v2, vcc_lo
	global_load_b64 v[1:2], v[1:2], off
	s_or_b32 exec_lo, exec_lo, s0
	s_and_saveexec_b32 s0, s4
	s_cbranch_execz .LBB176_37
.LBB176_92:
	v_mad_co_u64_u32 v[13:14], null, s28, v18, 0
	s_delay_alu instid0(VALU_DEP_1) | instskip(NEXT) | instid1(VALU_DEP_1)
	v_mad_co_u64_u32 v[24:25], null, s29, v18, v[14:15]
	v_mov_b32_e32 v14, v24
	s_delay_alu instid0(VALU_DEP_1) | instskip(NEXT) | instid1(VALU_DEP_1)
	v_lshlrev_b64_e32 v[13:14], 3, v[13:14]
	v_add_co_u32 v13, vcc_lo, s34, v13
	s_wait_alu 0xfffd
	s_delay_alu instid0(VALU_DEP_2)
	v_add_co_ci_u32_e64 v14, null, s35, v14, vcc_lo
	global_load_b64 v[13:14], v[13:14], off
	s_or_b32 exec_lo, exec_lo, s0
	s_and_saveexec_b32 s0, s5
	s_cbranch_execz .LBB176_38
.LBB176_93:
	v_mad_co_u64_u32 v[15:16], null, s28, v19, 0
	s_delay_alu instid0(VALU_DEP_1) | instskip(NEXT) | instid1(VALU_DEP_1)
	v_mad_co_u64_u32 v[24:25], null, s29, v19, v[16:17]
	v_mov_b32_e32 v16, v24
	s_delay_alu instid0(VALU_DEP_1) | instskip(NEXT) | instid1(VALU_DEP_1)
	v_lshlrev_b64_e32 v[15:16], 3, v[15:16]
	v_add_co_u32 v15, vcc_lo, s34, v15
	s_wait_alu 0xfffd
	s_delay_alu instid0(VALU_DEP_2)
	v_add_co_ci_u32_e64 v16, null, s35, v16, vcc_lo
	global_load_b64 v[15:16], v[15:16], off
	s_or_b32 exec_lo, exec_lo, s0
	s_and_saveexec_b32 s0, s6
	s_cbranch_execz .LBB176_39
.LBB176_94:
	v_mad_co_u64_u32 v[3:4], null, s28, v20, 0
	s_delay_alu instid0(VALU_DEP_1) | instskip(NEXT) | instid1(VALU_DEP_1)
	v_mad_co_u64_u32 v[24:25], null, s29, v20, v[4:5]
	v_mov_b32_e32 v4, v24
	s_delay_alu instid0(VALU_DEP_1) | instskip(NEXT) | instid1(VALU_DEP_1)
	v_lshlrev_b64_e32 v[3:4], 3, v[3:4]
	v_add_co_u32 v3, vcc_lo, s34, v3
	s_wait_alu 0xfffd
	s_delay_alu instid0(VALU_DEP_2)
	v_add_co_ci_u32_e64 v4, null, s35, v4, vcc_lo
	global_load_b64 v[3:4], v[3:4], off
	s_or_b32 exec_lo, exec_lo, s0
	s_and_saveexec_b32 s0, s7
	s_cbranch_execz .LBB176_40
.LBB176_95:
	v_mad_co_u64_u32 v[5:6], null, s28, v21, 0
	s_delay_alu instid0(VALU_DEP_1) | instskip(NEXT) | instid1(VALU_DEP_1)
	v_mad_co_u64_u32 v[24:25], null, s29, v21, v[6:7]
	v_mov_b32_e32 v6, v24
	s_delay_alu instid0(VALU_DEP_1) | instskip(NEXT) | instid1(VALU_DEP_1)
	v_lshlrev_b64_e32 v[5:6], 3, v[5:6]
	v_add_co_u32 v5, vcc_lo, s34, v5
	s_wait_alu 0xfffd
	s_delay_alu instid0(VALU_DEP_2)
	v_add_co_ci_u32_e64 v6, null, s35, v6, vcc_lo
	global_load_b64 v[5:6], v[5:6], off
	s_or_b32 exec_lo, exec_lo, s0
	s_and_saveexec_b32 s0, s8
	s_cbranch_execnz .LBB176_41
	s_branch .LBB176_42
.LBB176_96:
                                        ; implicit-def: $vgpr33
                                        ; implicit-def: $vgpr34
                                        ; implicit-def: $vgpr0
                                        ; implicit-def: $vgpr19_vgpr20
                                        ; implicit-def: $vgpr23_vgpr24
                                        ; implicit-def: $vgpr27_vgpr28
                                        ; implicit-def: $vgpr31_vgpr32
                                        ; implicit-def: $vgpr35
	s_and_b32 vcc_lo, exec_lo, s0
	s_wait_alu 0xfffe
	s_cbranch_vccz .LBB176_142
; %bb.97:
	s_wait_dscnt 0x0
	v_xor_b32_e32 v17, 0x7fff7fff, v44
	v_xor_b32_e32 v18, 0x7fff7fff, v45
	;; [unrolled: 1-line block ×4, first 2 shown]
	s_getpc_b64 s[0:1]
	s_sext_i32_i16 s1, s1
	s_add_co_u32 s0, s0, _ZN7rocprim17ROCPRIM_400000_NS16block_radix_sortIsLj256ELj8ElLj1ELj1ELj0ELNS0_26block_radix_rank_algorithmE1ELNS0_18block_padding_hintE2ELNS0_4arch9wavefront6targetE0EE19radix_bits_per_passE@rel32@lo+8
	s_add_co_ci_u32 s1, s1, _ZN7rocprim17ROCPRIM_400000_NS16block_radix_sortIsLj256ELj8ElLj1ELj1ELj0ELNS0_26block_radix_rank_algorithmE1ELNS0_18block_padding_hintE2ELNS0_4arch9wavefront6targetE0EE19radix_bits_per_passE@rel32@hi+16
	s_mov_b32 s12, 0
	s_load_b32 s20, s[0:1], 0x0
	s_mov_b32 s13, s12
	ds_store_b128 v75, v[17:20]
	; wave barrier
	ds_load_u16 v25, v66
	s_mov_b32 s14, s12
	s_mov_b32 s15, s12
	v_mad_u32_u24 v0, v74, 6, v75
	ds_load_u16 v26, v66 offset:64
	ds_load_u16 v27, v66 offset:128
	;; [unrolled: 1-line block ×7, first 2 shown]
	s_wait_loadcnt_dscnt 0x0
	s_barrier_signal -1
	s_barrier_wait -1
	global_inv scope:SCOPE_SE
	ds_store_b128 v0, v[5:8]
	ds_store_b128 v0, v[1:4] offset:16
	ds_store_b128 v0, v[13:16] offset:32
	;; [unrolled: 1-line block ×3, first 2 shown]
	; wave barrier
	ds_load_2addr_b64 v[4:7], v73 offset1:32
	ds_load_2addr_b64 v[0:3], v73 offset0:64 offset1:96
	ds_load_2addr_b64 v[12:15], v73 offset0:128 offset1:160
	;; [unrolled: 1-line block ×3, first 2 shown]
	s_wait_kmcnt 0x0
	s_min_u32 s0, s20, 16
	s_wait_loadcnt_dscnt 0x0
	s_lshl_b32 s0, -1, s0
	s_barrier_signal -1
	s_not_b32 s1, s0
	v_and_b32_e32 v17, 0xffff, v25
	s_barrier_wait -1
	global_inv scope:SCOPE_SE
	s_load_b32 s10, s[36:37], 0xc
	v_and_b32_e32 v23, s1, v17
	s_delay_alu instid0(VALU_DEP_1) | instskip(SKIP_3) | instid1(VALU_DEP_4)
	v_and_b32_e32 v16, 1, v23
	v_lshlrev_b32_e32 v17, 30, v23
	v_lshlrev_b32_e32 v20, 28, v23
	;; [unrolled: 1-line block ×3, first 2 shown]
	v_add_co_u32 v16, s0, v16, -1
	s_wait_alu 0xf1ff
	v_cndmask_b32_e64 v18, 0, 1, s0
	v_not_b32_e32 v19, v17
	v_cmp_gt_i32_e64 s0, 0, v17
	s_delay_alu instid0(VALU_DEP_3) | instskip(SKIP_1) | instid1(VALU_DEP_4)
	v_cmp_ne_u32_e32 vcc_lo, 0, v18
	v_lshlrev_b32_e32 v18, 29, v23
	v_ashrrev_i32_e32 v17, 31, v19
	s_wait_alu 0xfffd
	v_xor_b32_e32 v16, vcc_lo, v16
	s_delay_alu instid0(VALU_DEP_3)
	v_not_b32_e32 v19, v18
	s_wait_alu 0xf1ff
	v_xor_b32_e32 v17, s0, v17
	v_cmp_gt_i32_e32 vcc_lo, 0, v18
	s_wait_kmcnt 0x0
	s_lshr_b32 s0, s10, 16
	v_and_b32_e32 v16, exec_lo, v16
	v_ashrrev_i32_e32 v18, 31, v19
	v_not_b32_e32 v19, v20
	s_and_b32 s10, s10, 0xffff
	s_delay_alu instid0(VALU_DEP_3)
	v_and_b32_e32 v16, v16, v17
	s_wait_alu 0xfffd
	v_xor_b32_e32 v17, vcc_lo, v18
	v_cmp_gt_i32_e32 vcc_lo, 0, v20
	v_ashrrev_i32_e32 v18, 31, v19
	v_not_b32_e32 v19, v21
	s_delay_alu instid0(VALU_DEP_4)
	v_and_b32_e32 v16, v16, v17
	v_lshlrev_b32_e32 v17, 26, v23
	s_wait_alu 0xfffd
	v_xor_b32_e32 v18, vcc_lo, v18
	v_cmp_gt_i32_e32 vcc_lo, 0, v21
	v_ashrrev_i32_e32 v19, 31, v19
	v_not_b32_e32 v20, v17
	s_delay_alu instid0(VALU_DEP_4)
	v_and_b32_e32 v16, v16, v18
	v_lshlrev_b32_e32 v18, 25, v23
	;; [unrolled: 8-line block ×3, first 2 shown]
	s_wait_alu 0xfffd
	v_xor_b32_e32 v17, vcc_lo, v17
	v_cmp_gt_i32_e32 vcc_lo, 0, v18
	v_ashrrev_i32_e32 v18, 31, v20
	s_wait_alu 0xfffe
	v_mad_u32_u24 v20, v72, s0, v71
	v_not_b32_e32 v21, v19
	v_and_b32_e32 v16, v16, v17
	s_wait_alu 0xfffd
	v_xor_b32_e32 v17, vcc_lo, v18
	v_cmp_gt_i32_e32 vcc_lo, 0, v19
	v_ashrrev_i32_e32 v18, 31, v21
	v_mad_co_u64_u32 v[21:22], null, v20, s10, v[41:42]
	s_delay_alu instid0(VALU_DEP_4) | instskip(SKIP_1) | instid1(VALU_DEP_3)
	v_and_b32_e32 v16, v16, v17
	s_wait_alu 0xfffd
	v_xor_b32_e32 v22, vcc_lo, v18
	v_dual_mov_b32 v20, s15 :: v_dual_mov_b32 v19, s14
	v_dual_mov_b32 v18, s13 :: v_dual_mov_b32 v17, s12
	s_delay_alu instid0(VALU_DEP_3)
	v_and_b32_e32 v16, v16, v22
	v_lshrrev_b32_e32 v21, 5, v21
	ds_store_b128 v65, v[17:20] offset:32
	ds_store_b128 v65, v[17:20] offset:48
	v_mbcnt_lo_u32_b32 v37, v16, 0
	v_lshlrev_b32_e32 v24, 2, v21
	v_lshlrev_b32_e32 v17, 5, v23
	v_cmp_ne_u32_e64 s0, 0, v16
	s_wait_loadcnt_dscnt 0x0
	v_cmp_eq_u32_e32 vcc_lo, 0, v37
	s_barrier_signal -1
	v_add_nc_u32_e32 v38, v24, v17
	s_barrier_wait -1
	global_inv scope:SCOPE_SE
	s_and_b32 s10, s0, vcc_lo
	; wave barrier
	s_wait_alu 0xfffe
	s_and_saveexec_b32 s0, s10
; %bb.98:
	v_bcnt_u32_b32 v16, v16, 0
	ds_store_b32 v38, v16 offset:32
; %bb.99:
	s_wait_alu 0xfffe
	s_or_b32 exec_lo, exec_lo, s0
	v_and_b32_e32 v16, 0xffff, v26
	; wave barrier
	s_delay_alu instid0(VALU_DEP_1) | instskip(NEXT) | instid1(VALU_DEP_1)
	v_and_b32_e32 v16, s1, v16
	v_and_b32_e32 v17, 1, v16
	v_lshlrev_b32_e32 v18, 30, v16
	v_lshlrev_b32_e32 v19, 29, v16
	;; [unrolled: 1-line block ×4, first 2 shown]
	v_add_co_u32 v17, s0, v17, -1
	s_wait_alu 0xf1ff
	v_cndmask_b32_e64 v21, 0, 1, s0
	v_not_b32_e32 v34, v18
	v_cmp_gt_i32_e64 s0, 0, v18
	v_not_b32_e32 v18, v19
	v_lshlrev_b32_e32 v23, 26, v16
	v_cmp_ne_u32_e32 vcc_lo, 0, v21
	v_ashrrev_i32_e32 v34, 31, v34
	v_lshlrev_b32_e32 v33, 25, v16
	v_ashrrev_i32_e32 v18, 31, v18
	v_lshlrev_b32_e32 v21, 24, v16
	s_wait_alu 0xfffd
	v_xor_b32_e32 v17, vcc_lo, v17
	v_cmp_gt_i32_e32 vcc_lo, 0, v19
	v_not_b32_e32 v19, v20
	s_wait_alu 0xf1ff
	v_xor_b32_e32 v34, s0, v34
	v_cmp_gt_i32_e64 s0, 0, v20
	v_and_b32_e32 v17, exec_lo, v17
	v_not_b32_e32 v20, v22
	v_ashrrev_i32_e32 v19, 31, v19
	s_wait_alu 0xfffd
	v_xor_b32_e32 v18, vcc_lo, v18
	v_cmp_gt_i32_e32 vcc_lo, 0, v22
	v_and_b32_e32 v17, v17, v34
	v_not_b32_e32 v22, v23
	v_ashrrev_i32_e32 v20, 31, v20
	s_wait_alu 0xf1ff
	v_xor_b32_e32 v19, s0, v19
	v_cmp_gt_i32_e64 s0, 0, v23
	v_and_b32_e32 v17, v17, v18
	v_not_b32_e32 v18, v33
	v_ashrrev_i32_e32 v22, 31, v22
	s_wait_alu 0xfffd
	v_xor_b32_e32 v20, vcc_lo, v20
	v_cmp_gt_i32_e32 vcc_lo, 0, v33
	v_and_b32_e32 v17, v17, v19
	v_not_b32_e32 v19, v21
	v_ashrrev_i32_e32 v18, 31, v18
	s_wait_alu 0xf1ff
	v_xor_b32_e32 v22, s0, v22
	v_lshlrev_b32_e32 v16, 5, v16
	v_and_b32_e32 v17, v17, v20
	v_cmp_gt_i32_e64 s0, 0, v21
	v_ashrrev_i32_e32 v19, 31, v19
	s_wait_alu 0xfffd
	v_xor_b32_e32 v18, vcc_lo, v18
	v_add_nc_u32_e32 v42, v24, v16
	v_and_b32_e32 v17, v17, v22
	s_wait_alu 0xf1ff
	v_xor_b32_e32 v16, s0, v19
	ds_load_b32 v39, v42 offset:32
	v_and_b32_e32 v17, v17, v18
	; wave barrier
	s_delay_alu instid0(VALU_DEP_1) | instskip(NEXT) | instid1(VALU_DEP_1)
	v_and_b32_e32 v16, v17, v16
	v_mbcnt_lo_u32_b32 v40, v16, 0
	v_cmp_ne_u32_e64 s0, 0, v16
	s_delay_alu instid0(VALU_DEP_2)
	v_cmp_eq_u32_e32 vcc_lo, 0, v40
	s_and_b32 s10, s0, vcc_lo
	s_wait_alu 0xfffe
	s_and_saveexec_b32 s0, s10
	s_cbranch_execz .LBB176_101
; %bb.100:
	s_wait_dscnt 0x0
	v_bcnt_u32_b32 v16, v16, v39
	ds_store_b32 v42, v16 offset:32
.LBB176_101:
	s_wait_alu 0xfffe
	s_or_b32 exec_lo, exec_lo, s0
	v_and_b32_e32 v16, 0xffff, v27
	; wave barrier
	s_delay_alu instid0(VALU_DEP_1) | instskip(NEXT) | instid1(VALU_DEP_1)
	v_and_b32_e32 v16, s1, v16
	v_and_b32_e32 v17, 1, v16
	v_lshlrev_b32_e32 v18, 30, v16
	v_lshlrev_b32_e32 v19, 29, v16
	;; [unrolled: 1-line block ×4, first 2 shown]
	v_add_co_u32 v17, s0, v17, -1
	s_wait_alu 0xf1ff
	v_cndmask_b32_e64 v21, 0, 1, s0
	v_not_b32_e32 v34, v18
	v_cmp_gt_i32_e64 s0, 0, v18
	v_not_b32_e32 v18, v19
	v_lshlrev_b32_e32 v23, 26, v16
	v_cmp_ne_u32_e32 vcc_lo, 0, v21
	v_ashrrev_i32_e32 v34, 31, v34
	v_lshlrev_b32_e32 v33, 25, v16
	v_ashrrev_i32_e32 v18, 31, v18
	v_lshlrev_b32_e32 v21, 24, v16
	s_wait_alu 0xfffd
	v_xor_b32_e32 v17, vcc_lo, v17
	v_cmp_gt_i32_e32 vcc_lo, 0, v19
	v_not_b32_e32 v19, v20
	s_wait_alu 0xf1ff
	v_xor_b32_e32 v34, s0, v34
	v_cmp_gt_i32_e64 s0, 0, v20
	v_and_b32_e32 v17, exec_lo, v17
	v_not_b32_e32 v20, v22
	v_ashrrev_i32_e32 v19, 31, v19
	s_wait_alu 0xfffd
	v_xor_b32_e32 v18, vcc_lo, v18
	v_cmp_gt_i32_e32 vcc_lo, 0, v22
	v_and_b32_e32 v17, v17, v34
	v_not_b32_e32 v22, v23
	v_ashrrev_i32_e32 v20, 31, v20
	s_wait_alu 0xf1ff
	v_xor_b32_e32 v19, s0, v19
	v_cmp_gt_i32_e64 s0, 0, v23
	v_and_b32_e32 v17, v17, v18
	v_not_b32_e32 v18, v33
	v_ashrrev_i32_e32 v22, 31, v22
	s_wait_alu 0xfffd
	v_xor_b32_e32 v20, vcc_lo, v20
	v_cmp_gt_i32_e32 vcc_lo, 0, v33
	v_and_b32_e32 v17, v17, v19
	v_not_b32_e32 v19, v21
	v_ashrrev_i32_e32 v18, 31, v18
	s_wait_alu 0xf1ff
	v_xor_b32_e32 v22, s0, v22
	v_lshlrev_b32_e32 v16, 5, v16
	v_and_b32_e32 v17, v17, v20
	v_cmp_gt_i32_e64 s0, 0, v21
	v_ashrrev_i32_e32 v19, 31, v19
	s_wait_alu 0xfffd
	v_xor_b32_e32 v18, vcc_lo, v18
	v_add_nc_u32_e32 v45, v24, v16
	v_and_b32_e32 v17, v17, v22
	s_wait_alu 0xf1ff
	v_xor_b32_e32 v16, s0, v19
	ds_load_b32 v43, v45 offset:32
	v_and_b32_e32 v17, v17, v18
	; wave barrier
	s_delay_alu instid0(VALU_DEP_1) | instskip(NEXT) | instid1(VALU_DEP_1)
	v_and_b32_e32 v16, v17, v16
	v_mbcnt_lo_u32_b32 v44, v16, 0
	v_cmp_ne_u32_e64 s0, 0, v16
	s_delay_alu instid0(VALU_DEP_2)
	v_cmp_eq_u32_e32 vcc_lo, 0, v44
	s_and_b32 s10, s0, vcc_lo
	s_wait_alu 0xfffe
	s_and_saveexec_b32 s0, s10
	s_cbranch_execz .LBB176_103
; %bb.102:
	s_wait_dscnt 0x0
	v_bcnt_u32_b32 v16, v16, v43
	ds_store_b32 v45, v16 offset:32
.LBB176_103:
	s_wait_alu 0xfffe
	s_or_b32 exec_lo, exec_lo, s0
	v_and_b32_e32 v16, 0xffff, v28
	; wave barrier
	s_delay_alu instid0(VALU_DEP_1) | instskip(NEXT) | instid1(VALU_DEP_1)
	v_and_b32_e32 v16, s1, v16
	v_and_b32_e32 v17, 1, v16
	v_lshlrev_b32_e32 v18, 30, v16
	v_lshlrev_b32_e32 v19, 29, v16
	;; [unrolled: 1-line block ×4, first 2 shown]
	v_add_co_u32 v17, s0, v17, -1
	s_wait_alu 0xf1ff
	v_cndmask_b32_e64 v21, 0, 1, s0
	v_not_b32_e32 v34, v18
	v_cmp_gt_i32_e64 s0, 0, v18
	v_not_b32_e32 v18, v19
	v_lshlrev_b32_e32 v23, 26, v16
	v_cmp_ne_u32_e32 vcc_lo, 0, v21
	v_ashrrev_i32_e32 v34, 31, v34
	v_lshlrev_b32_e32 v33, 25, v16
	v_ashrrev_i32_e32 v18, 31, v18
	v_lshlrev_b32_e32 v21, 24, v16
	s_wait_alu 0xfffd
	v_xor_b32_e32 v17, vcc_lo, v17
	v_cmp_gt_i32_e32 vcc_lo, 0, v19
	v_not_b32_e32 v19, v20
	s_wait_alu 0xf1ff
	v_xor_b32_e32 v34, s0, v34
	v_cmp_gt_i32_e64 s0, 0, v20
	v_and_b32_e32 v17, exec_lo, v17
	v_not_b32_e32 v20, v22
	v_ashrrev_i32_e32 v19, 31, v19
	s_wait_alu 0xfffd
	v_xor_b32_e32 v18, vcc_lo, v18
	v_cmp_gt_i32_e32 vcc_lo, 0, v22
	v_and_b32_e32 v17, v17, v34
	v_not_b32_e32 v22, v23
	v_ashrrev_i32_e32 v20, 31, v20
	s_wait_alu 0xf1ff
	v_xor_b32_e32 v19, s0, v19
	v_cmp_gt_i32_e64 s0, 0, v23
	v_and_b32_e32 v17, v17, v18
	v_not_b32_e32 v18, v33
	v_ashrrev_i32_e32 v22, 31, v22
	s_wait_alu 0xfffd
	v_xor_b32_e32 v20, vcc_lo, v20
	v_cmp_gt_i32_e32 vcc_lo, 0, v33
	v_and_b32_e32 v17, v17, v19
	v_not_b32_e32 v19, v21
	v_ashrrev_i32_e32 v18, 31, v18
	s_wait_alu 0xf1ff
	v_xor_b32_e32 v22, s0, v22
	v_lshlrev_b32_e32 v16, 5, v16
	v_and_b32_e32 v17, v17, v20
	v_cmp_gt_i32_e64 s0, 0, v21
	v_ashrrev_i32_e32 v19, 31, v19
	s_wait_alu 0xfffd
	v_xor_b32_e32 v18, vcc_lo, v18
	v_add_nc_u32_e32 v73, v24, v16
	v_and_b32_e32 v17, v17, v22
	s_wait_alu 0xf1ff
	v_xor_b32_e32 v16, s0, v19
	ds_load_b32 v71, v73 offset:32
	v_and_b32_e32 v17, v17, v18
	; wave barrier
	s_delay_alu instid0(VALU_DEP_1) | instskip(NEXT) | instid1(VALU_DEP_1)
	v_and_b32_e32 v16, v17, v16
	v_mbcnt_lo_u32_b32 v72, v16, 0
	v_cmp_ne_u32_e64 s0, 0, v16
	s_delay_alu instid0(VALU_DEP_2)
	v_cmp_eq_u32_e32 vcc_lo, 0, v72
	s_and_b32 s10, s0, vcc_lo
	s_wait_alu 0xfffe
	s_and_saveexec_b32 s0, s10
	s_cbranch_execz .LBB176_105
; %bb.104:
	s_wait_dscnt 0x0
	v_bcnt_u32_b32 v16, v16, v71
	ds_store_b32 v73, v16 offset:32
.LBB176_105:
	s_wait_alu 0xfffe
	s_or_b32 exec_lo, exec_lo, s0
	v_and_b32_e32 v16, 0xffff, v29
	; wave barrier
	s_delay_alu instid0(VALU_DEP_1) | instskip(NEXT) | instid1(VALU_DEP_1)
	v_and_b32_e32 v16, s1, v16
	v_and_b32_e32 v17, 1, v16
	v_lshlrev_b32_e32 v18, 30, v16
	v_lshlrev_b32_e32 v19, 29, v16
	;; [unrolled: 1-line block ×4, first 2 shown]
	v_add_co_u32 v17, s0, v17, -1
	s_wait_alu 0xf1ff
	v_cndmask_b32_e64 v21, 0, 1, s0
	v_not_b32_e32 v34, v18
	v_cmp_gt_i32_e64 s0, 0, v18
	v_not_b32_e32 v18, v19
	v_lshlrev_b32_e32 v23, 26, v16
	v_cmp_ne_u32_e32 vcc_lo, 0, v21
	v_ashrrev_i32_e32 v34, 31, v34
	v_lshlrev_b32_e32 v33, 25, v16
	v_ashrrev_i32_e32 v18, 31, v18
	v_lshlrev_b32_e32 v21, 24, v16
	s_wait_alu 0xfffd
	v_xor_b32_e32 v17, vcc_lo, v17
	v_cmp_gt_i32_e32 vcc_lo, 0, v19
	v_not_b32_e32 v19, v20
	s_wait_alu 0xf1ff
	v_xor_b32_e32 v34, s0, v34
	v_cmp_gt_i32_e64 s0, 0, v20
	v_and_b32_e32 v17, exec_lo, v17
	v_not_b32_e32 v20, v22
	v_ashrrev_i32_e32 v19, 31, v19
	s_wait_alu 0xfffd
	v_xor_b32_e32 v18, vcc_lo, v18
	v_cmp_gt_i32_e32 vcc_lo, 0, v22
	v_and_b32_e32 v17, v17, v34
	v_not_b32_e32 v22, v23
	v_ashrrev_i32_e32 v20, 31, v20
	s_wait_alu 0xf1ff
	v_xor_b32_e32 v19, s0, v19
	v_cmp_gt_i32_e64 s0, 0, v23
	v_and_b32_e32 v17, v17, v18
	v_not_b32_e32 v18, v33
	v_ashrrev_i32_e32 v22, 31, v22
	s_wait_alu 0xfffd
	v_xor_b32_e32 v20, vcc_lo, v20
	v_cmp_gt_i32_e32 vcc_lo, 0, v33
	v_and_b32_e32 v17, v17, v19
	v_not_b32_e32 v19, v21
	v_ashrrev_i32_e32 v18, 31, v18
	s_wait_alu 0xf1ff
	v_xor_b32_e32 v22, s0, v22
	v_lshlrev_b32_e32 v16, 5, v16
	v_and_b32_e32 v17, v17, v20
	v_cmp_gt_i32_e64 s0, 0, v21
	v_ashrrev_i32_e32 v19, 31, v19
	s_wait_alu 0xfffd
	v_xor_b32_e32 v18, vcc_lo, v18
	v_add_nc_u32_e32 v76, v24, v16
	v_and_b32_e32 v17, v17, v22
	s_wait_alu 0xf1ff
	v_xor_b32_e32 v16, s0, v19
	ds_load_b32 v74, v76 offset:32
	v_and_b32_e32 v17, v17, v18
	; wave barrier
	s_delay_alu instid0(VALU_DEP_1) | instskip(NEXT) | instid1(VALU_DEP_1)
	v_and_b32_e32 v16, v17, v16
	v_mbcnt_lo_u32_b32 v75, v16, 0
	v_cmp_ne_u32_e64 s0, 0, v16
	s_delay_alu instid0(VALU_DEP_2)
	v_cmp_eq_u32_e32 vcc_lo, 0, v75
	s_and_b32 s10, s0, vcc_lo
	s_wait_alu 0xfffe
	s_and_saveexec_b32 s0, s10
	s_cbranch_execz .LBB176_107
; %bb.106:
	s_wait_dscnt 0x0
	v_bcnt_u32_b32 v16, v16, v74
	ds_store_b32 v76, v16 offset:32
.LBB176_107:
	s_wait_alu 0xfffe
	s_or_b32 exec_lo, exec_lo, s0
	v_and_b32_e32 v16, 0xffff, v30
	; wave barrier
	s_delay_alu instid0(VALU_DEP_1) | instskip(NEXT) | instid1(VALU_DEP_1)
	v_and_b32_e32 v16, s1, v16
	v_and_b32_e32 v17, 1, v16
	v_lshlrev_b32_e32 v18, 30, v16
	v_lshlrev_b32_e32 v19, 29, v16
	;; [unrolled: 1-line block ×4, first 2 shown]
	v_add_co_u32 v17, s0, v17, -1
	s_wait_alu 0xf1ff
	v_cndmask_b32_e64 v21, 0, 1, s0
	v_not_b32_e32 v34, v18
	v_cmp_gt_i32_e64 s0, 0, v18
	v_not_b32_e32 v18, v19
	v_lshlrev_b32_e32 v23, 26, v16
	v_cmp_ne_u32_e32 vcc_lo, 0, v21
	v_ashrrev_i32_e32 v34, 31, v34
	v_lshlrev_b32_e32 v33, 25, v16
	v_ashrrev_i32_e32 v18, 31, v18
	v_lshlrev_b32_e32 v21, 24, v16
	s_wait_alu 0xfffd
	v_xor_b32_e32 v17, vcc_lo, v17
	v_cmp_gt_i32_e32 vcc_lo, 0, v19
	v_not_b32_e32 v19, v20
	s_wait_alu 0xf1ff
	v_xor_b32_e32 v34, s0, v34
	v_cmp_gt_i32_e64 s0, 0, v20
	v_and_b32_e32 v17, exec_lo, v17
	v_not_b32_e32 v20, v22
	v_ashrrev_i32_e32 v19, 31, v19
	s_wait_alu 0xfffd
	v_xor_b32_e32 v18, vcc_lo, v18
	v_cmp_gt_i32_e32 vcc_lo, 0, v22
	v_and_b32_e32 v17, v17, v34
	v_not_b32_e32 v22, v23
	v_ashrrev_i32_e32 v20, 31, v20
	s_wait_alu 0xf1ff
	v_xor_b32_e32 v19, s0, v19
	v_cmp_gt_i32_e64 s0, 0, v23
	v_and_b32_e32 v17, v17, v18
	v_not_b32_e32 v18, v33
	v_ashrrev_i32_e32 v22, 31, v22
	s_wait_alu 0xfffd
	v_xor_b32_e32 v20, vcc_lo, v20
	v_cmp_gt_i32_e32 vcc_lo, 0, v33
	v_and_b32_e32 v17, v17, v19
	v_not_b32_e32 v19, v21
	v_ashrrev_i32_e32 v18, 31, v18
	s_wait_alu 0xf1ff
	v_xor_b32_e32 v22, s0, v22
	v_lshlrev_b32_e32 v16, 5, v16
	v_and_b32_e32 v17, v17, v20
	v_cmp_gt_i32_e64 s0, 0, v21
	v_ashrrev_i32_e32 v19, 31, v19
	s_wait_alu 0xfffd
	v_xor_b32_e32 v18, vcc_lo, v18
	v_add_nc_u32_e32 v79, v24, v16
	v_and_b32_e32 v17, v17, v22
	s_wait_alu 0xf1ff
	v_xor_b32_e32 v16, s0, v19
	ds_load_b32 v77, v79 offset:32
	v_and_b32_e32 v17, v17, v18
	; wave barrier
	s_delay_alu instid0(VALU_DEP_1) | instskip(NEXT) | instid1(VALU_DEP_1)
	v_and_b32_e32 v16, v17, v16
	v_mbcnt_lo_u32_b32 v78, v16, 0
	v_cmp_ne_u32_e64 s0, 0, v16
	s_delay_alu instid0(VALU_DEP_2)
	v_cmp_eq_u32_e32 vcc_lo, 0, v78
	s_and_b32 s10, s0, vcc_lo
	s_wait_alu 0xfffe
	s_and_saveexec_b32 s0, s10
	s_cbranch_execz .LBB176_109
; %bb.108:
	s_wait_dscnt 0x0
	v_bcnt_u32_b32 v16, v16, v77
	ds_store_b32 v79, v16 offset:32
.LBB176_109:
	s_wait_alu 0xfffe
	s_or_b32 exec_lo, exec_lo, s0
	v_and_b32_e32 v16, 0xffff, v31
	; wave barrier
	s_delay_alu instid0(VALU_DEP_1) | instskip(NEXT) | instid1(VALU_DEP_1)
	v_and_b32_e32 v16, s1, v16
	v_and_b32_e32 v17, 1, v16
	v_lshlrev_b32_e32 v18, 30, v16
	v_lshlrev_b32_e32 v19, 29, v16
	;; [unrolled: 1-line block ×4, first 2 shown]
	v_add_co_u32 v17, s0, v17, -1
	s_wait_alu 0xf1ff
	v_cndmask_b32_e64 v21, 0, 1, s0
	v_not_b32_e32 v34, v18
	v_cmp_gt_i32_e64 s0, 0, v18
	v_not_b32_e32 v18, v19
	v_lshlrev_b32_e32 v23, 26, v16
	v_cmp_ne_u32_e32 vcc_lo, 0, v21
	v_ashrrev_i32_e32 v34, 31, v34
	v_lshlrev_b32_e32 v33, 25, v16
	v_ashrrev_i32_e32 v18, 31, v18
	v_lshlrev_b32_e32 v21, 24, v16
	s_wait_alu 0xfffd
	v_xor_b32_e32 v17, vcc_lo, v17
	v_cmp_gt_i32_e32 vcc_lo, 0, v19
	v_not_b32_e32 v19, v20
	s_wait_alu 0xf1ff
	v_xor_b32_e32 v34, s0, v34
	v_cmp_gt_i32_e64 s0, 0, v20
	v_and_b32_e32 v17, exec_lo, v17
	v_not_b32_e32 v20, v22
	v_ashrrev_i32_e32 v19, 31, v19
	s_wait_alu 0xfffd
	v_xor_b32_e32 v18, vcc_lo, v18
	v_cmp_gt_i32_e32 vcc_lo, 0, v22
	v_and_b32_e32 v17, v17, v34
	v_not_b32_e32 v22, v23
	v_ashrrev_i32_e32 v20, 31, v20
	s_wait_alu 0xf1ff
	v_xor_b32_e32 v19, s0, v19
	v_cmp_gt_i32_e64 s0, 0, v23
	v_and_b32_e32 v17, v17, v18
	v_not_b32_e32 v18, v33
	v_ashrrev_i32_e32 v22, 31, v22
	s_wait_alu 0xfffd
	v_xor_b32_e32 v20, vcc_lo, v20
	v_cmp_gt_i32_e32 vcc_lo, 0, v33
	v_and_b32_e32 v17, v17, v19
	v_not_b32_e32 v19, v21
	v_ashrrev_i32_e32 v18, 31, v18
	s_wait_alu 0xf1ff
	v_xor_b32_e32 v22, s0, v22
	v_lshlrev_b32_e32 v16, 5, v16
	v_and_b32_e32 v17, v17, v20
	v_cmp_gt_i32_e64 s0, 0, v21
	v_ashrrev_i32_e32 v19, 31, v19
	s_wait_alu 0xfffd
	v_xor_b32_e32 v18, vcc_lo, v18
	v_add_nc_u32_e32 v82, v24, v16
	v_and_b32_e32 v17, v17, v22
	s_wait_alu 0xf1ff
	v_xor_b32_e32 v16, s0, v19
	ds_load_b32 v80, v82 offset:32
	v_and_b32_e32 v17, v17, v18
	; wave barrier
	s_delay_alu instid0(VALU_DEP_1) | instskip(NEXT) | instid1(VALU_DEP_1)
	v_and_b32_e32 v16, v17, v16
	v_mbcnt_lo_u32_b32 v81, v16, 0
	v_cmp_ne_u32_e64 s0, 0, v16
	s_delay_alu instid0(VALU_DEP_2)
	v_cmp_eq_u32_e32 vcc_lo, 0, v81
	s_and_b32 s10, s0, vcc_lo
	s_wait_alu 0xfffe
	s_and_saveexec_b32 s0, s10
	s_cbranch_execz .LBB176_111
; %bb.110:
	s_wait_dscnt 0x0
	v_bcnt_u32_b32 v16, v16, v80
	ds_store_b32 v82, v16 offset:32
.LBB176_111:
	s_wait_alu 0xfffe
	s_or_b32 exec_lo, exec_lo, s0
	v_and_b32_e32 v16, 0xffff, v32
	; wave barrier
	s_delay_alu instid0(VALU_DEP_1) | instskip(NEXT) | instid1(VALU_DEP_1)
	v_and_b32_e32 v16, s1, v16
	v_and_b32_e32 v17, 1, v16
	v_lshlrev_b32_e32 v18, 30, v16
	v_lshlrev_b32_e32 v19, 29, v16
	;; [unrolled: 1-line block ×4, first 2 shown]
	v_add_co_u32 v17, s0, v17, -1
	s_wait_alu 0xf1ff
	v_cndmask_b32_e64 v21, 0, 1, s0
	v_not_b32_e32 v34, v18
	v_cmp_gt_i32_e64 s0, 0, v18
	v_not_b32_e32 v18, v19
	v_lshlrev_b32_e32 v23, 26, v16
	v_cmp_ne_u32_e32 vcc_lo, 0, v21
	v_ashrrev_i32_e32 v34, 31, v34
	v_lshlrev_b32_e32 v33, 25, v16
	v_ashrrev_i32_e32 v18, 31, v18
	v_lshlrev_b32_e32 v21, 24, v16
	s_wait_alu 0xfffd
	v_xor_b32_e32 v17, vcc_lo, v17
	v_cmp_gt_i32_e32 vcc_lo, 0, v19
	v_not_b32_e32 v19, v20
	s_wait_alu 0xf1ff
	v_xor_b32_e32 v34, s0, v34
	v_cmp_gt_i32_e64 s0, 0, v20
	v_and_b32_e32 v17, exec_lo, v17
	v_not_b32_e32 v20, v22
	v_ashrrev_i32_e32 v19, 31, v19
	s_wait_alu 0xfffd
	v_xor_b32_e32 v18, vcc_lo, v18
	v_cmp_gt_i32_e32 vcc_lo, 0, v22
	v_and_b32_e32 v17, v17, v34
	v_not_b32_e32 v22, v23
	v_ashrrev_i32_e32 v20, 31, v20
	s_wait_alu 0xf1ff
	v_xor_b32_e32 v19, s0, v19
	v_cmp_gt_i32_e64 s0, 0, v23
	v_and_b32_e32 v17, v17, v18
	v_not_b32_e32 v18, v33
	v_ashrrev_i32_e32 v22, 31, v22
	s_wait_alu 0xfffd
	v_xor_b32_e32 v20, vcc_lo, v20
	v_cmp_gt_i32_e32 vcc_lo, 0, v33
	v_and_b32_e32 v17, v17, v19
	v_not_b32_e32 v19, v21
	v_ashrrev_i32_e32 v18, 31, v18
	s_wait_alu 0xf1ff
	v_xor_b32_e32 v22, s0, v22
	v_lshlrev_b32_e32 v16, 5, v16
	v_and_b32_e32 v17, v17, v20
	v_cmp_gt_i32_e64 s0, 0, v21
	v_ashrrev_i32_e32 v19, 31, v19
	s_wait_alu 0xfffd
	v_xor_b32_e32 v18, vcc_lo, v18
	v_add_nc_u32_e32 v85, v24, v16
	v_and_b32_e32 v17, v17, v22
	v_min_u32_e32 v33, 0xe0, v70
	s_wait_alu 0xf1ff
	v_xor_b32_e32 v16, s0, v19
	ds_load_b32 v83, v85 offset:32
	v_and_b32_e32 v17, v17, v18
	; wave barrier
	s_delay_alu instid0(VALU_DEP_1) | instskip(NEXT) | instid1(VALU_DEP_1)
	v_and_b32_e32 v16, v17, v16
	v_mbcnt_lo_u32_b32 v84, v16, 0
	v_cmp_ne_u32_e64 s0, 0, v16
	s_delay_alu instid0(VALU_DEP_2)
	v_cmp_eq_u32_e32 vcc_lo, 0, v84
	s_and_b32 s1, s0, vcc_lo
	s_wait_alu 0xfffe
	s_and_saveexec_b32 s0, s1
	s_cbranch_execz .LBB176_113
; %bb.112:
	s_wait_dscnt 0x0
	v_bcnt_u32_b32 v16, v16, v83
	ds_store_b32 v85, v16 offset:32
.LBB176_113:
	s_wait_alu 0xfffe
	s_or_b32 exec_lo, exec_lo, s0
	; wave barrier
	s_wait_loadcnt_dscnt 0x0
	s_barrier_signal -1
	s_barrier_wait -1
	global_inv scope:SCOPE_SE
	ds_load_b128 v[20:23], v65 offset:32
	ds_load_b128 v[16:19], v65 offset:48
	v_and_b32_e32 v36, 16, v68
	v_or_b32_e32 v33, 31, v33
	s_delay_alu instid0(VALU_DEP_2) | instskip(NEXT) | instid1(VALU_DEP_2)
	v_cmp_eq_u32_e64 s17, 0, v36
	v_cmp_eq_u32_e64 s15, v41, v33
	s_wait_dscnt 0x1
	v_add_nc_u32_e32 v34, v21, v20
	s_delay_alu instid0(VALU_DEP_1) | instskip(SKIP_1) | instid1(VALU_DEP_1)
	v_add3_u32 v34, v34, v22, v23
	s_wait_dscnt 0x0
	v_add3_u32 v34, v34, v16, v17
	s_delay_alu instid0(VALU_DEP_1) | instskip(SKIP_1) | instid1(VALU_DEP_2)
	v_add3_u32 v19, v34, v18, v19
	v_and_b32_e32 v34, 15, v68
	v_mov_b32_dpp v35, v19 row_shr:1 row_mask:0xf bank_mask:0xf
	s_delay_alu instid0(VALU_DEP_2)
	v_cmp_eq_u32_e64 s1, 0, v34
	v_cmp_lt_u32_e64 s11, 1, v34
	v_cmp_lt_u32_e64 s12, 3, v34
	;; [unrolled: 1-line block ×3, first 2 shown]
	s_wait_alu 0xf1ff
	v_cndmask_b32_e64 v35, v35, 0, s1
	s_delay_alu instid0(VALU_DEP_1) | instskip(NEXT) | instid1(VALU_DEP_1)
	v_add_nc_u32_e32 v19, v35, v19
	v_mov_b32_dpp v35, v19 row_shr:2 row_mask:0xf bank_mask:0xf
	s_delay_alu instid0(VALU_DEP_1) | instskip(NEXT) | instid1(VALU_DEP_1)
	v_cndmask_b32_e64 v35, 0, v35, s11
	v_add_nc_u32_e32 v19, v19, v35
	s_delay_alu instid0(VALU_DEP_1) | instskip(NEXT) | instid1(VALU_DEP_1)
	v_mov_b32_dpp v35, v19 row_shr:4 row_mask:0xf bank_mask:0xf
	v_cndmask_b32_e64 v35, 0, v35, s12
	s_delay_alu instid0(VALU_DEP_1) | instskip(NEXT) | instid1(VALU_DEP_1)
	v_add_nc_u32_e32 v19, v19, v35
	v_mov_b32_dpp v35, v19 row_shr:8 row_mask:0xf bank_mask:0xf
	s_delay_alu instid0(VALU_DEP_1) | instskip(NEXT) | instid1(VALU_DEP_1)
	v_cndmask_b32_e64 v34, 0, v35, s14
	v_add_nc_u32_e32 v35, v19, v34
	v_bfe_i32 v34, v68, 4, 1
	ds_swizzle_b32 v19, v35 offset:swizzle(BROADCAST,32,15)
	s_wait_dscnt 0x0
	v_and_b32_e32 v70, v34, v19
	v_mul_i32_i24_e32 v19, 0xffffffe4, v41
	v_lshlrev_b32_e32 v34, 2, v67
	s_delay_alu instid0(VALU_DEP_3)
	v_add_nc_u32_e32 v36, v35, v70
	s_and_saveexec_b32 s0, s15
; %bb.114:
	ds_store_b32 v34, v36
; %bb.115:
	s_wait_alu 0xfffe
	s_or_b32 exec_lo, exec_lo, s0
	v_and_b32_e32 v33, 7, v68
	v_cmp_gt_u32_e64 s16, 8, v41
	s_wait_loadcnt_dscnt 0x0
	s_barrier_signal -1
	s_barrier_wait -1
	v_cmp_eq_u32_e64 s13, 0, v33
	v_cmp_lt_u32_e64 s10, 1, v33
	v_cmp_lt_u32_e32 vcc_lo, 3, v33
	v_add_nc_u32_e32 v33, v65, v19
	global_inv scope:SCOPE_SE
	s_and_saveexec_b32 s0, s16
	s_cbranch_execz .LBB176_117
; %bb.116:
	ds_load_b32 v19, v33
	s_wait_dscnt 0x0
	v_mov_b32_dpp v35, v19 row_shr:1 row_mask:0xf bank_mask:0xf
	s_delay_alu instid0(VALU_DEP_1) | instskip(NEXT) | instid1(VALU_DEP_1)
	v_cndmask_b32_e64 v35, v35, 0, s13
	v_add_nc_u32_e32 v19, v35, v19
	s_delay_alu instid0(VALU_DEP_1) | instskip(NEXT) | instid1(VALU_DEP_1)
	v_mov_b32_dpp v35, v19 row_shr:2 row_mask:0xf bank_mask:0xf
	v_cndmask_b32_e64 v35, 0, v35, s10
	s_delay_alu instid0(VALU_DEP_1) | instskip(NEXT) | instid1(VALU_DEP_1)
	v_add_nc_u32_e32 v19, v19, v35
	v_mov_b32_dpp v35, v19 row_shr:4 row_mask:0xf bank_mask:0xf
	s_wait_alu 0xfffd
	s_delay_alu instid0(VALU_DEP_1) | instskip(NEXT) | instid1(VALU_DEP_1)
	v_cndmask_b32_e32 v35, 0, v35, vcc_lo
	v_add_nc_u32_e32 v19, v19, v35
	ds_store_b32 v33, v19
.LBB176_117:
	s_wait_alu 0xfffe
	s_or_b32 exec_lo, exec_lo, s0
	v_sub_co_u32 v67, s0, v68, 1
	v_mul_u32_u24_e32 v19, 6, v69
	v_cmp_lt_u32_e64 s18, 31, v41
	v_add_nc_u32_e32 v35, -4, v34
	v_mov_b32_e32 v69, 0
	s_wait_loadcnt_dscnt 0x0
	s_barrier_signal -1
	s_barrier_wait -1
	global_inv scope:SCOPE_SE
	s_and_saveexec_b32 s19, s18
; %bb.118:
	ds_load_b32 v69, v35
; %bb.119:
	s_wait_alu 0xfffe
	s_or_b32 exec_lo, exec_lo, s19
	v_cmp_gt_i32_e64 s19, 0, v67
	s_mov_b32 s24, 0
	s_min_u32 s20, s20, 8
	s_mov_b32 s25, s24
	s_mov_b32 s26, s24
	s_wait_alu 0xf1ff
	v_cndmask_b32_e64 v67, v67, v68, s19
	s_mov_b32 s27, s24
	s_wait_dscnt 0x0
	v_add_nc_u32_e32 v68, v69, v36
	v_cmp_eq_u32_e64 s19, 0, v41
	s_lshl_b32 s20, -1, s20
	v_lshlrev_b32_e32 v36, 2, v67
	s_not_b32 s33, s20
	ds_bpermute_b32 v67, v36, v68
	s_wait_dscnt 0x0
	v_cndmask_b32_e64 v67, v67, v69, s0
	s_wait_alu 0xf1ff
	s_delay_alu instid0(VALU_DEP_1) | instskip(NEXT) | instid1(VALU_DEP_1)
	v_cndmask_b32_e64 v67, v67, 0, s19
	v_add_nc_u32_e32 v68, v67, v20
	s_delay_alu instid0(VALU_DEP_1) | instskip(NEXT) | instid1(VALU_DEP_1)
	v_add_nc_u32_e32 v69, v68, v21
	v_add_nc_u32_e32 v70, v69, v22
	s_delay_alu instid0(VALU_DEP_1) | instskip(NEXT) | instid1(VALU_DEP_1)
	v_add_nc_u32_e32 v20, v70, v23
	;; [unrolled: 3-line block ×3, first 2 shown]
	v_add_nc_u32_e32 v23, v22, v18
	ds_store_b128 v65, v[67:70] offset:32
	ds_store_b128 v65, v[20:23] offset:48
	s_wait_loadcnt_dscnt 0x0
	s_barrier_signal -1
	s_barrier_wait -1
	global_inv scope:SCOPE_SE
	ds_load_b32 v16, v38 offset:32
	ds_load_b32 v17, v42 offset:32
	;; [unrolled: 1-line block ×8, first 2 shown]
	v_add_nc_u32_e32 v42, v66, v19
	s_wait_loadcnt_dscnt 0x0
	s_barrier_signal -1
	s_barrier_wait -1
	global_inv scope:SCOPE_SE
	v_add_nc_u32_e32 v37, v16, v37
	v_add3_u32 v39, v40, v39, v17
	v_add3_u32 v40, v44, v43, v18
	;; [unrolled: 1-line block ×7, first 2 shown]
	v_lshlrev_b32_e32 v16, 1, v37
	v_lshlrev_b32_e32 v17, 1, v39
	;; [unrolled: 1-line block ×8, first 2 shown]
	ds_store_b16 v16, v25
	ds_store_b16 v17, v26
	;; [unrolled: 1-line block ×8, first 2 shown]
	s_wait_loadcnt_dscnt 0x0
	s_barrier_signal -1
	s_barrier_wait -1
	global_inv scope:SCOPE_SE
	ds_load_u16 v25, v66
	ds_load_u16 v26, v66 offset:64
	ds_load_u16 v27, v66 offset:128
	;; [unrolled: 1-line block ×7, first 2 shown]
	v_mad_co_u64_u32 v[37:38], null, v37, 6, v[16:17]
	v_mad_co_u64_u32 v[16:17], null, v39, 6, v[17:18]
	;; [unrolled: 1-line block ×3, first 2 shown]
	s_wait_loadcnt_dscnt 0x0
	s_barrier_signal -1
	s_barrier_wait -1
	global_inv scope:SCOPE_SE
	v_mad_co_u64_u32 v[18:19], null, v43, 6, v[19:20]
	v_lshrrev_b16 v38, 8, v25
	ds_store_b64 v37, v[4:5]
	v_mad_co_u64_u32 v[19:20], null, v44, 6, v[20:21]
	v_mad_co_u64_u32 v[20:21], null, v45, 6, v[21:22]
	v_and_b32_e32 v4, 0xffff, v38
	v_mad_co_u64_u32 v[21:22], null, v67, 6, v[22:23]
	v_mad_co_u64_u32 v[22:23], null, v68, 6, v[23:24]
	s_delay_alu instid0(VALU_DEP_3)
	v_and_b32_e32 v23, s33, v4
	ds_store_b64 v16, v[6:7]
	ds_store_b64 v17, v[0:1]
	ds_store_b64 v18, v[2:3]
	ds_store_b64 v19, v[12:13]
	ds_store_b64 v20, v[14:15]
	ds_store_b64 v21, v[8:9]
	ds_store_b64 v22, v[10:11]
	v_and_b32_e32 v0, 1, v23
	v_lshlrev_b32_e32 v1, 30, v23
	v_lshlrev_b32_e32 v2, 29, v23
	;; [unrolled: 1-line block ×4, first 2 shown]
	v_add_co_u32 v0, s20, v0, -1
	s_delay_alu instid0(VALU_DEP_1)
	v_cndmask_b32_e64 v4, 0, 1, s20
	v_not_b32_e32 v8, v1
	v_cmp_gt_i32_e64 s21, 0, v1
	v_not_b32_e32 v1, v2
	v_lshlrev_b32_e32 v6, 26, v23
	v_cmp_ne_u32_e64 s20, 0, v4
	v_ashrrev_i32_e32 v8, 31, v8
	v_lshlrev_b32_e32 v7, 25, v23
	v_ashrrev_i32_e32 v1, 31, v1
	v_lshlrev_b32_e32 v4, 24, v23
	s_wait_alu 0xf1ff
	v_xor_b32_e32 v0, s20, v0
	v_cmp_gt_i32_e64 s20, 0, v2
	v_not_b32_e32 v2, v3
	v_xor_b32_e32 v8, s21, v8
	v_cmp_gt_i32_e64 s21, 0, v3
	v_and_b32_e32 v0, exec_lo, v0
	v_not_b32_e32 v3, v5
	v_ashrrev_i32_e32 v2, 31, v2
	s_wait_alu 0xf1ff
	v_xor_b32_e32 v1, s20, v1
	v_cmp_gt_i32_e64 s20, 0, v5
	v_and_b32_e32 v0, v0, v8
	v_not_b32_e32 v5, v6
	v_ashrrev_i32_e32 v3, 31, v3
	v_xor_b32_e32 v2, s21, v2
	v_cmp_gt_i32_e64 s21, 0, v6
	v_and_b32_e32 v0, v0, v1
	v_not_b32_e32 v1, v7
	v_ashrrev_i32_e32 v5, 31, v5
	s_wait_alu 0xf1ff
	v_xor_b32_e32 v3, s20, v3
	v_cmp_gt_i32_e64 s20, 0, v7
	v_and_b32_e32 v0, v0, v2
	v_not_b32_e32 v2, v4
	v_ashrrev_i32_e32 v1, 31, v1
	v_xor_b32_e32 v5, s21, v5
	v_cmp_gt_i32_e64 s21, 0, v4
	v_and_b32_e32 v0, v0, v3
	v_ashrrev_i32_e32 v2, 31, v2
	s_wait_alu 0xf1ff
	v_xor_b32_e32 v1, s20, v1
	s_wait_loadcnt_dscnt 0x0
	s_barrier_signal -1
	v_and_b32_e32 v0, v0, v5
	v_xor_b32_e32 v16, s21, v2
	s_barrier_wait -1
	global_inv scope:SCOPE_SE
	ds_load_2addr_b64 v[4:7], v42 offset1:32
	v_and_b32_e32 v21, v0, v1
	ds_load_2addr_b64 v[12:15], v42 offset0:64 offset1:96
	ds_load_2addr_b64 v[8:11], v42 offset0:128 offset1:160
	;; [unrolled: 1-line block ×3, first 2 shown]
	v_dual_mov_b32 v17, s24 :: v_dual_mov_b32 v18, s25
	v_dual_mov_b32 v19, s26 :: v_dual_and_b32 v16, v21, v16
	v_mov_b32_e32 v20, s27
	v_lshl_add_u32 v38, v23, 5, v24
	s_wait_loadcnt_dscnt 0x0
	s_barrier_signal -1
	v_mbcnt_lo_u32_b32 v37, v16, 0
	v_cmp_ne_u32_e64 s21, 0, v16
	s_barrier_wait -1
	global_inv scope:SCOPE_SE
	ds_store_b128 v65, v[17:20] offset:32
	ds_store_b128 v65, v[17:20] offset:48
	v_cmp_eq_u32_e64 s20, 0, v37
	s_wait_loadcnt_dscnt 0x0
	s_barrier_signal -1
	s_barrier_wait -1
	global_inv scope:SCOPE_SE
	s_and_b32 s21, s21, s20
	; wave barrier
	s_wait_alu 0xfffe
	s_and_saveexec_b32 s20, s21
; %bb.120:
	v_bcnt_u32_b32 v16, v16, 0
	ds_store_b32 v38, v16 offset:32
; %bb.121:
	s_wait_alu 0xfffe
	s_or_b32 exec_lo, exec_lo, s20
	v_lshrrev_b16 v16, 8, v26
	; wave barrier
	s_delay_alu instid0(VALU_DEP_1) | instskip(NEXT) | instid1(VALU_DEP_1)
	v_and_b32_e32 v16, s33, v16
	v_and_b32_e32 v17, 1, v16
	v_lshlrev_b32_e32 v18, 30, v16
	v_lshlrev_b32_e32 v19, 29, v16
	;; [unrolled: 1-line block ×4, first 2 shown]
	v_add_co_u32 v17, s20, v17, -1
	s_wait_alu 0xf1ff
	v_cndmask_b32_e64 v21, 0, 1, s20
	v_not_b32_e32 v40, v18
	v_cmp_gt_i32_e64 s21, 0, v18
	v_not_b32_e32 v18, v19
	v_lshlrev_b32_e32 v23, 26, v16
	v_cmp_ne_u32_e64 s20, 0, v21
	v_ashrrev_i32_e32 v40, 31, v40
	v_lshlrev_b32_e32 v39, 25, v16
	v_ashrrev_i32_e32 v18, 31, v18
	v_lshlrev_b32_e32 v21, 24, v16
	s_wait_alu 0xf1ff
	v_xor_b32_e32 v17, s20, v17
	v_cmp_gt_i32_e64 s20, 0, v19
	v_not_b32_e32 v19, v20
	v_xor_b32_e32 v40, s21, v40
	v_cmp_gt_i32_e64 s21, 0, v20
	v_and_b32_e32 v17, exec_lo, v17
	v_not_b32_e32 v20, v22
	v_ashrrev_i32_e32 v19, 31, v19
	s_wait_alu 0xf1ff
	v_xor_b32_e32 v18, s20, v18
	v_cmp_gt_i32_e64 s20, 0, v22
	v_and_b32_e32 v17, v17, v40
	v_not_b32_e32 v22, v23
	v_ashrrev_i32_e32 v20, 31, v20
	v_xor_b32_e32 v19, s21, v19
	v_cmp_gt_i32_e64 s21, 0, v23
	v_and_b32_e32 v17, v17, v18
	v_not_b32_e32 v18, v39
	v_ashrrev_i32_e32 v22, 31, v22
	s_wait_alu 0xf1ff
	v_xor_b32_e32 v20, s20, v20
	v_cmp_gt_i32_e64 s20, 0, v39
	v_and_b32_e32 v17, v17, v19
	v_not_b32_e32 v19, v21
	v_ashrrev_i32_e32 v18, 31, v18
	v_xor_b32_e32 v22, s21, v22
	v_cmp_gt_i32_e64 s21, 0, v21
	v_and_b32_e32 v17, v17, v20
	v_ashrrev_i32_e32 v19, 31, v19
	s_wait_alu 0xf1ff
	v_xor_b32_e32 v18, s20, v18
	v_lshl_add_u32 v42, v16, 5, v24
	v_and_b32_e32 v17, v17, v22
	v_xor_b32_e32 v16, s21, v19
	ds_load_b32 v39, v42 offset:32
	v_and_b32_e32 v17, v17, v18
	; wave barrier
	s_delay_alu instid0(VALU_DEP_1) | instskip(NEXT) | instid1(VALU_DEP_1)
	v_and_b32_e32 v16, v17, v16
	v_mbcnt_lo_u32_b32 v40, v16, 0
	v_cmp_ne_u32_e64 s21, 0, v16
	s_delay_alu instid0(VALU_DEP_2)
	v_cmp_eq_u32_e64 s20, 0, v40
	s_and_b32 s21, s21, s20
	s_wait_alu 0xfffe
	s_and_saveexec_b32 s20, s21
	s_cbranch_execz .LBB176_123
; %bb.122:
	s_wait_dscnt 0x0
	v_bcnt_u32_b32 v16, v16, v39
	ds_store_b32 v42, v16 offset:32
.LBB176_123:
	s_wait_alu 0xfffe
	s_or_b32 exec_lo, exec_lo, s20
	v_lshrrev_b16 v16, 8, v27
	; wave barrier
	s_delay_alu instid0(VALU_DEP_1) | instskip(NEXT) | instid1(VALU_DEP_1)
	v_and_b32_e32 v16, s33, v16
	v_and_b32_e32 v17, 1, v16
	v_lshlrev_b32_e32 v18, 30, v16
	v_lshlrev_b32_e32 v19, 29, v16
	;; [unrolled: 1-line block ×4, first 2 shown]
	v_add_co_u32 v17, s20, v17, -1
	s_wait_alu 0xf1ff
	v_cndmask_b32_e64 v21, 0, 1, s20
	v_not_b32_e32 v44, v18
	v_cmp_gt_i32_e64 s21, 0, v18
	v_not_b32_e32 v18, v19
	v_lshlrev_b32_e32 v23, 26, v16
	v_cmp_ne_u32_e64 s20, 0, v21
	v_ashrrev_i32_e32 v44, 31, v44
	v_lshlrev_b32_e32 v43, 25, v16
	v_ashrrev_i32_e32 v18, 31, v18
	v_lshlrev_b32_e32 v21, 24, v16
	s_wait_alu 0xf1ff
	v_xor_b32_e32 v17, s20, v17
	v_cmp_gt_i32_e64 s20, 0, v19
	v_not_b32_e32 v19, v20
	v_xor_b32_e32 v44, s21, v44
	v_cmp_gt_i32_e64 s21, 0, v20
	v_and_b32_e32 v17, exec_lo, v17
	v_not_b32_e32 v20, v22
	v_ashrrev_i32_e32 v19, 31, v19
	s_wait_alu 0xf1ff
	v_xor_b32_e32 v18, s20, v18
	v_cmp_gt_i32_e64 s20, 0, v22
	v_and_b32_e32 v17, v17, v44
	v_not_b32_e32 v22, v23
	v_ashrrev_i32_e32 v20, 31, v20
	v_xor_b32_e32 v19, s21, v19
	v_cmp_gt_i32_e64 s21, 0, v23
	v_and_b32_e32 v17, v17, v18
	v_not_b32_e32 v18, v43
	v_ashrrev_i32_e32 v22, 31, v22
	s_wait_alu 0xf1ff
	v_xor_b32_e32 v20, s20, v20
	v_cmp_gt_i32_e64 s20, 0, v43
	v_and_b32_e32 v17, v17, v19
	v_not_b32_e32 v19, v21
	v_ashrrev_i32_e32 v18, 31, v18
	v_xor_b32_e32 v22, s21, v22
	v_cmp_gt_i32_e64 s21, 0, v21
	v_and_b32_e32 v17, v17, v20
	v_ashrrev_i32_e32 v19, 31, v19
	s_wait_alu 0xf1ff
	v_xor_b32_e32 v18, s20, v18
	v_lshl_add_u32 v45, v16, 5, v24
	v_and_b32_e32 v17, v17, v22
	v_xor_b32_e32 v16, s21, v19
	ds_load_b32 v43, v45 offset:32
	v_and_b32_e32 v17, v17, v18
	; wave barrier
	s_delay_alu instid0(VALU_DEP_1) | instskip(NEXT) | instid1(VALU_DEP_1)
	v_and_b32_e32 v16, v17, v16
	v_mbcnt_lo_u32_b32 v44, v16, 0
	v_cmp_ne_u32_e64 s21, 0, v16
	s_delay_alu instid0(VALU_DEP_2)
	v_cmp_eq_u32_e64 s20, 0, v44
	s_and_b32 s21, s21, s20
	s_wait_alu 0xfffe
	s_and_saveexec_b32 s20, s21
	s_cbranch_execz .LBB176_125
; %bb.124:
	s_wait_dscnt 0x0
	v_bcnt_u32_b32 v16, v16, v43
	ds_store_b32 v45, v16 offset:32
.LBB176_125:
	s_wait_alu 0xfffe
	s_or_b32 exec_lo, exec_lo, s20
	v_lshrrev_b16 v16, 8, v28
	; wave barrier
	s_delay_alu instid0(VALU_DEP_1) | instskip(NEXT) | instid1(VALU_DEP_1)
	v_and_b32_e32 v16, s33, v16
	v_and_b32_e32 v17, 1, v16
	v_lshlrev_b32_e32 v18, 30, v16
	v_lshlrev_b32_e32 v19, 29, v16
	;; [unrolled: 1-line block ×4, first 2 shown]
	v_add_co_u32 v17, s20, v17, -1
	s_wait_alu 0xf1ff
	v_cndmask_b32_e64 v21, 0, 1, s20
	v_not_b32_e32 v67, v18
	v_cmp_gt_i32_e64 s21, 0, v18
	v_not_b32_e32 v18, v19
	v_lshlrev_b32_e32 v23, 26, v16
	v_cmp_ne_u32_e64 s20, 0, v21
	v_ashrrev_i32_e32 v67, 31, v67
	v_lshlrev_b32_e32 v66, 25, v16
	v_ashrrev_i32_e32 v18, 31, v18
	v_lshlrev_b32_e32 v21, 24, v16
	s_wait_alu 0xf1ff
	v_xor_b32_e32 v17, s20, v17
	v_cmp_gt_i32_e64 s20, 0, v19
	v_not_b32_e32 v19, v20
	v_xor_b32_e32 v67, s21, v67
	v_cmp_gt_i32_e64 s21, 0, v20
	v_and_b32_e32 v17, exec_lo, v17
	v_not_b32_e32 v20, v22
	v_ashrrev_i32_e32 v19, 31, v19
	s_wait_alu 0xf1ff
	v_xor_b32_e32 v18, s20, v18
	v_cmp_gt_i32_e64 s20, 0, v22
	v_and_b32_e32 v17, v17, v67
	v_not_b32_e32 v22, v23
	v_ashrrev_i32_e32 v20, 31, v20
	v_xor_b32_e32 v19, s21, v19
	v_cmp_gt_i32_e64 s21, 0, v23
	v_and_b32_e32 v17, v17, v18
	v_not_b32_e32 v18, v66
	v_ashrrev_i32_e32 v22, 31, v22
	s_wait_alu 0xf1ff
	v_xor_b32_e32 v20, s20, v20
	v_cmp_gt_i32_e64 s20, 0, v66
	v_and_b32_e32 v17, v17, v19
	v_not_b32_e32 v19, v21
	v_ashrrev_i32_e32 v18, 31, v18
	v_xor_b32_e32 v22, s21, v22
	v_cmp_gt_i32_e64 s21, 0, v21
	v_and_b32_e32 v17, v17, v20
	v_ashrrev_i32_e32 v19, 31, v19
	s_wait_alu 0xf1ff
	v_xor_b32_e32 v18, s20, v18
	v_lshl_add_u32 v68, v16, 5, v24
	v_and_b32_e32 v17, v17, v22
	v_xor_b32_e32 v16, s21, v19
	ds_load_b32 v66, v68 offset:32
	v_and_b32_e32 v17, v17, v18
	; wave barrier
	s_delay_alu instid0(VALU_DEP_1) | instskip(NEXT) | instid1(VALU_DEP_1)
	v_and_b32_e32 v16, v17, v16
	v_mbcnt_lo_u32_b32 v67, v16, 0
	v_cmp_ne_u32_e64 s21, 0, v16
	s_delay_alu instid0(VALU_DEP_2)
	v_cmp_eq_u32_e64 s20, 0, v67
	s_and_b32 s21, s21, s20
	s_wait_alu 0xfffe
	s_and_saveexec_b32 s20, s21
	s_cbranch_execz .LBB176_127
; %bb.126:
	s_wait_dscnt 0x0
	v_bcnt_u32_b32 v16, v16, v66
	ds_store_b32 v68, v16 offset:32
.LBB176_127:
	s_wait_alu 0xfffe
	s_or_b32 exec_lo, exec_lo, s20
	v_lshrrev_b16 v16, 8, v29
	; wave barrier
	s_delay_alu instid0(VALU_DEP_1) | instskip(NEXT) | instid1(VALU_DEP_1)
	v_and_b32_e32 v16, s33, v16
	v_and_b32_e32 v17, 1, v16
	v_lshlrev_b32_e32 v18, 30, v16
	v_lshlrev_b32_e32 v19, 29, v16
	;; [unrolled: 1-line block ×4, first 2 shown]
	v_add_co_u32 v17, s20, v17, -1
	s_wait_alu 0xf1ff
	v_cndmask_b32_e64 v21, 0, 1, s20
	v_not_b32_e32 v70, v18
	v_cmp_gt_i32_e64 s21, 0, v18
	v_not_b32_e32 v18, v19
	v_lshlrev_b32_e32 v23, 26, v16
	v_cmp_ne_u32_e64 s20, 0, v21
	v_ashrrev_i32_e32 v70, 31, v70
	v_lshlrev_b32_e32 v69, 25, v16
	v_ashrrev_i32_e32 v18, 31, v18
	v_lshlrev_b32_e32 v21, 24, v16
	s_wait_alu 0xf1ff
	v_xor_b32_e32 v17, s20, v17
	v_cmp_gt_i32_e64 s20, 0, v19
	v_not_b32_e32 v19, v20
	v_xor_b32_e32 v70, s21, v70
	v_cmp_gt_i32_e64 s21, 0, v20
	v_and_b32_e32 v17, exec_lo, v17
	v_not_b32_e32 v20, v22
	v_ashrrev_i32_e32 v19, 31, v19
	s_wait_alu 0xf1ff
	v_xor_b32_e32 v18, s20, v18
	v_cmp_gt_i32_e64 s20, 0, v22
	v_and_b32_e32 v17, v17, v70
	v_not_b32_e32 v22, v23
	v_ashrrev_i32_e32 v20, 31, v20
	v_xor_b32_e32 v19, s21, v19
	v_cmp_gt_i32_e64 s21, 0, v23
	v_and_b32_e32 v17, v17, v18
	v_not_b32_e32 v18, v69
	v_ashrrev_i32_e32 v22, 31, v22
	s_wait_alu 0xf1ff
	v_xor_b32_e32 v20, s20, v20
	v_cmp_gt_i32_e64 s20, 0, v69
	v_and_b32_e32 v17, v17, v19
	v_not_b32_e32 v19, v21
	v_ashrrev_i32_e32 v18, 31, v18
	v_xor_b32_e32 v22, s21, v22
	v_cmp_gt_i32_e64 s21, 0, v21
	v_and_b32_e32 v17, v17, v20
	v_ashrrev_i32_e32 v19, 31, v19
	s_wait_alu 0xf1ff
	v_xor_b32_e32 v18, s20, v18
	v_lshl_add_u32 v71, v16, 5, v24
	v_and_b32_e32 v17, v17, v22
	v_xor_b32_e32 v16, s21, v19
	ds_load_b32 v69, v71 offset:32
	v_and_b32_e32 v17, v17, v18
	; wave barrier
	s_delay_alu instid0(VALU_DEP_1) | instskip(NEXT) | instid1(VALU_DEP_1)
	v_and_b32_e32 v16, v17, v16
	v_mbcnt_lo_u32_b32 v70, v16, 0
	v_cmp_ne_u32_e64 s21, 0, v16
	s_delay_alu instid0(VALU_DEP_2)
	v_cmp_eq_u32_e64 s20, 0, v70
	s_and_b32 s21, s21, s20
	s_wait_alu 0xfffe
	s_and_saveexec_b32 s20, s21
	s_cbranch_execz .LBB176_129
; %bb.128:
	s_wait_dscnt 0x0
	v_bcnt_u32_b32 v16, v16, v69
	ds_store_b32 v71, v16 offset:32
.LBB176_129:
	s_wait_alu 0xfffe
	s_or_b32 exec_lo, exec_lo, s20
	v_lshrrev_b16 v16, 8, v30
	; wave barrier
	s_delay_alu instid0(VALU_DEP_1) | instskip(NEXT) | instid1(VALU_DEP_1)
	v_and_b32_e32 v16, s33, v16
	v_and_b32_e32 v17, 1, v16
	v_lshlrev_b32_e32 v18, 30, v16
	v_lshlrev_b32_e32 v19, 29, v16
	;; [unrolled: 1-line block ×4, first 2 shown]
	v_add_co_u32 v17, s20, v17, -1
	s_wait_alu 0xf1ff
	v_cndmask_b32_e64 v21, 0, 1, s20
	v_not_b32_e32 v73, v18
	v_cmp_gt_i32_e64 s21, 0, v18
	v_not_b32_e32 v18, v19
	v_lshlrev_b32_e32 v23, 26, v16
	v_cmp_ne_u32_e64 s20, 0, v21
	v_ashrrev_i32_e32 v73, 31, v73
	v_lshlrev_b32_e32 v72, 25, v16
	v_ashrrev_i32_e32 v18, 31, v18
	v_lshlrev_b32_e32 v21, 24, v16
	s_wait_alu 0xf1ff
	v_xor_b32_e32 v17, s20, v17
	v_cmp_gt_i32_e64 s20, 0, v19
	v_not_b32_e32 v19, v20
	v_xor_b32_e32 v73, s21, v73
	v_cmp_gt_i32_e64 s21, 0, v20
	v_and_b32_e32 v17, exec_lo, v17
	v_not_b32_e32 v20, v22
	v_ashrrev_i32_e32 v19, 31, v19
	s_wait_alu 0xf1ff
	v_xor_b32_e32 v18, s20, v18
	v_cmp_gt_i32_e64 s20, 0, v22
	v_and_b32_e32 v17, v17, v73
	v_not_b32_e32 v22, v23
	v_ashrrev_i32_e32 v20, 31, v20
	v_xor_b32_e32 v19, s21, v19
	v_cmp_gt_i32_e64 s21, 0, v23
	v_and_b32_e32 v17, v17, v18
	v_not_b32_e32 v18, v72
	v_ashrrev_i32_e32 v22, 31, v22
	s_wait_alu 0xf1ff
	v_xor_b32_e32 v20, s20, v20
	v_cmp_gt_i32_e64 s20, 0, v72
	v_and_b32_e32 v17, v17, v19
	v_not_b32_e32 v19, v21
	v_ashrrev_i32_e32 v18, 31, v18
	v_xor_b32_e32 v22, s21, v22
	v_cmp_gt_i32_e64 s21, 0, v21
	v_and_b32_e32 v17, v17, v20
	v_ashrrev_i32_e32 v19, 31, v19
	s_wait_alu 0xf1ff
	v_xor_b32_e32 v18, s20, v18
	v_lshl_add_u32 v74, v16, 5, v24
	v_and_b32_e32 v17, v17, v22
	v_xor_b32_e32 v16, s21, v19
	ds_load_b32 v72, v74 offset:32
	v_and_b32_e32 v17, v17, v18
	; wave barrier
	s_delay_alu instid0(VALU_DEP_1) | instskip(NEXT) | instid1(VALU_DEP_1)
	v_and_b32_e32 v16, v17, v16
	v_mbcnt_lo_u32_b32 v73, v16, 0
	v_cmp_ne_u32_e64 s21, 0, v16
	s_delay_alu instid0(VALU_DEP_2)
	v_cmp_eq_u32_e64 s20, 0, v73
	s_and_b32 s21, s21, s20
	s_wait_alu 0xfffe
	s_and_saveexec_b32 s20, s21
	s_cbranch_execz .LBB176_131
; %bb.130:
	s_wait_dscnt 0x0
	v_bcnt_u32_b32 v16, v16, v72
	ds_store_b32 v74, v16 offset:32
.LBB176_131:
	s_wait_alu 0xfffe
	s_or_b32 exec_lo, exec_lo, s20
	v_lshrrev_b16 v16, 8, v31
	; wave barrier
	s_delay_alu instid0(VALU_DEP_1) | instskip(NEXT) | instid1(VALU_DEP_1)
	v_and_b32_e32 v16, s33, v16
	v_and_b32_e32 v17, 1, v16
	v_lshlrev_b32_e32 v18, 30, v16
	v_lshlrev_b32_e32 v19, 29, v16
	;; [unrolled: 1-line block ×4, first 2 shown]
	v_add_co_u32 v17, s20, v17, -1
	s_wait_alu 0xf1ff
	v_cndmask_b32_e64 v21, 0, 1, s20
	v_not_b32_e32 v76, v18
	v_cmp_gt_i32_e64 s21, 0, v18
	v_not_b32_e32 v18, v19
	v_lshlrev_b32_e32 v23, 26, v16
	v_cmp_ne_u32_e64 s20, 0, v21
	v_ashrrev_i32_e32 v76, 31, v76
	v_lshlrev_b32_e32 v75, 25, v16
	v_ashrrev_i32_e32 v18, 31, v18
	v_lshlrev_b32_e32 v21, 24, v16
	s_wait_alu 0xf1ff
	v_xor_b32_e32 v17, s20, v17
	v_cmp_gt_i32_e64 s20, 0, v19
	v_not_b32_e32 v19, v20
	v_xor_b32_e32 v76, s21, v76
	v_cmp_gt_i32_e64 s21, 0, v20
	v_and_b32_e32 v17, exec_lo, v17
	v_not_b32_e32 v20, v22
	v_ashrrev_i32_e32 v19, 31, v19
	s_wait_alu 0xf1ff
	v_xor_b32_e32 v18, s20, v18
	v_cmp_gt_i32_e64 s20, 0, v22
	v_and_b32_e32 v17, v17, v76
	v_not_b32_e32 v22, v23
	v_ashrrev_i32_e32 v20, 31, v20
	v_xor_b32_e32 v19, s21, v19
	v_cmp_gt_i32_e64 s21, 0, v23
	v_and_b32_e32 v17, v17, v18
	v_not_b32_e32 v18, v75
	v_ashrrev_i32_e32 v22, 31, v22
	s_wait_alu 0xf1ff
	v_xor_b32_e32 v20, s20, v20
	v_cmp_gt_i32_e64 s20, 0, v75
	v_and_b32_e32 v17, v17, v19
	v_not_b32_e32 v19, v21
	v_ashrrev_i32_e32 v18, 31, v18
	v_xor_b32_e32 v22, s21, v22
	v_cmp_gt_i32_e64 s21, 0, v21
	v_and_b32_e32 v17, v17, v20
	v_ashrrev_i32_e32 v19, 31, v19
	s_wait_alu 0xf1ff
	v_xor_b32_e32 v18, s20, v18
	v_lshl_add_u32 v77, v16, 5, v24
	v_and_b32_e32 v17, v17, v22
	v_xor_b32_e32 v16, s21, v19
	ds_load_b32 v75, v77 offset:32
	v_and_b32_e32 v17, v17, v18
	; wave barrier
	s_delay_alu instid0(VALU_DEP_1) | instskip(NEXT) | instid1(VALU_DEP_1)
	v_and_b32_e32 v16, v17, v16
	v_mbcnt_lo_u32_b32 v76, v16, 0
	v_cmp_ne_u32_e64 s21, 0, v16
	s_delay_alu instid0(VALU_DEP_2)
	v_cmp_eq_u32_e64 s20, 0, v76
	s_and_b32 s21, s21, s20
	s_wait_alu 0xfffe
	s_and_saveexec_b32 s20, s21
	s_cbranch_execz .LBB176_133
; %bb.132:
	s_wait_dscnt 0x0
	v_bcnt_u32_b32 v16, v16, v75
	ds_store_b32 v77, v16 offset:32
.LBB176_133:
	s_wait_alu 0xfffe
	s_or_b32 exec_lo, exec_lo, s20
	v_lshrrev_b16 v16, 8, v32
	; wave barrier
	s_delay_alu instid0(VALU_DEP_1) | instskip(NEXT) | instid1(VALU_DEP_1)
	v_and_b32_e32 v16, s33, v16
	v_and_b32_e32 v17, 1, v16
	v_lshlrev_b32_e32 v18, 30, v16
	v_lshlrev_b32_e32 v19, 29, v16
	;; [unrolled: 1-line block ×4, first 2 shown]
	v_add_co_u32 v17, s20, v17, -1
	s_wait_alu 0xf1ff
	v_cndmask_b32_e64 v21, 0, 1, s20
	v_not_b32_e32 v79, v18
	v_cmp_gt_i32_e64 s21, 0, v18
	v_not_b32_e32 v18, v19
	v_lshlrev_b32_e32 v23, 26, v16
	v_cmp_ne_u32_e64 s20, 0, v21
	v_ashrrev_i32_e32 v79, 31, v79
	v_lshlrev_b32_e32 v78, 25, v16
	v_ashrrev_i32_e32 v18, 31, v18
	v_lshlrev_b32_e32 v21, 24, v16
	s_wait_alu 0xf1ff
	v_xor_b32_e32 v17, s20, v17
	v_cmp_gt_i32_e64 s20, 0, v19
	v_not_b32_e32 v19, v20
	v_xor_b32_e32 v79, s21, v79
	v_cmp_gt_i32_e64 s21, 0, v20
	v_and_b32_e32 v17, exec_lo, v17
	v_not_b32_e32 v20, v22
	v_ashrrev_i32_e32 v19, 31, v19
	s_wait_alu 0xf1ff
	v_xor_b32_e32 v18, s20, v18
	v_cmp_gt_i32_e64 s20, 0, v22
	v_and_b32_e32 v17, v17, v79
	v_not_b32_e32 v22, v23
	v_ashrrev_i32_e32 v20, 31, v20
	v_xor_b32_e32 v19, s21, v19
	v_cmp_gt_i32_e64 s21, 0, v23
	v_and_b32_e32 v17, v17, v18
	v_not_b32_e32 v18, v78
	v_ashrrev_i32_e32 v22, 31, v22
	s_wait_alu 0xf1ff
	v_xor_b32_e32 v20, s20, v20
	v_cmp_gt_i32_e64 s20, 0, v78
	v_and_b32_e32 v17, v17, v19
	v_not_b32_e32 v19, v21
	v_ashrrev_i32_e32 v18, 31, v18
	v_xor_b32_e32 v22, s21, v22
	v_cmp_gt_i32_e64 s21, 0, v21
	v_and_b32_e32 v17, v17, v20
	v_ashrrev_i32_e32 v19, 31, v19
	s_wait_alu 0xf1ff
	v_xor_b32_e32 v18, s20, v18
	v_lshl_add_u32 v79, v16, 5, v24
	v_and_b32_e32 v17, v17, v22
	v_xor_b32_e32 v16, s21, v19
	ds_load_b32 v24, v79 offset:32
	v_and_b32_e32 v17, v17, v18
	; wave barrier
	s_delay_alu instid0(VALU_DEP_1) | instskip(NEXT) | instid1(VALU_DEP_1)
	v_and_b32_e32 v16, v17, v16
	v_mbcnt_lo_u32_b32 v78, v16, 0
	v_cmp_ne_u32_e64 s21, 0, v16
	s_delay_alu instid0(VALU_DEP_2)
	v_cmp_eq_u32_e64 s20, 0, v78
	s_and_b32 s21, s21, s20
	s_wait_alu 0xfffe
	s_and_saveexec_b32 s20, s21
	s_cbranch_execz .LBB176_135
; %bb.134:
	s_wait_dscnt 0x0
	v_bcnt_u32_b32 v16, v16, v24
	ds_store_b32 v79, v16 offset:32
.LBB176_135:
	s_wait_alu 0xfffe
	s_or_b32 exec_lo, exec_lo, s20
	; wave barrier
	s_wait_loadcnt_dscnt 0x0
	s_barrier_signal -1
	s_barrier_wait -1
	global_inv scope:SCOPE_SE
	ds_load_b128 v[20:23], v65 offset:32
	ds_load_b128 v[16:19], v65 offset:48
	s_wait_dscnt 0x1
	v_add_nc_u32_e32 v80, v21, v20
	s_delay_alu instid0(VALU_DEP_1) | instskip(SKIP_1) | instid1(VALU_DEP_1)
	v_add3_u32 v80, v80, v22, v23
	s_wait_dscnt 0x0
	v_add3_u32 v80, v80, v16, v17
	s_delay_alu instid0(VALU_DEP_1) | instskip(NEXT) | instid1(VALU_DEP_1)
	v_add3_u32 v19, v80, v18, v19
	v_mov_b32_dpp v80, v19 row_shr:1 row_mask:0xf bank_mask:0xf
	s_delay_alu instid0(VALU_DEP_1) | instskip(NEXT) | instid1(VALU_DEP_1)
	v_cndmask_b32_e64 v80, v80, 0, s1
	v_add_nc_u32_e32 v19, v80, v19
	s_delay_alu instid0(VALU_DEP_1) | instskip(NEXT) | instid1(VALU_DEP_1)
	v_mov_b32_dpp v80, v19 row_shr:2 row_mask:0xf bank_mask:0xf
	v_cndmask_b32_e64 v80, 0, v80, s11
	s_delay_alu instid0(VALU_DEP_1) | instskip(NEXT) | instid1(VALU_DEP_1)
	v_add_nc_u32_e32 v19, v19, v80
	v_mov_b32_dpp v80, v19 row_shr:4 row_mask:0xf bank_mask:0xf
	s_delay_alu instid0(VALU_DEP_1) | instskip(NEXT) | instid1(VALU_DEP_1)
	v_cndmask_b32_e64 v80, 0, v80, s12
	v_add_nc_u32_e32 v19, v19, v80
	s_delay_alu instid0(VALU_DEP_1) | instskip(NEXT) | instid1(VALU_DEP_1)
	v_mov_b32_dpp v80, v19 row_shr:8 row_mask:0xf bank_mask:0xf
	v_cndmask_b32_e64 v80, 0, v80, s14
	s_delay_alu instid0(VALU_DEP_1) | instskip(SKIP_3) | instid1(VALU_DEP_1)
	v_add_nc_u32_e32 v19, v19, v80
	ds_swizzle_b32 v80, v19 offset:swizzle(BROADCAST,32,15)
	s_wait_dscnt 0x0
	v_cndmask_b32_e64 v80, v80, 0, s17
	v_add_nc_u32_e32 v19, v19, v80
	s_and_saveexec_b32 s1, s15
; %bb.136:
	ds_store_b32 v34, v19
; %bb.137:
	s_wait_alu 0xfffe
	s_or_b32 exec_lo, exec_lo, s1
	s_wait_loadcnt_dscnt 0x0
	s_barrier_signal -1
	s_barrier_wait -1
	global_inv scope:SCOPE_SE
	s_and_saveexec_b32 s1, s16
	s_cbranch_execz .LBB176_139
; %bb.138:
	ds_load_b32 v34, v33
	s_wait_dscnt 0x0
	v_mov_b32_dpp v80, v34 row_shr:1 row_mask:0xf bank_mask:0xf
	s_delay_alu instid0(VALU_DEP_1) | instskip(NEXT) | instid1(VALU_DEP_1)
	v_cndmask_b32_e64 v80, v80, 0, s13
	v_add_nc_u32_e32 v34, v80, v34
	s_delay_alu instid0(VALU_DEP_1) | instskip(NEXT) | instid1(VALU_DEP_1)
	v_mov_b32_dpp v80, v34 row_shr:2 row_mask:0xf bank_mask:0xf
	v_cndmask_b32_e64 v80, 0, v80, s10
	s_delay_alu instid0(VALU_DEP_1) | instskip(NEXT) | instid1(VALU_DEP_1)
	v_add_nc_u32_e32 v34, v34, v80
	v_mov_b32_dpp v80, v34 row_shr:4 row_mask:0xf bank_mask:0xf
	s_wait_alu 0xfffd
	s_delay_alu instid0(VALU_DEP_1) | instskip(NEXT) | instid1(VALU_DEP_1)
	v_cndmask_b32_e32 v80, 0, v80, vcc_lo
	v_add_nc_u32_e32 v34, v34, v80
	ds_store_b32 v33, v34
.LBB176_139:
	s_wait_alu 0xfffe
	s_or_b32 exec_lo, exec_lo, s1
	v_mov_b32_e32 v33, 0
	s_wait_loadcnt_dscnt 0x0
	s_barrier_signal -1
	s_barrier_wait -1
	global_inv scope:SCOPE_SE
	s_and_saveexec_b32 s1, s18
; %bb.140:
	ds_load_b32 v33, v35
; %bb.141:
	s_wait_alu 0xfffe
	s_or_b32 exec_lo, exec_lo, s1
	s_wait_dscnt 0x0
	v_add_nc_u32_e32 v19, v33, v19
	ds_bpermute_b32 v19, v36, v19
	s_wait_dscnt 0x0
	v_cndmask_b32_e64 v19, v19, v33, s0
	s_delay_alu instid0(VALU_DEP_1) | instskip(NEXT) | instid1(VALU_DEP_1)
	v_cndmask_b32_e64 v19, v19, 0, s19
	v_add_nc_u32_e32 v20, v19, v20
	s_delay_alu instid0(VALU_DEP_1) | instskip(NEXT) | instid1(VALU_DEP_1)
	v_add_nc_u32_e32 v21, v20, v21
	v_add_nc_u32_e32 v22, v21, v22
	s_delay_alu instid0(VALU_DEP_1) | instskip(NEXT) | instid1(VALU_DEP_1)
	v_add_nc_u32_e32 v33, v22, v23
	;; [unrolled: 3-line block ×3, first 2 shown]
	v_add_nc_u32_e32 v36, v35, v18
	ds_store_b128 v65, v[19:22] offset:32
	ds_store_b128 v65, v[33:36] offset:48
	s_wait_loadcnt_dscnt 0x0
	s_barrier_signal -1
	s_barrier_wait -1
	global_inv scope:SCOPE_SE
	ds_load_b32 v16, v79 offset:32
	ds_load_b32 v17, v77 offset:32
	;; [unrolled: 1-line block ×8, first 2 shown]
	v_lshlrev_b32_e32 v33, 1, v64
	s_wait_loadcnt_dscnt 0x0
	s_barrier_signal -1
	s_barrier_wait -1
	global_inv scope:SCOPE_SE
	v_mad_u32_u24 v38, v41, 48, v33
	v_add3_u32 v34, v78, v24, v16
	v_add3_u32 v35, v76, v75, v17
	;; [unrolled: 1-line block ×3, first 2 shown]
	v_add_nc_u32_e32 v24, v19, v37
	v_add3_u32 v37, v40, v39, v20
	v_add3_u32 v39, v44, v43, v21
	;; [unrolled: 1-line block ×4, first 2 shown]
	v_lshlrev_b32_e32 v16, 1, v24
	v_lshlrev_b32_e32 v17, 1, v37
	;; [unrolled: 1-line block ×8, first 2 shown]
	ds_store_b16 v16, v25
	ds_store_b16 v17, v26
	;; [unrolled: 1-line block ×8, first 2 shown]
	v_mad_co_u64_u32 v[24:25], null, v24, 6, v[16:17]
	v_mad_co_u64_u32 v[16:17], null, v37, 6, v[17:18]
	;; [unrolled: 1-line block ×8, first 2 shown]
	s_wait_loadcnt_dscnt 0x0
	s_barrier_signal -1
	s_barrier_wait -1
	global_inv scope:SCOPE_SE
	ds_load_b128 v[33:36], v33
	s_wait_loadcnt_dscnt 0x0
	s_barrier_signal -1
	s_barrier_wait -1
	global_inv scope:SCOPE_SE
	ds_store_b64 v24, v[4:5]
	ds_store_b64 v16, v[6:7]
	;; [unrolled: 1-line block ×8, first 2 shown]
	s_wait_loadcnt_dscnt 0x0
	s_barrier_signal -1
	s_barrier_wait -1
	global_inv scope:SCOPE_SE
	ds_load_b128 v[29:32], v38
	ds_load_b128 v[25:28], v38 offset:16
	ds_load_b128 v[21:24], v38 offset:32
	;; [unrolled: 1-line block ×3, first 2 shown]
	v_xor_b32_e32 v0, 0x7fff7fff, v33
	v_xor_b32_e32 v34, 0x7fff7fff, v34
	;; [unrolled: 1-line block ×4, first 2 shown]
.LBB176_142:
	v_mad_co_u64_u32 v[9:10], null, s22, v41, 0
	s_wait_loadcnt_dscnt 0x0
	s_barrier_signal -1
	s_barrier_wait -1
	global_inv scope:SCOPE_SE
	ds_store_2addr_b32 v54, v0, v34 offset1:1
	ds_store_2addr_b32 v54, v33, v35 offset0:2 offset1:3
	s_wait_loadcnt_dscnt 0x0
	v_mov_b32_e32 v0, v10
	s_barrier_signal -1
	s_barrier_wait -1
	global_inv scope:SCOPE_SE
	ds_load_u16 v8, v47 offset:512
	ds_load_u16 v7, v48 offset:1024
	;; [unrolled: 1-line block ×7, first 2 shown]
	v_mad_co_u64_u32 v[0:1], null, s23, v41, v[0:1]
	s_delay_alu instid0(VALU_DEP_1) | instskip(NEXT) | instid1(VALU_DEP_1)
	v_mov_b32_e32 v10, v0
	v_lshlrev_b64_e32 v[0:1], 1, v[9:10]
	s_delay_alu instid0(VALU_DEP_1) | instskip(SKIP_1) | instid1(VALU_DEP_2)
	v_add_co_u32 v0, vcc_lo, s30, v0
	s_wait_alu 0xfffd
	v_add_co_ci_u32_e64 v1, null, s31, v1, vcc_lo
	s_and_saveexec_b32 s0, s2
	s_cbranch_execnz .LBB176_161
; %bb.143:
	s_wait_alu 0xfffe
	s_or_b32 exec_lo, exec_lo, s0
	s_and_saveexec_b32 s0, s3
	s_cbranch_execnz .LBB176_162
.LBB176_144:
	s_wait_alu 0xfffe
	s_or_b32 exec_lo, exec_lo, s0
	s_and_saveexec_b32 s0, s4
	s_cbranch_execnz .LBB176_163
.LBB176_145:
	s_wait_alu 0xfffe
	s_or_b32 exec_lo, exec_lo, s0
	s_and_saveexec_b32 s0, s5
	s_cbranch_execnz .LBB176_164
.LBB176_146:
	s_wait_alu 0xfffe
	s_or_b32 exec_lo, exec_lo, s0
	s_and_saveexec_b32 s0, s6
	s_cbranch_execnz .LBB176_165
.LBB176_147:
	s_wait_alu 0xfffe
	s_or_b32 exec_lo, exec_lo, s0
	s_and_saveexec_b32 s0, s7
	s_cbranch_execnz .LBB176_166
.LBB176_148:
	s_wait_alu 0xfffe
	s_or_b32 exec_lo, exec_lo, s0
	s_and_saveexec_b32 s0, s8
	s_cbranch_execnz .LBB176_167
.LBB176_149:
	s_wait_alu 0xfffe
	s_or_b32 exec_lo, exec_lo, s0
	s_and_saveexec_b32 s0, s9
	s_cbranch_execz .LBB176_151
.LBB176_150:
	v_mad_co_u64_u32 v[0:1], null, 0xe00, s22, v[0:1]
	s_wait_dscnt 0x0
	s_delay_alu instid0(VALU_DEP_1) | instskip(NEXT) | instid1(VALU_DEP_1)
	v_mad_co_u64_u32 v[3:4], null, 0xe00, s23, v[1:2]
	v_mov_b32_e32 v1, v3
	global_store_b16 v[0:1], v2, off
.LBB176_151:
	s_wait_alu 0xfffe
	s_or_b32 exec_lo, exec_lo, s0
	s_wait_dscnt 0x0
	v_mad_co_u64_u32 v[2:3], null, s28, v41, 0
	s_wait_loadcnt 0x0
	s_wait_storecnt 0x0
	s_barrier_signal -1
	s_barrier_wait -1
	global_inv scope:SCOPE_SE
	ds_store_2addr_b64 v63, v[29:30], v[31:32] offset1:1
	ds_store_2addr_b64 v63, v[25:26], v[27:28] offset0:2 offset1:3
	ds_store_2addr_b64 v63, v[21:22], v[23:24] offset0:4 offset1:5
	ds_store_2addr_b64 v63, v[17:18], v[19:20] offset0:6 offset1:7
	s_wait_loadcnt_dscnt 0x0
	v_mov_b32_e32 v0, v3
	s_barrier_signal -1
	s_barrier_wait -1
	global_inv scope:SCOPE_SE
	v_mad_co_u64_u32 v[3:4], null, s29, v41, v[0:1]
	ds_load_b64 v[14:15], v56 offset:2048
	ds_load_b64 v[12:13], v57 offset:4096
	;; [unrolled: 1-line block ×7, first 2 shown]
	v_lshlrev_b64_e32 v[2:3], 3, v[2:3]
	s_delay_alu instid0(VALU_DEP_1) | instskip(SKIP_1) | instid1(VALU_DEP_2)
	v_add_co_u32 v2, vcc_lo, s34, v2
	s_wait_alu 0xfffd
	v_add_co_ci_u32_e64 v3, null, s35, v3, vcc_lo
	s_and_saveexec_b32 s0, s2
	s_cbranch_execnz .LBB176_168
; %bb.152:
	s_wait_alu 0xfffe
	s_or_b32 exec_lo, exec_lo, s0
	s_and_saveexec_b32 s0, s3
	s_cbranch_execnz .LBB176_169
.LBB176_153:
	s_wait_alu 0xfffe
	s_or_b32 exec_lo, exec_lo, s0
	s_and_saveexec_b32 s0, s4
	s_cbranch_execnz .LBB176_170
.LBB176_154:
	s_wait_alu 0xfffe
	s_or_b32 exec_lo, exec_lo, s0
	s_and_saveexec_b32 s0, s5
	s_cbranch_execnz .LBB176_171
.LBB176_155:
	s_wait_alu 0xfffe
	s_or_b32 exec_lo, exec_lo, s0
	s_and_saveexec_b32 s0, s6
	s_cbranch_execnz .LBB176_172
.LBB176_156:
	s_wait_alu 0xfffe
	s_or_b32 exec_lo, exec_lo, s0
	s_and_saveexec_b32 s0, s7
	s_cbranch_execnz .LBB176_173
.LBB176_157:
	s_wait_alu 0xfffe
	s_or_b32 exec_lo, exec_lo, s0
	s_and_saveexec_b32 s0, s8
	s_cbranch_execnz .LBB176_174
.LBB176_158:
	s_wait_alu 0xfffe
	s_or_b32 exec_lo, exec_lo, s0
	s_and_saveexec_b32 s0, s9
	s_cbranch_execz .LBB176_160
.LBB176_159:
	v_mad_co_u64_u32 v[2:3], null, 0x3800, s28, v[2:3]
	s_wait_dscnt 0x1
	s_delay_alu instid0(VALU_DEP_1)
	v_mad_co_u64_u32 v[3:4], null, 0x3800, s29, v[3:4]
	s_wait_dscnt 0x0
	global_store_b64 v[2:3], v[0:1], off
.LBB176_160:
	s_nop 0
	s_sendmsg sendmsg(MSG_DEALLOC_VGPRS)
	s_endpgm
.LBB176_161:
	ds_load_u16 v9, v46
	s_wait_dscnt 0x0
	global_store_b16 v[0:1], v9, off
	s_wait_alu 0xfffe
	s_or_b32 exec_lo, exec_lo, s0
	s_and_saveexec_b32 s0, s3
	s_cbranch_execz .LBB176_144
.LBB176_162:
	s_lshl_b64 s[10:11], s[22:23], 9
	s_wait_alu 0xfffe
	v_add_co_u32 v9, vcc_lo, v0, s10
	s_wait_alu 0xfffd
	v_add_co_ci_u32_e64 v10, null, s11, v1, vcc_lo
	s_wait_dscnt 0x6
	global_store_b16 v[9:10], v8, off
	s_or_b32 exec_lo, exec_lo, s0
	s_and_saveexec_b32 s0, s4
	s_cbranch_execz .LBB176_145
.LBB176_163:
	s_lshl_b64 s[10:11], s[22:23], 10
	s_wait_dscnt 0x6
	s_wait_alu 0xfffe
	v_add_co_u32 v8, vcc_lo, v0, s10
	s_wait_alu 0xfffd
	v_add_co_ci_u32_e64 v9, null, s11, v1, vcc_lo
	s_wait_dscnt 0x5
	global_store_b16 v[8:9], v7, off
	s_or_b32 exec_lo, exec_lo, s0
	s_and_saveexec_b32 s0, s5
	s_cbranch_execz .LBB176_146
.LBB176_164:
	s_wait_dscnt 0x5
	v_mad_co_u64_u32 v[7:8], null, 0x600, s22, v[0:1]
	s_delay_alu instid0(VALU_DEP_1)
	v_mad_co_u64_u32 v[8:9], null, 0x600, s23, v[8:9]
	s_wait_dscnt 0x4
	global_store_b16 v[7:8], v6, off
	s_wait_alu 0xfffe
	s_or_b32 exec_lo, exec_lo, s0
	s_and_saveexec_b32 s0, s6
	s_cbranch_execz .LBB176_147
.LBB176_165:
	s_lshl_b64 s[10:11], s[22:23], 11
	s_wait_dscnt 0x4
	s_wait_alu 0xfffe
	v_add_co_u32 v6, vcc_lo, v0, s10
	s_wait_alu 0xfffd
	v_add_co_ci_u32_e64 v7, null, s11, v1, vcc_lo
	s_wait_dscnt 0x3
	global_store_b16 v[6:7], v5, off
	s_or_b32 exec_lo, exec_lo, s0
	s_and_saveexec_b32 s0, s7
	s_cbranch_execz .LBB176_148
.LBB176_166:
	s_wait_dscnt 0x3
	v_mad_co_u64_u32 v[5:6], null, 0xa00, s22, v[0:1]
	s_delay_alu instid0(VALU_DEP_1)
	v_mad_co_u64_u32 v[6:7], null, 0xa00, s23, v[6:7]
	s_wait_dscnt 0x2
	global_store_b16 v[5:6], v4, off
	s_wait_alu 0xfffe
	s_or_b32 exec_lo, exec_lo, s0
	s_and_saveexec_b32 s0, s8
	s_cbranch_execz .LBB176_149
.LBB176_167:
	s_wait_dscnt 0x2
	v_mad_co_u64_u32 v[4:5], null, 0xc00, s22, v[0:1]
	s_delay_alu instid0(VALU_DEP_1)
	v_mad_co_u64_u32 v[5:6], null, 0xc00, s23, v[5:6]
	s_wait_dscnt 0x1
	global_store_b16 v[4:5], v3, off
	s_wait_alu 0xfffe
	s_or_b32 exec_lo, exec_lo, s0
	s_and_saveexec_b32 s0, s9
	s_cbranch_execnz .LBB176_150
	s_branch .LBB176_151
.LBB176_168:
	ds_load_b64 v[16:17], v55
	s_wait_dscnt 0x0
	global_store_b64 v[2:3], v[16:17], off
	s_wait_alu 0xfffe
	s_or_b32 exec_lo, exec_lo, s0
	s_and_saveexec_b32 s0, s3
	s_cbranch_execz .LBB176_153
.LBB176_169:
	s_lshl_b64 s[2:3], s[28:29], 11
	s_wait_alu 0xfffe
	v_add_co_u32 v16, vcc_lo, v2, s2
	s_wait_alu 0xfffd
	v_add_co_ci_u32_e64 v17, null, s3, v3, vcc_lo
	s_wait_dscnt 0x6
	global_store_b64 v[16:17], v[14:15], off
	s_or_b32 exec_lo, exec_lo, s0
	s_and_saveexec_b32 s0, s4
	s_cbranch_execz .LBB176_154
.LBB176_170:
	s_lshl_b64 s[2:3], s[28:29], 12
	s_wait_dscnt 0x6
	s_wait_alu 0xfffe
	v_add_co_u32 v14, vcc_lo, v2, s2
	s_wait_alu 0xfffd
	v_add_co_ci_u32_e64 v15, null, s3, v3, vcc_lo
	s_wait_dscnt 0x5
	global_store_b64 v[14:15], v[12:13], off
	s_or_b32 exec_lo, exec_lo, s0
	s_and_saveexec_b32 s0, s5
	s_cbranch_execz .LBB176_155
.LBB176_171:
	s_wait_dscnt 0x5
	v_mad_co_u64_u32 v[12:13], null, 0x1800, s28, v[2:3]
	s_delay_alu instid0(VALU_DEP_1)
	v_mad_co_u64_u32 v[13:14], null, 0x1800, s29, v[13:14]
	s_wait_dscnt 0x4
	global_store_b64 v[12:13], v[10:11], off
	s_wait_alu 0xfffe
	s_or_b32 exec_lo, exec_lo, s0
	s_and_saveexec_b32 s0, s6
	s_cbranch_execz .LBB176_156
.LBB176_172:
	s_lshl_b64 s[2:3], s[28:29], 13
	s_wait_dscnt 0x4
	s_wait_alu 0xfffe
	v_add_co_u32 v10, vcc_lo, v2, s2
	s_wait_alu 0xfffd
	v_add_co_ci_u32_e64 v11, null, s3, v3, vcc_lo
	s_wait_dscnt 0x3
	global_store_b64 v[10:11], v[8:9], off
	s_or_b32 exec_lo, exec_lo, s0
	s_and_saveexec_b32 s0, s7
	s_cbranch_execz .LBB176_157
.LBB176_173:
	s_wait_dscnt 0x3
	v_mad_co_u64_u32 v[8:9], null, 0x2800, s28, v[2:3]
	s_delay_alu instid0(VALU_DEP_1)
	v_mad_co_u64_u32 v[9:10], null, 0x2800, s29, v[9:10]
	s_wait_dscnt 0x2
	global_store_b64 v[8:9], v[6:7], off
	s_wait_alu 0xfffe
	s_or_b32 exec_lo, exec_lo, s0
	s_and_saveexec_b32 s0, s8
	s_cbranch_execz .LBB176_158
.LBB176_174:
	s_wait_dscnt 0x2
	v_mad_co_u64_u32 v[6:7], null, 0x3000, s28, v[2:3]
	s_delay_alu instid0(VALU_DEP_1)
	v_mad_co_u64_u32 v[7:8], null, 0x3000, s29, v[7:8]
	s_wait_dscnt 0x1
	global_store_b64 v[6:7], v[4:5], off
	s_wait_alu 0xfffe
	s_or_b32 exec_lo, exec_lo, s0
	s_and_saveexec_b32 s0, s9
	s_cbranch_execnz .LBB176_159
	s_branch .LBB176_160
	.section	.rodata,"a",@progbits
	.p2align	6, 0x0
	.amdhsa_kernel _ZN2at6native18radixSortKVInPlaceILin1ELin1ELi256ELi8EslmEEvNS_4cuda6detail10TensorInfoIT3_T5_EES6_S6_S6_NS4_IT4_S6_EES6_b
		.amdhsa_group_segment_fixed_size 16896
		.amdhsa_private_segment_fixed_size 0
		.amdhsa_kernarg_size 1128
		.amdhsa_user_sgpr_count 2
		.amdhsa_user_sgpr_dispatch_ptr 0
		.amdhsa_user_sgpr_queue_ptr 0
		.amdhsa_user_sgpr_kernarg_segment_ptr 1
		.amdhsa_user_sgpr_dispatch_id 0
		.amdhsa_user_sgpr_private_segment_size 0
		.amdhsa_wavefront_size32 1
		.amdhsa_uses_dynamic_stack 0
		.amdhsa_enable_private_segment 0
		.amdhsa_system_sgpr_workgroup_id_x 1
		.amdhsa_system_sgpr_workgroup_id_y 1
		.amdhsa_system_sgpr_workgroup_id_z 1
		.amdhsa_system_sgpr_workgroup_info 0
		.amdhsa_system_vgpr_workitem_id 2
		.amdhsa_next_free_vgpr 115
		.amdhsa_next_free_sgpr 38
		.amdhsa_reserve_vcc 1
		.amdhsa_float_round_mode_32 0
		.amdhsa_float_round_mode_16_64 0
		.amdhsa_float_denorm_mode_32 3
		.amdhsa_float_denorm_mode_16_64 3
		.amdhsa_fp16_overflow 0
		.amdhsa_workgroup_processor_mode 1
		.amdhsa_memory_ordered 1
		.amdhsa_forward_progress 1
		.amdhsa_inst_pref_size 179
		.amdhsa_round_robin_scheduling 0
		.amdhsa_exception_fp_ieee_invalid_op 0
		.amdhsa_exception_fp_denorm_src 0
		.amdhsa_exception_fp_ieee_div_zero 0
		.amdhsa_exception_fp_ieee_overflow 0
		.amdhsa_exception_fp_ieee_underflow 0
		.amdhsa_exception_fp_ieee_inexact 0
		.amdhsa_exception_int_div_zero 0
	.end_amdhsa_kernel
	.section	.text._ZN2at6native18radixSortKVInPlaceILin1ELin1ELi256ELi8EslmEEvNS_4cuda6detail10TensorInfoIT3_T5_EES6_S6_S6_NS4_IT4_S6_EES6_b,"axG",@progbits,_ZN2at6native18radixSortKVInPlaceILin1ELin1ELi256ELi8EslmEEvNS_4cuda6detail10TensorInfoIT3_T5_EES6_S6_S6_NS4_IT4_S6_EES6_b,comdat
.Lfunc_end176:
	.size	_ZN2at6native18radixSortKVInPlaceILin1ELin1ELi256ELi8EslmEEvNS_4cuda6detail10TensorInfoIT3_T5_EES6_S6_S6_NS4_IT4_S6_EES6_b, .Lfunc_end176-_ZN2at6native18radixSortKVInPlaceILin1ELin1ELi256ELi8EslmEEvNS_4cuda6detail10TensorInfoIT3_T5_EES6_S6_S6_NS4_IT4_S6_EES6_b
                                        ; -- End function
	.set _ZN2at6native18radixSortKVInPlaceILin1ELin1ELi256ELi8EslmEEvNS_4cuda6detail10TensorInfoIT3_T5_EES6_S6_S6_NS4_IT4_S6_EES6_b.num_vgpr, 115
	.set _ZN2at6native18radixSortKVInPlaceILin1ELin1ELi256ELi8EslmEEvNS_4cuda6detail10TensorInfoIT3_T5_EES6_S6_S6_NS4_IT4_S6_EES6_b.num_agpr, 0
	.set _ZN2at6native18radixSortKVInPlaceILin1ELin1ELi256ELi8EslmEEvNS_4cuda6detail10TensorInfoIT3_T5_EES6_S6_S6_NS4_IT4_S6_EES6_b.numbered_sgpr, 38
	.set _ZN2at6native18radixSortKVInPlaceILin1ELin1ELi256ELi8EslmEEvNS_4cuda6detail10TensorInfoIT3_T5_EES6_S6_S6_NS4_IT4_S6_EES6_b.num_named_barrier, 0
	.set _ZN2at6native18radixSortKVInPlaceILin1ELin1ELi256ELi8EslmEEvNS_4cuda6detail10TensorInfoIT3_T5_EES6_S6_S6_NS4_IT4_S6_EES6_b.private_seg_size, 0
	.set _ZN2at6native18radixSortKVInPlaceILin1ELin1ELi256ELi8EslmEEvNS_4cuda6detail10TensorInfoIT3_T5_EES6_S6_S6_NS4_IT4_S6_EES6_b.uses_vcc, 1
	.set _ZN2at6native18radixSortKVInPlaceILin1ELin1ELi256ELi8EslmEEvNS_4cuda6detail10TensorInfoIT3_T5_EES6_S6_S6_NS4_IT4_S6_EES6_b.uses_flat_scratch, 0
	.set _ZN2at6native18radixSortKVInPlaceILin1ELin1ELi256ELi8EslmEEvNS_4cuda6detail10TensorInfoIT3_T5_EES6_S6_S6_NS4_IT4_S6_EES6_b.has_dyn_sized_stack, 0
	.set _ZN2at6native18radixSortKVInPlaceILin1ELin1ELi256ELi8EslmEEvNS_4cuda6detail10TensorInfoIT3_T5_EES6_S6_S6_NS4_IT4_S6_EES6_b.has_recursion, 0
	.set _ZN2at6native18radixSortKVInPlaceILin1ELin1ELi256ELi8EslmEEvNS_4cuda6detail10TensorInfoIT3_T5_EES6_S6_S6_NS4_IT4_S6_EES6_b.has_indirect_call, 0
	.section	.AMDGPU.csdata,"",@progbits
; Kernel info:
; codeLenInByte = 22800
; TotalNumSgprs: 40
; NumVgprs: 115
; ScratchSize: 0
; MemoryBound: 0
; FloatMode: 240
; IeeeMode: 1
; LDSByteSize: 16896 bytes/workgroup (compile time only)
; SGPRBlocks: 0
; VGPRBlocks: 14
; NumSGPRsForWavesPerEU: 40
; NumVGPRsForWavesPerEU: 115
; Occupancy: 12
; WaveLimiterHint : 1
; COMPUTE_PGM_RSRC2:SCRATCH_EN: 0
; COMPUTE_PGM_RSRC2:USER_SGPR: 2
; COMPUTE_PGM_RSRC2:TRAP_HANDLER: 0
; COMPUTE_PGM_RSRC2:TGID_X_EN: 1
; COMPUTE_PGM_RSRC2:TGID_Y_EN: 1
; COMPUTE_PGM_RSRC2:TGID_Z_EN: 1
; COMPUTE_PGM_RSRC2:TIDIG_COMP_CNT: 2
	.section	.text._ZN2at6native18radixSortKVInPlaceILin1ELin1ELi128ELi8EslmEEvNS_4cuda6detail10TensorInfoIT3_T5_EES6_S6_S6_NS4_IT4_S6_EES6_b,"axG",@progbits,_ZN2at6native18radixSortKVInPlaceILin1ELin1ELi128ELi8EslmEEvNS_4cuda6detail10TensorInfoIT3_T5_EES6_S6_S6_NS4_IT4_S6_EES6_b,comdat
	.protected	_ZN2at6native18radixSortKVInPlaceILin1ELin1ELi128ELi8EslmEEvNS_4cuda6detail10TensorInfoIT3_T5_EES6_S6_S6_NS4_IT4_S6_EES6_b ; -- Begin function _ZN2at6native18radixSortKVInPlaceILin1ELin1ELi128ELi8EslmEEvNS_4cuda6detail10TensorInfoIT3_T5_EES6_S6_S6_NS4_IT4_S6_EES6_b
	.globl	_ZN2at6native18radixSortKVInPlaceILin1ELin1ELi128ELi8EslmEEvNS_4cuda6detail10TensorInfoIT3_T5_EES6_S6_S6_NS4_IT4_S6_EES6_b
	.p2align	8
	.type	_ZN2at6native18radixSortKVInPlaceILin1ELin1ELi128ELi8EslmEEvNS_4cuda6detail10TensorInfoIT3_T5_EES6_S6_S6_NS4_IT4_S6_EES6_b,@function
_ZN2at6native18radixSortKVInPlaceILin1ELin1ELi128ELi8EslmEEvNS_4cuda6detail10TensorInfoIT3_T5_EES6_S6_S6_NS4_IT4_S6_EES6_b: ; @_ZN2at6native18radixSortKVInPlaceILin1ELin1ELi128ELi8EslmEEvNS_4cuda6detail10TensorInfoIT3_T5_EES6_S6_S6_NS4_IT4_S6_EES6_b
; %bb.0:
	s_clause 0x1
	s_load_b64 s[2:3], s[0:1], 0x368
	s_load_b128 s[8:11], s[0:1], 0x1a0
	s_lshr_b32 s4, ttmp7, 16
	s_and_b32 s5, ttmp7, 0xffff
	s_wait_kmcnt 0x0
	s_mul_i32 s3, s3, s4
	s_delay_alu instid0(SALU_CYCLE_1) | instskip(NEXT) | instid1(SALU_CYCLE_1)
	s_add_co_i32 s3, s3, s5
	s_mul_i32 s2, s3, s2
	s_mov_b32 s3, 0
	s_add_co_i32 s2, s2, ttmp9
	s_delay_alu instid0(SALU_CYCLE_1)
	v_cmp_le_u64_e64 s4, s[8:9], s[2:3]
	s_and_b32 vcc_lo, exec_lo, s4
	s_cbranch_vccnz .LBB177_160
; %bb.1:
	s_clause 0x1
	s_load_b32 s7, s[0:1], 0x198
	s_load_b64 s[22:23], s[0:1], 0x1b0
	s_mov_b64 s[8:9], 0
	s_mov_b64 s[4:5], s[2:3]
	s_wait_kmcnt 0x0
	s_cmp_lt_i32 s7, 2
	s_cbranch_scc1 .LBB177_9
; %bb.2:
	s_mov_b32 s6, 0
	s_add_co_i32 s4, s7, -1
	s_mov_b32 s5, s6
	s_add_co_i32 s11, s7, 1
	s_lshl_b64 s[4:5], s[4:5], 3
	s_mov_b64 s[14:15], s[2:3]
	s_add_nc_u64 s[4:5], s[0:1], s[4:5]
	s_delay_alu instid0(SALU_CYCLE_1)
	s_add_nc_u64 s[12:13], s[4:5], 8
.LBB177_3:                              ; =>This Inner Loop Header: Depth=1
	s_load_b64 s[16:17], s[12:13], 0x0
	s_wait_kmcnt 0x0
	s_or_b64 s[4:5], s[14:15], s[16:17]
	s_wait_alu 0xfffe
	s_mov_b32 s7, s5
                                        ; implicit-def: $sgpr4_sgpr5
	s_delay_alu instid0(SALU_CYCLE_1)
	s_cmp_lg_u64 s[6:7], 0
	s_mov_b32 s7, -1
	s_cbranch_scc0 .LBB177_5
; %bb.4:                                ;   in Loop: Header=BB177_3 Depth=1
	s_cvt_f32_u32 s4, s16
	s_cvt_f32_u32 s5, s17
	s_sub_nc_u64 s[18:19], 0, s[16:17]
	s_mov_b32 s21, s6
	s_mov_b32 s27, s6
	s_wait_alu 0xfffe
	s_fmamk_f32 s4, s5, 0x4f800000, s4
	s_wait_alu 0xfffe
	s_delay_alu instid0(SALU_CYCLE_2) | instskip(NEXT) | instid1(TRANS32_DEP_1)
	v_s_rcp_f32 s4, s4
	s_mul_f32 s4, s4, 0x5f7ffffc
	s_wait_alu 0xfffe
	s_delay_alu instid0(SALU_CYCLE_2) | instskip(SKIP_1) | instid1(SALU_CYCLE_2)
	s_mul_f32 s5, s4, 0x2f800000
	s_wait_alu 0xfffe
	s_trunc_f32 s5, s5
	s_wait_alu 0xfffe
	s_delay_alu instid0(SALU_CYCLE_2) | instskip(SKIP_2) | instid1(SALU_CYCLE_1)
	s_fmamk_f32 s4, s5, 0xcf800000, s4
	s_cvt_u32_f32 s5, s5
	s_wait_alu 0xfffe
	s_cvt_u32_f32 s4, s4
	s_wait_alu 0xfffe
	s_delay_alu instid0(SALU_CYCLE_2) | instskip(NEXT) | instid1(SALU_CYCLE_1)
	s_mul_u64 s[24:25], s[18:19], s[4:5]
	s_mul_hi_u32 s29, s4, s25
	s_mul_i32 s28, s4, s25
	s_mul_hi_u32 s20, s4, s24
	s_mul_i32 s26, s5, s24
	s_add_nc_u64 s[20:21], s[20:21], s[28:29]
	s_mul_hi_u32 s7, s5, s24
	s_mul_hi_u32 s30, s5, s25
	s_add_co_u32 s20, s20, s26
	s_add_co_ci_u32 s26, s21, s7
	s_mul_i32 s24, s5, s25
	s_add_co_ci_u32 s25, s30, 0
	s_delay_alu instid0(SALU_CYCLE_1) | instskip(SKIP_3) | instid1(SALU_CYCLE_1)
	s_add_nc_u64 s[20:21], s[26:27], s[24:25]
	s_mov_b32 s25, s6
	s_add_co_u32 s4, s4, s20
	s_cselect_b32 s7, -1, 0
	s_cmp_lg_u32 s7, 0
	s_add_co_ci_u32 s5, s5, s21
	s_mov_b32 s21, s6
	s_wait_alu 0xfffe
	s_mul_u64 s[18:19], s[18:19], s[4:5]
	s_delay_alu instid0(SALU_CYCLE_1)
	s_mul_hi_u32 s27, s4, s19
	s_mul_i32 s26, s4, s19
	s_mul_hi_u32 s20, s4, s18
	s_mul_i32 s24, s5, s18
	s_add_nc_u64 s[20:21], s[20:21], s[26:27]
	s_mul_hi_u32 s7, s5, s18
	s_mul_hi_u32 s28, s5, s19
	s_mul_i32 s18, s5, s19
	s_add_co_u32 s19, s20, s24
	s_add_co_ci_u32 s24, s21, s7
	s_add_co_ci_u32 s19, s28, 0
	s_mov_b32 s21, s6
	s_add_nc_u64 s[18:19], s[24:25], s[18:19]
	s_delay_alu instid0(SALU_CYCLE_1)
	s_add_co_u32 s4, s4, s18
	s_cselect_b32 s7, -1, 0
	s_wait_alu 0xfffe
	s_mul_hi_u32 s20, s14, s4
	s_cmp_lg_u32 s7, 0
	s_mul_hi_u32 s7, s15, s4
	s_add_co_ci_u32 s18, s5, s19
	s_mul_i32 s19, s15, s4
	s_mul_hi_u32 s5, s14, s18
	s_mul_i32 s4, s14, s18
	s_mul_hi_u32 s26, s15, s18
	s_wait_alu 0xfffe
	s_add_nc_u64 s[4:5], s[20:21], s[4:5]
	s_mul_i32 s18, s15, s18
	s_wait_alu 0xfffe
	s_add_co_u32 s4, s4, s19
	s_add_co_ci_u32 s24, s5, s7
	s_add_co_ci_u32 s19, s26, 0
	s_delay_alu instid0(SALU_CYCLE_1) | instskip(SKIP_2) | instid1(SALU_CYCLE_1)
	s_add_nc_u64 s[4:5], s[24:25], s[18:19]
	s_wait_alu 0xfffe
	s_mul_u64 s[18:19], s[16:17], s[4:5]
	s_sub_co_u32 s7, s14, s18
	s_cselect_b32 s18, -1, 0
	s_sub_co_i32 s20, s15, s19
	s_cmp_lg_u32 s18, 0
	s_sub_co_ci_u32 s20, s20, s17
	s_sub_co_u32 s21, s7, s16
	s_cselect_b32 s24, -1, 0
	s_delay_alu instid0(SALU_CYCLE_1) | instskip(SKIP_1) | instid1(SALU_CYCLE_1)
	s_cmp_lg_u32 s24, 0
	s_sub_co_ci_u32 s20, s20, 0
	s_cmp_ge_u32 s20, s17
	s_cselect_b32 s24, -1, 0
	s_cmp_ge_u32 s21, s16
	s_cselect_b32 s25, -1, 0
	s_cmp_eq_u32 s20, s17
	s_add_nc_u64 s[20:21], s[4:5], 1
	s_cselect_b32 s26, s25, s24
	s_add_nc_u64 s[24:25], s[4:5], 2
	s_cmp_lg_u32 s26, 0
	s_cselect_b32 s20, s24, s20
	s_cselect_b32 s21, s25, s21
	s_cmp_lg_u32 s18, 0
	s_sub_co_ci_u32 s18, s15, s19
	s_delay_alu instid0(SALU_CYCLE_1)
	s_cmp_ge_u32 s18, s17
	s_cselect_b32 s19, -1, 0
	s_cmp_ge_u32 s7, s16
	s_cselect_b32 s7, -1, 0
	s_cmp_eq_u32 s18, s17
	s_cselect_b32 s7, s7, s19
	s_delay_alu instid0(SALU_CYCLE_1)
	s_cmp_lg_u32 s7, 0
	s_mov_b32 s7, 0
	s_cselect_b32 s5, s21, s5
	s_cselect_b32 s4, s20, s4
.LBB177_5:                              ;   in Loop: Header=BB177_3 Depth=1
	s_and_not1_b32 vcc_lo, exec_lo, s7
	s_cbranch_vccnz .LBB177_7
; %bb.6:                                ;   in Loop: Header=BB177_3 Depth=1
	v_cvt_f32_u32_e32 v1, s16
	s_sub_co_i32 s5, 0, s16
	s_delay_alu instid0(VALU_DEP_1) | instskip(NEXT) | instid1(TRANS32_DEP_1)
	v_rcp_iflag_f32_e32 v1, v1
	v_mul_f32_e32 v1, 0x4f7ffffe, v1
	s_delay_alu instid0(VALU_DEP_1) | instskip(NEXT) | instid1(VALU_DEP_1)
	v_cvt_u32_f32_e32 v1, v1
	v_readfirstlane_b32 s4, v1
	s_wait_alu 0xfffe
	s_mul_i32 s5, s5, s4
	s_wait_alu 0xfffe
	s_mul_hi_u32 s5, s4, s5
	s_wait_alu 0xfffe
	s_add_co_i32 s4, s4, s5
	s_wait_alu 0xfffe
	s_mul_hi_u32 s4, s14, s4
	s_wait_alu 0xfffe
	s_mul_i32 s5, s4, s16
	s_add_co_i32 s7, s4, 1
	s_wait_alu 0xfffe
	s_sub_co_i32 s5, s14, s5
	s_wait_alu 0xfffe
	s_sub_co_i32 s18, s5, s16
	s_cmp_ge_u32 s5, s16
	s_cselect_b32 s4, s7, s4
	s_cselect_b32 s5, s18, s5
	s_wait_alu 0xfffe
	s_add_co_i32 s7, s4, 1
	s_cmp_ge_u32 s5, s16
	s_mov_b32 s5, s6
	s_cselect_b32 s4, s7, s4
.LBB177_7:                              ;   in Loop: Header=BB177_3 Depth=1
	s_load_b64 s[18:19], s[12:13], 0xc8
	s_mul_u64 s[16:17], s[4:5], s[16:17]
	s_add_co_i32 s11, s11, -1
	s_wait_alu 0xfffe
	s_sub_nc_u64 s[14:15], s[14:15], s[16:17]
	s_cmp_gt_u32 s11, 2
	s_add_nc_u64 s[12:13], s[12:13], -8
	s_wait_kmcnt 0x0
	s_mul_u64 s[14:15], s[18:19], s[14:15]
	s_delay_alu instid0(SALU_CYCLE_1)
	s_add_nc_u64 s[8:9], s[14:15], s[8:9]
	s_cbranch_scc0 .LBB177_9
; %bb.8:                                ;   in Loop: Header=BB177_3 Depth=1
	s_mov_b64 s[14:15], s[4:5]
	s_branch .LBB177_3
.LBB177_9:
	s_load_b32 s7, s[0:1], 0x350
	s_add_nc_u64 s[36:37], s[0:1], 0x368
	s_mov_b64 s[12:13], 0
	s_wait_kmcnt 0x0
	s_cmp_lt_i32 s7, 2
	s_cbranch_scc1 .LBB177_17
; %bb.10:
	s_mov_b32 s6, 0
	s_add_co_i32 s12, s7, -1
	s_mov_b32 s13, s6
	s_add_co_i32 s11, s7, 1
	s_lshl_b64 s[12:13], s[12:13], 3
	s_delay_alu instid0(SALU_CYCLE_1) | instskip(NEXT) | instid1(SALU_CYCLE_1)
	s_add_nc_u64 s[12:13], s[0:1], s[12:13]
	s_add_nc_u64 s[16:17], s[12:13], 0x1c0
	s_mov_b64 s[12:13], 0
.LBB177_11:                             ; =>This Inner Loop Header: Depth=1
	s_load_b64 s[18:19], s[16:17], 0x0
	s_wait_kmcnt 0x0
	s_or_b64 s[14:15], s[2:3], s[18:19]
	s_delay_alu instid0(SALU_CYCLE_1)
	s_mov_b32 s7, s15
                                        ; implicit-def: $sgpr14_sgpr15
	s_wait_alu 0xfffe
	s_cmp_lg_u64 s[6:7], 0
	s_mov_b32 s7, -1
	s_cbranch_scc0 .LBB177_13
; %bb.12:                               ;   in Loop: Header=BB177_11 Depth=1
	s_cvt_f32_u32 s7, s18
	s_cvt_f32_u32 s14, s19
	s_sub_nc_u64 s[20:21], 0, s[18:19]
	s_mov_b32 s25, s6
	s_mov_b32 s29, s6
	s_wait_alu 0xfffe
	s_fmamk_f32 s7, s14, 0x4f800000, s7
	s_wait_alu 0xfffe
	s_delay_alu instid0(SALU_CYCLE_2) | instskip(NEXT) | instid1(TRANS32_DEP_1)
	v_s_rcp_f32 s7, s7
	s_mul_f32 s7, s7, 0x5f7ffffc
	s_wait_alu 0xfffe
	s_delay_alu instid0(SALU_CYCLE_2) | instskip(NEXT) | instid1(SALU_CYCLE_3)
	s_mul_f32 s14, s7, 0x2f800000
	s_trunc_f32 s14, s14
	s_delay_alu instid0(SALU_CYCLE_3) | instskip(SKIP_2) | instid1(SALU_CYCLE_1)
	s_fmamk_f32 s7, s14, 0xcf800000, s7
	s_cvt_u32_f32 s15, s14
	s_wait_alu 0xfffe
	s_cvt_u32_f32 s14, s7
	s_delay_alu instid0(SALU_CYCLE_3) | instskip(NEXT) | instid1(SALU_CYCLE_1)
	s_mul_u64 s[26:27], s[20:21], s[14:15]
	s_mul_hi_u32 s31, s14, s27
	s_mul_i32 s30, s14, s27
	s_mul_hi_u32 s24, s14, s26
	s_mul_i32 s28, s15, s26
	s_add_nc_u64 s[24:25], s[24:25], s[30:31]
	s_mul_hi_u32 s7, s15, s26
	s_mul_hi_u32 s33, s15, s27
	s_add_co_u32 s24, s24, s28
	s_wait_alu 0xfffe
	s_add_co_ci_u32 s28, s25, s7
	s_mul_i32 s26, s15, s27
	s_add_co_ci_u32 s27, s33, 0
	s_delay_alu instid0(SALU_CYCLE_1)
	s_add_nc_u64 s[24:25], s[28:29], s[26:27]
	s_mov_b32 s27, s6
	s_add_co_u32 s14, s14, s24
	s_cselect_b32 s7, -1, 0
	s_wait_alu 0xfffe
	s_cmp_lg_u32 s7, 0
	s_add_co_ci_u32 s15, s15, s25
	s_mov_b32 s25, s6
	s_mul_u64 s[20:21], s[20:21], s[14:15]
	s_delay_alu instid0(SALU_CYCLE_1)
	s_mul_hi_u32 s29, s14, s21
	s_mul_i32 s28, s14, s21
	s_mul_hi_u32 s24, s14, s20
	s_mul_i32 s26, s15, s20
	s_add_nc_u64 s[24:25], s[24:25], s[28:29]
	s_mul_hi_u32 s7, s15, s20
	s_mul_hi_u32 s30, s15, s21
	s_mul_i32 s20, s15, s21
	s_add_co_u32 s21, s24, s26
	s_wait_alu 0xfffe
	s_add_co_ci_u32 s26, s25, s7
	s_add_co_ci_u32 s21, s30, 0
	s_mov_b32 s25, s6
	s_add_nc_u64 s[20:21], s[26:27], s[20:21]
	s_delay_alu instid0(SALU_CYCLE_1)
	s_add_co_u32 s7, s14, s20
	s_cselect_b32 s14, -1, 0
	s_wait_alu 0xfffe
	s_mul_hi_u32 s24, s2, s7
	s_cmp_lg_u32 s14, 0
	s_mul_hi_u32 s26, s3, s7
	s_add_co_ci_u32 s20, s15, s21
	s_mul_i32 s7, s3, s7
	s_mul_hi_u32 s15, s2, s20
	s_mul_i32 s14, s2, s20
	s_mul_hi_u32 s21, s3, s20
	s_add_nc_u64 s[14:15], s[24:25], s[14:15]
	s_mul_i32 s20, s3, s20
	s_wait_alu 0xfffe
	s_add_co_u32 s7, s14, s7
	s_add_co_ci_u32 s26, s15, s26
	s_add_co_ci_u32 s21, s21, 0
	s_delay_alu instid0(SALU_CYCLE_1) | instskip(NEXT) | instid1(SALU_CYCLE_1)
	s_add_nc_u64 s[14:15], s[26:27], s[20:21]
	s_mul_u64 s[20:21], s[18:19], s[14:15]
	s_delay_alu instid0(SALU_CYCLE_1)
	s_sub_co_u32 s7, s2, s20
	s_cselect_b32 s20, -1, 0
	s_sub_co_i32 s24, s3, s21
	s_cmp_lg_u32 s20, 0
	s_sub_co_ci_u32 s24, s24, s19
	s_wait_alu 0xfffe
	s_sub_co_u32 s25, s7, s18
	s_cselect_b32 s26, -1, 0
	s_delay_alu instid0(SALU_CYCLE_1) | instskip(SKIP_1) | instid1(SALU_CYCLE_1)
	s_cmp_lg_u32 s26, 0
	s_sub_co_ci_u32 s24, s24, 0
	s_cmp_ge_u32 s24, s19
	s_cselect_b32 s26, -1, 0
	s_cmp_ge_u32 s25, s18
	s_cselect_b32 s27, -1, 0
	s_cmp_eq_u32 s24, s19
	s_add_nc_u64 s[24:25], s[14:15], 1
	s_cselect_b32 s28, s27, s26
	s_add_nc_u64 s[26:27], s[14:15], 2
	s_cmp_lg_u32 s28, 0
	s_cselect_b32 s24, s26, s24
	s_cselect_b32 s25, s27, s25
	s_cmp_lg_u32 s20, 0
	s_sub_co_ci_u32 s20, s3, s21
	s_delay_alu instid0(SALU_CYCLE_1)
	s_cmp_ge_u32 s20, s19
	s_cselect_b32 s21, -1, 0
	s_cmp_ge_u32 s7, s18
	s_cselect_b32 s7, -1, 0
	s_cmp_eq_u32 s20, s19
	s_wait_alu 0xfffe
	s_cselect_b32 s7, s7, s21
	s_wait_alu 0xfffe
	s_cmp_lg_u32 s7, 0
	s_mov_b32 s7, 0
	s_cselect_b32 s15, s25, s15
	s_cselect_b32 s14, s24, s14
.LBB177_13:                             ;   in Loop: Header=BB177_11 Depth=1
	s_wait_alu 0xfffe
	s_and_not1_b32 vcc_lo, exec_lo, s7
	s_cbranch_vccnz .LBB177_15
; %bb.14:                               ;   in Loop: Header=BB177_11 Depth=1
	v_cvt_f32_u32_e32 v1, s18
	s_sub_co_i32 s14, 0, s18
	s_delay_alu instid0(VALU_DEP_1) | instskip(NEXT) | instid1(TRANS32_DEP_1)
	v_rcp_iflag_f32_e32 v1, v1
	v_mul_f32_e32 v1, 0x4f7ffffe, v1
	s_delay_alu instid0(VALU_DEP_1) | instskip(NEXT) | instid1(VALU_DEP_1)
	v_cvt_u32_f32_e32 v1, v1
	v_readfirstlane_b32 s7, v1
	s_mul_i32 s14, s14, s7
	s_delay_alu instid0(SALU_CYCLE_1) | instskip(NEXT) | instid1(SALU_CYCLE_1)
	s_mul_hi_u32 s14, s7, s14
	s_add_co_i32 s7, s7, s14
	s_wait_alu 0xfffe
	s_mul_hi_u32 s7, s2, s7
	s_wait_alu 0xfffe
	s_mul_i32 s14, s7, s18
	s_add_co_i32 s15, s7, 1
	s_sub_co_i32 s14, s2, s14
	s_delay_alu instid0(SALU_CYCLE_1)
	s_sub_co_i32 s20, s14, s18
	s_cmp_ge_u32 s14, s18
	s_cselect_b32 s7, s15, s7
	s_cselect_b32 s14, s20, s14
	s_wait_alu 0xfffe
	s_add_co_i32 s15, s7, 1
	s_cmp_ge_u32 s14, s18
	s_cselect_b32 s14, s15, s7
	s_mov_b32 s15, s6
.LBB177_15:                             ;   in Loop: Header=BB177_11 Depth=1
	s_load_b64 s[20:21], s[16:17], 0xc8
	s_mul_u64 s[18:19], s[14:15], s[18:19]
	s_add_co_i32 s11, s11, -1
	s_wait_alu 0xfffe
	s_sub_nc_u64 s[2:3], s[2:3], s[18:19]
	s_cmp_gt_u32 s11, 2
	s_add_nc_u64 s[16:17], s[16:17], -8
	s_wait_kmcnt 0x0
	s_wait_alu 0xfffe
	s_mul_u64 s[2:3], s[20:21], s[2:3]
	s_wait_alu 0xfffe
	s_add_nc_u64 s[12:13], s[2:3], s[12:13]
	s_cbranch_scc0 .LBB177_18
; %bb.16:                               ;   in Loop: Header=BB177_11 Depth=1
	s_mov_b64 s[2:3], s[14:15]
	s_branch .LBB177_11
.LBB177_17:
	s_mov_b64 s[14:15], s[2:3]
.LBB177_18:
	s_clause 0x2
	s_load_b64 s[2:3], s[0:1], 0xd0
	s_load_b32 s11, s[0:1], 0x360
	s_load_b64 s[16:17], s[0:1], 0x0
	s_wait_kmcnt 0x0
	s_mul_u64 s[6:7], s[2:3], s[4:5]
	s_bitcmp1_b32 s11, 0
	s_mov_b32 s2, 0x8000
	s_cselect_b32 s11, -1, 0
	s_delay_alu instid0(SALU_CYCLE_1)
	s_and_b32 s3, s11, exec_lo
	s_wait_alu 0xfffe
	s_cselect_b32 s3, s2, 0x7fff
	s_lshl_b64 s[18:19], s[6:7], 1
	s_wait_alu 0xfffe
	s_pack_ll_b32_b16 s4, s3, s3
	v_mov_b32_e32 v5, s3
	s_wait_alu 0xfffe
	s_mov_b32 s5, s4
	s_mov_b32 s6, s4
	;; [unrolled: 1-line block ×3, first 2 shown]
	v_and_b32_e32 v41, 0x3ff, v0
	s_wait_alu 0xfffe
	v_dual_mov_b32 v1, s4 :: v_dual_mov_b32 v4, s7
	v_dual_mov_b32 v2, s5 :: v_dual_mov_b32 v3, s6
	s_delay_alu instid0(VALU_DEP_3)
	v_cmp_gt_u32_e64 s2, s10, v41
	s_add_nc_u64 s[16:17], s[16:17], s[18:19]
	s_lshl_b64 s[6:7], s[8:9], 1
	s_wait_alu 0xfffe
	s_add_nc_u64 s[30:31], s[16:17], s[6:7]
	s_and_saveexec_b32 s3, s2
	s_cbranch_execz .LBB177_20
; %bb.19:
	v_mad_co_u64_u32 v[1:2], null, s22, v41, 0
	v_mov_b32_e32 v4, s4
	s_delay_alu instid0(VALU_DEP_2) | instskip(SKIP_1) | instid1(VALU_DEP_2)
	v_mad_co_u64_u32 v[2:3], null, s23, v41, v[2:3]
	v_mov_b32_e32 v3, s4
	v_lshlrev_b64_e32 v[1:2], 1, v[1:2]
	s_delay_alu instid0(VALU_DEP_1) | instskip(NEXT) | instid1(VALU_DEP_1)
	v_add_co_u32 v1, vcc_lo, s30, v1
	v_add_co_ci_u32_e64 v2, null, s31, v2, vcc_lo
	global_load_u16 v5, v[1:2], off
	v_mov_b32_e32 v2, s4
	s_wait_loadcnt 0x0
	v_bfi_b32 v1, 0xffff, v5, s4
.LBB177_20:
	s_wait_alu 0xfffe
	s_or_b32 exec_lo, exec_lo, s3
	v_add_nc_u32_e32 v17, 0x80, v41
	s_delay_alu instid0(VALU_DEP_1)
	v_cmp_gt_u32_e64 s3, s10, v17
	s_and_saveexec_b32 s4, s3
	s_cbranch_execz .LBB177_22
; %bb.21:
	v_mad_co_u64_u32 v[6:7], null, s22, v17, 0
	s_delay_alu instid0(VALU_DEP_1) | instskip(NEXT) | instid1(VALU_DEP_1)
	v_mad_co_u64_u32 v[7:8], null, s23, v17, v[7:8]
	v_lshlrev_b64_e32 v[6:7], 1, v[6:7]
	s_delay_alu instid0(VALU_DEP_1) | instskip(SKIP_1) | instid1(VALU_DEP_2)
	v_add_co_u32 v6, vcc_lo, s30, v6
	s_wait_alu 0xfffd
	v_add_co_ci_u32_e64 v7, null, s31, v7, vcc_lo
	global_load_d16_hi_b16 v1, v[6:7], off
.LBB177_22:
	s_wait_alu 0xfffe
	s_or_b32 exec_lo, exec_lo, s4
	v_add_nc_u32_e32 v18, 0x100, v41
	s_delay_alu instid0(VALU_DEP_1)
	v_cmp_gt_u32_e64 s4, s10, v18
	s_and_saveexec_b32 s5, s4
	s_cbranch_execz .LBB177_24
; %bb.23:
	v_mad_co_u64_u32 v[6:7], null, s22, v18, 0
	s_delay_alu instid0(VALU_DEP_1) | instskip(NEXT) | instid1(VALU_DEP_1)
	v_mad_co_u64_u32 v[7:8], null, s23, v18, v[7:8]
	v_lshlrev_b64_e32 v[6:7], 1, v[6:7]
	s_delay_alu instid0(VALU_DEP_1) | instskip(SKIP_1) | instid1(VALU_DEP_2)
	v_add_co_u32 v6, vcc_lo, s30, v6
	s_wait_alu 0xfffd
	v_add_co_ci_u32_e64 v7, null, s31, v7, vcc_lo
	global_load_d16_b16 v2, v[6:7], off
.LBB177_24:
	s_wait_alu 0xfffe
	s_or_b32 exec_lo, exec_lo, s5
	v_add_nc_u32_e32 v19, 0x180, v41
	s_delay_alu instid0(VALU_DEP_1)
	v_cmp_gt_u32_e64 s5, s10, v19
	s_and_saveexec_b32 s6, s5
	s_cbranch_execz .LBB177_26
; %bb.25:
	v_mad_co_u64_u32 v[6:7], null, s22, v19, 0
	s_delay_alu instid0(VALU_DEP_1) | instskip(NEXT) | instid1(VALU_DEP_1)
	v_mad_co_u64_u32 v[7:8], null, s23, v19, v[7:8]
	v_lshlrev_b64_e32 v[6:7], 1, v[6:7]
	s_delay_alu instid0(VALU_DEP_1) | instskip(SKIP_1) | instid1(VALU_DEP_2)
	v_add_co_u32 v6, vcc_lo, s30, v6
	s_wait_alu 0xfffd
	v_add_co_ci_u32_e64 v7, null, s31, v7, vcc_lo
	s_wait_loadcnt 0x0
	global_load_d16_hi_b16 v2, v[6:7], off
.LBB177_26:
	s_wait_alu 0xfffe
	s_or_b32 exec_lo, exec_lo, s6
	v_add_nc_u32_e32 v20, 0x200, v41
	s_delay_alu instid0(VALU_DEP_1)
	v_cmp_gt_u32_e64 s6, s10, v20
	s_and_saveexec_b32 s7, s6
	s_cbranch_execz .LBB177_28
; %bb.27:
	v_mad_co_u64_u32 v[6:7], null, s22, v20, 0
	s_delay_alu instid0(VALU_DEP_1) | instskip(NEXT) | instid1(VALU_DEP_1)
	v_mad_co_u64_u32 v[7:8], null, s23, v20, v[7:8]
	v_lshlrev_b64_e32 v[6:7], 1, v[6:7]
	s_delay_alu instid0(VALU_DEP_1) | instskip(SKIP_1) | instid1(VALU_DEP_2)
	v_add_co_u32 v6, vcc_lo, s30, v6
	s_wait_alu 0xfffd
	v_add_co_ci_u32_e64 v7, null, s31, v7, vcc_lo
	global_load_d16_b16 v3, v[6:7], off
.LBB177_28:
	s_wait_alu 0xfffe
	s_or_b32 exec_lo, exec_lo, s7
	v_add_nc_u32_e32 v21, 0x280, v41
	s_delay_alu instid0(VALU_DEP_1)
	v_cmp_gt_u32_e64 s7, s10, v21
	s_and_saveexec_b32 s8, s7
	s_cbranch_execz .LBB177_30
; %bb.29:
	v_mad_co_u64_u32 v[6:7], null, s22, v21, 0
	s_delay_alu instid0(VALU_DEP_1) | instskip(NEXT) | instid1(VALU_DEP_1)
	v_mad_co_u64_u32 v[7:8], null, s23, v21, v[7:8]
	v_lshlrev_b64_e32 v[6:7], 1, v[6:7]
	s_delay_alu instid0(VALU_DEP_1) | instskip(SKIP_1) | instid1(VALU_DEP_2)
	v_add_co_u32 v6, vcc_lo, s30, v6
	s_wait_alu 0xfffd
	v_add_co_ci_u32_e64 v7, null, s31, v7, vcc_lo
	s_wait_loadcnt 0x0
	global_load_d16_hi_b16 v3, v[6:7], off
.LBB177_30:
	s_wait_alu 0xfffe
	s_or_b32 exec_lo, exec_lo, s8
	v_add_nc_u32_e32 v22, 0x300, v41
	s_delay_alu instid0(VALU_DEP_1)
	v_cmp_gt_u32_e64 s8, s10, v22
	s_and_saveexec_b32 s9, s8
	s_cbranch_execz .LBB177_32
; %bb.31:
	v_mad_co_u64_u32 v[6:7], null, s22, v22, 0
	s_delay_alu instid0(VALU_DEP_1) | instskip(NEXT) | instid1(VALU_DEP_1)
	v_mad_co_u64_u32 v[7:8], null, s23, v22, v[7:8]
	v_lshlrev_b64_e32 v[6:7], 1, v[6:7]
	s_delay_alu instid0(VALU_DEP_1) | instskip(SKIP_1) | instid1(VALU_DEP_2)
	v_add_co_u32 v6, vcc_lo, s30, v6
	s_wait_alu 0xfffd
	v_add_co_ci_u32_e64 v7, null, s31, v7, vcc_lo
	global_load_d16_b16 v4, v[6:7], off
.LBB177_32:
	s_wait_alu 0xfffe
	s_or_b32 exec_lo, exec_lo, s9
	s_clause 0x1
	s_load_b64 s[18:19], s[0:1], 0x288
	s_load_b64 s[16:17], s[0:1], 0x1b8
	v_add_nc_u32_e32 v23, 0x380, v41
	s_delay_alu instid0(VALU_DEP_1)
	v_cmp_gt_u32_e64 s9, s10, v23
	s_and_saveexec_b32 s10, s9
	s_cbranch_execz .LBB177_34
; %bb.33:
	v_mad_co_u64_u32 v[6:7], null, s22, v23, 0
	s_delay_alu instid0(VALU_DEP_1) | instskip(NEXT) | instid1(VALU_DEP_1)
	v_mad_co_u64_u32 v[7:8], null, s23, v23, v[7:8]
	v_lshlrev_b64_e32 v[6:7], 1, v[6:7]
	s_delay_alu instid0(VALU_DEP_1) | instskip(SKIP_1) | instid1(VALU_DEP_2)
	v_add_co_u32 v6, vcc_lo, s30, v6
	s_wait_alu 0xfffd
	v_add_co_ci_u32_e64 v7, null, s31, v7, vcc_lo
	s_wait_loadcnt 0x0
	global_load_d16_hi_b16 v4, v[6:7], off
.LBB177_34:
	s_wait_alu 0xfffe
	s_or_b32 exec_lo, exec_lo, s10
	v_lshrrev_b32_e32 v6, 4, v41
	v_lshrrev_b32_e32 v7, 4, v17
	;; [unrolled: 1-line block ×3, first 2 shown]
	v_lshlrev_b32_e32 v9, 1, v41
	v_lshrrev_b32_e32 v10, 4, v19
	v_and_b32_e32 v6, 60, v6
	v_and_b32_e32 v7, 0x7c, v7
	;; [unrolled: 1-line block ×3, first 2 shown]
	v_lshrrev_b32_e32 v11, 4, v23
	s_load_b64 s[28:29], s[0:1], 0x358
	v_add_nc_u32_e32 v46, v6, v9
	v_add_nc_u32_e32 v47, v7, v9
	v_add_nc_u32_e32 v48, v8, v9
	v_and_b32_e32 v6, 0x7c, v10
	v_lshrrev_b32_e32 v7, 4, v20
	v_lshrrev_b32_e32 v8, 4, v21
	;; [unrolled: 1-line block ×3, first 2 shown]
	s_wait_kmcnt 0x0
	s_mul_u64 s[14:15], s[18:19], s[14:15]
	v_add_nc_u32_e32 v49, v6, v9
	v_and_b32_e32 v6, 0x7c, v7
	v_and_b32_e32 v7, 0x7c, v8
	;; [unrolled: 1-line block ×4, first 2 shown]
	v_lshrrev_b32_e32 v11, 1, v41
	v_add_nc_u32_e32 v50, v6, v9
	v_add_nc_u32_e32 v51, v7, v9
	;; [unrolled: 1-line block ×3, first 2 shown]
	s_lshl_b64 s[14:15], s[14:15], 3
	v_dual_mov_b32 v11, 0 :: v_dual_and_b32 v6, 0x1fc, v11
	v_dual_mov_b32 v12, 0 :: v_dual_add_nc_u32 v53, v10, v9
	ds_store_b16 v46, v5
	s_wait_loadcnt 0x0
	ds_store_b16_d16_hi v47, v1 offset:256
	ds_store_b16 v48, v2 offset:512
	ds_store_b16_d16_hi v49, v2 offset:768
	ds_store_b16 v50, v3 offset:1024
	;; [unrolled: 2-line block ×3, first 2 shown]
	ds_store_b16_d16_hi v53, v4 offset:1792
	v_lshl_add_u32 v54, v41, 4, v6
	s_wait_dscnt 0x0
	s_barrier_signal -1
	s_barrier_wait -1
	global_inv scope:SCOPE_SE
	ds_load_2addr_b32 v[44:45], v54 offset1:1
	ds_load_2addr_b32 v[42:43], v54 offset0:2 offset1:3
	v_mov_b32_e32 v1, 0
	s_add_nc_u64 s[14:15], s[16:17], s[14:15]
	s_lshl_b64 s[12:13], s[12:13], 3
	s_wait_loadcnt_dscnt 0x0
	s_add_nc_u64 s[34:35], s[14:15], s[12:13]
	v_dual_mov_b32 v2, v1 :: v_dual_mov_b32 v13, v1
	v_dual_mov_b32 v14, v1 :: v_dual_mov_b32 v15, v1
	;; [unrolled: 1-line block ×6, first 2 shown]
	v_mov_b32_e32 v10, v1
	s_barrier_signal -1
	s_barrier_wait -1
	global_inv scope:SCOPE_SE
	s_and_saveexec_b32 s0, s2
	s_cbranch_execnz .LBB177_90
; %bb.35:
	s_or_b32 exec_lo, exec_lo, s0
	s_and_saveexec_b32 s0, s3
	s_cbranch_execnz .LBB177_91
.LBB177_36:
	s_or_b32 exec_lo, exec_lo, s0
	s_and_saveexec_b32 s0, s4
	s_cbranch_execnz .LBB177_92
.LBB177_37:
	s_or_b32 exec_lo, exec_lo, s0
	s_and_saveexec_b32 s0, s5
	s_cbranch_execnz .LBB177_93
.LBB177_38:
	s_or_b32 exec_lo, exec_lo, s0
	s_and_saveexec_b32 s0, s6
	s_cbranch_execnz .LBB177_94
.LBB177_39:
	s_or_b32 exec_lo, exec_lo, s0
	s_and_saveexec_b32 s0, s7
	s_cbranch_execnz .LBB177_95
.LBB177_40:
	s_or_b32 exec_lo, exec_lo, s0
	s_and_saveexec_b32 s0, s8
	s_cbranch_execz .LBB177_42
.LBB177_41:
	v_mad_co_u64_u32 v[7:8], null, s28, v22, 0
	s_delay_alu instid0(VALU_DEP_1) | instskip(NEXT) | instid1(VALU_DEP_1)
	v_mad_co_u64_u32 v[24:25], null, s29, v22, v[8:9]
	v_mov_b32_e32 v8, v24
	s_delay_alu instid0(VALU_DEP_1) | instskip(NEXT) | instid1(VALU_DEP_1)
	v_lshlrev_b64_e32 v[7:8], 3, v[7:8]
	v_add_co_u32 v7, vcc_lo, s34, v7
	s_wait_alu 0xfffd
	s_delay_alu instid0(VALU_DEP_2)
	v_add_co_ci_u32_e64 v8, null, s35, v8, vcc_lo
	global_load_b64 v[7:8], v[7:8], off
.LBB177_42:
	s_or_b32 exec_lo, exec_lo, s0
	v_lshrrev_b32_e32 v67, 5, v41
	v_lshrrev_b32_e32 v27, 5, v17
	;; [unrolled: 1-line block ×8, first 2 shown]
	v_lshlrev_b32_e32 v64, 3, v41
	v_lshrrev_b32_e32 v17, 2, v41
	s_xor_b32 s0, s11, -1
	s_and_saveexec_b32 s1, s9
	s_cbranch_execz .LBB177_44
; %bb.43:
	v_mad_co_u64_u32 v[9:10], null, s28, v23, 0
	s_wait_loadcnt 0x0
	s_delay_alu instid0(VALU_DEP_1) | instskip(NEXT) | instid1(VALU_DEP_1)
	v_mad_co_u64_u32 v[21:22], null, s29, v23, v[10:11]
	v_mov_b32_e32 v10, v21
	s_delay_alu instid0(VALU_DEP_1) | instskip(NEXT) | instid1(VALU_DEP_1)
	v_lshlrev_b64_e32 v[9:10], 3, v[9:10]
	v_add_co_u32 v9, vcc_lo, s34, v9
	s_wait_alu 0xfffd
	s_delay_alu instid0(VALU_DEP_2)
	v_add_co_ci_u32_e64 v10, null, s35, v10, vcc_lo
	global_load_b64 v[9:10], v[9:10], off
.LBB177_44:
	s_or_b32 exec_lo, exec_lo, s1
	v_lshl_add_u32 v55, v67, 3, v64
	v_lshl_add_u32 v56, v27, 3, v64
	;; [unrolled: 1-line block ×5, first 2 shown]
	s_wait_loadcnt 0x0
	ds_store_b64 v55, v[11:12]
	ds_store_b64 v56, v[1:2] offset:1024
	ds_store_b64 v57, v[13:14] offset:2048
	;; [unrolled: 1-line block ×3, first 2 shown]
	v_lshlrev_b32_e32 v1, 3, v64
	v_lshl_add_u32 v60, v20, 3, v64
	v_lshl_add_u32 v61, v19, 3, v64
	;; [unrolled: 1-line block ×3, first 2 shown]
	ds_store_b64 v59, v[3:4] offset:4096
	ds_store_b64 v60, v[5:6] offset:5120
	;; [unrolled: 1-line block ×4, first 2 shown]
	v_lshl_add_u32 v63, v17, 3, v1
	s_wait_dscnt 0x0
	s_barrier_signal -1
	s_barrier_wait -1
	global_inv scope:SCOPE_SE
	ds_load_2addr_b64 v[5:8], v63 offset1:1
	ds_load_2addr_b64 v[1:4], v63 offset0:2 offset1:3
	v_mbcnt_lo_u32_b32 v68, -1, 0
	v_and_b32_e32 v17, 0x1f00, v64
	ds_load_2addr_b64 v[13:16], v63 offset0:4 offset1:5
	ds_load_2addr_b64 v[9:12], v63 offset0:6 offset1:7
	v_and_b32_e32 v70, 0x3e0, v41
	v_bfe_u32 v71, v0, 10, 10
	v_bfe_u32 v72, v0, 20, 10
	v_or_b32_e32 v69, v68, v17
	v_lshlrev_b32_e32 v65, 2, v64
	v_or_b32_e32 v18, v68, v70
	s_mov_b32 s12, 0
	s_and_b32 vcc_lo, exec_lo, s0
	v_lshlrev_b32_e32 v66, 1, v69
	s_mov_b32 s0, -1
	v_lshlrev_b32_e32 v74, 3, v18
	v_lshlrev_b32_e32 v75, 4, v18
	s_wait_loadcnt_dscnt 0x0
	v_mad_u32_u24 v73, v69, 6, v66
	s_barrier_signal -1
	s_barrier_wait -1
	global_inv scope:SCOPE_SE
	s_wait_alu 0xfffe
	s_cbranch_vccz .LBB177_96
; %bb.45:
	v_xor_b32_e32 v17, 0x80008000, v44
	v_xor_b32_e32 v18, 0x80008000, v45
	;; [unrolled: 1-line block ×4, first 2 shown]
	s_getpc_b64 s[0:1]
	s_sext_i32_i16 s1, s1
	s_add_co_u32 s0, s0, _ZN7rocprim17ROCPRIM_400000_NS16block_radix_sortIsLj128ELj8ElLj1ELj1ELj0ELNS0_26block_radix_rank_algorithmE1ELNS0_18block_padding_hintE2ELNS0_4arch9wavefront6targetE0EE19radix_bits_per_passE@rel32@lo+8
	s_add_co_ci_u32 s1, s1, _ZN7rocprim17ROCPRIM_400000_NS16block_radix_sortIsLj128ELj8ElLj1ELj1ELj0ELNS0_26block_radix_rank_algorithmE1ELNS0_18block_padding_hintE2ELNS0_4arch9wavefront6targetE0EE19radix_bits_per_passE@rel32@hi+16
	s_mov_b32 s13, s12
	s_load_b32 s19, s[0:1], 0x0
	s_mov_b32 s14, s12
	ds_store_b128 v75, v[17:20]
	; wave barrier
	ds_load_u16 v76, v66
	s_mov_b32 s15, s12
	v_lshlrev_b32_e32 v0, 3, v74
	ds_load_u16 v77, v66 offset:64
	ds_load_u16 v78, v66 offset:128
	;; [unrolled: 1-line block ×7, first 2 shown]
	s_wait_loadcnt_dscnt 0x0
	s_barrier_signal -1
	s_barrier_wait -1
	global_inv scope:SCOPE_SE
	ds_store_b128 v0, v[5:8]
	ds_store_b128 v0, v[1:4] offset:16
	ds_store_b128 v0, v[13:16] offset:32
	;; [unrolled: 1-line block ×3, first 2 shown]
	; wave barrier
	s_wait_kmcnt 0x0
	s_min_u32 s0, s19, 16
	s_delay_alu instid0(SALU_CYCLE_1) | instskip(NEXT) | instid1(SALU_CYCLE_1)
	s_lshl_b32 s0, -1, s0
	s_not_b32 s1, s0
	v_and_b32_e32 v17, 0xffff, v76
	s_delay_alu instid0(VALU_DEP_1)
	v_and_b32_e32 v40, s1, v17
	ds_load_2addr_b64 v[21:24], v73 offset1:32
	ds_load_2addr_b64 v[17:20], v73 offset0:64 offset1:96
	ds_load_2addr_b64 v[29:32], v73 offset0:128 offset1:160
	;; [unrolled: 1-line block ×3, first 2 shown]
	s_wait_loadcnt_dscnt 0x0
	s_barrier_signal -1
	v_and_b32_e32 v0, 1, v40
	v_lshlrev_b32_e32 v33, 30, v40
	v_lshlrev_b32_e32 v36, 28, v40
	;; [unrolled: 1-line block ×3, first 2 shown]
	s_barrier_wait -1
	v_add_co_u32 v0, s0, v0, -1
	s_wait_alu 0xf1ff
	v_cndmask_b32_e64 v34, 0, 1, s0
	v_not_b32_e32 v35, v33
	v_cmp_gt_i32_e64 s0, 0, v33
	global_inv scope:SCOPE_SE
	v_cmp_ne_u32_e32 vcc_lo, 0, v34
	v_lshlrev_b32_e32 v34, 29, v40
	v_ashrrev_i32_e32 v33, 31, v35
	s_wait_alu 0xfffd
	v_xor_b32_e32 v0, vcc_lo, v0
	s_delay_alu instid0(VALU_DEP_3)
	v_not_b32_e32 v35, v34
	v_cmp_gt_i32_e32 vcc_lo, 0, v34
	s_wait_alu 0xf1ff
	v_xor_b32_e32 v33, s0, v33
	s_load_b32 s0, s[36:37], 0xc
	v_and_b32_e32 v0, exec_lo, v0
	v_ashrrev_i32_e32 v34, 31, v35
	v_not_b32_e32 v35, v36
	s_delay_alu instid0(VALU_DEP_3) | instskip(NEXT) | instid1(VALU_DEP_3)
	v_and_b32_e32 v0, v0, v33
	v_xor_b32_e32 v33, vcc_lo, v34
	v_cmp_gt_i32_e32 vcc_lo, 0, v36
	s_delay_alu instid0(VALU_DEP_4) | instskip(SKIP_1) | instid1(VALU_DEP_4)
	v_ashrrev_i32_e32 v34, 31, v35
	v_not_b32_e32 v35, v37
	v_and_b32_e32 v0, v0, v33
	v_lshlrev_b32_e32 v33, 26, v40
	s_wait_alu 0xfffd
	v_xor_b32_e32 v34, vcc_lo, v34
	v_cmp_gt_i32_e32 vcc_lo, 0, v37
	v_ashrrev_i32_e32 v35, 31, v35
	v_not_b32_e32 v36, v33
	s_delay_alu instid0(VALU_DEP_4)
	v_and_b32_e32 v0, v0, v34
	v_lshlrev_b32_e32 v34, 25, v40
	s_wait_alu 0xfffd
	v_xor_b32_e32 v35, vcc_lo, v35
	v_cmp_gt_i32_e32 vcc_lo, 0, v33
	v_ashrrev_i32_e32 v33, 31, v36
	s_wait_kmcnt 0x0
	s_lshr_b32 s10, s0, 16
	v_not_b32_e32 v36, v34
	v_and_b32_e32 v0, v0, v35
	v_lshlrev_b32_e32 v35, 24, v40
	s_wait_alu 0xfffd
	v_xor_b32_e32 v33, vcc_lo, v33
	v_cmp_gt_i32_e32 vcc_lo, 0, v34
	v_ashrrev_i32_e32 v34, 31, v36
	s_wait_alu 0xfffe
	v_mad_u32_u24 v37, v72, s10, v71
	v_not_b32_e32 v36, v35
	v_and_b32_e32 v0, v0, v33
	s_and_b32 s0, s0, 0xffff
	s_wait_alu 0xfffd
	v_xor_b32_e32 v33, vcc_lo, v34
	v_cmp_gt_i32_e32 vcc_lo, 0, v35
	v_ashrrev_i32_e32 v34, 31, v36
	s_wait_alu 0xfffe
	v_mad_co_u64_u32 v[38:39], null, v37, s0, v[41:42]
	v_and_b32_e32 v0, v0, v33
	s_wait_alu 0xfffd
	v_xor_b32_e32 v33, vcc_lo, v34
	v_dual_mov_b32 v37, s15 :: v_dual_mov_b32 v36, s14
	v_dual_mov_b32 v35, s13 :: v_dual_mov_b32 v34, s12
	s_delay_alu instid0(VALU_DEP_3)
	v_and_b32_e32 v33, v0, v33
	v_lshrrev_b32_e32 v0, 5, v38
	ds_store_b128 v65, v[34:37] offset:16
	ds_store_b128 v65, v[34:37] offset:32
	v_mbcnt_lo_u32_b32 v88, v33, 0
	v_lshlrev_b32_e32 v0, 2, v0
	v_lshlrev_b32_e32 v34, 4, v40
	v_cmp_ne_u32_e64 s0, 0, v33
	s_wait_loadcnt_dscnt 0x0
	v_cmp_eq_u32_e32 vcc_lo, 0, v88
	s_barrier_signal -1
	v_add_nc_u32_e32 v89, v0, v34
	s_barrier_wait -1
	global_inv scope:SCOPE_SE
	s_and_b32 s10, s0, vcc_lo
	; wave barrier
	s_wait_alu 0xfffe
	s_and_saveexec_b32 s0, s10
; %bb.46:
	v_bcnt_u32_b32 v33, v33, 0
	ds_store_b32 v89, v33 offset:16
; %bb.47:
	s_wait_alu 0xfffe
	s_or_b32 exec_lo, exec_lo, s0
	v_and_b32_e32 v33, 0xffff, v77
	; wave barrier
	s_delay_alu instid0(VALU_DEP_1) | instskip(NEXT) | instid1(VALU_DEP_1)
	v_and_b32_e32 v33, s1, v33
	v_and_b32_e32 v34, 1, v33
	v_lshlrev_b32_e32 v35, 30, v33
	v_lshlrev_b32_e32 v36, 29, v33
	v_lshlrev_b32_e32 v37, 28, v33
	v_lshlrev_b32_e32 v39, 27, v33
	v_add_co_u32 v34, s0, v34, -1
	s_wait_alu 0xf1ff
	v_cndmask_b32_e64 v38, 0, 1, s0
	v_not_b32_e32 v85, v35
	v_cmp_gt_i32_e64 s0, 0, v35
	v_not_b32_e32 v35, v36
	v_lshlrev_b32_e32 v40, 26, v33
	v_cmp_ne_u32_e32 vcc_lo, 0, v38
	v_ashrrev_i32_e32 v85, 31, v85
	v_lshlrev_b32_e32 v84, 25, v33
	v_ashrrev_i32_e32 v35, 31, v35
	v_lshlrev_b32_e32 v38, 24, v33
	s_wait_alu 0xfffd
	v_xor_b32_e32 v34, vcc_lo, v34
	v_cmp_gt_i32_e32 vcc_lo, 0, v36
	v_not_b32_e32 v36, v37
	s_wait_alu 0xf1ff
	v_xor_b32_e32 v85, s0, v85
	v_cmp_gt_i32_e64 s0, 0, v37
	v_and_b32_e32 v34, exec_lo, v34
	v_not_b32_e32 v37, v39
	v_ashrrev_i32_e32 v36, 31, v36
	s_wait_alu 0xfffd
	v_xor_b32_e32 v35, vcc_lo, v35
	v_cmp_gt_i32_e32 vcc_lo, 0, v39
	v_and_b32_e32 v34, v34, v85
	v_not_b32_e32 v39, v40
	v_ashrrev_i32_e32 v37, 31, v37
	s_wait_alu 0xf1ff
	v_xor_b32_e32 v36, s0, v36
	v_cmp_gt_i32_e64 s0, 0, v40
	v_and_b32_e32 v34, v34, v35
	v_not_b32_e32 v35, v84
	v_ashrrev_i32_e32 v39, 31, v39
	s_wait_alu 0xfffd
	v_xor_b32_e32 v37, vcc_lo, v37
	v_cmp_gt_i32_e32 vcc_lo, 0, v84
	v_and_b32_e32 v34, v34, v36
	v_not_b32_e32 v36, v38
	v_ashrrev_i32_e32 v35, 31, v35
	s_wait_alu 0xf1ff
	v_xor_b32_e32 v39, s0, v39
	v_lshlrev_b32_e32 v33, 4, v33
	v_and_b32_e32 v34, v34, v37
	v_cmp_gt_i32_e64 s0, 0, v38
	v_ashrrev_i32_e32 v36, 31, v36
	s_wait_alu 0xfffd
	v_xor_b32_e32 v35, vcc_lo, v35
	v_add_nc_u32_e32 v92, v0, v33
	v_and_b32_e32 v34, v34, v39
	s_wait_alu 0xf1ff
	v_xor_b32_e32 v33, s0, v36
	ds_load_b32 v90, v92 offset:16
	v_and_b32_e32 v34, v34, v35
	; wave barrier
	s_delay_alu instid0(VALU_DEP_1) | instskip(NEXT) | instid1(VALU_DEP_1)
	v_and_b32_e32 v33, v34, v33
	v_mbcnt_lo_u32_b32 v91, v33, 0
	v_cmp_ne_u32_e64 s0, 0, v33
	s_delay_alu instid0(VALU_DEP_2)
	v_cmp_eq_u32_e32 vcc_lo, 0, v91
	s_and_b32 s10, s0, vcc_lo
	s_wait_alu 0xfffe
	s_and_saveexec_b32 s0, s10
	s_cbranch_execz .LBB177_49
; %bb.48:
	s_wait_dscnt 0x0
	v_bcnt_u32_b32 v33, v33, v90
	ds_store_b32 v92, v33 offset:16
.LBB177_49:
	s_wait_alu 0xfffe
	s_or_b32 exec_lo, exec_lo, s0
	v_and_b32_e32 v33, 0xffff, v78
	; wave barrier
	s_delay_alu instid0(VALU_DEP_1) | instskip(NEXT) | instid1(VALU_DEP_1)
	v_and_b32_e32 v33, s1, v33
	v_and_b32_e32 v34, 1, v33
	v_lshlrev_b32_e32 v35, 30, v33
	v_lshlrev_b32_e32 v36, 29, v33
	v_lshlrev_b32_e32 v37, 28, v33
	v_lshlrev_b32_e32 v39, 27, v33
	v_add_co_u32 v34, s0, v34, -1
	s_wait_alu 0xf1ff
	v_cndmask_b32_e64 v38, 0, 1, s0
	v_not_b32_e32 v85, v35
	v_cmp_gt_i32_e64 s0, 0, v35
	v_not_b32_e32 v35, v36
	v_lshlrev_b32_e32 v40, 26, v33
	v_cmp_ne_u32_e32 vcc_lo, 0, v38
	v_ashrrev_i32_e32 v85, 31, v85
	v_lshlrev_b32_e32 v84, 25, v33
	v_ashrrev_i32_e32 v35, 31, v35
	v_lshlrev_b32_e32 v38, 24, v33
	s_wait_alu 0xfffd
	v_xor_b32_e32 v34, vcc_lo, v34
	v_cmp_gt_i32_e32 vcc_lo, 0, v36
	v_not_b32_e32 v36, v37
	s_wait_alu 0xf1ff
	v_xor_b32_e32 v85, s0, v85
	v_cmp_gt_i32_e64 s0, 0, v37
	v_and_b32_e32 v34, exec_lo, v34
	v_not_b32_e32 v37, v39
	v_ashrrev_i32_e32 v36, 31, v36
	s_wait_alu 0xfffd
	v_xor_b32_e32 v35, vcc_lo, v35
	v_cmp_gt_i32_e32 vcc_lo, 0, v39
	v_and_b32_e32 v34, v34, v85
	v_not_b32_e32 v39, v40
	v_ashrrev_i32_e32 v37, 31, v37
	s_wait_alu 0xf1ff
	v_xor_b32_e32 v36, s0, v36
	v_cmp_gt_i32_e64 s0, 0, v40
	v_and_b32_e32 v34, v34, v35
	v_not_b32_e32 v35, v84
	v_ashrrev_i32_e32 v39, 31, v39
	s_wait_alu 0xfffd
	v_xor_b32_e32 v37, vcc_lo, v37
	v_cmp_gt_i32_e32 vcc_lo, 0, v84
	v_and_b32_e32 v34, v34, v36
	v_not_b32_e32 v36, v38
	v_ashrrev_i32_e32 v35, 31, v35
	s_wait_alu 0xf1ff
	v_xor_b32_e32 v39, s0, v39
	v_lshlrev_b32_e32 v33, 4, v33
	v_and_b32_e32 v34, v34, v37
	v_cmp_gt_i32_e64 s0, 0, v38
	v_ashrrev_i32_e32 v36, 31, v36
	s_wait_alu 0xfffd
	v_xor_b32_e32 v35, vcc_lo, v35
	v_add_nc_u32_e32 v95, v0, v33
	v_and_b32_e32 v34, v34, v39
	s_wait_alu 0xf1ff
	v_xor_b32_e32 v33, s0, v36
	ds_load_b32 v93, v95 offset:16
	v_and_b32_e32 v34, v34, v35
	; wave barrier
	s_delay_alu instid0(VALU_DEP_1) | instskip(NEXT) | instid1(VALU_DEP_1)
	v_and_b32_e32 v33, v34, v33
	v_mbcnt_lo_u32_b32 v94, v33, 0
	v_cmp_ne_u32_e64 s0, 0, v33
	s_delay_alu instid0(VALU_DEP_2)
	v_cmp_eq_u32_e32 vcc_lo, 0, v94
	s_and_b32 s10, s0, vcc_lo
	s_wait_alu 0xfffe
	s_and_saveexec_b32 s0, s10
	s_cbranch_execz .LBB177_51
; %bb.50:
	s_wait_dscnt 0x0
	v_bcnt_u32_b32 v33, v33, v93
	ds_store_b32 v95, v33 offset:16
.LBB177_51:
	s_wait_alu 0xfffe
	s_or_b32 exec_lo, exec_lo, s0
	v_and_b32_e32 v33, 0xffff, v79
	; wave barrier
	s_delay_alu instid0(VALU_DEP_1) | instskip(NEXT) | instid1(VALU_DEP_1)
	v_and_b32_e32 v33, s1, v33
	v_and_b32_e32 v34, 1, v33
	v_lshlrev_b32_e32 v35, 30, v33
	v_lshlrev_b32_e32 v36, 29, v33
	;; [unrolled: 1-line block ×4, first 2 shown]
	v_add_co_u32 v34, s0, v34, -1
	s_wait_alu 0xf1ff
	v_cndmask_b32_e64 v38, 0, 1, s0
	v_not_b32_e32 v85, v35
	v_cmp_gt_i32_e64 s0, 0, v35
	v_not_b32_e32 v35, v36
	v_lshlrev_b32_e32 v40, 26, v33
	v_cmp_ne_u32_e32 vcc_lo, 0, v38
	v_ashrrev_i32_e32 v85, 31, v85
	v_lshlrev_b32_e32 v84, 25, v33
	v_ashrrev_i32_e32 v35, 31, v35
	v_lshlrev_b32_e32 v38, 24, v33
	s_wait_alu 0xfffd
	v_xor_b32_e32 v34, vcc_lo, v34
	v_cmp_gt_i32_e32 vcc_lo, 0, v36
	v_not_b32_e32 v36, v37
	s_wait_alu 0xf1ff
	v_xor_b32_e32 v85, s0, v85
	v_cmp_gt_i32_e64 s0, 0, v37
	v_and_b32_e32 v34, exec_lo, v34
	v_not_b32_e32 v37, v39
	v_ashrrev_i32_e32 v36, 31, v36
	s_wait_alu 0xfffd
	v_xor_b32_e32 v35, vcc_lo, v35
	v_cmp_gt_i32_e32 vcc_lo, 0, v39
	v_and_b32_e32 v34, v34, v85
	v_not_b32_e32 v39, v40
	v_ashrrev_i32_e32 v37, 31, v37
	s_wait_alu 0xf1ff
	v_xor_b32_e32 v36, s0, v36
	v_cmp_gt_i32_e64 s0, 0, v40
	v_and_b32_e32 v34, v34, v35
	v_not_b32_e32 v35, v84
	v_ashrrev_i32_e32 v39, 31, v39
	s_wait_alu 0xfffd
	v_xor_b32_e32 v37, vcc_lo, v37
	v_cmp_gt_i32_e32 vcc_lo, 0, v84
	v_and_b32_e32 v34, v34, v36
	v_not_b32_e32 v36, v38
	v_ashrrev_i32_e32 v35, 31, v35
	s_wait_alu 0xf1ff
	v_xor_b32_e32 v39, s0, v39
	v_lshlrev_b32_e32 v33, 4, v33
	v_and_b32_e32 v34, v34, v37
	v_cmp_gt_i32_e64 s0, 0, v38
	v_ashrrev_i32_e32 v36, 31, v36
	s_wait_alu 0xfffd
	v_xor_b32_e32 v35, vcc_lo, v35
	v_add_nc_u32_e32 v98, v0, v33
	v_and_b32_e32 v34, v34, v39
	s_wait_alu 0xf1ff
	v_xor_b32_e32 v33, s0, v36
	ds_load_b32 v96, v98 offset:16
	v_and_b32_e32 v34, v34, v35
	; wave barrier
	s_delay_alu instid0(VALU_DEP_1) | instskip(NEXT) | instid1(VALU_DEP_1)
	v_and_b32_e32 v33, v34, v33
	v_mbcnt_lo_u32_b32 v97, v33, 0
	v_cmp_ne_u32_e64 s0, 0, v33
	s_delay_alu instid0(VALU_DEP_2)
	v_cmp_eq_u32_e32 vcc_lo, 0, v97
	s_and_b32 s10, s0, vcc_lo
	s_wait_alu 0xfffe
	s_and_saveexec_b32 s0, s10
	s_cbranch_execz .LBB177_53
; %bb.52:
	s_wait_dscnt 0x0
	v_bcnt_u32_b32 v33, v33, v96
	ds_store_b32 v98, v33 offset:16
.LBB177_53:
	s_wait_alu 0xfffe
	s_or_b32 exec_lo, exec_lo, s0
	v_and_b32_e32 v33, 0xffff, v80
	; wave barrier
	s_delay_alu instid0(VALU_DEP_1) | instskip(NEXT) | instid1(VALU_DEP_1)
	v_and_b32_e32 v33, s1, v33
	v_and_b32_e32 v34, 1, v33
	v_lshlrev_b32_e32 v35, 30, v33
	v_lshlrev_b32_e32 v36, 29, v33
	;; [unrolled: 1-line block ×4, first 2 shown]
	v_add_co_u32 v34, s0, v34, -1
	s_wait_alu 0xf1ff
	v_cndmask_b32_e64 v38, 0, 1, s0
	v_not_b32_e32 v85, v35
	v_cmp_gt_i32_e64 s0, 0, v35
	v_not_b32_e32 v35, v36
	v_lshlrev_b32_e32 v40, 26, v33
	v_cmp_ne_u32_e32 vcc_lo, 0, v38
	v_ashrrev_i32_e32 v85, 31, v85
	v_lshlrev_b32_e32 v84, 25, v33
	v_ashrrev_i32_e32 v35, 31, v35
	v_lshlrev_b32_e32 v38, 24, v33
	s_wait_alu 0xfffd
	v_xor_b32_e32 v34, vcc_lo, v34
	v_cmp_gt_i32_e32 vcc_lo, 0, v36
	v_not_b32_e32 v36, v37
	s_wait_alu 0xf1ff
	v_xor_b32_e32 v85, s0, v85
	v_cmp_gt_i32_e64 s0, 0, v37
	v_and_b32_e32 v34, exec_lo, v34
	v_not_b32_e32 v37, v39
	v_ashrrev_i32_e32 v36, 31, v36
	s_wait_alu 0xfffd
	v_xor_b32_e32 v35, vcc_lo, v35
	v_cmp_gt_i32_e32 vcc_lo, 0, v39
	v_and_b32_e32 v34, v34, v85
	v_not_b32_e32 v39, v40
	v_ashrrev_i32_e32 v37, 31, v37
	s_wait_alu 0xf1ff
	v_xor_b32_e32 v36, s0, v36
	v_cmp_gt_i32_e64 s0, 0, v40
	v_and_b32_e32 v34, v34, v35
	v_not_b32_e32 v35, v84
	v_ashrrev_i32_e32 v39, 31, v39
	s_wait_alu 0xfffd
	v_xor_b32_e32 v37, vcc_lo, v37
	v_cmp_gt_i32_e32 vcc_lo, 0, v84
	v_and_b32_e32 v34, v34, v36
	v_not_b32_e32 v36, v38
	v_ashrrev_i32_e32 v35, 31, v35
	s_wait_alu 0xf1ff
	v_xor_b32_e32 v39, s0, v39
	v_lshlrev_b32_e32 v33, 4, v33
	v_and_b32_e32 v34, v34, v37
	v_cmp_gt_i32_e64 s0, 0, v38
	v_ashrrev_i32_e32 v36, 31, v36
	s_wait_alu 0xfffd
	v_xor_b32_e32 v35, vcc_lo, v35
	v_add_nc_u32_e32 v101, v0, v33
	v_and_b32_e32 v34, v34, v39
	s_wait_alu 0xf1ff
	v_xor_b32_e32 v33, s0, v36
	ds_load_b32 v99, v101 offset:16
	v_and_b32_e32 v34, v34, v35
	; wave barrier
	s_delay_alu instid0(VALU_DEP_1) | instskip(NEXT) | instid1(VALU_DEP_1)
	v_and_b32_e32 v33, v34, v33
	v_mbcnt_lo_u32_b32 v100, v33, 0
	v_cmp_ne_u32_e64 s0, 0, v33
	s_delay_alu instid0(VALU_DEP_2)
	v_cmp_eq_u32_e32 vcc_lo, 0, v100
	s_and_b32 s10, s0, vcc_lo
	s_wait_alu 0xfffe
	s_and_saveexec_b32 s0, s10
	s_cbranch_execz .LBB177_55
; %bb.54:
	s_wait_dscnt 0x0
	v_bcnt_u32_b32 v33, v33, v99
	ds_store_b32 v101, v33 offset:16
.LBB177_55:
	s_wait_alu 0xfffe
	s_or_b32 exec_lo, exec_lo, s0
	v_and_b32_e32 v33, 0xffff, v81
	; wave barrier
	s_delay_alu instid0(VALU_DEP_1) | instskip(NEXT) | instid1(VALU_DEP_1)
	v_and_b32_e32 v33, s1, v33
	v_and_b32_e32 v34, 1, v33
	v_lshlrev_b32_e32 v35, 30, v33
	v_lshlrev_b32_e32 v36, 29, v33
	;; [unrolled: 1-line block ×4, first 2 shown]
	v_add_co_u32 v34, s0, v34, -1
	s_wait_alu 0xf1ff
	v_cndmask_b32_e64 v38, 0, 1, s0
	v_not_b32_e32 v85, v35
	v_cmp_gt_i32_e64 s0, 0, v35
	v_not_b32_e32 v35, v36
	v_lshlrev_b32_e32 v40, 26, v33
	v_cmp_ne_u32_e32 vcc_lo, 0, v38
	v_ashrrev_i32_e32 v85, 31, v85
	v_lshlrev_b32_e32 v84, 25, v33
	v_ashrrev_i32_e32 v35, 31, v35
	v_lshlrev_b32_e32 v38, 24, v33
	s_wait_alu 0xfffd
	v_xor_b32_e32 v34, vcc_lo, v34
	v_cmp_gt_i32_e32 vcc_lo, 0, v36
	v_not_b32_e32 v36, v37
	s_wait_alu 0xf1ff
	v_xor_b32_e32 v85, s0, v85
	v_cmp_gt_i32_e64 s0, 0, v37
	v_and_b32_e32 v34, exec_lo, v34
	v_not_b32_e32 v37, v39
	v_ashrrev_i32_e32 v36, 31, v36
	s_wait_alu 0xfffd
	v_xor_b32_e32 v35, vcc_lo, v35
	v_cmp_gt_i32_e32 vcc_lo, 0, v39
	v_and_b32_e32 v34, v34, v85
	v_not_b32_e32 v39, v40
	v_ashrrev_i32_e32 v37, 31, v37
	s_wait_alu 0xf1ff
	v_xor_b32_e32 v36, s0, v36
	v_cmp_gt_i32_e64 s0, 0, v40
	v_and_b32_e32 v34, v34, v35
	v_not_b32_e32 v35, v84
	v_ashrrev_i32_e32 v39, 31, v39
	s_wait_alu 0xfffd
	v_xor_b32_e32 v37, vcc_lo, v37
	v_cmp_gt_i32_e32 vcc_lo, 0, v84
	v_and_b32_e32 v34, v34, v36
	v_not_b32_e32 v36, v38
	v_ashrrev_i32_e32 v35, 31, v35
	s_wait_alu 0xf1ff
	v_xor_b32_e32 v39, s0, v39
	v_lshlrev_b32_e32 v33, 4, v33
	v_and_b32_e32 v34, v34, v37
	v_cmp_gt_i32_e64 s0, 0, v38
	v_ashrrev_i32_e32 v36, 31, v36
	s_wait_alu 0xfffd
	v_xor_b32_e32 v35, vcc_lo, v35
	v_add_nc_u32_e32 v104, v0, v33
	v_and_b32_e32 v34, v34, v39
	s_wait_alu 0xf1ff
	v_xor_b32_e32 v33, s0, v36
	ds_load_b32 v102, v104 offset:16
	v_and_b32_e32 v34, v34, v35
	; wave barrier
	s_delay_alu instid0(VALU_DEP_1) | instskip(NEXT) | instid1(VALU_DEP_1)
	v_and_b32_e32 v33, v34, v33
	v_mbcnt_lo_u32_b32 v103, v33, 0
	v_cmp_ne_u32_e64 s0, 0, v33
	s_delay_alu instid0(VALU_DEP_2)
	v_cmp_eq_u32_e32 vcc_lo, 0, v103
	s_and_b32 s10, s0, vcc_lo
	s_wait_alu 0xfffe
	s_and_saveexec_b32 s0, s10
	s_cbranch_execz .LBB177_57
; %bb.56:
	s_wait_dscnt 0x0
	v_bcnt_u32_b32 v33, v33, v102
	ds_store_b32 v104, v33 offset:16
.LBB177_57:
	s_wait_alu 0xfffe
	s_or_b32 exec_lo, exec_lo, s0
	v_and_b32_e32 v33, 0xffff, v82
	; wave barrier
	s_delay_alu instid0(VALU_DEP_1) | instskip(NEXT) | instid1(VALU_DEP_1)
	v_and_b32_e32 v33, s1, v33
	v_and_b32_e32 v34, 1, v33
	v_lshlrev_b32_e32 v35, 30, v33
	v_lshlrev_b32_e32 v36, 29, v33
	;; [unrolled: 1-line block ×4, first 2 shown]
	v_add_co_u32 v34, s0, v34, -1
	s_wait_alu 0xf1ff
	v_cndmask_b32_e64 v38, 0, 1, s0
	v_not_b32_e32 v85, v35
	v_cmp_gt_i32_e64 s0, 0, v35
	v_not_b32_e32 v35, v36
	v_lshlrev_b32_e32 v40, 26, v33
	v_cmp_ne_u32_e32 vcc_lo, 0, v38
	v_ashrrev_i32_e32 v85, 31, v85
	v_lshlrev_b32_e32 v84, 25, v33
	v_ashrrev_i32_e32 v35, 31, v35
	v_lshlrev_b32_e32 v38, 24, v33
	s_wait_alu 0xfffd
	v_xor_b32_e32 v34, vcc_lo, v34
	v_cmp_gt_i32_e32 vcc_lo, 0, v36
	v_not_b32_e32 v36, v37
	s_wait_alu 0xf1ff
	v_xor_b32_e32 v85, s0, v85
	v_cmp_gt_i32_e64 s0, 0, v37
	v_and_b32_e32 v34, exec_lo, v34
	v_not_b32_e32 v37, v39
	v_ashrrev_i32_e32 v36, 31, v36
	s_wait_alu 0xfffd
	v_xor_b32_e32 v35, vcc_lo, v35
	v_cmp_gt_i32_e32 vcc_lo, 0, v39
	v_and_b32_e32 v34, v34, v85
	v_not_b32_e32 v39, v40
	v_ashrrev_i32_e32 v37, 31, v37
	s_wait_alu 0xf1ff
	v_xor_b32_e32 v36, s0, v36
	v_cmp_gt_i32_e64 s0, 0, v40
	v_and_b32_e32 v34, v34, v35
	v_not_b32_e32 v35, v84
	v_ashrrev_i32_e32 v39, 31, v39
	s_wait_alu 0xfffd
	v_xor_b32_e32 v37, vcc_lo, v37
	v_cmp_gt_i32_e32 vcc_lo, 0, v84
	v_and_b32_e32 v34, v34, v36
	v_not_b32_e32 v36, v38
	v_ashrrev_i32_e32 v35, 31, v35
	s_wait_alu 0xf1ff
	v_xor_b32_e32 v39, s0, v39
	v_lshlrev_b32_e32 v33, 4, v33
	v_and_b32_e32 v34, v34, v37
	v_cmp_gt_i32_e64 s0, 0, v38
	v_ashrrev_i32_e32 v36, 31, v36
	s_wait_alu 0xfffd
	v_xor_b32_e32 v35, vcc_lo, v35
	v_add_nc_u32_e32 v107, v0, v33
	v_and_b32_e32 v34, v34, v39
	s_wait_alu 0xf1ff
	v_xor_b32_e32 v33, s0, v36
	ds_load_b32 v105, v107 offset:16
	v_and_b32_e32 v34, v34, v35
	; wave barrier
	s_delay_alu instid0(VALU_DEP_1) | instskip(NEXT) | instid1(VALU_DEP_1)
	v_and_b32_e32 v33, v34, v33
	v_mbcnt_lo_u32_b32 v106, v33, 0
	v_cmp_ne_u32_e64 s0, 0, v33
	s_delay_alu instid0(VALU_DEP_2)
	v_cmp_eq_u32_e32 vcc_lo, 0, v106
	s_and_b32 s10, s0, vcc_lo
	s_wait_alu 0xfffe
	s_and_saveexec_b32 s0, s10
	s_cbranch_execz .LBB177_59
; %bb.58:
	s_wait_dscnt 0x0
	v_bcnt_u32_b32 v33, v33, v105
	ds_store_b32 v107, v33 offset:16
.LBB177_59:
	s_wait_alu 0xfffe
	s_or_b32 exec_lo, exec_lo, s0
	v_and_b32_e32 v33, 0xffff, v83
	; wave barrier
	s_delay_alu instid0(VALU_DEP_1) | instskip(NEXT) | instid1(VALU_DEP_1)
	v_and_b32_e32 v33, s1, v33
	v_and_b32_e32 v34, 1, v33
	v_lshlrev_b32_e32 v35, 30, v33
	v_lshlrev_b32_e32 v36, 29, v33
	;; [unrolled: 1-line block ×4, first 2 shown]
	v_add_co_u32 v34, s0, v34, -1
	s_wait_alu 0xf1ff
	v_cndmask_b32_e64 v38, 0, 1, s0
	v_not_b32_e32 v85, v35
	v_cmp_gt_i32_e64 s0, 0, v35
	v_not_b32_e32 v35, v36
	v_lshlrev_b32_e32 v40, 26, v33
	v_cmp_ne_u32_e32 vcc_lo, 0, v38
	v_ashrrev_i32_e32 v85, 31, v85
	v_lshlrev_b32_e32 v84, 25, v33
	v_ashrrev_i32_e32 v35, 31, v35
	v_lshlrev_b32_e32 v38, 24, v33
	s_wait_alu 0xfffd
	v_xor_b32_e32 v34, vcc_lo, v34
	v_cmp_gt_i32_e32 vcc_lo, 0, v36
	v_not_b32_e32 v36, v37
	s_wait_alu 0xf1ff
	v_xor_b32_e32 v85, s0, v85
	v_cmp_gt_i32_e64 s0, 0, v37
	v_and_b32_e32 v34, exec_lo, v34
	v_not_b32_e32 v37, v39
	v_ashrrev_i32_e32 v36, 31, v36
	s_wait_alu 0xfffd
	v_xor_b32_e32 v35, vcc_lo, v35
	v_cmp_gt_i32_e32 vcc_lo, 0, v39
	v_and_b32_e32 v34, v34, v85
	v_not_b32_e32 v39, v40
	v_ashrrev_i32_e32 v37, 31, v37
	s_wait_alu 0xf1ff
	v_xor_b32_e32 v36, s0, v36
	v_cmp_gt_i32_e64 s0, 0, v40
	v_and_b32_e32 v34, v34, v35
	v_not_b32_e32 v35, v84
	v_ashrrev_i32_e32 v39, 31, v39
	s_wait_alu 0xfffd
	v_xor_b32_e32 v37, vcc_lo, v37
	v_cmp_gt_i32_e32 vcc_lo, 0, v84
	v_and_b32_e32 v34, v34, v36
	v_not_b32_e32 v36, v38
	v_ashrrev_i32_e32 v35, 31, v35
	s_wait_alu 0xf1ff
	v_xor_b32_e32 v39, s0, v39
	v_lshlrev_b32_e32 v33, 4, v33
	v_and_b32_e32 v34, v34, v37
	v_cmp_gt_i32_e64 s0, 0, v38
	v_ashrrev_i32_e32 v36, 31, v36
	s_wait_alu 0xfffd
	v_xor_b32_e32 v35, vcc_lo, v35
	v_add_nc_u32_e32 v110, v0, v33
	v_and_b32_e32 v34, v34, v39
	v_min_u32_e32 v84, 0x60, v70
	s_wait_alu 0xf1ff
	v_xor_b32_e32 v33, s0, v36
	ds_load_b32 v108, v110 offset:16
	v_and_b32_e32 v34, v34, v35
	; wave barrier
	s_delay_alu instid0(VALU_DEP_1) | instskip(NEXT) | instid1(VALU_DEP_1)
	v_and_b32_e32 v33, v34, v33
	v_mbcnt_lo_u32_b32 v109, v33, 0
	v_cmp_ne_u32_e64 s0, 0, v33
	s_delay_alu instid0(VALU_DEP_2)
	v_cmp_eq_u32_e32 vcc_lo, 0, v109
	s_and_b32 s1, s0, vcc_lo
	s_wait_alu 0xfffe
	s_and_saveexec_b32 s0, s1
	s_cbranch_execz .LBB177_61
; %bb.60:
	s_wait_dscnt 0x0
	v_bcnt_u32_b32 v33, v33, v108
	ds_store_b32 v110, v33 offset:16
.LBB177_61:
	s_wait_alu 0xfffe
	s_or_b32 exec_lo, exec_lo, s0
	; wave barrier
	s_wait_loadcnt_dscnt 0x0
	s_barrier_signal -1
	s_barrier_wait -1
	global_inv scope:SCOPE_SE
	ds_load_b128 v[37:40], v65 offset:16
	ds_load_b128 v[33:36], v65 offset:32
	v_and_b32_e32 v87, 16, v68
	v_or_b32_e32 v84, 31, v84
	s_delay_alu instid0(VALU_DEP_2) | instskip(NEXT) | instid1(VALU_DEP_2)
	v_cmp_eq_u32_e64 s16, 0, v87
	v_cmp_eq_u32_e64 s14, v41, v84
	v_lshlrev_b32_e32 v84, 2, v67
	s_wait_dscnt 0x1
	v_add_nc_u32_e32 v85, v38, v37
	s_delay_alu instid0(VALU_DEP_1) | instskip(SKIP_1) | instid1(VALU_DEP_1)
	v_add3_u32 v85, v85, v39, v40
	s_wait_dscnt 0x0
	v_add3_u32 v85, v85, v33, v34
	s_delay_alu instid0(VALU_DEP_1) | instskip(SKIP_1) | instid1(VALU_DEP_2)
	v_add3_u32 v36, v85, v35, v36
	v_and_b32_e32 v85, 15, v68
	v_mov_b32_dpp v86, v36 row_shr:1 row_mask:0xf bank_mask:0xf
	s_delay_alu instid0(VALU_DEP_2)
	v_cmp_eq_u32_e64 s0, 0, v85
	v_cmp_lt_u32_e64 s10, 1, v85
	v_cmp_lt_u32_e64 s11, 3, v85
	;; [unrolled: 1-line block ×3, first 2 shown]
	s_wait_alu 0xf1ff
	v_cndmask_b32_e64 v86, v86, 0, s0
	s_delay_alu instid0(VALU_DEP_1) | instskip(NEXT) | instid1(VALU_DEP_1)
	v_add_nc_u32_e32 v36, v86, v36
	v_mov_b32_dpp v86, v36 row_shr:2 row_mask:0xf bank_mask:0xf
	s_delay_alu instid0(VALU_DEP_1) | instskip(NEXT) | instid1(VALU_DEP_1)
	v_cndmask_b32_e64 v86, 0, v86, s10
	v_add_nc_u32_e32 v36, v36, v86
	s_delay_alu instid0(VALU_DEP_1) | instskip(NEXT) | instid1(VALU_DEP_1)
	v_mov_b32_dpp v86, v36 row_shr:4 row_mask:0xf bank_mask:0xf
	v_cndmask_b32_e64 v86, 0, v86, s11
	s_delay_alu instid0(VALU_DEP_1) | instskip(NEXT) | instid1(VALU_DEP_1)
	v_add_nc_u32_e32 v36, v36, v86
	v_mov_b32_dpp v86, v36 row_shr:8 row_mask:0xf bank_mask:0xf
	s_delay_alu instid0(VALU_DEP_1) | instskip(SKIP_1) | instid1(VALU_DEP_2)
	v_cndmask_b32_e64 v85, 0, v86, s13
	v_bfe_i32 v86, v68, 4, 1
	v_add_nc_u32_e32 v85, v36, v85
	ds_swizzle_b32 v36, v85 offset:swizzle(BROADCAST,32,15)
	s_wait_dscnt 0x0
	v_and_b32_e32 v86, v86, v36
	v_mul_i32_i24_e32 v36, 0xffffffe4, v41
	s_delay_alu instid0(VALU_DEP_2)
	v_add_nc_u32_e32 v87, v85, v86
	s_and_saveexec_b32 s1, s14
; %bb.62:
	ds_store_b32 v84, v87
; %bb.63:
	s_wait_alu 0xfffe
	s_or_b32 exec_lo, exec_lo, s1
	v_and_b32_e32 v85, 3, v68
	v_cmp_gt_u32_e64 s15, 4, v41
	s_wait_loadcnt_dscnt 0x0
	s_barrier_signal -1
	s_barrier_wait -1
	v_cmp_eq_u32_e64 s12, 0, v85
	v_cmp_lt_u32_e64 s1, 1, v85
	v_add_nc_u32_e32 v85, v65, v36
	global_inv scope:SCOPE_SE
	s_and_saveexec_b32 s17, s15
	s_cbranch_execz .LBB177_65
; %bb.64:
	ds_load_b32 v36, v85
	s_wait_dscnt 0x0
	v_mov_b32_dpp v86, v36 row_shr:1 row_mask:0xf bank_mask:0xf
	s_delay_alu instid0(VALU_DEP_1) | instskip(NEXT) | instid1(VALU_DEP_1)
	v_cndmask_b32_e64 v86, v86, 0, s12
	v_add_nc_u32_e32 v36, v86, v36
	s_delay_alu instid0(VALU_DEP_1) | instskip(NEXT) | instid1(VALU_DEP_1)
	v_mov_b32_dpp v86, v36 row_shr:2 row_mask:0xf bank_mask:0xf
	v_cndmask_b32_e64 v86, 0, v86, s1
	s_delay_alu instid0(VALU_DEP_1)
	v_add_nc_u32_e32 v36, v36, v86
	ds_store_b32 v85, v36
.LBB177_65:
	s_wait_alu 0xfffe
	s_or_b32 exec_lo, exec_lo, s17
	v_sub_co_u32 v111, vcc_lo, v68, 1
	v_mul_u32_u24_e32 v36, 6, v69
	v_cmp_lt_u32_e64 s17, 31, v41
	v_add_nc_u32_e32 v86, -4, v84
	v_mov_b32_e32 v112, 0
	s_wait_loadcnt_dscnt 0x0
	s_barrier_signal -1
	s_barrier_wait -1
	global_inv scope:SCOPE_SE
	s_and_saveexec_b32 s18, s17
; %bb.66:
	ds_load_b32 v112, v86
; %bb.67:
	s_wait_alu 0xfffe
	s_or_b32 exec_lo, exec_lo, s18
	v_cmp_gt_i32_e64 s18, 0, v111
	s_mov_b32 s24, 0
	s_min_u32 s19, s19, 8
	s_mov_b32 s25, s24
	s_mov_b32 s26, s24
	v_cndmask_b32_e64 v111, v111, v68, s18
	s_mov_b32 s27, s24
	s_wait_dscnt 0x0
	v_add_nc_u32_e32 v113, v112, v87
	v_cmp_eq_u32_e64 s18, 0, v41
	s_wait_alu 0xfffe
	s_lshl_b32 s19, -1, s19
	v_lshlrev_b32_e32 v87, 2, v111
	s_wait_alu 0xfffe
	s_not_b32 s21, s19
	ds_bpermute_b32 v111, v87, v113
	s_wait_dscnt 0x0
	s_wait_alu 0xfffd
	v_cndmask_b32_e32 v111, v111, v112, vcc_lo
	s_delay_alu instid0(VALU_DEP_1) | instskip(NEXT) | instid1(VALU_DEP_1)
	v_cndmask_b32_e64 v111, v111, 0, s18
	v_add_nc_u32_e32 v112, v111, v37
	s_delay_alu instid0(VALU_DEP_1) | instskip(NEXT) | instid1(VALU_DEP_1)
	v_add_nc_u32_e32 v113, v112, v38
	v_add_nc_u32_e32 v114, v113, v39
	s_delay_alu instid0(VALU_DEP_1) | instskip(NEXT) | instid1(VALU_DEP_1)
	v_add_nc_u32_e32 v37, v114, v40
	;; [unrolled: 3-line block ×3, first 2 shown]
	v_add_nc_u32_e32 v40, v39, v35
	ds_store_b128 v65, v[111:114] offset:16
	ds_store_b128 v65, v[37:40] offset:32
	s_wait_loadcnt_dscnt 0x0
	s_barrier_signal -1
	s_barrier_wait -1
	global_inv scope:SCOPE_SE
	ds_load_b32 v33, v89 offset:16
	ds_load_b32 v34, v92 offset:16
	;; [unrolled: 1-line block ×8, first 2 shown]
	v_add_nc_u32_e32 v92, v66, v36
	s_wait_loadcnt_dscnt 0x0
	s_barrier_signal -1
	s_barrier_wait -1
	global_inv scope:SCOPE_SE
	v_add_nc_u32_e32 v88, v33, v88
	v_add3_u32 v90, v91, v90, v34
	v_add3_u32 v91, v94, v93, v35
	;; [unrolled: 1-line block ×7, first 2 shown]
	v_lshlrev_b32_e32 v33, 1, v88
	v_lshlrev_b32_e32 v34, 1, v90
	;; [unrolled: 1-line block ×8, first 2 shown]
	ds_store_b16 v33, v76
	ds_store_b16 v34, v77
	;; [unrolled: 1-line block ×8, first 2 shown]
	s_wait_loadcnt_dscnt 0x0
	s_barrier_signal -1
	s_barrier_wait -1
	global_inv scope:SCOPE_SE
	ds_load_u16 v76, v66
	ds_load_u16 v77, v66 offset:64
	ds_load_u16 v78, v66 offset:128
	;; [unrolled: 1-line block ×7, first 2 shown]
	v_mad_co_u64_u32 v[88:89], null, v88, 6, v[33:34]
	v_mad_co_u64_u32 v[33:34], null, v90, 6, v[34:35]
	;; [unrolled: 1-line block ×3, first 2 shown]
	s_wait_loadcnt_dscnt 0x0
	s_barrier_signal -1
	s_barrier_wait -1
	global_inv scope:SCOPE_SE
	v_mad_co_u64_u32 v[35:36], null, v93, 6, v[36:37]
	v_lshrrev_b16 v89, 8, v76
	ds_store_b64 v88, v[21:22]
	v_mad_co_u64_u32 v[36:37], null, v94, 6, v[37:38]
	v_mad_co_u64_u32 v[37:38], null, v95, 6, v[38:39]
	v_and_b32_e32 v21, 0xffff, v89
	v_mad_co_u64_u32 v[38:39], null, v96, 6, v[39:40]
	v_mad_co_u64_u32 v[39:40], null, v97, 6, v[40:41]
	s_delay_alu instid0(VALU_DEP_3)
	v_and_b32_e32 v40, s21, v21
	ds_store_b64 v33, v[23:24]
	ds_store_b64 v34, v[17:18]
	;; [unrolled: 1-line block ×7, first 2 shown]
	v_and_b32_e32 v17, 1, v40
	v_lshlrev_b32_e32 v18, 30, v40
	v_lshlrev_b32_e32 v19, 29, v40
	;; [unrolled: 1-line block ×4, first 2 shown]
	v_add_co_u32 v17, s19, v17, -1
	s_wait_alu 0xf1ff
	v_cndmask_b32_e64 v21, 0, 1, s19
	v_not_b32_e32 v25, v18
	v_cmp_gt_i32_e64 s20, 0, v18
	v_not_b32_e32 v18, v19
	v_lshlrev_b32_e32 v23, 26, v40
	v_cmp_ne_u32_e64 s19, 0, v21
	v_ashrrev_i32_e32 v25, 31, v25
	v_lshlrev_b32_e32 v24, 25, v40
	v_ashrrev_i32_e32 v18, 31, v18
	v_lshlrev_b32_e32 v21, 24, v40
	s_wait_alu 0xf1ff
	v_xor_b32_e32 v17, s19, v17
	v_cmp_gt_i32_e64 s19, 0, v19
	v_not_b32_e32 v19, v20
	v_xor_b32_e32 v25, s20, v25
	v_cmp_gt_i32_e64 s20, 0, v20
	v_and_b32_e32 v17, exec_lo, v17
	v_not_b32_e32 v20, v22
	v_ashrrev_i32_e32 v19, 31, v19
	s_wait_alu 0xf1ff
	v_xor_b32_e32 v18, s19, v18
	v_cmp_gt_i32_e64 s19, 0, v22
	v_and_b32_e32 v17, v17, v25
	v_not_b32_e32 v22, v23
	v_ashrrev_i32_e32 v20, 31, v20
	v_xor_b32_e32 v19, s20, v19
	v_cmp_gt_i32_e64 s20, 0, v23
	v_and_b32_e32 v17, v17, v18
	v_not_b32_e32 v18, v24
	v_ashrrev_i32_e32 v22, 31, v22
	s_wait_alu 0xf1ff
	v_xor_b32_e32 v20, s19, v20
	v_cmp_gt_i32_e64 s19, 0, v24
	v_and_b32_e32 v17, v17, v19
	v_not_b32_e32 v19, v21
	v_ashrrev_i32_e32 v18, 31, v18
	v_xor_b32_e32 v22, s20, v22
	v_cmp_gt_i32_e64 s20, 0, v21
	v_and_b32_e32 v17, v17, v20
	v_ashrrev_i32_e32 v19, 31, v19
	s_wait_alu 0xf1ff
	v_xor_b32_e32 v18, s19, v18
	s_wait_loadcnt_dscnt 0x0
	s_barrier_signal -1
	v_and_b32_e32 v17, v17, v22
	v_xor_b32_e32 v33, s20, v19
	s_barrier_wait -1
	global_inv scope:SCOPE_SE
	ds_load_2addr_b64 v[21:24], v92 offset1:32
	v_and_b32_e32 v38, v17, v18
	ds_load_2addr_b64 v[29:32], v92 offset0:64 offset1:96
	ds_load_2addr_b64 v[25:28], v92 offset0:128 offset1:160
	;; [unrolled: 1-line block ×3, first 2 shown]
	v_dual_mov_b32 v37, s27 :: v_dual_mov_b32 v36, s26
	v_mov_b32_e32 v35, s25
	v_dual_mov_b32 v34, s24 :: v_dual_and_b32 v33, v38, v33
	v_lshl_add_u32 v89, v40, 4, v0
	s_wait_loadcnt_dscnt 0x0
	s_barrier_signal -1
	s_delay_alu instid0(VALU_DEP_2)
	v_mbcnt_lo_u32_b32 v88, v33, 0
	v_cmp_ne_u32_e64 s20, 0, v33
	s_barrier_wait -1
	global_inv scope:SCOPE_SE
	ds_store_b128 v65, v[34:37] offset:16
	ds_store_b128 v65, v[34:37] offset:32
	v_cmp_eq_u32_e64 s19, 0, v88
	s_wait_loadcnt_dscnt 0x0
	s_barrier_signal -1
	s_barrier_wait -1
	global_inv scope:SCOPE_SE
	s_and_b32 s20, s20, s19
	; wave barrier
	s_wait_alu 0xfffe
	s_and_saveexec_b32 s19, s20
; %bb.68:
	v_bcnt_u32_b32 v33, v33, 0
	ds_store_b32 v89, v33 offset:16
; %bb.69:
	s_wait_alu 0xfffe
	s_or_b32 exec_lo, exec_lo, s19
	v_lshrrev_b16 v33, 8, v77
	; wave barrier
	s_delay_alu instid0(VALU_DEP_1) | instskip(NEXT) | instid1(VALU_DEP_1)
	v_and_b32_e32 v33, s21, v33
	v_and_b32_e32 v34, 1, v33
	v_lshlrev_b32_e32 v35, 30, v33
	v_lshlrev_b32_e32 v36, 29, v33
	;; [unrolled: 1-line block ×4, first 2 shown]
	v_add_co_u32 v34, s19, v34, -1
	s_wait_alu 0xf1ff
	v_cndmask_b32_e64 v38, 0, 1, s19
	v_not_b32_e32 v91, v35
	v_cmp_gt_i32_e64 s20, 0, v35
	v_not_b32_e32 v35, v36
	v_lshlrev_b32_e32 v40, 26, v33
	v_cmp_ne_u32_e64 s19, 0, v38
	v_ashrrev_i32_e32 v91, 31, v91
	v_lshlrev_b32_e32 v90, 25, v33
	v_ashrrev_i32_e32 v35, 31, v35
	v_lshlrev_b32_e32 v38, 24, v33
	s_wait_alu 0xf1ff
	v_xor_b32_e32 v34, s19, v34
	v_cmp_gt_i32_e64 s19, 0, v36
	v_not_b32_e32 v36, v37
	v_xor_b32_e32 v91, s20, v91
	v_cmp_gt_i32_e64 s20, 0, v37
	v_and_b32_e32 v34, exec_lo, v34
	v_not_b32_e32 v37, v39
	v_ashrrev_i32_e32 v36, 31, v36
	s_wait_alu 0xf1ff
	v_xor_b32_e32 v35, s19, v35
	v_cmp_gt_i32_e64 s19, 0, v39
	v_and_b32_e32 v34, v34, v91
	v_not_b32_e32 v39, v40
	v_ashrrev_i32_e32 v37, 31, v37
	v_xor_b32_e32 v36, s20, v36
	v_cmp_gt_i32_e64 s20, 0, v40
	v_and_b32_e32 v34, v34, v35
	v_not_b32_e32 v35, v90
	v_ashrrev_i32_e32 v39, 31, v39
	s_wait_alu 0xf1ff
	v_xor_b32_e32 v37, s19, v37
	v_cmp_gt_i32_e64 s19, 0, v90
	v_and_b32_e32 v34, v34, v36
	v_not_b32_e32 v36, v38
	v_ashrrev_i32_e32 v35, 31, v35
	v_xor_b32_e32 v39, s20, v39
	v_cmp_gt_i32_e64 s20, 0, v38
	v_and_b32_e32 v34, v34, v37
	v_ashrrev_i32_e32 v36, 31, v36
	s_wait_alu 0xf1ff
	v_xor_b32_e32 v35, s19, v35
	v_lshl_add_u32 v92, v33, 4, v0
	v_and_b32_e32 v34, v34, v39
	v_xor_b32_e32 v33, s20, v36
	ds_load_b32 v90, v92 offset:16
	v_and_b32_e32 v34, v34, v35
	; wave barrier
	s_delay_alu instid0(VALU_DEP_1) | instskip(NEXT) | instid1(VALU_DEP_1)
	v_and_b32_e32 v33, v34, v33
	v_mbcnt_lo_u32_b32 v91, v33, 0
	v_cmp_ne_u32_e64 s20, 0, v33
	s_delay_alu instid0(VALU_DEP_2)
	v_cmp_eq_u32_e64 s19, 0, v91
	s_and_b32 s20, s20, s19
	s_wait_alu 0xfffe
	s_and_saveexec_b32 s19, s20
	s_cbranch_execz .LBB177_71
; %bb.70:
	s_wait_dscnt 0x0
	v_bcnt_u32_b32 v33, v33, v90
	ds_store_b32 v92, v33 offset:16
.LBB177_71:
	s_wait_alu 0xfffe
	s_or_b32 exec_lo, exec_lo, s19
	v_lshrrev_b16 v33, 8, v78
	; wave barrier
	s_delay_alu instid0(VALU_DEP_1) | instskip(NEXT) | instid1(VALU_DEP_1)
	v_and_b32_e32 v33, s21, v33
	v_and_b32_e32 v34, 1, v33
	v_lshlrev_b32_e32 v35, 30, v33
	v_lshlrev_b32_e32 v36, 29, v33
	;; [unrolled: 1-line block ×4, first 2 shown]
	v_add_co_u32 v34, s19, v34, -1
	s_wait_alu 0xf1ff
	v_cndmask_b32_e64 v38, 0, 1, s19
	v_not_b32_e32 v94, v35
	v_cmp_gt_i32_e64 s20, 0, v35
	v_not_b32_e32 v35, v36
	v_lshlrev_b32_e32 v40, 26, v33
	v_cmp_ne_u32_e64 s19, 0, v38
	v_ashrrev_i32_e32 v94, 31, v94
	v_lshlrev_b32_e32 v93, 25, v33
	v_ashrrev_i32_e32 v35, 31, v35
	v_lshlrev_b32_e32 v38, 24, v33
	s_wait_alu 0xf1ff
	v_xor_b32_e32 v34, s19, v34
	v_cmp_gt_i32_e64 s19, 0, v36
	v_not_b32_e32 v36, v37
	v_xor_b32_e32 v94, s20, v94
	v_cmp_gt_i32_e64 s20, 0, v37
	v_and_b32_e32 v34, exec_lo, v34
	v_not_b32_e32 v37, v39
	v_ashrrev_i32_e32 v36, 31, v36
	s_wait_alu 0xf1ff
	v_xor_b32_e32 v35, s19, v35
	v_cmp_gt_i32_e64 s19, 0, v39
	v_and_b32_e32 v34, v34, v94
	v_not_b32_e32 v39, v40
	v_ashrrev_i32_e32 v37, 31, v37
	v_xor_b32_e32 v36, s20, v36
	v_cmp_gt_i32_e64 s20, 0, v40
	v_and_b32_e32 v34, v34, v35
	v_not_b32_e32 v35, v93
	v_ashrrev_i32_e32 v39, 31, v39
	s_wait_alu 0xf1ff
	v_xor_b32_e32 v37, s19, v37
	v_cmp_gt_i32_e64 s19, 0, v93
	v_and_b32_e32 v34, v34, v36
	v_not_b32_e32 v36, v38
	v_ashrrev_i32_e32 v35, 31, v35
	v_xor_b32_e32 v39, s20, v39
	v_cmp_gt_i32_e64 s20, 0, v38
	v_and_b32_e32 v34, v34, v37
	v_ashrrev_i32_e32 v36, 31, v36
	s_wait_alu 0xf1ff
	v_xor_b32_e32 v35, s19, v35
	v_lshl_add_u32 v95, v33, 4, v0
	v_and_b32_e32 v34, v34, v39
	v_xor_b32_e32 v33, s20, v36
	ds_load_b32 v93, v95 offset:16
	v_and_b32_e32 v34, v34, v35
	; wave barrier
	s_delay_alu instid0(VALU_DEP_1) | instskip(NEXT) | instid1(VALU_DEP_1)
	v_and_b32_e32 v33, v34, v33
	v_mbcnt_lo_u32_b32 v94, v33, 0
	v_cmp_ne_u32_e64 s20, 0, v33
	s_delay_alu instid0(VALU_DEP_2)
	v_cmp_eq_u32_e64 s19, 0, v94
	s_and_b32 s20, s20, s19
	s_wait_alu 0xfffe
	s_and_saveexec_b32 s19, s20
	s_cbranch_execz .LBB177_73
; %bb.72:
	s_wait_dscnt 0x0
	v_bcnt_u32_b32 v33, v33, v93
	ds_store_b32 v95, v33 offset:16
.LBB177_73:
	s_wait_alu 0xfffe
	s_or_b32 exec_lo, exec_lo, s19
	v_lshrrev_b16 v33, 8, v79
	; wave barrier
	s_delay_alu instid0(VALU_DEP_1) | instskip(NEXT) | instid1(VALU_DEP_1)
	v_and_b32_e32 v33, s21, v33
	v_and_b32_e32 v34, 1, v33
	v_lshlrev_b32_e32 v35, 30, v33
	v_lshlrev_b32_e32 v36, 29, v33
	;; [unrolled: 1-line block ×4, first 2 shown]
	v_add_co_u32 v34, s19, v34, -1
	s_wait_alu 0xf1ff
	v_cndmask_b32_e64 v38, 0, 1, s19
	v_not_b32_e32 v97, v35
	v_cmp_gt_i32_e64 s20, 0, v35
	v_not_b32_e32 v35, v36
	v_lshlrev_b32_e32 v40, 26, v33
	v_cmp_ne_u32_e64 s19, 0, v38
	v_ashrrev_i32_e32 v97, 31, v97
	v_lshlrev_b32_e32 v96, 25, v33
	v_ashrrev_i32_e32 v35, 31, v35
	v_lshlrev_b32_e32 v38, 24, v33
	s_wait_alu 0xf1ff
	v_xor_b32_e32 v34, s19, v34
	v_cmp_gt_i32_e64 s19, 0, v36
	v_not_b32_e32 v36, v37
	v_xor_b32_e32 v97, s20, v97
	v_cmp_gt_i32_e64 s20, 0, v37
	v_and_b32_e32 v34, exec_lo, v34
	v_not_b32_e32 v37, v39
	v_ashrrev_i32_e32 v36, 31, v36
	s_wait_alu 0xf1ff
	v_xor_b32_e32 v35, s19, v35
	v_cmp_gt_i32_e64 s19, 0, v39
	v_and_b32_e32 v34, v34, v97
	v_not_b32_e32 v39, v40
	v_ashrrev_i32_e32 v37, 31, v37
	v_xor_b32_e32 v36, s20, v36
	v_cmp_gt_i32_e64 s20, 0, v40
	v_and_b32_e32 v34, v34, v35
	v_not_b32_e32 v35, v96
	v_ashrrev_i32_e32 v39, 31, v39
	s_wait_alu 0xf1ff
	v_xor_b32_e32 v37, s19, v37
	v_cmp_gt_i32_e64 s19, 0, v96
	v_and_b32_e32 v34, v34, v36
	v_not_b32_e32 v36, v38
	v_ashrrev_i32_e32 v35, 31, v35
	v_xor_b32_e32 v39, s20, v39
	v_cmp_gt_i32_e64 s20, 0, v38
	v_and_b32_e32 v34, v34, v37
	v_ashrrev_i32_e32 v36, 31, v36
	s_wait_alu 0xf1ff
	v_xor_b32_e32 v35, s19, v35
	v_lshl_add_u32 v98, v33, 4, v0
	v_and_b32_e32 v34, v34, v39
	v_xor_b32_e32 v33, s20, v36
	ds_load_b32 v96, v98 offset:16
	v_and_b32_e32 v34, v34, v35
	; wave barrier
	s_delay_alu instid0(VALU_DEP_1) | instskip(NEXT) | instid1(VALU_DEP_1)
	v_and_b32_e32 v33, v34, v33
	v_mbcnt_lo_u32_b32 v97, v33, 0
	v_cmp_ne_u32_e64 s20, 0, v33
	s_delay_alu instid0(VALU_DEP_2)
	v_cmp_eq_u32_e64 s19, 0, v97
	s_and_b32 s20, s20, s19
	s_wait_alu 0xfffe
	s_and_saveexec_b32 s19, s20
	s_cbranch_execz .LBB177_75
; %bb.74:
	s_wait_dscnt 0x0
	v_bcnt_u32_b32 v33, v33, v96
	ds_store_b32 v98, v33 offset:16
.LBB177_75:
	s_wait_alu 0xfffe
	s_or_b32 exec_lo, exec_lo, s19
	v_lshrrev_b16 v33, 8, v80
	; wave barrier
	s_delay_alu instid0(VALU_DEP_1) | instskip(NEXT) | instid1(VALU_DEP_1)
	v_and_b32_e32 v33, s21, v33
	v_and_b32_e32 v34, 1, v33
	v_lshlrev_b32_e32 v35, 30, v33
	v_lshlrev_b32_e32 v36, 29, v33
	;; [unrolled: 1-line block ×4, first 2 shown]
	v_add_co_u32 v34, s19, v34, -1
	s_wait_alu 0xf1ff
	v_cndmask_b32_e64 v38, 0, 1, s19
	v_not_b32_e32 v100, v35
	v_cmp_gt_i32_e64 s20, 0, v35
	v_not_b32_e32 v35, v36
	v_lshlrev_b32_e32 v40, 26, v33
	v_cmp_ne_u32_e64 s19, 0, v38
	v_ashrrev_i32_e32 v100, 31, v100
	v_lshlrev_b32_e32 v99, 25, v33
	v_ashrrev_i32_e32 v35, 31, v35
	v_lshlrev_b32_e32 v38, 24, v33
	s_wait_alu 0xf1ff
	v_xor_b32_e32 v34, s19, v34
	v_cmp_gt_i32_e64 s19, 0, v36
	v_not_b32_e32 v36, v37
	v_xor_b32_e32 v100, s20, v100
	v_cmp_gt_i32_e64 s20, 0, v37
	v_and_b32_e32 v34, exec_lo, v34
	v_not_b32_e32 v37, v39
	v_ashrrev_i32_e32 v36, 31, v36
	s_wait_alu 0xf1ff
	v_xor_b32_e32 v35, s19, v35
	v_cmp_gt_i32_e64 s19, 0, v39
	v_and_b32_e32 v34, v34, v100
	v_not_b32_e32 v39, v40
	v_ashrrev_i32_e32 v37, 31, v37
	v_xor_b32_e32 v36, s20, v36
	v_cmp_gt_i32_e64 s20, 0, v40
	v_and_b32_e32 v34, v34, v35
	v_not_b32_e32 v35, v99
	v_ashrrev_i32_e32 v39, 31, v39
	s_wait_alu 0xf1ff
	v_xor_b32_e32 v37, s19, v37
	v_cmp_gt_i32_e64 s19, 0, v99
	v_and_b32_e32 v34, v34, v36
	v_not_b32_e32 v36, v38
	v_ashrrev_i32_e32 v35, 31, v35
	v_xor_b32_e32 v39, s20, v39
	v_cmp_gt_i32_e64 s20, 0, v38
	v_and_b32_e32 v34, v34, v37
	v_ashrrev_i32_e32 v36, 31, v36
	s_wait_alu 0xf1ff
	v_xor_b32_e32 v35, s19, v35
	v_lshl_add_u32 v101, v33, 4, v0
	v_and_b32_e32 v34, v34, v39
	v_xor_b32_e32 v33, s20, v36
	ds_load_b32 v99, v101 offset:16
	v_and_b32_e32 v34, v34, v35
	; wave barrier
	s_delay_alu instid0(VALU_DEP_1) | instskip(NEXT) | instid1(VALU_DEP_1)
	v_and_b32_e32 v33, v34, v33
	v_mbcnt_lo_u32_b32 v100, v33, 0
	v_cmp_ne_u32_e64 s20, 0, v33
	s_delay_alu instid0(VALU_DEP_2)
	v_cmp_eq_u32_e64 s19, 0, v100
	s_and_b32 s20, s20, s19
	s_wait_alu 0xfffe
	s_and_saveexec_b32 s19, s20
	s_cbranch_execz .LBB177_77
; %bb.76:
	s_wait_dscnt 0x0
	v_bcnt_u32_b32 v33, v33, v99
	ds_store_b32 v101, v33 offset:16
.LBB177_77:
	s_wait_alu 0xfffe
	s_or_b32 exec_lo, exec_lo, s19
	v_lshrrev_b16 v33, 8, v81
	; wave barrier
	s_delay_alu instid0(VALU_DEP_1) | instskip(NEXT) | instid1(VALU_DEP_1)
	v_and_b32_e32 v33, s21, v33
	v_and_b32_e32 v34, 1, v33
	v_lshlrev_b32_e32 v35, 30, v33
	v_lshlrev_b32_e32 v36, 29, v33
	;; [unrolled: 1-line block ×4, first 2 shown]
	v_add_co_u32 v34, s19, v34, -1
	s_wait_alu 0xf1ff
	v_cndmask_b32_e64 v38, 0, 1, s19
	v_not_b32_e32 v103, v35
	v_cmp_gt_i32_e64 s20, 0, v35
	v_not_b32_e32 v35, v36
	v_lshlrev_b32_e32 v40, 26, v33
	v_cmp_ne_u32_e64 s19, 0, v38
	v_ashrrev_i32_e32 v103, 31, v103
	v_lshlrev_b32_e32 v102, 25, v33
	v_ashrrev_i32_e32 v35, 31, v35
	v_lshlrev_b32_e32 v38, 24, v33
	s_wait_alu 0xf1ff
	v_xor_b32_e32 v34, s19, v34
	v_cmp_gt_i32_e64 s19, 0, v36
	v_not_b32_e32 v36, v37
	v_xor_b32_e32 v103, s20, v103
	v_cmp_gt_i32_e64 s20, 0, v37
	v_and_b32_e32 v34, exec_lo, v34
	v_not_b32_e32 v37, v39
	v_ashrrev_i32_e32 v36, 31, v36
	s_wait_alu 0xf1ff
	v_xor_b32_e32 v35, s19, v35
	v_cmp_gt_i32_e64 s19, 0, v39
	v_and_b32_e32 v34, v34, v103
	v_not_b32_e32 v39, v40
	v_ashrrev_i32_e32 v37, 31, v37
	v_xor_b32_e32 v36, s20, v36
	v_cmp_gt_i32_e64 s20, 0, v40
	v_and_b32_e32 v34, v34, v35
	v_not_b32_e32 v35, v102
	v_ashrrev_i32_e32 v39, 31, v39
	s_wait_alu 0xf1ff
	v_xor_b32_e32 v37, s19, v37
	v_cmp_gt_i32_e64 s19, 0, v102
	v_and_b32_e32 v34, v34, v36
	v_not_b32_e32 v36, v38
	v_ashrrev_i32_e32 v35, 31, v35
	v_xor_b32_e32 v39, s20, v39
	v_cmp_gt_i32_e64 s20, 0, v38
	v_and_b32_e32 v34, v34, v37
	v_ashrrev_i32_e32 v36, 31, v36
	s_wait_alu 0xf1ff
	v_xor_b32_e32 v35, s19, v35
	v_lshl_add_u32 v104, v33, 4, v0
	v_and_b32_e32 v34, v34, v39
	v_xor_b32_e32 v33, s20, v36
	ds_load_b32 v102, v104 offset:16
	v_and_b32_e32 v34, v34, v35
	; wave barrier
	s_delay_alu instid0(VALU_DEP_1) | instskip(NEXT) | instid1(VALU_DEP_1)
	v_and_b32_e32 v33, v34, v33
	v_mbcnt_lo_u32_b32 v103, v33, 0
	v_cmp_ne_u32_e64 s20, 0, v33
	s_delay_alu instid0(VALU_DEP_2)
	v_cmp_eq_u32_e64 s19, 0, v103
	s_and_b32 s20, s20, s19
	s_wait_alu 0xfffe
	s_and_saveexec_b32 s19, s20
	s_cbranch_execz .LBB177_79
; %bb.78:
	s_wait_dscnt 0x0
	v_bcnt_u32_b32 v33, v33, v102
	ds_store_b32 v104, v33 offset:16
.LBB177_79:
	s_wait_alu 0xfffe
	s_or_b32 exec_lo, exec_lo, s19
	v_lshrrev_b16 v33, 8, v82
	; wave barrier
	s_delay_alu instid0(VALU_DEP_1) | instskip(NEXT) | instid1(VALU_DEP_1)
	v_and_b32_e32 v33, s21, v33
	v_and_b32_e32 v34, 1, v33
	v_lshlrev_b32_e32 v35, 30, v33
	v_lshlrev_b32_e32 v36, 29, v33
	v_lshlrev_b32_e32 v37, 28, v33
	v_lshlrev_b32_e32 v39, 27, v33
	v_add_co_u32 v34, s19, v34, -1
	s_wait_alu 0xf1ff
	v_cndmask_b32_e64 v38, 0, 1, s19
	v_not_b32_e32 v106, v35
	v_cmp_gt_i32_e64 s20, 0, v35
	v_not_b32_e32 v35, v36
	v_lshlrev_b32_e32 v40, 26, v33
	v_cmp_ne_u32_e64 s19, 0, v38
	v_ashrrev_i32_e32 v106, 31, v106
	v_lshlrev_b32_e32 v105, 25, v33
	v_ashrrev_i32_e32 v35, 31, v35
	v_lshlrev_b32_e32 v38, 24, v33
	s_wait_alu 0xf1ff
	v_xor_b32_e32 v34, s19, v34
	v_cmp_gt_i32_e64 s19, 0, v36
	v_not_b32_e32 v36, v37
	v_xor_b32_e32 v106, s20, v106
	v_cmp_gt_i32_e64 s20, 0, v37
	v_and_b32_e32 v34, exec_lo, v34
	v_not_b32_e32 v37, v39
	v_ashrrev_i32_e32 v36, 31, v36
	s_wait_alu 0xf1ff
	v_xor_b32_e32 v35, s19, v35
	v_cmp_gt_i32_e64 s19, 0, v39
	v_and_b32_e32 v34, v34, v106
	v_not_b32_e32 v39, v40
	v_ashrrev_i32_e32 v37, 31, v37
	v_xor_b32_e32 v36, s20, v36
	v_cmp_gt_i32_e64 s20, 0, v40
	v_and_b32_e32 v34, v34, v35
	v_not_b32_e32 v35, v105
	v_ashrrev_i32_e32 v39, 31, v39
	s_wait_alu 0xf1ff
	v_xor_b32_e32 v37, s19, v37
	v_cmp_gt_i32_e64 s19, 0, v105
	v_and_b32_e32 v34, v34, v36
	v_not_b32_e32 v36, v38
	v_ashrrev_i32_e32 v35, 31, v35
	v_xor_b32_e32 v39, s20, v39
	v_cmp_gt_i32_e64 s20, 0, v38
	v_and_b32_e32 v34, v34, v37
	v_ashrrev_i32_e32 v36, 31, v36
	s_wait_alu 0xf1ff
	v_xor_b32_e32 v35, s19, v35
	v_lshl_add_u32 v107, v33, 4, v0
	v_and_b32_e32 v34, v34, v39
	v_xor_b32_e32 v33, s20, v36
	ds_load_b32 v105, v107 offset:16
	v_and_b32_e32 v34, v34, v35
	; wave barrier
	s_delay_alu instid0(VALU_DEP_1) | instskip(NEXT) | instid1(VALU_DEP_1)
	v_and_b32_e32 v33, v34, v33
	v_mbcnt_lo_u32_b32 v106, v33, 0
	v_cmp_ne_u32_e64 s20, 0, v33
	s_delay_alu instid0(VALU_DEP_2)
	v_cmp_eq_u32_e64 s19, 0, v106
	s_and_b32 s20, s20, s19
	s_wait_alu 0xfffe
	s_and_saveexec_b32 s19, s20
	s_cbranch_execz .LBB177_81
; %bb.80:
	s_wait_dscnt 0x0
	v_bcnt_u32_b32 v33, v33, v105
	ds_store_b32 v107, v33 offset:16
.LBB177_81:
	s_wait_alu 0xfffe
	s_or_b32 exec_lo, exec_lo, s19
	v_lshrrev_b16 v33, 8, v83
	; wave barrier
	s_delay_alu instid0(VALU_DEP_1) | instskip(NEXT) | instid1(VALU_DEP_1)
	v_and_b32_e32 v33, s21, v33
	v_and_b32_e32 v34, 1, v33
	v_lshlrev_b32_e32 v35, 30, v33
	v_lshlrev_b32_e32 v36, 29, v33
	;; [unrolled: 1-line block ×4, first 2 shown]
	v_add_co_u32 v34, s19, v34, -1
	s_wait_alu 0xf1ff
	v_cndmask_b32_e64 v38, 0, 1, s19
	v_not_b32_e32 v109, v35
	v_cmp_gt_i32_e64 s20, 0, v35
	v_not_b32_e32 v35, v36
	v_lshlrev_b32_e32 v40, 26, v33
	v_cmp_ne_u32_e64 s19, 0, v38
	v_ashrrev_i32_e32 v109, 31, v109
	v_lshlrev_b32_e32 v108, 25, v33
	v_ashrrev_i32_e32 v35, 31, v35
	v_lshlrev_b32_e32 v38, 24, v33
	s_wait_alu 0xf1ff
	v_xor_b32_e32 v34, s19, v34
	v_cmp_gt_i32_e64 s19, 0, v36
	v_not_b32_e32 v36, v37
	v_xor_b32_e32 v109, s20, v109
	v_cmp_gt_i32_e64 s20, 0, v37
	v_and_b32_e32 v34, exec_lo, v34
	v_not_b32_e32 v37, v39
	v_ashrrev_i32_e32 v36, 31, v36
	s_wait_alu 0xf1ff
	v_xor_b32_e32 v35, s19, v35
	v_cmp_gt_i32_e64 s19, 0, v39
	v_and_b32_e32 v34, v34, v109
	v_not_b32_e32 v39, v40
	v_ashrrev_i32_e32 v37, 31, v37
	v_xor_b32_e32 v36, s20, v36
	v_cmp_gt_i32_e64 s20, 0, v40
	v_and_b32_e32 v34, v34, v35
	v_not_b32_e32 v35, v108
	v_ashrrev_i32_e32 v39, 31, v39
	s_wait_alu 0xf1ff
	v_xor_b32_e32 v37, s19, v37
	v_cmp_gt_i32_e64 s19, 0, v108
	v_and_b32_e32 v34, v34, v36
	v_not_b32_e32 v36, v38
	v_ashrrev_i32_e32 v35, 31, v35
	v_xor_b32_e32 v39, s20, v39
	v_cmp_gt_i32_e64 s20, 0, v38
	v_and_b32_e32 v34, v34, v37
	v_ashrrev_i32_e32 v36, 31, v36
	s_wait_alu 0xf1ff
	v_xor_b32_e32 v35, s19, v35
	v_lshl_add_u32 v109, v33, 4, v0
	v_and_b32_e32 v34, v34, v39
	v_xor_b32_e32 v33, s20, v36
	ds_load_b32 v0, v109 offset:16
	v_and_b32_e32 v34, v34, v35
	; wave barrier
	s_delay_alu instid0(VALU_DEP_1) | instskip(NEXT) | instid1(VALU_DEP_1)
	v_and_b32_e32 v33, v34, v33
	v_mbcnt_lo_u32_b32 v108, v33, 0
	v_cmp_ne_u32_e64 s20, 0, v33
	s_delay_alu instid0(VALU_DEP_2)
	v_cmp_eq_u32_e64 s19, 0, v108
	s_and_b32 s20, s20, s19
	s_wait_alu 0xfffe
	s_and_saveexec_b32 s19, s20
	s_cbranch_execz .LBB177_83
; %bb.82:
	s_wait_dscnt 0x0
	v_bcnt_u32_b32 v33, v33, v0
	ds_store_b32 v109, v33 offset:16
.LBB177_83:
	s_wait_alu 0xfffe
	s_or_b32 exec_lo, exec_lo, s19
	; wave barrier
	s_wait_loadcnt_dscnt 0x0
	s_barrier_signal -1
	s_barrier_wait -1
	global_inv scope:SCOPE_SE
	ds_load_b128 v[37:40], v65 offset:16
	ds_load_b128 v[33:36], v65 offset:32
	s_wait_dscnt 0x1
	v_add_nc_u32_e32 v110, v38, v37
	s_delay_alu instid0(VALU_DEP_1) | instskip(SKIP_1) | instid1(VALU_DEP_1)
	v_add3_u32 v110, v110, v39, v40
	s_wait_dscnt 0x0
	v_add3_u32 v110, v110, v33, v34
	s_delay_alu instid0(VALU_DEP_1) | instskip(NEXT) | instid1(VALU_DEP_1)
	v_add3_u32 v36, v110, v35, v36
	v_mov_b32_dpp v110, v36 row_shr:1 row_mask:0xf bank_mask:0xf
	s_delay_alu instid0(VALU_DEP_1) | instskip(NEXT) | instid1(VALU_DEP_1)
	v_cndmask_b32_e64 v110, v110, 0, s0
	v_add_nc_u32_e32 v36, v110, v36
	s_delay_alu instid0(VALU_DEP_1) | instskip(NEXT) | instid1(VALU_DEP_1)
	v_mov_b32_dpp v110, v36 row_shr:2 row_mask:0xf bank_mask:0xf
	v_cndmask_b32_e64 v110, 0, v110, s10
	s_delay_alu instid0(VALU_DEP_1) | instskip(NEXT) | instid1(VALU_DEP_1)
	v_add_nc_u32_e32 v36, v36, v110
	v_mov_b32_dpp v110, v36 row_shr:4 row_mask:0xf bank_mask:0xf
	s_delay_alu instid0(VALU_DEP_1) | instskip(NEXT) | instid1(VALU_DEP_1)
	v_cndmask_b32_e64 v110, 0, v110, s11
	v_add_nc_u32_e32 v36, v36, v110
	s_delay_alu instid0(VALU_DEP_1) | instskip(NEXT) | instid1(VALU_DEP_1)
	v_mov_b32_dpp v110, v36 row_shr:8 row_mask:0xf bank_mask:0xf
	v_cndmask_b32_e64 v110, 0, v110, s13
	s_delay_alu instid0(VALU_DEP_1) | instskip(SKIP_3) | instid1(VALU_DEP_1)
	v_add_nc_u32_e32 v36, v36, v110
	ds_swizzle_b32 v110, v36 offset:swizzle(BROADCAST,32,15)
	s_wait_dscnt 0x0
	v_cndmask_b32_e64 v110, v110, 0, s16
	v_add_nc_u32_e32 v36, v36, v110
	s_and_saveexec_b32 s0, s14
; %bb.84:
	ds_store_b32 v84, v36
; %bb.85:
	s_wait_alu 0xfffe
	s_or_b32 exec_lo, exec_lo, s0
	s_wait_loadcnt_dscnt 0x0
	s_barrier_signal -1
	s_barrier_wait -1
	global_inv scope:SCOPE_SE
	s_and_saveexec_b32 s0, s15
	s_cbranch_execz .LBB177_87
; %bb.86:
	ds_load_b32 v84, v85
	s_wait_dscnt 0x0
	v_mov_b32_dpp v110, v84 row_shr:1 row_mask:0xf bank_mask:0xf
	s_delay_alu instid0(VALU_DEP_1) | instskip(NEXT) | instid1(VALU_DEP_1)
	v_cndmask_b32_e64 v110, v110, 0, s12
	v_add_nc_u32_e32 v84, v110, v84
	s_delay_alu instid0(VALU_DEP_1) | instskip(NEXT) | instid1(VALU_DEP_1)
	v_mov_b32_dpp v110, v84 row_shr:2 row_mask:0xf bank_mask:0xf
	v_cndmask_b32_e64 v110, 0, v110, s1
	s_delay_alu instid0(VALU_DEP_1)
	v_add_nc_u32_e32 v84, v84, v110
	ds_store_b32 v85, v84
.LBB177_87:
	s_wait_alu 0xfffe
	s_or_b32 exec_lo, exec_lo, s0
	v_mov_b32_e32 v84, 0
	s_wait_loadcnt_dscnt 0x0
	s_barrier_signal -1
	s_barrier_wait -1
	global_inv scope:SCOPE_SE
	s_and_saveexec_b32 s0, s17
; %bb.88:
	ds_load_b32 v84, v86
; %bb.89:
	s_wait_alu 0xfffe
	s_or_b32 exec_lo, exec_lo, s0
	s_wait_dscnt 0x0
	v_add_nc_u32_e32 v36, v84, v36
	ds_bpermute_b32 v36, v87, v36
	s_wait_dscnt 0x0
	v_cndmask_b32_e32 v36, v36, v84, vcc_lo
	s_delay_alu instid0(VALU_DEP_1) | instskip(NEXT) | instid1(VALU_DEP_1)
	v_cndmask_b32_e64 v36, v36, 0, s18
	v_add_nc_u32_e32 v37, v36, v37
	s_delay_alu instid0(VALU_DEP_1) | instskip(NEXT) | instid1(VALU_DEP_1)
	v_add_nc_u32_e32 v38, v37, v38
	v_add_nc_u32_e32 v39, v38, v39
	s_delay_alu instid0(VALU_DEP_1) | instskip(NEXT) | instid1(VALU_DEP_1)
	v_add_nc_u32_e32 v84, v39, v40
	;; [unrolled: 3-line block ×3, first 2 shown]
	v_add_nc_u32_e32 v87, v86, v35
	ds_store_b128 v65, v[36:39] offset:16
	ds_store_b128 v65, v[84:87] offset:32
	s_wait_loadcnt_dscnt 0x0
	s_barrier_signal -1
	s_barrier_wait -1
	global_inv scope:SCOPE_SE
	ds_load_b32 v33, v109 offset:16
	ds_load_b32 v34, v107 offset:16
	;; [unrolled: 1-line block ×8, first 2 shown]
	v_lshlrev_b32_e32 v84, 1, v64
	s_wait_loadcnt_dscnt 0x0
	s_barrier_signal -1
	s_barrier_wait -1
	global_inv scope:SCOPE_SE
	v_mad_u32_u24 v85, v41, 48, v84
	v_add3_u32 v86, v108, v0, v33
	v_add3_u32 v87, v106, v105, v34
	;; [unrolled: 1-line block ×3, first 2 shown]
	v_add_nc_u32_e32 v88, v36, v88
	v_add3_u32 v90, v91, v90, v37
	v_add3_u32 v91, v94, v93, v38
	;; [unrolled: 1-line block ×4, first 2 shown]
	v_lshlrev_b32_e32 v0, 1, v88
	v_lshlrev_b32_e32 v33, 1, v90
	;; [unrolled: 1-line block ×8, first 2 shown]
	ds_store_b16 v0, v76
	ds_store_b16 v33, v77
	;; [unrolled: 1-line block ×8, first 2 shown]
	v_mad_co_u64_u32 v[76:77], null, v88, 6, v[0:1]
	v_mad_co_u64_u32 v[77:78], null, v90, 6, v[33:34]
	;; [unrolled: 1-line block ×5, first 2 shown]
	s_wait_loadcnt_dscnt 0x0
	s_barrier_signal -1
	s_barrier_wait -1
	global_inv scope:SCOPE_SE
	v_mad_co_u64_u32 v[81:82], null, v89, 6, v[37:38]
	ds_load_b128 v[33:36], v84
	v_mad_co_u64_u32 v[37:38], null, v87, 6, v[38:39]
	v_mad_co_u64_u32 v[38:39], null, v86, 6, v[39:40]
	s_wait_loadcnt_dscnt 0x0
	s_barrier_signal -1
	s_barrier_wait -1
	global_inv scope:SCOPE_SE
	ds_store_b64 v76, v[21:22]
	ds_store_b64 v77, v[23:24]
	ds_store_b64 v78, v[29:30]
	ds_store_b64 v79, v[31:32]
	ds_store_b64 v80, v[25:26]
	ds_store_b64 v81, v[27:28]
	ds_store_b64 v37, v[17:18]
	ds_store_b64 v38, v[19:20]
	s_wait_loadcnt_dscnt 0x0
	s_barrier_signal -1
	s_barrier_wait -1
	global_inv scope:SCOPE_SE
	ds_load_b128 v[29:32], v85
	ds_load_b128 v[25:28], v85 offset:16
	ds_load_b128 v[21:24], v85 offset:32
	ds_load_b128 v[17:20], v85 offset:48
	v_xor_b32_e32 v0, 0x80008000, v33
	v_xor_b32_e32 v34, 0x80008000, v34
	;; [unrolled: 1-line block ×4, first 2 shown]
	s_branch .LBB177_142
.LBB177_90:
	v_mad_co_u64_u32 v[2:3], null, s28, v41, 0
	v_dual_mov_b32 v14, v1 :: v_dual_mov_b32 v15, v1
	v_mov_b32_e32 v16, v1
	v_dual_mov_b32 v6, v1 :: v_dual_mov_b32 v7, v1
	v_dual_mov_b32 v8, v1 :: v_dual_mov_b32 v9, v1
	v_mad_co_u64_u32 v[3:4], null, s29, v41, v[3:4]
	v_dual_mov_b32 v4, v1 :: v_dual_mov_b32 v5, v1
	v_dual_mov_b32 v10, v1 :: v_dual_mov_b32 v13, v1
	s_delay_alu instid0(VALU_DEP_3) | instskip(NEXT) | instid1(VALU_DEP_1)
	v_lshlrev_b64_e32 v[2:3], 3, v[2:3]
	v_add_co_u32 v2, vcc_lo, s34, v2
	s_wait_alu 0xfffd
	s_delay_alu instid0(VALU_DEP_2)
	v_add_co_ci_u32_e64 v3, null, s35, v3, vcc_lo
	global_load_b64 v[11:12], v[2:3], off
	v_dual_mov_b32 v2, v1 :: v_dual_mov_b32 v3, v1
	s_or_b32 exec_lo, exec_lo, s0
	s_and_saveexec_b32 s0, s3
	s_cbranch_execz .LBB177_36
.LBB177_91:
	v_mad_co_u64_u32 v[1:2], null, s28, v17, 0
	s_delay_alu instid0(VALU_DEP_1) | instskip(NEXT) | instid1(VALU_DEP_1)
	v_mad_co_u64_u32 v[24:25], null, s29, v17, v[2:3]
	v_mov_b32_e32 v2, v24
	s_delay_alu instid0(VALU_DEP_1) | instskip(NEXT) | instid1(VALU_DEP_1)
	v_lshlrev_b64_e32 v[1:2], 3, v[1:2]
	v_add_co_u32 v1, vcc_lo, s34, v1
	s_wait_alu 0xfffd
	s_delay_alu instid0(VALU_DEP_2)
	v_add_co_ci_u32_e64 v2, null, s35, v2, vcc_lo
	global_load_b64 v[1:2], v[1:2], off
	s_or_b32 exec_lo, exec_lo, s0
	s_and_saveexec_b32 s0, s4
	s_cbranch_execz .LBB177_37
.LBB177_92:
	v_mad_co_u64_u32 v[13:14], null, s28, v18, 0
	s_delay_alu instid0(VALU_DEP_1) | instskip(NEXT) | instid1(VALU_DEP_1)
	v_mad_co_u64_u32 v[24:25], null, s29, v18, v[14:15]
	v_mov_b32_e32 v14, v24
	s_delay_alu instid0(VALU_DEP_1) | instskip(NEXT) | instid1(VALU_DEP_1)
	v_lshlrev_b64_e32 v[13:14], 3, v[13:14]
	v_add_co_u32 v13, vcc_lo, s34, v13
	s_wait_alu 0xfffd
	s_delay_alu instid0(VALU_DEP_2)
	v_add_co_ci_u32_e64 v14, null, s35, v14, vcc_lo
	global_load_b64 v[13:14], v[13:14], off
	s_or_b32 exec_lo, exec_lo, s0
	s_and_saveexec_b32 s0, s5
	s_cbranch_execz .LBB177_38
.LBB177_93:
	v_mad_co_u64_u32 v[15:16], null, s28, v19, 0
	s_delay_alu instid0(VALU_DEP_1) | instskip(NEXT) | instid1(VALU_DEP_1)
	v_mad_co_u64_u32 v[24:25], null, s29, v19, v[16:17]
	v_mov_b32_e32 v16, v24
	s_delay_alu instid0(VALU_DEP_1) | instskip(NEXT) | instid1(VALU_DEP_1)
	v_lshlrev_b64_e32 v[15:16], 3, v[15:16]
	v_add_co_u32 v15, vcc_lo, s34, v15
	s_wait_alu 0xfffd
	s_delay_alu instid0(VALU_DEP_2)
	v_add_co_ci_u32_e64 v16, null, s35, v16, vcc_lo
	global_load_b64 v[15:16], v[15:16], off
	s_or_b32 exec_lo, exec_lo, s0
	s_and_saveexec_b32 s0, s6
	s_cbranch_execz .LBB177_39
.LBB177_94:
	v_mad_co_u64_u32 v[3:4], null, s28, v20, 0
	s_delay_alu instid0(VALU_DEP_1) | instskip(NEXT) | instid1(VALU_DEP_1)
	v_mad_co_u64_u32 v[24:25], null, s29, v20, v[4:5]
	v_mov_b32_e32 v4, v24
	s_delay_alu instid0(VALU_DEP_1) | instskip(NEXT) | instid1(VALU_DEP_1)
	v_lshlrev_b64_e32 v[3:4], 3, v[3:4]
	v_add_co_u32 v3, vcc_lo, s34, v3
	s_wait_alu 0xfffd
	s_delay_alu instid0(VALU_DEP_2)
	v_add_co_ci_u32_e64 v4, null, s35, v4, vcc_lo
	global_load_b64 v[3:4], v[3:4], off
	s_or_b32 exec_lo, exec_lo, s0
	s_and_saveexec_b32 s0, s7
	s_cbranch_execz .LBB177_40
.LBB177_95:
	v_mad_co_u64_u32 v[5:6], null, s28, v21, 0
	s_delay_alu instid0(VALU_DEP_1) | instskip(NEXT) | instid1(VALU_DEP_1)
	v_mad_co_u64_u32 v[24:25], null, s29, v21, v[6:7]
	v_mov_b32_e32 v6, v24
	s_delay_alu instid0(VALU_DEP_1) | instskip(NEXT) | instid1(VALU_DEP_1)
	v_lshlrev_b64_e32 v[5:6], 3, v[5:6]
	v_add_co_u32 v5, vcc_lo, s34, v5
	s_wait_alu 0xfffd
	s_delay_alu instid0(VALU_DEP_2)
	v_add_co_ci_u32_e64 v6, null, s35, v6, vcc_lo
	global_load_b64 v[5:6], v[5:6], off
	s_or_b32 exec_lo, exec_lo, s0
	s_and_saveexec_b32 s0, s8
	s_cbranch_execnz .LBB177_41
	s_branch .LBB177_42
.LBB177_96:
                                        ; implicit-def: $vgpr33
                                        ; implicit-def: $vgpr34
                                        ; implicit-def: $vgpr0
                                        ; implicit-def: $vgpr19_vgpr20
                                        ; implicit-def: $vgpr23_vgpr24
                                        ; implicit-def: $vgpr27_vgpr28
                                        ; implicit-def: $vgpr31_vgpr32
                                        ; implicit-def: $vgpr35
	s_and_b32 vcc_lo, exec_lo, s0
	s_wait_alu 0xfffe
	s_cbranch_vccz .LBB177_142
; %bb.97:
	s_wait_dscnt 0x0
	v_xor_b32_e32 v17, 0x7fff7fff, v44
	v_xor_b32_e32 v18, 0x7fff7fff, v45
	v_xor_b32_e32 v19, 0x7fff7fff, v42
	v_xor_b32_e32 v20, 0x7fff7fff, v43
	s_getpc_b64 s[0:1]
	s_sext_i32_i16 s1, s1
	s_add_co_u32 s0, s0, _ZN7rocprim17ROCPRIM_400000_NS16block_radix_sortIsLj128ELj8ElLj1ELj1ELj0ELNS0_26block_radix_rank_algorithmE1ELNS0_18block_padding_hintE2ELNS0_4arch9wavefront6targetE0EE19radix_bits_per_passE@rel32@lo+8
	s_add_co_ci_u32 s1, s1, _ZN7rocprim17ROCPRIM_400000_NS16block_radix_sortIsLj128ELj8ElLj1ELj1ELj0ELNS0_26block_radix_rank_algorithmE1ELNS0_18block_padding_hintE2ELNS0_4arch9wavefront6targetE0EE19radix_bits_per_passE@rel32@hi+16
	s_mov_b32 s12, 0
	s_load_b32 s19, s[0:1], 0x0
	s_mov_b32 s13, s12
	ds_store_b128 v75, v[17:20]
	; wave barrier
	ds_load_u16 v25, v66
	s_mov_b32 s14, s12
	s_mov_b32 s15, s12
	v_mad_u32_u24 v0, v74, 6, v75
	ds_load_u16 v26, v66 offset:64
	ds_load_u16 v27, v66 offset:128
	;; [unrolled: 1-line block ×7, first 2 shown]
	s_wait_loadcnt_dscnt 0x0
	s_barrier_signal -1
	s_barrier_wait -1
	global_inv scope:SCOPE_SE
	ds_store_b128 v0, v[5:8]
	ds_store_b128 v0, v[1:4] offset:16
	ds_store_b128 v0, v[13:16] offset:32
	;; [unrolled: 1-line block ×3, first 2 shown]
	; wave barrier
	ds_load_2addr_b64 v[4:7], v73 offset1:32
	ds_load_2addr_b64 v[0:3], v73 offset0:64 offset1:96
	ds_load_2addr_b64 v[12:15], v73 offset0:128 offset1:160
	;; [unrolled: 1-line block ×3, first 2 shown]
	s_wait_kmcnt 0x0
	s_min_u32 s0, s19, 16
	s_wait_loadcnt_dscnt 0x0
	s_lshl_b32 s0, -1, s0
	s_barrier_signal -1
	s_not_b32 s1, s0
	v_and_b32_e32 v17, 0xffff, v25
	s_barrier_wait -1
	global_inv scope:SCOPE_SE
	s_load_b32 s10, s[36:37], 0xc
	v_and_b32_e32 v23, s1, v17
	s_delay_alu instid0(VALU_DEP_1) | instskip(SKIP_3) | instid1(VALU_DEP_4)
	v_and_b32_e32 v16, 1, v23
	v_lshlrev_b32_e32 v17, 30, v23
	v_lshlrev_b32_e32 v20, 28, v23
	;; [unrolled: 1-line block ×3, first 2 shown]
	v_add_co_u32 v16, s0, v16, -1
	s_wait_alu 0xf1ff
	v_cndmask_b32_e64 v18, 0, 1, s0
	v_not_b32_e32 v19, v17
	v_cmp_gt_i32_e64 s0, 0, v17
	s_delay_alu instid0(VALU_DEP_3) | instskip(SKIP_1) | instid1(VALU_DEP_4)
	v_cmp_ne_u32_e32 vcc_lo, 0, v18
	v_lshlrev_b32_e32 v18, 29, v23
	v_ashrrev_i32_e32 v17, 31, v19
	s_wait_alu 0xfffd
	v_xor_b32_e32 v16, vcc_lo, v16
	s_delay_alu instid0(VALU_DEP_3)
	v_not_b32_e32 v19, v18
	s_wait_alu 0xf1ff
	v_xor_b32_e32 v17, s0, v17
	v_cmp_gt_i32_e32 vcc_lo, 0, v18
	s_wait_kmcnt 0x0
	s_lshr_b32 s0, s10, 16
	v_and_b32_e32 v16, exec_lo, v16
	v_ashrrev_i32_e32 v18, 31, v19
	v_not_b32_e32 v19, v20
	s_and_b32 s10, s10, 0xffff
	s_delay_alu instid0(VALU_DEP_3)
	v_and_b32_e32 v16, v16, v17
	s_wait_alu 0xfffd
	v_xor_b32_e32 v17, vcc_lo, v18
	v_cmp_gt_i32_e32 vcc_lo, 0, v20
	v_ashrrev_i32_e32 v18, 31, v19
	v_not_b32_e32 v19, v21
	s_delay_alu instid0(VALU_DEP_4)
	v_and_b32_e32 v16, v16, v17
	v_lshlrev_b32_e32 v17, 26, v23
	s_wait_alu 0xfffd
	v_xor_b32_e32 v18, vcc_lo, v18
	v_cmp_gt_i32_e32 vcc_lo, 0, v21
	v_ashrrev_i32_e32 v19, 31, v19
	v_not_b32_e32 v20, v17
	s_delay_alu instid0(VALU_DEP_4)
	v_and_b32_e32 v16, v16, v18
	v_lshlrev_b32_e32 v18, 25, v23
	s_wait_alu 0xfffd
	v_xor_b32_e32 v19, vcc_lo, v19
	v_cmp_gt_i32_e32 vcc_lo, 0, v17
	v_ashrrev_i32_e32 v17, 31, v20
	v_not_b32_e32 v20, v18
	s_delay_alu instid0(VALU_DEP_4)
	v_and_b32_e32 v16, v16, v19
	v_lshlrev_b32_e32 v19, 24, v23
	s_wait_alu 0xfffd
	v_xor_b32_e32 v17, vcc_lo, v17
	v_cmp_gt_i32_e32 vcc_lo, 0, v18
	v_ashrrev_i32_e32 v18, 31, v20
	s_wait_alu 0xfffe
	v_mad_u32_u24 v20, v72, s0, v71
	v_not_b32_e32 v21, v19
	v_and_b32_e32 v16, v16, v17
	s_wait_alu 0xfffd
	v_xor_b32_e32 v17, vcc_lo, v18
	v_cmp_gt_i32_e32 vcc_lo, 0, v19
	v_ashrrev_i32_e32 v18, 31, v21
	v_mad_co_u64_u32 v[21:22], null, v20, s10, v[41:42]
	s_delay_alu instid0(VALU_DEP_4) | instskip(SKIP_1) | instid1(VALU_DEP_3)
	v_and_b32_e32 v16, v16, v17
	s_wait_alu 0xfffd
	v_xor_b32_e32 v22, vcc_lo, v18
	v_dual_mov_b32 v20, s15 :: v_dual_mov_b32 v19, s14
	v_dual_mov_b32 v18, s13 :: v_dual_mov_b32 v17, s12
	s_delay_alu instid0(VALU_DEP_3)
	v_and_b32_e32 v16, v16, v22
	v_lshrrev_b32_e32 v21, 5, v21
	ds_store_b128 v65, v[17:20] offset:16
	ds_store_b128 v65, v[17:20] offset:32
	v_mbcnt_lo_u32_b32 v37, v16, 0
	v_lshlrev_b32_e32 v24, 2, v21
	v_lshlrev_b32_e32 v17, 4, v23
	v_cmp_ne_u32_e64 s0, 0, v16
	s_wait_loadcnt_dscnt 0x0
	v_cmp_eq_u32_e32 vcc_lo, 0, v37
	s_barrier_signal -1
	v_add_nc_u32_e32 v38, v24, v17
	s_barrier_wait -1
	global_inv scope:SCOPE_SE
	s_and_b32 s10, s0, vcc_lo
	; wave barrier
	s_wait_alu 0xfffe
	s_and_saveexec_b32 s0, s10
; %bb.98:
	v_bcnt_u32_b32 v16, v16, 0
	ds_store_b32 v38, v16 offset:16
; %bb.99:
	s_wait_alu 0xfffe
	s_or_b32 exec_lo, exec_lo, s0
	v_and_b32_e32 v16, 0xffff, v26
	; wave barrier
	s_delay_alu instid0(VALU_DEP_1) | instskip(NEXT) | instid1(VALU_DEP_1)
	v_and_b32_e32 v16, s1, v16
	v_and_b32_e32 v17, 1, v16
	v_lshlrev_b32_e32 v18, 30, v16
	v_lshlrev_b32_e32 v19, 29, v16
	;; [unrolled: 1-line block ×4, first 2 shown]
	v_add_co_u32 v17, s0, v17, -1
	s_wait_alu 0xf1ff
	v_cndmask_b32_e64 v21, 0, 1, s0
	v_not_b32_e32 v34, v18
	v_cmp_gt_i32_e64 s0, 0, v18
	v_not_b32_e32 v18, v19
	v_lshlrev_b32_e32 v23, 26, v16
	v_cmp_ne_u32_e32 vcc_lo, 0, v21
	v_ashrrev_i32_e32 v34, 31, v34
	v_lshlrev_b32_e32 v33, 25, v16
	v_ashrrev_i32_e32 v18, 31, v18
	v_lshlrev_b32_e32 v21, 24, v16
	s_wait_alu 0xfffd
	v_xor_b32_e32 v17, vcc_lo, v17
	v_cmp_gt_i32_e32 vcc_lo, 0, v19
	v_not_b32_e32 v19, v20
	s_wait_alu 0xf1ff
	v_xor_b32_e32 v34, s0, v34
	v_cmp_gt_i32_e64 s0, 0, v20
	v_and_b32_e32 v17, exec_lo, v17
	v_not_b32_e32 v20, v22
	v_ashrrev_i32_e32 v19, 31, v19
	s_wait_alu 0xfffd
	v_xor_b32_e32 v18, vcc_lo, v18
	v_cmp_gt_i32_e32 vcc_lo, 0, v22
	v_and_b32_e32 v17, v17, v34
	v_not_b32_e32 v22, v23
	v_ashrrev_i32_e32 v20, 31, v20
	s_wait_alu 0xf1ff
	v_xor_b32_e32 v19, s0, v19
	v_cmp_gt_i32_e64 s0, 0, v23
	v_and_b32_e32 v17, v17, v18
	v_not_b32_e32 v18, v33
	v_ashrrev_i32_e32 v22, 31, v22
	s_wait_alu 0xfffd
	v_xor_b32_e32 v20, vcc_lo, v20
	v_cmp_gt_i32_e32 vcc_lo, 0, v33
	v_and_b32_e32 v17, v17, v19
	v_not_b32_e32 v19, v21
	v_ashrrev_i32_e32 v18, 31, v18
	s_wait_alu 0xf1ff
	v_xor_b32_e32 v22, s0, v22
	v_lshlrev_b32_e32 v16, 4, v16
	v_and_b32_e32 v17, v17, v20
	v_cmp_gt_i32_e64 s0, 0, v21
	v_ashrrev_i32_e32 v19, 31, v19
	s_wait_alu 0xfffd
	v_xor_b32_e32 v18, vcc_lo, v18
	v_add_nc_u32_e32 v42, v24, v16
	v_and_b32_e32 v17, v17, v22
	s_wait_alu 0xf1ff
	v_xor_b32_e32 v16, s0, v19
	ds_load_b32 v39, v42 offset:16
	v_and_b32_e32 v17, v17, v18
	; wave barrier
	s_delay_alu instid0(VALU_DEP_1) | instskip(NEXT) | instid1(VALU_DEP_1)
	v_and_b32_e32 v16, v17, v16
	v_mbcnt_lo_u32_b32 v40, v16, 0
	v_cmp_ne_u32_e64 s0, 0, v16
	s_delay_alu instid0(VALU_DEP_2)
	v_cmp_eq_u32_e32 vcc_lo, 0, v40
	s_and_b32 s10, s0, vcc_lo
	s_wait_alu 0xfffe
	s_and_saveexec_b32 s0, s10
	s_cbranch_execz .LBB177_101
; %bb.100:
	s_wait_dscnt 0x0
	v_bcnt_u32_b32 v16, v16, v39
	ds_store_b32 v42, v16 offset:16
.LBB177_101:
	s_wait_alu 0xfffe
	s_or_b32 exec_lo, exec_lo, s0
	v_and_b32_e32 v16, 0xffff, v27
	; wave barrier
	s_delay_alu instid0(VALU_DEP_1) | instskip(NEXT) | instid1(VALU_DEP_1)
	v_and_b32_e32 v16, s1, v16
	v_and_b32_e32 v17, 1, v16
	v_lshlrev_b32_e32 v18, 30, v16
	v_lshlrev_b32_e32 v19, 29, v16
	;; [unrolled: 1-line block ×4, first 2 shown]
	v_add_co_u32 v17, s0, v17, -1
	s_wait_alu 0xf1ff
	v_cndmask_b32_e64 v21, 0, 1, s0
	v_not_b32_e32 v34, v18
	v_cmp_gt_i32_e64 s0, 0, v18
	v_not_b32_e32 v18, v19
	v_lshlrev_b32_e32 v23, 26, v16
	v_cmp_ne_u32_e32 vcc_lo, 0, v21
	v_ashrrev_i32_e32 v34, 31, v34
	v_lshlrev_b32_e32 v33, 25, v16
	v_ashrrev_i32_e32 v18, 31, v18
	v_lshlrev_b32_e32 v21, 24, v16
	s_wait_alu 0xfffd
	v_xor_b32_e32 v17, vcc_lo, v17
	v_cmp_gt_i32_e32 vcc_lo, 0, v19
	v_not_b32_e32 v19, v20
	s_wait_alu 0xf1ff
	v_xor_b32_e32 v34, s0, v34
	v_cmp_gt_i32_e64 s0, 0, v20
	v_and_b32_e32 v17, exec_lo, v17
	v_not_b32_e32 v20, v22
	v_ashrrev_i32_e32 v19, 31, v19
	s_wait_alu 0xfffd
	v_xor_b32_e32 v18, vcc_lo, v18
	v_cmp_gt_i32_e32 vcc_lo, 0, v22
	v_and_b32_e32 v17, v17, v34
	v_not_b32_e32 v22, v23
	v_ashrrev_i32_e32 v20, 31, v20
	s_wait_alu 0xf1ff
	v_xor_b32_e32 v19, s0, v19
	v_cmp_gt_i32_e64 s0, 0, v23
	v_and_b32_e32 v17, v17, v18
	v_not_b32_e32 v18, v33
	v_ashrrev_i32_e32 v22, 31, v22
	s_wait_alu 0xfffd
	v_xor_b32_e32 v20, vcc_lo, v20
	v_cmp_gt_i32_e32 vcc_lo, 0, v33
	v_and_b32_e32 v17, v17, v19
	v_not_b32_e32 v19, v21
	v_ashrrev_i32_e32 v18, 31, v18
	s_wait_alu 0xf1ff
	v_xor_b32_e32 v22, s0, v22
	v_lshlrev_b32_e32 v16, 4, v16
	v_and_b32_e32 v17, v17, v20
	v_cmp_gt_i32_e64 s0, 0, v21
	v_ashrrev_i32_e32 v19, 31, v19
	s_wait_alu 0xfffd
	v_xor_b32_e32 v18, vcc_lo, v18
	v_add_nc_u32_e32 v45, v24, v16
	v_and_b32_e32 v17, v17, v22
	s_wait_alu 0xf1ff
	v_xor_b32_e32 v16, s0, v19
	ds_load_b32 v43, v45 offset:16
	v_and_b32_e32 v17, v17, v18
	; wave barrier
	s_delay_alu instid0(VALU_DEP_1) | instskip(NEXT) | instid1(VALU_DEP_1)
	v_and_b32_e32 v16, v17, v16
	v_mbcnt_lo_u32_b32 v44, v16, 0
	v_cmp_ne_u32_e64 s0, 0, v16
	s_delay_alu instid0(VALU_DEP_2)
	v_cmp_eq_u32_e32 vcc_lo, 0, v44
	s_and_b32 s10, s0, vcc_lo
	s_wait_alu 0xfffe
	s_and_saveexec_b32 s0, s10
	s_cbranch_execz .LBB177_103
; %bb.102:
	s_wait_dscnt 0x0
	v_bcnt_u32_b32 v16, v16, v43
	ds_store_b32 v45, v16 offset:16
.LBB177_103:
	s_wait_alu 0xfffe
	s_or_b32 exec_lo, exec_lo, s0
	v_and_b32_e32 v16, 0xffff, v28
	; wave barrier
	s_delay_alu instid0(VALU_DEP_1) | instskip(NEXT) | instid1(VALU_DEP_1)
	v_and_b32_e32 v16, s1, v16
	v_and_b32_e32 v17, 1, v16
	v_lshlrev_b32_e32 v18, 30, v16
	v_lshlrev_b32_e32 v19, 29, v16
	;; [unrolled: 1-line block ×4, first 2 shown]
	v_add_co_u32 v17, s0, v17, -1
	s_wait_alu 0xf1ff
	v_cndmask_b32_e64 v21, 0, 1, s0
	v_not_b32_e32 v34, v18
	v_cmp_gt_i32_e64 s0, 0, v18
	v_not_b32_e32 v18, v19
	v_lshlrev_b32_e32 v23, 26, v16
	v_cmp_ne_u32_e32 vcc_lo, 0, v21
	v_ashrrev_i32_e32 v34, 31, v34
	v_lshlrev_b32_e32 v33, 25, v16
	v_ashrrev_i32_e32 v18, 31, v18
	v_lshlrev_b32_e32 v21, 24, v16
	s_wait_alu 0xfffd
	v_xor_b32_e32 v17, vcc_lo, v17
	v_cmp_gt_i32_e32 vcc_lo, 0, v19
	v_not_b32_e32 v19, v20
	s_wait_alu 0xf1ff
	v_xor_b32_e32 v34, s0, v34
	v_cmp_gt_i32_e64 s0, 0, v20
	v_and_b32_e32 v17, exec_lo, v17
	v_not_b32_e32 v20, v22
	v_ashrrev_i32_e32 v19, 31, v19
	s_wait_alu 0xfffd
	v_xor_b32_e32 v18, vcc_lo, v18
	v_cmp_gt_i32_e32 vcc_lo, 0, v22
	v_and_b32_e32 v17, v17, v34
	v_not_b32_e32 v22, v23
	v_ashrrev_i32_e32 v20, 31, v20
	s_wait_alu 0xf1ff
	v_xor_b32_e32 v19, s0, v19
	v_cmp_gt_i32_e64 s0, 0, v23
	v_and_b32_e32 v17, v17, v18
	v_not_b32_e32 v18, v33
	v_ashrrev_i32_e32 v22, 31, v22
	s_wait_alu 0xfffd
	v_xor_b32_e32 v20, vcc_lo, v20
	v_cmp_gt_i32_e32 vcc_lo, 0, v33
	v_and_b32_e32 v17, v17, v19
	v_not_b32_e32 v19, v21
	v_ashrrev_i32_e32 v18, 31, v18
	s_wait_alu 0xf1ff
	v_xor_b32_e32 v22, s0, v22
	v_lshlrev_b32_e32 v16, 4, v16
	v_and_b32_e32 v17, v17, v20
	v_cmp_gt_i32_e64 s0, 0, v21
	v_ashrrev_i32_e32 v19, 31, v19
	s_wait_alu 0xfffd
	v_xor_b32_e32 v18, vcc_lo, v18
	v_add_nc_u32_e32 v73, v24, v16
	v_and_b32_e32 v17, v17, v22
	s_wait_alu 0xf1ff
	v_xor_b32_e32 v16, s0, v19
	ds_load_b32 v71, v73 offset:16
	v_and_b32_e32 v17, v17, v18
	; wave barrier
	s_delay_alu instid0(VALU_DEP_1) | instskip(NEXT) | instid1(VALU_DEP_1)
	v_and_b32_e32 v16, v17, v16
	v_mbcnt_lo_u32_b32 v72, v16, 0
	v_cmp_ne_u32_e64 s0, 0, v16
	s_delay_alu instid0(VALU_DEP_2)
	v_cmp_eq_u32_e32 vcc_lo, 0, v72
	s_and_b32 s10, s0, vcc_lo
	s_wait_alu 0xfffe
	s_and_saveexec_b32 s0, s10
	s_cbranch_execz .LBB177_105
; %bb.104:
	s_wait_dscnt 0x0
	v_bcnt_u32_b32 v16, v16, v71
	ds_store_b32 v73, v16 offset:16
.LBB177_105:
	s_wait_alu 0xfffe
	s_or_b32 exec_lo, exec_lo, s0
	v_and_b32_e32 v16, 0xffff, v29
	; wave barrier
	s_delay_alu instid0(VALU_DEP_1) | instskip(NEXT) | instid1(VALU_DEP_1)
	v_and_b32_e32 v16, s1, v16
	v_and_b32_e32 v17, 1, v16
	v_lshlrev_b32_e32 v18, 30, v16
	v_lshlrev_b32_e32 v19, 29, v16
	;; [unrolled: 1-line block ×4, first 2 shown]
	v_add_co_u32 v17, s0, v17, -1
	s_wait_alu 0xf1ff
	v_cndmask_b32_e64 v21, 0, 1, s0
	v_not_b32_e32 v34, v18
	v_cmp_gt_i32_e64 s0, 0, v18
	v_not_b32_e32 v18, v19
	v_lshlrev_b32_e32 v23, 26, v16
	v_cmp_ne_u32_e32 vcc_lo, 0, v21
	v_ashrrev_i32_e32 v34, 31, v34
	v_lshlrev_b32_e32 v33, 25, v16
	v_ashrrev_i32_e32 v18, 31, v18
	v_lshlrev_b32_e32 v21, 24, v16
	s_wait_alu 0xfffd
	v_xor_b32_e32 v17, vcc_lo, v17
	v_cmp_gt_i32_e32 vcc_lo, 0, v19
	v_not_b32_e32 v19, v20
	s_wait_alu 0xf1ff
	v_xor_b32_e32 v34, s0, v34
	v_cmp_gt_i32_e64 s0, 0, v20
	v_and_b32_e32 v17, exec_lo, v17
	v_not_b32_e32 v20, v22
	v_ashrrev_i32_e32 v19, 31, v19
	s_wait_alu 0xfffd
	v_xor_b32_e32 v18, vcc_lo, v18
	v_cmp_gt_i32_e32 vcc_lo, 0, v22
	v_and_b32_e32 v17, v17, v34
	v_not_b32_e32 v22, v23
	v_ashrrev_i32_e32 v20, 31, v20
	s_wait_alu 0xf1ff
	v_xor_b32_e32 v19, s0, v19
	v_cmp_gt_i32_e64 s0, 0, v23
	v_and_b32_e32 v17, v17, v18
	v_not_b32_e32 v18, v33
	v_ashrrev_i32_e32 v22, 31, v22
	s_wait_alu 0xfffd
	v_xor_b32_e32 v20, vcc_lo, v20
	v_cmp_gt_i32_e32 vcc_lo, 0, v33
	v_and_b32_e32 v17, v17, v19
	v_not_b32_e32 v19, v21
	v_ashrrev_i32_e32 v18, 31, v18
	s_wait_alu 0xf1ff
	v_xor_b32_e32 v22, s0, v22
	v_lshlrev_b32_e32 v16, 4, v16
	v_and_b32_e32 v17, v17, v20
	v_cmp_gt_i32_e64 s0, 0, v21
	v_ashrrev_i32_e32 v19, 31, v19
	s_wait_alu 0xfffd
	v_xor_b32_e32 v18, vcc_lo, v18
	v_add_nc_u32_e32 v76, v24, v16
	v_and_b32_e32 v17, v17, v22
	s_wait_alu 0xf1ff
	v_xor_b32_e32 v16, s0, v19
	ds_load_b32 v74, v76 offset:16
	v_and_b32_e32 v17, v17, v18
	; wave barrier
	s_delay_alu instid0(VALU_DEP_1) | instskip(NEXT) | instid1(VALU_DEP_1)
	v_and_b32_e32 v16, v17, v16
	v_mbcnt_lo_u32_b32 v75, v16, 0
	v_cmp_ne_u32_e64 s0, 0, v16
	s_delay_alu instid0(VALU_DEP_2)
	v_cmp_eq_u32_e32 vcc_lo, 0, v75
	s_and_b32 s10, s0, vcc_lo
	s_wait_alu 0xfffe
	s_and_saveexec_b32 s0, s10
	s_cbranch_execz .LBB177_107
; %bb.106:
	s_wait_dscnt 0x0
	v_bcnt_u32_b32 v16, v16, v74
	ds_store_b32 v76, v16 offset:16
.LBB177_107:
	s_wait_alu 0xfffe
	s_or_b32 exec_lo, exec_lo, s0
	v_and_b32_e32 v16, 0xffff, v30
	; wave barrier
	s_delay_alu instid0(VALU_DEP_1) | instskip(NEXT) | instid1(VALU_DEP_1)
	v_and_b32_e32 v16, s1, v16
	v_and_b32_e32 v17, 1, v16
	v_lshlrev_b32_e32 v18, 30, v16
	v_lshlrev_b32_e32 v19, 29, v16
	;; [unrolled: 1-line block ×4, first 2 shown]
	v_add_co_u32 v17, s0, v17, -1
	s_wait_alu 0xf1ff
	v_cndmask_b32_e64 v21, 0, 1, s0
	v_not_b32_e32 v34, v18
	v_cmp_gt_i32_e64 s0, 0, v18
	v_not_b32_e32 v18, v19
	v_lshlrev_b32_e32 v23, 26, v16
	v_cmp_ne_u32_e32 vcc_lo, 0, v21
	v_ashrrev_i32_e32 v34, 31, v34
	v_lshlrev_b32_e32 v33, 25, v16
	v_ashrrev_i32_e32 v18, 31, v18
	v_lshlrev_b32_e32 v21, 24, v16
	s_wait_alu 0xfffd
	v_xor_b32_e32 v17, vcc_lo, v17
	v_cmp_gt_i32_e32 vcc_lo, 0, v19
	v_not_b32_e32 v19, v20
	s_wait_alu 0xf1ff
	v_xor_b32_e32 v34, s0, v34
	v_cmp_gt_i32_e64 s0, 0, v20
	v_and_b32_e32 v17, exec_lo, v17
	v_not_b32_e32 v20, v22
	v_ashrrev_i32_e32 v19, 31, v19
	s_wait_alu 0xfffd
	v_xor_b32_e32 v18, vcc_lo, v18
	v_cmp_gt_i32_e32 vcc_lo, 0, v22
	v_and_b32_e32 v17, v17, v34
	v_not_b32_e32 v22, v23
	v_ashrrev_i32_e32 v20, 31, v20
	s_wait_alu 0xf1ff
	v_xor_b32_e32 v19, s0, v19
	v_cmp_gt_i32_e64 s0, 0, v23
	v_and_b32_e32 v17, v17, v18
	v_not_b32_e32 v18, v33
	v_ashrrev_i32_e32 v22, 31, v22
	s_wait_alu 0xfffd
	v_xor_b32_e32 v20, vcc_lo, v20
	v_cmp_gt_i32_e32 vcc_lo, 0, v33
	v_and_b32_e32 v17, v17, v19
	v_not_b32_e32 v19, v21
	v_ashrrev_i32_e32 v18, 31, v18
	s_wait_alu 0xf1ff
	v_xor_b32_e32 v22, s0, v22
	v_lshlrev_b32_e32 v16, 4, v16
	v_and_b32_e32 v17, v17, v20
	v_cmp_gt_i32_e64 s0, 0, v21
	v_ashrrev_i32_e32 v19, 31, v19
	s_wait_alu 0xfffd
	v_xor_b32_e32 v18, vcc_lo, v18
	v_add_nc_u32_e32 v79, v24, v16
	v_and_b32_e32 v17, v17, v22
	s_wait_alu 0xf1ff
	v_xor_b32_e32 v16, s0, v19
	ds_load_b32 v77, v79 offset:16
	v_and_b32_e32 v17, v17, v18
	; wave barrier
	s_delay_alu instid0(VALU_DEP_1) | instskip(NEXT) | instid1(VALU_DEP_1)
	v_and_b32_e32 v16, v17, v16
	v_mbcnt_lo_u32_b32 v78, v16, 0
	v_cmp_ne_u32_e64 s0, 0, v16
	s_delay_alu instid0(VALU_DEP_2)
	v_cmp_eq_u32_e32 vcc_lo, 0, v78
	s_and_b32 s10, s0, vcc_lo
	s_wait_alu 0xfffe
	s_and_saveexec_b32 s0, s10
	s_cbranch_execz .LBB177_109
; %bb.108:
	s_wait_dscnt 0x0
	v_bcnt_u32_b32 v16, v16, v77
	ds_store_b32 v79, v16 offset:16
.LBB177_109:
	s_wait_alu 0xfffe
	s_or_b32 exec_lo, exec_lo, s0
	v_and_b32_e32 v16, 0xffff, v31
	; wave barrier
	s_delay_alu instid0(VALU_DEP_1) | instskip(NEXT) | instid1(VALU_DEP_1)
	v_and_b32_e32 v16, s1, v16
	v_and_b32_e32 v17, 1, v16
	v_lshlrev_b32_e32 v18, 30, v16
	v_lshlrev_b32_e32 v19, 29, v16
	v_lshlrev_b32_e32 v20, 28, v16
	v_lshlrev_b32_e32 v22, 27, v16
	v_add_co_u32 v17, s0, v17, -1
	s_wait_alu 0xf1ff
	v_cndmask_b32_e64 v21, 0, 1, s0
	v_not_b32_e32 v34, v18
	v_cmp_gt_i32_e64 s0, 0, v18
	v_not_b32_e32 v18, v19
	v_lshlrev_b32_e32 v23, 26, v16
	v_cmp_ne_u32_e32 vcc_lo, 0, v21
	v_ashrrev_i32_e32 v34, 31, v34
	v_lshlrev_b32_e32 v33, 25, v16
	v_ashrrev_i32_e32 v18, 31, v18
	v_lshlrev_b32_e32 v21, 24, v16
	s_wait_alu 0xfffd
	v_xor_b32_e32 v17, vcc_lo, v17
	v_cmp_gt_i32_e32 vcc_lo, 0, v19
	v_not_b32_e32 v19, v20
	s_wait_alu 0xf1ff
	v_xor_b32_e32 v34, s0, v34
	v_cmp_gt_i32_e64 s0, 0, v20
	v_and_b32_e32 v17, exec_lo, v17
	v_not_b32_e32 v20, v22
	v_ashrrev_i32_e32 v19, 31, v19
	s_wait_alu 0xfffd
	v_xor_b32_e32 v18, vcc_lo, v18
	v_cmp_gt_i32_e32 vcc_lo, 0, v22
	v_and_b32_e32 v17, v17, v34
	v_not_b32_e32 v22, v23
	v_ashrrev_i32_e32 v20, 31, v20
	s_wait_alu 0xf1ff
	v_xor_b32_e32 v19, s0, v19
	v_cmp_gt_i32_e64 s0, 0, v23
	v_and_b32_e32 v17, v17, v18
	v_not_b32_e32 v18, v33
	v_ashrrev_i32_e32 v22, 31, v22
	s_wait_alu 0xfffd
	v_xor_b32_e32 v20, vcc_lo, v20
	v_cmp_gt_i32_e32 vcc_lo, 0, v33
	v_and_b32_e32 v17, v17, v19
	v_not_b32_e32 v19, v21
	v_ashrrev_i32_e32 v18, 31, v18
	s_wait_alu 0xf1ff
	v_xor_b32_e32 v22, s0, v22
	v_lshlrev_b32_e32 v16, 4, v16
	v_and_b32_e32 v17, v17, v20
	v_cmp_gt_i32_e64 s0, 0, v21
	v_ashrrev_i32_e32 v19, 31, v19
	s_wait_alu 0xfffd
	v_xor_b32_e32 v18, vcc_lo, v18
	v_add_nc_u32_e32 v82, v24, v16
	v_and_b32_e32 v17, v17, v22
	s_wait_alu 0xf1ff
	v_xor_b32_e32 v16, s0, v19
	ds_load_b32 v80, v82 offset:16
	v_and_b32_e32 v17, v17, v18
	; wave barrier
	s_delay_alu instid0(VALU_DEP_1) | instskip(NEXT) | instid1(VALU_DEP_1)
	v_and_b32_e32 v16, v17, v16
	v_mbcnt_lo_u32_b32 v81, v16, 0
	v_cmp_ne_u32_e64 s0, 0, v16
	s_delay_alu instid0(VALU_DEP_2)
	v_cmp_eq_u32_e32 vcc_lo, 0, v81
	s_and_b32 s10, s0, vcc_lo
	s_wait_alu 0xfffe
	s_and_saveexec_b32 s0, s10
	s_cbranch_execz .LBB177_111
; %bb.110:
	s_wait_dscnt 0x0
	v_bcnt_u32_b32 v16, v16, v80
	ds_store_b32 v82, v16 offset:16
.LBB177_111:
	s_wait_alu 0xfffe
	s_or_b32 exec_lo, exec_lo, s0
	v_and_b32_e32 v16, 0xffff, v32
	; wave barrier
	s_delay_alu instid0(VALU_DEP_1) | instskip(NEXT) | instid1(VALU_DEP_1)
	v_and_b32_e32 v16, s1, v16
	v_and_b32_e32 v17, 1, v16
	v_lshlrev_b32_e32 v18, 30, v16
	v_lshlrev_b32_e32 v19, 29, v16
	v_lshlrev_b32_e32 v20, 28, v16
	v_lshlrev_b32_e32 v22, 27, v16
	v_add_co_u32 v17, s0, v17, -1
	s_wait_alu 0xf1ff
	v_cndmask_b32_e64 v21, 0, 1, s0
	v_not_b32_e32 v34, v18
	v_cmp_gt_i32_e64 s0, 0, v18
	v_not_b32_e32 v18, v19
	v_lshlrev_b32_e32 v23, 26, v16
	v_cmp_ne_u32_e32 vcc_lo, 0, v21
	v_ashrrev_i32_e32 v34, 31, v34
	v_lshlrev_b32_e32 v33, 25, v16
	v_ashrrev_i32_e32 v18, 31, v18
	v_lshlrev_b32_e32 v21, 24, v16
	s_wait_alu 0xfffd
	v_xor_b32_e32 v17, vcc_lo, v17
	v_cmp_gt_i32_e32 vcc_lo, 0, v19
	v_not_b32_e32 v19, v20
	s_wait_alu 0xf1ff
	v_xor_b32_e32 v34, s0, v34
	v_cmp_gt_i32_e64 s0, 0, v20
	v_and_b32_e32 v17, exec_lo, v17
	v_not_b32_e32 v20, v22
	v_ashrrev_i32_e32 v19, 31, v19
	s_wait_alu 0xfffd
	v_xor_b32_e32 v18, vcc_lo, v18
	v_cmp_gt_i32_e32 vcc_lo, 0, v22
	v_and_b32_e32 v17, v17, v34
	v_not_b32_e32 v22, v23
	v_ashrrev_i32_e32 v20, 31, v20
	s_wait_alu 0xf1ff
	v_xor_b32_e32 v19, s0, v19
	v_cmp_gt_i32_e64 s0, 0, v23
	v_and_b32_e32 v17, v17, v18
	v_not_b32_e32 v18, v33
	v_ashrrev_i32_e32 v22, 31, v22
	s_wait_alu 0xfffd
	v_xor_b32_e32 v20, vcc_lo, v20
	v_cmp_gt_i32_e32 vcc_lo, 0, v33
	v_and_b32_e32 v17, v17, v19
	v_not_b32_e32 v19, v21
	v_ashrrev_i32_e32 v18, 31, v18
	s_wait_alu 0xf1ff
	v_xor_b32_e32 v22, s0, v22
	v_lshlrev_b32_e32 v16, 4, v16
	v_and_b32_e32 v17, v17, v20
	v_cmp_gt_i32_e64 s0, 0, v21
	v_ashrrev_i32_e32 v19, 31, v19
	s_wait_alu 0xfffd
	v_xor_b32_e32 v18, vcc_lo, v18
	v_add_nc_u32_e32 v85, v24, v16
	v_and_b32_e32 v17, v17, v22
	v_min_u32_e32 v33, 0x60, v70
	s_wait_alu 0xf1ff
	v_xor_b32_e32 v16, s0, v19
	ds_load_b32 v83, v85 offset:16
	v_and_b32_e32 v17, v17, v18
	; wave barrier
	s_delay_alu instid0(VALU_DEP_1) | instskip(NEXT) | instid1(VALU_DEP_1)
	v_and_b32_e32 v16, v17, v16
	v_mbcnt_lo_u32_b32 v84, v16, 0
	v_cmp_ne_u32_e64 s0, 0, v16
	s_delay_alu instid0(VALU_DEP_2)
	v_cmp_eq_u32_e32 vcc_lo, 0, v84
	s_and_b32 s1, s0, vcc_lo
	s_wait_alu 0xfffe
	s_and_saveexec_b32 s0, s1
	s_cbranch_execz .LBB177_113
; %bb.112:
	s_wait_dscnt 0x0
	v_bcnt_u32_b32 v16, v16, v83
	ds_store_b32 v85, v16 offset:16
.LBB177_113:
	s_wait_alu 0xfffe
	s_or_b32 exec_lo, exec_lo, s0
	; wave barrier
	s_wait_loadcnt_dscnt 0x0
	s_barrier_signal -1
	s_barrier_wait -1
	global_inv scope:SCOPE_SE
	ds_load_b128 v[20:23], v65 offset:16
	ds_load_b128 v[16:19], v65 offset:32
	v_and_b32_e32 v36, 16, v68
	v_or_b32_e32 v33, 31, v33
	s_delay_alu instid0(VALU_DEP_2) | instskip(NEXT) | instid1(VALU_DEP_2)
	v_cmp_eq_u32_e64 s16, 0, v36
	v_cmp_eq_u32_e64 s14, v41, v33
	v_lshlrev_b32_e32 v33, 2, v67
	s_wait_dscnt 0x1
	v_add_nc_u32_e32 v34, v21, v20
	s_delay_alu instid0(VALU_DEP_1) | instskip(SKIP_1) | instid1(VALU_DEP_1)
	v_add3_u32 v34, v34, v22, v23
	s_wait_dscnt 0x0
	v_add3_u32 v34, v34, v16, v17
	s_delay_alu instid0(VALU_DEP_1) | instskip(SKIP_1) | instid1(VALU_DEP_2)
	v_add3_u32 v19, v34, v18, v19
	v_and_b32_e32 v34, 15, v68
	v_mov_b32_dpp v35, v19 row_shr:1 row_mask:0xf bank_mask:0xf
	s_delay_alu instid0(VALU_DEP_2)
	v_cmp_eq_u32_e64 s0, 0, v34
	v_cmp_lt_u32_e64 s10, 1, v34
	v_cmp_lt_u32_e64 s11, 3, v34
	;; [unrolled: 1-line block ×3, first 2 shown]
	s_wait_alu 0xf1ff
	v_cndmask_b32_e64 v35, v35, 0, s0
	s_delay_alu instid0(VALU_DEP_1) | instskip(NEXT) | instid1(VALU_DEP_1)
	v_add_nc_u32_e32 v19, v35, v19
	v_mov_b32_dpp v35, v19 row_shr:2 row_mask:0xf bank_mask:0xf
	s_delay_alu instid0(VALU_DEP_1) | instskip(NEXT) | instid1(VALU_DEP_1)
	v_cndmask_b32_e64 v35, 0, v35, s10
	v_add_nc_u32_e32 v19, v19, v35
	s_delay_alu instid0(VALU_DEP_1) | instskip(NEXT) | instid1(VALU_DEP_1)
	v_mov_b32_dpp v35, v19 row_shr:4 row_mask:0xf bank_mask:0xf
	v_cndmask_b32_e64 v35, 0, v35, s11
	s_delay_alu instid0(VALU_DEP_1) | instskip(NEXT) | instid1(VALU_DEP_1)
	v_add_nc_u32_e32 v19, v19, v35
	v_mov_b32_dpp v35, v19 row_shr:8 row_mask:0xf bank_mask:0xf
	s_delay_alu instid0(VALU_DEP_1) | instskip(SKIP_1) | instid1(VALU_DEP_2)
	v_cndmask_b32_e64 v34, 0, v35, s13
	v_bfe_i32 v35, v68, 4, 1
	v_add_nc_u32_e32 v34, v19, v34
	ds_swizzle_b32 v19, v34 offset:swizzle(BROADCAST,32,15)
	s_wait_dscnt 0x0
	v_and_b32_e32 v35, v35, v19
	v_mul_i32_i24_e32 v19, 0xffffffe4, v41
	s_delay_alu instid0(VALU_DEP_2)
	v_add_nc_u32_e32 v36, v34, v35
	s_and_saveexec_b32 s1, s14
; %bb.114:
	ds_store_b32 v33, v36
; %bb.115:
	s_wait_alu 0xfffe
	s_or_b32 exec_lo, exec_lo, s1
	v_and_b32_e32 v34, 3, v68
	v_cmp_gt_u32_e64 s15, 4, v41
	s_wait_loadcnt_dscnt 0x0
	s_barrier_signal -1
	s_barrier_wait -1
	v_cmp_eq_u32_e64 s12, 0, v34
	v_cmp_lt_u32_e64 s1, 1, v34
	v_add_nc_u32_e32 v34, v65, v19
	global_inv scope:SCOPE_SE
	s_and_saveexec_b32 s17, s15
	s_cbranch_execz .LBB177_117
; %bb.116:
	ds_load_b32 v19, v34
	s_wait_dscnt 0x0
	v_mov_b32_dpp v35, v19 row_shr:1 row_mask:0xf bank_mask:0xf
	s_delay_alu instid0(VALU_DEP_1) | instskip(NEXT) | instid1(VALU_DEP_1)
	v_cndmask_b32_e64 v35, v35, 0, s12
	v_add_nc_u32_e32 v19, v35, v19
	s_delay_alu instid0(VALU_DEP_1) | instskip(NEXT) | instid1(VALU_DEP_1)
	v_mov_b32_dpp v35, v19 row_shr:2 row_mask:0xf bank_mask:0xf
	v_cndmask_b32_e64 v35, 0, v35, s1
	s_delay_alu instid0(VALU_DEP_1)
	v_add_nc_u32_e32 v19, v19, v35
	ds_store_b32 v34, v19
.LBB177_117:
	s_wait_alu 0xfffe
	s_or_b32 exec_lo, exec_lo, s17
	v_sub_co_u32 v67, vcc_lo, v68, 1
	v_mul_u32_u24_e32 v19, 6, v69
	v_cmp_lt_u32_e64 s17, 31, v41
	v_add_nc_u32_e32 v35, -4, v33
	v_mov_b32_e32 v69, 0
	s_wait_loadcnt_dscnt 0x0
	s_barrier_signal -1
	s_barrier_wait -1
	global_inv scope:SCOPE_SE
	s_and_saveexec_b32 s18, s17
; %bb.118:
	ds_load_b32 v69, v35
; %bb.119:
	s_wait_alu 0xfffe
	s_or_b32 exec_lo, exec_lo, s18
	v_cmp_gt_i32_e64 s18, 0, v67
	s_mov_b32 s24, 0
	s_min_u32 s19, s19, 8
	s_mov_b32 s25, s24
	s_mov_b32 s26, s24
	v_cndmask_b32_e64 v67, v67, v68, s18
	s_wait_dscnt 0x0
	v_add_nc_u32_e32 v68, v69, v36
	s_mov_b32 s27, s24
	v_cmp_eq_u32_e64 s18, 0, v41
	s_wait_alu 0xfffe
	s_lshl_b32 s19, -1, s19
	v_lshlrev_b32_e32 v36, 2, v67
	s_wait_alu 0xfffe
	s_not_b32 s21, s19
	ds_bpermute_b32 v67, v36, v68
	s_wait_dscnt 0x0
	s_wait_alu 0xfffd
	v_cndmask_b32_e32 v67, v67, v69, vcc_lo
	s_delay_alu instid0(VALU_DEP_1) | instskip(NEXT) | instid1(VALU_DEP_1)
	v_cndmask_b32_e64 v67, v67, 0, s18
	v_add_nc_u32_e32 v68, v67, v20
	s_delay_alu instid0(VALU_DEP_1) | instskip(NEXT) | instid1(VALU_DEP_1)
	v_add_nc_u32_e32 v69, v68, v21
	v_add_nc_u32_e32 v70, v69, v22
	s_delay_alu instid0(VALU_DEP_1) | instskip(NEXT) | instid1(VALU_DEP_1)
	v_add_nc_u32_e32 v20, v70, v23
	;; [unrolled: 3-line block ×3, first 2 shown]
	v_add_nc_u32_e32 v23, v22, v18
	ds_store_b128 v65, v[67:70] offset:16
	ds_store_b128 v65, v[20:23] offset:32
	s_wait_loadcnt_dscnt 0x0
	s_barrier_signal -1
	s_barrier_wait -1
	global_inv scope:SCOPE_SE
	ds_load_b32 v16, v38 offset:16
	ds_load_b32 v17, v42 offset:16
	;; [unrolled: 1-line block ×8, first 2 shown]
	v_add_nc_u32_e32 v42, v66, v19
	s_wait_loadcnt_dscnt 0x0
	s_barrier_signal -1
	s_barrier_wait -1
	global_inv scope:SCOPE_SE
	v_add_nc_u32_e32 v37, v16, v37
	v_add3_u32 v39, v40, v39, v17
	v_add3_u32 v40, v44, v43, v18
	;; [unrolled: 1-line block ×7, first 2 shown]
	v_lshlrev_b32_e32 v16, 1, v37
	v_lshlrev_b32_e32 v17, 1, v39
	;; [unrolled: 1-line block ×8, first 2 shown]
	ds_store_b16 v16, v25
	ds_store_b16 v17, v26
	;; [unrolled: 1-line block ×8, first 2 shown]
	s_wait_loadcnt_dscnt 0x0
	s_barrier_signal -1
	s_barrier_wait -1
	global_inv scope:SCOPE_SE
	ds_load_u16 v25, v66
	ds_load_u16 v26, v66 offset:64
	ds_load_u16 v27, v66 offset:128
	;; [unrolled: 1-line block ×7, first 2 shown]
	v_mad_co_u64_u32 v[37:38], null, v37, 6, v[16:17]
	v_mad_co_u64_u32 v[16:17], null, v39, 6, v[17:18]
	;; [unrolled: 1-line block ×3, first 2 shown]
	s_wait_loadcnt_dscnt 0x0
	s_barrier_signal -1
	s_barrier_wait -1
	global_inv scope:SCOPE_SE
	v_mad_co_u64_u32 v[18:19], null, v43, 6, v[19:20]
	v_lshrrev_b16 v38, 8, v25
	ds_store_b64 v37, v[4:5]
	v_mad_co_u64_u32 v[19:20], null, v44, 6, v[20:21]
	v_mad_co_u64_u32 v[20:21], null, v45, 6, v[21:22]
	v_and_b32_e32 v4, 0xffff, v38
	v_mad_co_u64_u32 v[21:22], null, v67, 6, v[22:23]
	v_mad_co_u64_u32 v[22:23], null, v68, 6, v[23:24]
	s_delay_alu instid0(VALU_DEP_3)
	v_and_b32_e32 v23, s21, v4
	ds_store_b64 v16, v[6:7]
	ds_store_b64 v17, v[0:1]
	;; [unrolled: 1-line block ×7, first 2 shown]
	v_and_b32_e32 v0, 1, v23
	v_lshlrev_b32_e32 v1, 30, v23
	v_lshlrev_b32_e32 v2, 29, v23
	;; [unrolled: 1-line block ×4, first 2 shown]
	v_add_co_u32 v0, s19, v0, -1
	s_wait_alu 0xf1ff
	v_cndmask_b32_e64 v4, 0, 1, s19
	v_not_b32_e32 v8, v1
	v_cmp_gt_i32_e64 s20, 0, v1
	v_not_b32_e32 v1, v2
	v_lshlrev_b32_e32 v6, 26, v23
	v_cmp_ne_u32_e64 s19, 0, v4
	v_ashrrev_i32_e32 v8, 31, v8
	v_lshlrev_b32_e32 v7, 25, v23
	v_ashrrev_i32_e32 v1, 31, v1
	v_lshlrev_b32_e32 v4, 24, v23
	s_wait_alu 0xf1ff
	v_xor_b32_e32 v0, s19, v0
	v_cmp_gt_i32_e64 s19, 0, v2
	v_not_b32_e32 v2, v3
	v_xor_b32_e32 v8, s20, v8
	v_cmp_gt_i32_e64 s20, 0, v3
	v_and_b32_e32 v0, exec_lo, v0
	v_not_b32_e32 v3, v5
	v_ashrrev_i32_e32 v2, 31, v2
	s_wait_alu 0xf1ff
	v_xor_b32_e32 v1, s19, v1
	v_cmp_gt_i32_e64 s19, 0, v5
	v_and_b32_e32 v0, v0, v8
	v_not_b32_e32 v5, v6
	v_ashrrev_i32_e32 v3, 31, v3
	v_xor_b32_e32 v2, s20, v2
	v_cmp_gt_i32_e64 s20, 0, v6
	v_and_b32_e32 v0, v0, v1
	v_not_b32_e32 v1, v7
	v_ashrrev_i32_e32 v5, 31, v5
	s_wait_alu 0xf1ff
	v_xor_b32_e32 v3, s19, v3
	v_cmp_gt_i32_e64 s19, 0, v7
	v_and_b32_e32 v0, v0, v2
	v_not_b32_e32 v2, v4
	v_ashrrev_i32_e32 v1, 31, v1
	v_xor_b32_e32 v5, s20, v5
	v_cmp_gt_i32_e64 s20, 0, v4
	v_and_b32_e32 v0, v0, v3
	v_ashrrev_i32_e32 v2, 31, v2
	s_wait_alu 0xf1ff
	v_xor_b32_e32 v1, s19, v1
	s_wait_loadcnt_dscnt 0x0
	s_barrier_signal -1
	v_and_b32_e32 v0, v0, v5
	v_xor_b32_e32 v16, s20, v2
	s_barrier_wait -1
	global_inv scope:SCOPE_SE
	ds_load_2addr_b64 v[4:7], v42 offset1:32
	v_and_b32_e32 v21, v0, v1
	ds_load_2addr_b64 v[12:15], v42 offset0:64 offset1:96
	ds_load_2addr_b64 v[8:11], v42 offset0:128 offset1:160
	ds_load_2addr_b64 v[0:3], v42 offset0:192 offset1:224
	v_dual_mov_b32 v17, s24 :: v_dual_mov_b32 v18, s25
	v_dual_mov_b32 v19, s26 :: v_dual_and_b32 v16, v21, v16
	v_mov_b32_e32 v20, s27
	v_lshl_add_u32 v38, v23, 4, v24
	s_wait_loadcnt_dscnt 0x0
	s_barrier_signal -1
	v_mbcnt_lo_u32_b32 v37, v16, 0
	v_cmp_ne_u32_e64 s20, 0, v16
	s_barrier_wait -1
	global_inv scope:SCOPE_SE
	ds_store_b128 v65, v[17:20] offset:16
	ds_store_b128 v65, v[17:20] offset:32
	v_cmp_eq_u32_e64 s19, 0, v37
	s_wait_loadcnt_dscnt 0x0
	s_barrier_signal -1
	s_barrier_wait -1
	global_inv scope:SCOPE_SE
	s_and_b32 s20, s20, s19
	; wave barrier
	s_wait_alu 0xfffe
	s_and_saveexec_b32 s19, s20
; %bb.120:
	v_bcnt_u32_b32 v16, v16, 0
	ds_store_b32 v38, v16 offset:16
; %bb.121:
	s_wait_alu 0xfffe
	s_or_b32 exec_lo, exec_lo, s19
	v_lshrrev_b16 v16, 8, v26
	; wave barrier
	s_delay_alu instid0(VALU_DEP_1) | instskip(NEXT) | instid1(VALU_DEP_1)
	v_and_b32_e32 v16, s21, v16
	v_and_b32_e32 v17, 1, v16
	v_lshlrev_b32_e32 v18, 30, v16
	v_lshlrev_b32_e32 v19, 29, v16
	;; [unrolled: 1-line block ×4, first 2 shown]
	v_add_co_u32 v17, s19, v17, -1
	s_wait_alu 0xf1ff
	v_cndmask_b32_e64 v21, 0, 1, s19
	v_not_b32_e32 v40, v18
	v_cmp_gt_i32_e64 s20, 0, v18
	v_not_b32_e32 v18, v19
	v_lshlrev_b32_e32 v23, 26, v16
	v_cmp_ne_u32_e64 s19, 0, v21
	v_ashrrev_i32_e32 v40, 31, v40
	v_lshlrev_b32_e32 v39, 25, v16
	v_ashrrev_i32_e32 v18, 31, v18
	v_lshlrev_b32_e32 v21, 24, v16
	s_wait_alu 0xf1ff
	v_xor_b32_e32 v17, s19, v17
	v_cmp_gt_i32_e64 s19, 0, v19
	v_not_b32_e32 v19, v20
	v_xor_b32_e32 v40, s20, v40
	v_cmp_gt_i32_e64 s20, 0, v20
	v_and_b32_e32 v17, exec_lo, v17
	v_not_b32_e32 v20, v22
	v_ashrrev_i32_e32 v19, 31, v19
	s_wait_alu 0xf1ff
	v_xor_b32_e32 v18, s19, v18
	v_cmp_gt_i32_e64 s19, 0, v22
	v_and_b32_e32 v17, v17, v40
	v_not_b32_e32 v22, v23
	v_ashrrev_i32_e32 v20, 31, v20
	v_xor_b32_e32 v19, s20, v19
	v_cmp_gt_i32_e64 s20, 0, v23
	v_and_b32_e32 v17, v17, v18
	v_not_b32_e32 v18, v39
	v_ashrrev_i32_e32 v22, 31, v22
	s_wait_alu 0xf1ff
	v_xor_b32_e32 v20, s19, v20
	v_cmp_gt_i32_e64 s19, 0, v39
	v_and_b32_e32 v17, v17, v19
	v_not_b32_e32 v19, v21
	v_ashrrev_i32_e32 v18, 31, v18
	v_xor_b32_e32 v22, s20, v22
	v_cmp_gt_i32_e64 s20, 0, v21
	v_and_b32_e32 v17, v17, v20
	v_ashrrev_i32_e32 v19, 31, v19
	s_wait_alu 0xf1ff
	v_xor_b32_e32 v18, s19, v18
	v_lshl_add_u32 v42, v16, 4, v24
	v_and_b32_e32 v17, v17, v22
	v_xor_b32_e32 v16, s20, v19
	ds_load_b32 v39, v42 offset:16
	v_and_b32_e32 v17, v17, v18
	; wave barrier
	s_delay_alu instid0(VALU_DEP_1) | instskip(NEXT) | instid1(VALU_DEP_1)
	v_and_b32_e32 v16, v17, v16
	v_mbcnt_lo_u32_b32 v40, v16, 0
	v_cmp_ne_u32_e64 s20, 0, v16
	s_delay_alu instid0(VALU_DEP_2)
	v_cmp_eq_u32_e64 s19, 0, v40
	s_and_b32 s20, s20, s19
	s_wait_alu 0xfffe
	s_and_saveexec_b32 s19, s20
	s_cbranch_execz .LBB177_123
; %bb.122:
	s_wait_dscnt 0x0
	v_bcnt_u32_b32 v16, v16, v39
	ds_store_b32 v42, v16 offset:16
.LBB177_123:
	s_wait_alu 0xfffe
	s_or_b32 exec_lo, exec_lo, s19
	v_lshrrev_b16 v16, 8, v27
	; wave barrier
	s_delay_alu instid0(VALU_DEP_1) | instskip(NEXT) | instid1(VALU_DEP_1)
	v_and_b32_e32 v16, s21, v16
	v_and_b32_e32 v17, 1, v16
	v_lshlrev_b32_e32 v18, 30, v16
	v_lshlrev_b32_e32 v19, 29, v16
	;; [unrolled: 1-line block ×4, first 2 shown]
	v_add_co_u32 v17, s19, v17, -1
	s_wait_alu 0xf1ff
	v_cndmask_b32_e64 v21, 0, 1, s19
	v_not_b32_e32 v44, v18
	v_cmp_gt_i32_e64 s20, 0, v18
	v_not_b32_e32 v18, v19
	v_lshlrev_b32_e32 v23, 26, v16
	v_cmp_ne_u32_e64 s19, 0, v21
	v_ashrrev_i32_e32 v44, 31, v44
	v_lshlrev_b32_e32 v43, 25, v16
	v_ashrrev_i32_e32 v18, 31, v18
	v_lshlrev_b32_e32 v21, 24, v16
	s_wait_alu 0xf1ff
	v_xor_b32_e32 v17, s19, v17
	v_cmp_gt_i32_e64 s19, 0, v19
	v_not_b32_e32 v19, v20
	v_xor_b32_e32 v44, s20, v44
	v_cmp_gt_i32_e64 s20, 0, v20
	v_and_b32_e32 v17, exec_lo, v17
	v_not_b32_e32 v20, v22
	v_ashrrev_i32_e32 v19, 31, v19
	s_wait_alu 0xf1ff
	v_xor_b32_e32 v18, s19, v18
	v_cmp_gt_i32_e64 s19, 0, v22
	v_and_b32_e32 v17, v17, v44
	v_not_b32_e32 v22, v23
	v_ashrrev_i32_e32 v20, 31, v20
	v_xor_b32_e32 v19, s20, v19
	v_cmp_gt_i32_e64 s20, 0, v23
	v_and_b32_e32 v17, v17, v18
	v_not_b32_e32 v18, v43
	v_ashrrev_i32_e32 v22, 31, v22
	s_wait_alu 0xf1ff
	v_xor_b32_e32 v20, s19, v20
	v_cmp_gt_i32_e64 s19, 0, v43
	v_and_b32_e32 v17, v17, v19
	v_not_b32_e32 v19, v21
	v_ashrrev_i32_e32 v18, 31, v18
	v_xor_b32_e32 v22, s20, v22
	v_cmp_gt_i32_e64 s20, 0, v21
	v_and_b32_e32 v17, v17, v20
	v_ashrrev_i32_e32 v19, 31, v19
	s_wait_alu 0xf1ff
	v_xor_b32_e32 v18, s19, v18
	v_lshl_add_u32 v45, v16, 4, v24
	v_and_b32_e32 v17, v17, v22
	v_xor_b32_e32 v16, s20, v19
	ds_load_b32 v43, v45 offset:16
	v_and_b32_e32 v17, v17, v18
	; wave barrier
	s_delay_alu instid0(VALU_DEP_1) | instskip(NEXT) | instid1(VALU_DEP_1)
	v_and_b32_e32 v16, v17, v16
	v_mbcnt_lo_u32_b32 v44, v16, 0
	v_cmp_ne_u32_e64 s20, 0, v16
	s_delay_alu instid0(VALU_DEP_2)
	v_cmp_eq_u32_e64 s19, 0, v44
	s_and_b32 s20, s20, s19
	s_wait_alu 0xfffe
	s_and_saveexec_b32 s19, s20
	s_cbranch_execz .LBB177_125
; %bb.124:
	s_wait_dscnt 0x0
	v_bcnt_u32_b32 v16, v16, v43
	ds_store_b32 v45, v16 offset:16
.LBB177_125:
	s_wait_alu 0xfffe
	s_or_b32 exec_lo, exec_lo, s19
	v_lshrrev_b16 v16, 8, v28
	; wave barrier
	s_delay_alu instid0(VALU_DEP_1) | instskip(NEXT) | instid1(VALU_DEP_1)
	v_and_b32_e32 v16, s21, v16
	v_and_b32_e32 v17, 1, v16
	v_lshlrev_b32_e32 v18, 30, v16
	v_lshlrev_b32_e32 v19, 29, v16
	;; [unrolled: 1-line block ×4, first 2 shown]
	v_add_co_u32 v17, s19, v17, -1
	s_wait_alu 0xf1ff
	v_cndmask_b32_e64 v21, 0, 1, s19
	v_not_b32_e32 v67, v18
	v_cmp_gt_i32_e64 s20, 0, v18
	v_not_b32_e32 v18, v19
	v_lshlrev_b32_e32 v23, 26, v16
	v_cmp_ne_u32_e64 s19, 0, v21
	v_ashrrev_i32_e32 v67, 31, v67
	v_lshlrev_b32_e32 v66, 25, v16
	v_ashrrev_i32_e32 v18, 31, v18
	v_lshlrev_b32_e32 v21, 24, v16
	s_wait_alu 0xf1ff
	v_xor_b32_e32 v17, s19, v17
	v_cmp_gt_i32_e64 s19, 0, v19
	v_not_b32_e32 v19, v20
	v_xor_b32_e32 v67, s20, v67
	v_cmp_gt_i32_e64 s20, 0, v20
	v_and_b32_e32 v17, exec_lo, v17
	v_not_b32_e32 v20, v22
	v_ashrrev_i32_e32 v19, 31, v19
	s_wait_alu 0xf1ff
	v_xor_b32_e32 v18, s19, v18
	v_cmp_gt_i32_e64 s19, 0, v22
	v_and_b32_e32 v17, v17, v67
	v_not_b32_e32 v22, v23
	v_ashrrev_i32_e32 v20, 31, v20
	v_xor_b32_e32 v19, s20, v19
	v_cmp_gt_i32_e64 s20, 0, v23
	v_and_b32_e32 v17, v17, v18
	v_not_b32_e32 v18, v66
	v_ashrrev_i32_e32 v22, 31, v22
	s_wait_alu 0xf1ff
	v_xor_b32_e32 v20, s19, v20
	v_cmp_gt_i32_e64 s19, 0, v66
	v_and_b32_e32 v17, v17, v19
	v_not_b32_e32 v19, v21
	v_ashrrev_i32_e32 v18, 31, v18
	v_xor_b32_e32 v22, s20, v22
	v_cmp_gt_i32_e64 s20, 0, v21
	v_and_b32_e32 v17, v17, v20
	v_ashrrev_i32_e32 v19, 31, v19
	s_wait_alu 0xf1ff
	v_xor_b32_e32 v18, s19, v18
	v_lshl_add_u32 v68, v16, 4, v24
	v_and_b32_e32 v17, v17, v22
	v_xor_b32_e32 v16, s20, v19
	ds_load_b32 v66, v68 offset:16
	v_and_b32_e32 v17, v17, v18
	; wave barrier
	s_delay_alu instid0(VALU_DEP_1) | instskip(NEXT) | instid1(VALU_DEP_1)
	v_and_b32_e32 v16, v17, v16
	v_mbcnt_lo_u32_b32 v67, v16, 0
	v_cmp_ne_u32_e64 s20, 0, v16
	s_delay_alu instid0(VALU_DEP_2)
	v_cmp_eq_u32_e64 s19, 0, v67
	s_and_b32 s20, s20, s19
	s_wait_alu 0xfffe
	s_and_saveexec_b32 s19, s20
	s_cbranch_execz .LBB177_127
; %bb.126:
	s_wait_dscnt 0x0
	v_bcnt_u32_b32 v16, v16, v66
	ds_store_b32 v68, v16 offset:16
.LBB177_127:
	s_wait_alu 0xfffe
	s_or_b32 exec_lo, exec_lo, s19
	v_lshrrev_b16 v16, 8, v29
	; wave barrier
	s_delay_alu instid0(VALU_DEP_1) | instskip(NEXT) | instid1(VALU_DEP_1)
	v_and_b32_e32 v16, s21, v16
	v_and_b32_e32 v17, 1, v16
	v_lshlrev_b32_e32 v18, 30, v16
	v_lshlrev_b32_e32 v19, 29, v16
	;; [unrolled: 1-line block ×4, first 2 shown]
	v_add_co_u32 v17, s19, v17, -1
	s_wait_alu 0xf1ff
	v_cndmask_b32_e64 v21, 0, 1, s19
	v_not_b32_e32 v70, v18
	v_cmp_gt_i32_e64 s20, 0, v18
	v_not_b32_e32 v18, v19
	v_lshlrev_b32_e32 v23, 26, v16
	v_cmp_ne_u32_e64 s19, 0, v21
	v_ashrrev_i32_e32 v70, 31, v70
	v_lshlrev_b32_e32 v69, 25, v16
	v_ashrrev_i32_e32 v18, 31, v18
	v_lshlrev_b32_e32 v21, 24, v16
	s_wait_alu 0xf1ff
	v_xor_b32_e32 v17, s19, v17
	v_cmp_gt_i32_e64 s19, 0, v19
	v_not_b32_e32 v19, v20
	v_xor_b32_e32 v70, s20, v70
	v_cmp_gt_i32_e64 s20, 0, v20
	v_and_b32_e32 v17, exec_lo, v17
	v_not_b32_e32 v20, v22
	v_ashrrev_i32_e32 v19, 31, v19
	s_wait_alu 0xf1ff
	v_xor_b32_e32 v18, s19, v18
	v_cmp_gt_i32_e64 s19, 0, v22
	v_and_b32_e32 v17, v17, v70
	v_not_b32_e32 v22, v23
	v_ashrrev_i32_e32 v20, 31, v20
	v_xor_b32_e32 v19, s20, v19
	v_cmp_gt_i32_e64 s20, 0, v23
	v_and_b32_e32 v17, v17, v18
	v_not_b32_e32 v18, v69
	v_ashrrev_i32_e32 v22, 31, v22
	s_wait_alu 0xf1ff
	v_xor_b32_e32 v20, s19, v20
	v_cmp_gt_i32_e64 s19, 0, v69
	v_and_b32_e32 v17, v17, v19
	v_not_b32_e32 v19, v21
	v_ashrrev_i32_e32 v18, 31, v18
	v_xor_b32_e32 v22, s20, v22
	v_cmp_gt_i32_e64 s20, 0, v21
	v_and_b32_e32 v17, v17, v20
	v_ashrrev_i32_e32 v19, 31, v19
	s_wait_alu 0xf1ff
	v_xor_b32_e32 v18, s19, v18
	v_lshl_add_u32 v71, v16, 4, v24
	v_and_b32_e32 v17, v17, v22
	v_xor_b32_e32 v16, s20, v19
	ds_load_b32 v69, v71 offset:16
	v_and_b32_e32 v17, v17, v18
	; wave barrier
	s_delay_alu instid0(VALU_DEP_1) | instskip(NEXT) | instid1(VALU_DEP_1)
	v_and_b32_e32 v16, v17, v16
	v_mbcnt_lo_u32_b32 v70, v16, 0
	v_cmp_ne_u32_e64 s20, 0, v16
	s_delay_alu instid0(VALU_DEP_2)
	v_cmp_eq_u32_e64 s19, 0, v70
	s_and_b32 s20, s20, s19
	s_wait_alu 0xfffe
	s_and_saveexec_b32 s19, s20
	s_cbranch_execz .LBB177_129
; %bb.128:
	s_wait_dscnt 0x0
	v_bcnt_u32_b32 v16, v16, v69
	ds_store_b32 v71, v16 offset:16
.LBB177_129:
	s_wait_alu 0xfffe
	s_or_b32 exec_lo, exec_lo, s19
	v_lshrrev_b16 v16, 8, v30
	; wave barrier
	s_delay_alu instid0(VALU_DEP_1) | instskip(NEXT) | instid1(VALU_DEP_1)
	v_and_b32_e32 v16, s21, v16
	v_and_b32_e32 v17, 1, v16
	v_lshlrev_b32_e32 v18, 30, v16
	v_lshlrev_b32_e32 v19, 29, v16
	;; [unrolled: 1-line block ×4, first 2 shown]
	v_add_co_u32 v17, s19, v17, -1
	s_wait_alu 0xf1ff
	v_cndmask_b32_e64 v21, 0, 1, s19
	v_not_b32_e32 v73, v18
	v_cmp_gt_i32_e64 s20, 0, v18
	v_not_b32_e32 v18, v19
	v_lshlrev_b32_e32 v23, 26, v16
	v_cmp_ne_u32_e64 s19, 0, v21
	v_ashrrev_i32_e32 v73, 31, v73
	v_lshlrev_b32_e32 v72, 25, v16
	v_ashrrev_i32_e32 v18, 31, v18
	v_lshlrev_b32_e32 v21, 24, v16
	s_wait_alu 0xf1ff
	v_xor_b32_e32 v17, s19, v17
	v_cmp_gt_i32_e64 s19, 0, v19
	v_not_b32_e32 v19, v20
	v_xor_b32_e32 v73, s20, v73
	v_cmp_gt_i32_e64 s20, 0, v20
	v_and_b32_e32 v17, exec_lo, v17
	v_not_b32_e32 v20, v22
	v_ashrrev_i32_e32 v19, 31, v19
	s_wait_alu 0xf1ff
	v_xor_b32_e32 v18, s19, v18
	v_cmp_gt_i32_e64 s19, 0, v22
	v_and_b32_e32 v17, v17, v73
	v_not_b32_e32 v22, v23
	v_ashrrev_i32_e32 v20, 31, v20
	v_xor_b32_e32 v19, s20, v19
	v_cmp_gt_i32_e64 s20, 0, v23
	v_and_b32_e32 v17, v17, v18
	v_not_b32_e32 v18, v72
	v_ashrrev_i32_e32 v22, 31, v22
	s_wait_alu 0xf1ff
	v_xor_b32_e32 v20, s19, v20
	v_cmp_gt_i32_e64 s19, 0, v72
	v_and_b32_e32 v17, v17, v19
	v_not_b32_e32 v19, v21
	v_ashrrev_i32_e32 v18, 31, v18
	v_xor_b32_e32 v22, s20, v22
	v_cmp_gt_i32_e64 s20, 0, v21
	v_and_b32_e32 v17, v17, v20
	v_ashrrev_i32_e32 v19, 31, v19
	s_wait_alu 0xf1ff
	v_xor_b32_e32 v18, s19, v18
	v_lshl_add_u32 v74, v16, 4, v24
	v_and_b32_e32 v17, v17, v22
	v_xor_b32_e32 v16, s20, v19
	ds_load_b32 v72, v74 offset:16
	v_and_b32_e32 v17, v17, v18
	; wave barrier
	s_delay_alu instid0(VALU_DEP_1) | instskip(NEXT) | instid1(VALU_DEP_1)
	v_and_b32_e32 v16, v17, v16
	v_mbcnt_lo_u32_b32 v73, v16, 0
	v_cmp_ne_u32_e64 s20, 0, v16
	s_delay_alu instid0(VALU_DEP_2)
	v_cmp_eq_u32_e64 s19, 0, v73
	s_and_b32 s20, s20, s19
	s_wait_alu 0xfffe
	s_and_saveexec_b32 s19, s20
	s_cbranch_execz .LBB177_131
; %bb.130:
	s_wait_dscnt 0x0
	v_bcnt_u32_b32 v16, v16, v72
	ds_store_b32 v74, v16 offset:16
.LBB177_131:
	s_wait_alu 0xfffe
	s_or_b32 exec_lo, exec_lo, s19
	v_lshrrev_b16 v16, 8, v31
	; wave barrier
	s_delay_alu instid0(VALU_DEP_1) | instskip(NEXT) | instid1(VALU_DEP_1)
	v_and_b32_e32 v16, s21, v16
	v_and_b32_e32 v17, 1, v16
	v_lshlrev_b32_e32 v18, 30, v16
	v_lshlrev_b32_e32 v19, 29, v16
	;; [unrolled: 1-line block ×4, first 2 shown]
	v_add_co_u32 v17, s19, v17, -1
	s_wait_alu 0xf1ff
	v_cndmask_b32_e64 v21, 0, 1, s19
	v_not_b32_e32 v76, v18
	v_cmp_gt_i32_e64 s20, 0, v18
	v_not_b32_e32 v18, v19
	v_lshlrev_b32_e32 v23, 26, v16
	v_cmp_ne_u32_e64 s19, 0, v21
	v_ashrrev_i32_e32 v76, 31, v76
	v_lshlrev_b32_e32 v75, 25, v16
	v_ashrrev_i32_e32 v18, 31, v18
	v_lshlrev_b32_e32 v21, 24, v16
	s_wait_alu 0xf1ff
	v_xor_b32_e32 v17, s19, v17
	v_cmp_gt_i32_e64 s19, 0, v19
	v_not_b32_e32 v19, v20
	v_xor_b32_e32 v76, s20, v76
	v_cmp_gt_i32_e64 s20, 0, v20
	v_and_b32_e32 v17, exec_lo, v17
	v_not_b32_e32 v20, v22
	v_ashrrev_i32_e32 v19, 31, v19
	s_wait_alu 0xf1ff
	v_xor_b32_e32 v18, s19, v18
	v_cmp_gt_i32_e64 s19, 0, v22
	v_and_b32_e32 v17, v17, v76
	v_not_b32_e32 v22, v23
	v_ashrrev_i32_e32 v20, 31, v20
	v_xor_b32_e32 v19, s20, v19
	v_cmp_gt_i32_e64 s20, 0, v23
	v_and_b32_e32 v17, v17, v18
	v_not_b32_e32 v18, v75
	v_ashrrev_i32_e32 v22, 31, v22
	s_wait_alu 0xf1ff
	v_xor_b32_e32 v20, s19, v20
	v_cmp_gt_i32_e64 s19, 0, v75
	v_and_b32_e32 v17, v17, v19
	v_not_b32_e32 v19, v21
	v_ashrrev_i32_e32 v18, 31, v18
	v_xor_b32_e32 v22, s20, v22
	v_cmp_gt_i32_e64 s20, 0, v21
	v_and_b32_e32 v17, v17, v20
	v_ashrrev_i32_e32 v19, 31, v19
	s_wait_alu 0xf1ff
	v_xor_b32_e32 v18, s19, v18
	v_lshl_add_u32 v77, v16, 4, v24
	v_and_b32_e32 v17, v17, v22
	v_xor_b32_e32 v16, s20, v19
	ds_load_b32 v75, v77 offset:16
	v_and_b32_e32 v17, v17, v18
	; wave barrier
	s_delay_alu instid0(VALU_DEP_1) | instskip(NEXT) | instid1(VALU_DEP_1)
	v_and_b32_e32 v16, v17, v16
	v_mbcnt_lo_u32_b32 v76, v16, 0
	v_cmp_ne_u32_e64 s20, 0, v16
	s_delay_alu instid0(VALU_DEP_2)
	v_cmp_eq_u32_e64 s19, 0, v76
	s_and_b32 s20, s20, s19
	s_wait_alu 0xfffe
	s_and_saveexec_b32 s19, s20
	s_cbranch_execz .LBB177_133
; %bb.132:
	s_wait_dscnt 0x0
	v_bcnt_u32_b32 v16, v16, v75
	ds_store_b32 v77, v16 offset:16
.LBB177_133:
	s_wait_alu 0xfffe
	s_or_b32 exec_lo, exec_lo, s19
	v_lshrrev_b16 v16, 8, v32
	; wave barrier
	s_delay_alu instid0(VALU_DEP_1) | instskip(NEXT) | instid1(VALU_DEP_1)
	v_and_b32_e32 v16, s21, v16
	v_and_b32_e32 v17, 1, v16
	v_lshlrev_b32_e32 v18, 30, v16
	v_lshlrev_b32_e32 v19, 29, v16
	;; [unrolled: 1-line block ×4, first 2 shown]
	v_add_co_u32 v17, s19, v17, -1
	s_wait_alu 0xf1ff
	v_cndmask_b32_e64 v21, 0, 1, s19
	v_not_b32_e32 v79, v18
	v_cmp_gt_i32_e64 s20, 0, v18
	v_not_b32_e32 v18, v19
	v_lshlrev_b32_e32 v23, 26, v16
	v_cmp_ne_u32_e64 s19, 0, v21
	v_ashrrev_i32_e32 v79, 31, v79
	v_lshlrev_b32_e32 v78, 25, v16
	v_ashrrev_i32_e32 v18, 31, v18
	v_lshlrev_b32_e32 v21, 24, v16
	s_wait_alu 0xf1ff
	v_xor_b32_e32 v17, s19, v17
	v_cmp_gt_i32_e64 s19, 0, v19
	v_not_b32_e32 v19, v20
	v_xor_b32_e32 v79, s20, v79
	v_cmp_gt_i32_e64 s20, 0, v20
	v_and_b32_e32 v17, exec_lo, v17
	v_not_b32_e32 v20, v22
	v_ashrrev_i32_e32 v19, 31, v19
	s_wait_alu 0xf1ff
	v_xor_b32_e32 v18, s19, v18
	v_cmp_gt_i32_e64 s19, 0, v22
	v_and_b32_e32 v17, v17, v79
	v_not_b32_e32 v22, v23
	v_ashrrev_i32_e32 v20, 31, v20
	v_xor_b32_e32 v19, s20, v19
	v_cmp_gt_i32_e64 s20, 0, v23
	v_and_b32_e32 v17, v17, v18
	v_not_b32_e32 v18, v78
	v_ashrrev_i32_e32 v22, 31, v22
	s_wait_alu 0xf1ff
	v_xor_b32_e32 v20, s19, v20
	v_cmp_gt_i32_e64 s19, 0, v78
	v_and_b32_e32 v17, v17, v19
	v_not_b32_e32 v19, v21
	v_ashrrev_i32_e32 v18, 31, v18
	v_xor_b32_e32 v22, s20, v22
	v_cmp_gt_i32_e64 s20, 0, v21
	v_and_b32_e32 v17, v17, v20
	v_ashrrev_i32_e32 v19, 31, v19
	s_wait_alu 0xf1ff
	v_xor_b32_e32 v18, s19, v18
	v_lshl_add_u32 v79, v16, 4, v24
	v_and_b32_e32 v17, v17, v22
	v_xor_b32_e32 v16, s20, v19
	ds_load_b32 v24, v79 offset:16
	v_and_b32_e32 v17, v17, v18
	; wave barrier
	s_delay_alu instid0(VALU_DEP_1) | instskip(NEXT) | instid1(VALU_DEP_1)
	v_and_b32_e32 v16, v17, v16
	v_mbcnt_lo_u32_b32 v78, v16, 0
	v_cmp_ne_u32_e64 s20, 0, v16
	s_delay_alu instid0(VALU_DEP_2)
	v_cmp_eq_u32_e64 s19, 0, v78
	s_and_b32 s20, s20, s19
	s_wait_alu 0xfffe
	s_and_saveexec_b32 s19, s20
	s_cbranch_execz .LBB177_135
; %bb.134:
	s_wait_dscnt 0x0
	v_bcnt_u32_b32 v16, v16, v24
	ds_store_b32 v79, v16 offset:16
.LBB177_135:
	s_wait_alu 0xfffe
	s_or_b32 exec_lo, exec_lo, s19
	; wave barrier
	s_wait_loadcnt_dscnt 0x0
	s_barrier_signal -1
	s_barrier_wait -1
	global_inv scope:SCOPE_SE
	ds_load_b128 v[20:23], v65 offset:16
	ds_load_b128 v[16:19], v65 offset:32
	s_wait_dscnt 0x1
	v_add_nc_u32_e32 v80, v21, v20
	s_delay_alu instid0(VALU_DEP_1) | instskip(SKIP_1) | instid1(VALU_DEP_1)
	v_add3_u32 v80, v80, v22, v23
	s_wait_dscnt 0x0
	v_add3_u32 v80, v80, v16, v17
	s_delay_alu instid0(VALU_DEP_1) | instskip(NEXT) | instid1(VALU_DEP_1)
	v_add3_u32 v19, v80, v18, v19
	v_mov_b32_dpp v80, v19 row_shr:1 row_mask:0xf bank_mask:0xf
	s_delay_alu instid0(VALU_DEP_1) | instskip(NEXT) | instid1(VALU_DEP_1)
	v_cndmask_b32_e64 v80, v80, 0, s0
	v_add_nc_u32_e32 v19, v80, v19
	s_delay_alu instid0(VALU_DEP_1) | instskip(NEXT) | instid1(VALU_DEP_1)
	v_mov_b32_dpp v80, v19 row_shr:2 row_mask:0xf bank_mask:0xf
	v_cndmask_b32_e64 v80, 0, v80, s10
	s_delay_alu instid0(VALU_DEP_1) | instskip(NEXT) | instid1(VALU_DEP_1)
	v_add_nc_u32_e32 v19, v19, v80
	v_mov_b32_dpp v80, v19 row_shr:4 row_mask:0xf bank_mask:0xf
	s_delay_alu instid0(VALU_DEP_1) | instskip(NEXT) | instid1(VALU_DEP_1)
	v_cndmask_b32_e64 v80, 0, v80, s11
	v_add_nc_u32_e32 v19, v19, v80
	s_delay_alu instid0(VALU_DEP_1) | instskip(NEXT) | instid1(VALU_DEP_1)
	v_mov_b32_dpp v80, v19 row_shr:8 row_mask:0xf bank_mask:0xf
	v_cndmask_b32_e64 v80, 0, v80, s13
	s_delay_alu instid0(VALU_DEP_1) | instskip(SKIP_3) | instid1(VALU_DEP_1)
	v_add_nc_u32_e32 v19, v19, v80
	ds_swizzle_b32 v80, v19 offset:swizzle(BROADCAST,32,15)
	s_wait_dscnt 0x0
	v_cndmask_b32_e64 v80, v80, 0, s16
	v_add_nc_u32_e32 v19, v19, v80
	s_and_saveexec_b32 s0, s14
; %bb.136:
	ds_store_b32 v33, v19
; %bb.137:
	s_wait_alu 0xfffe
	s_or_b32 exec_lo, exec_lo, s0
	s_wait_loadcnt_dscnt 0x0
	s_barrier_signal -1
	s_barrier_wait -1
	global_inv scope:SCOPE_SE
	s_and_saveexec_b32 s0, s15
	s_cbranch_execz .LBB177_139
; %bb.138:
	ds_load_b32 v33, v34
	s_wait_dscnt 0x0
	v_mov_b32_dpp v80, v33 row_shr:1 row_mask:0xf bank_mask:0xf
	s_delay_alu instid0(VALU_DEP_1) | instskip(NEXT) | instid1(VALU_DEP_1)
	v_cndmask_b32_e64 v80, v80, 0, s12
	v_add_nc_u32_e32 v33, v80, v33
	s_delay_alu instid0(VALU_DEP_1) | instskip(NEXT) | instid1(VALU_DEP_1)
	v_mov_b32_dpp v80, v33 row_shr:2 row_mask:0xf bank_mask:0xf
	v_cndmask_b32_e64 v80, 0, v80, s1
	s_delay_alu instid0(VALU_DEP_1)
	v_add_nc_u32_e32 v33, v33, v80
	ds_store_b32 v34, v33
.LBB177_139:
	s_wait_alu 0xfffe
	s_or_b32 exec_lo, exec_lo, s0
	v_mov_b32_e32 v33, 0
	s_wait_loadcnt_dscnt 0x0
	s_barrier_signal -1
	s_barrier_wait -1
	global_inv scope:SCOPE_SE
	s_and_saveexec_b32 s0, s17
; %bb.140:
	ds_load_b32 v33, v35
; %bb.141:
	s_wait_alu 0xfffe
	s_or_b32 exec_lo, exec_lo, s0
	s_wait_dscnt 0x0
	v_add_nc_u32_e32 v19, v33, v19
	ds_bpermute_b32 v19, v36, v19
	s_wait_dscnt 0x0
	v_cndmask_b32_e32 v19, v19, v33, vcc_lo
	s_delay_alu instid0(VALU_DEP_1) | instskip(NEXT) | instid1(VALU_DEP_1)
	v_cndmask_b32_e64 v19, v19, 0, s18
	v_add_nc_u32_e32 v20, v19, v20
	s_delay_alu instid0(VALU_DEP_1) | instskip(NEXT) | instid1(VALU_DEP_1)
	v_add_nc_u32_e32 v21, v20, v21
	v_add_nc_u32_e32 v22, v21, v22
	s_delay_alu instid0(VALU_DEP_1) | instskip(NEXT) | instid1(VALU_DEP_1)
	v_add_nc_u32_e32 v33, v22, v23
	;; [unrolled: 3-line block ×3, first 2 shown]
	v_add_nc_u32_e32 v36, v35, v18
	ds_store_b128 v65, v[19:22] offset:16
	ds_store_b128 v65, v[33:36] offset:32
	s_wait_loadcnt_dscnt 0x0
	s_barrier_signal -1
	s_barrier_wait -1
	global_inv scope:SCOPE_SE
	ds_load_b32 v16, v79 offset:16
	ds_load_b32 v17, v77 offset:16
	;; [unrolled: 1-line block ×8, first 2 shown]
	v_lshlrev_b32_e32 v33, 1, v64
	s_wait_loadcnt_dscnt 0x0
	s_barrier_signal -1
	s_barrier_wait -1
	global_inv scope:SCOPE_SE
	v_mad_u32_u24 v38, v41, 48, v33
	v_add3_u32 v34, v78, v24, v16
	v_add3_u32 v35, v76, v75, v17
	;; [unrolled: 1-line block ×3, first 2 shown]
	v_add_nc_u32_e32 v24, v19, v37
	v_add3_u32 v37, v40, v39, v20
	v_add3_u32 v39, v44, v43, v21
	;; [unrolled: 1-line block ×4, first 2 shown]
	v_lshlrev_b32_e32 v16, 1, v24
	v_lshlrev_b32_e32 v17, 1, v37
	;; [unrolled: 1-line block ×8, first 2 shown]
	ds_store_b16 v16, v25
	ds_store_b16 v17, v26
	;; [unrolled: 1-line block ×8, first 2 shown]
	v_mad_co_u64_u32 v[24:25], null, v24, 6, v[16:17]
	v_mad_co_u64_u32 v[16:17], null, v37, 6, v[17:18]
	;; [unrolled: 1-line block ×8, first 2 shown]
	s_wait_loadcnt_dscnt 0x0
	s_barrier_signal -1
	s_barrier_wait -1
	global_inv scope:SCOPE_SE
	ds_load_b128 v[33:36], v33
	s_wait_loadcnt_dscnt 0x0
	s_barrier_signal -1
	s_barrier_wait -1
	global_inv scope:SCOPE_SE
	ds_store_b64 v24, v[4:5]
	ds_store_b64 v16, v[6:7]
	;; [unrolled: 1-line block ×8, first 2 shown]
	s_wait_loadcnt_dscnt 0x0
	s_barrier_signal -1
	s_barrier_wait -1
	global_inv scope:SCOPE_SE
	ds_load_b128 v[29:32], v38
	ds_load_b128 v[25:28], v38 offset:16
	ds_load_b128 v[21:24], v38 offset:32
	;; [unrolled: 1-line block ×3, first 2 shown]
	v_xor_b32_e32 v0, 0x7fff7fff, v33
	v_xor_b32_e32 v34, 0x7fff7fff, v34
	;; [unrolled: 1-line block ×4, first 2 shown]
.LBB177_142:
	v_mad_co_u64_u32 v[9:10], null, s22, v41, 0
	s_wait_loadcnt_dscnt 0x0
	s_barrier_signal -1
	s_barrier_wait -1
	global_inv scope:SCOPE_SE
	ds_store_2addr_b32 v54, v0, v34 offset1:1
	ds_store_2addr_b32 v54, v33, v35 offset0:2 offset1:3
	s_wait_loadcnt_dscnt 0x0
	v_mov_b32_e32 v0, v10
	s_barrier_signal -1
	s_barrier_wait -1
	global_inv scope:SCOPE_SE
	ds_load_u16 v8, v47 offset:256
	ds_load_u16 v7, v48 offset:512
	;; [unrolled: 1-line block ×7, first 2 shown]
	v_mad_co_u64_u32 v[0:1], null, s23, v41, v[0:1]
	s_delay_alu instid0(VALU_DEP_1) | instskip(NEXT) | instid1(VALU_DEP_1)
	v_mov_b32_e32 v10, v0
	v_lshlrev_b64_e32 v[0:1], 1, v[9:10]
	s_delay_alu instid0(VALU_DEP_1) | instskip(SKIP_1) | instid1(VALU_DEP_2)
	v_add_co_u32 v0, vcc_lo, s30, v0
	s_wait_alu 0xfffd
	v_add_co_ci_u32_e64 v1, null, s31, v1, vcc_lo
	s_and_saveexec_b32 s0, s2
	s_cbranch_execnz .LBB177_161
; %bb.143:
	s_wait_alu 0xfffe
	s_or_b32 exec_lo, exec_lo, s0
	s_and_saveexec_b32 s0, s3
	s_cbranch_execnz .LBB177_162
.LBB177_144:
	s_wait_alu 0xfffe
	s_or_b32 exec_lo, exec_lo, s0
	s_and_saveexec_b32 s0, s4
	s_cbranch_execnz .LBB177_163
.LBB177_145:
	s_wait_alu 0xfffe
	s_or_b32 exec_lo, exec_lo, s0
	s_and_saveexec_b32 s0, s5
	s_cbranch_execnz .LBB177_164
.LBB177_146:
	s_wait_alu 0xfffe
	s_or_b32 exec_lo, exec_lo, s0
	s_and_saveexec_b32 s0, s6
	s_cbranch_execnz .LBB177_165
.LBB177_147:
	s_wait_alu 0xfffe
	s_or_b32 exec_lo, exec_lo, s0
	s_and_saveexec_b32 s0, s7
	s_cbranch_execnz .LBB177_166
.LBB177_148:
	s_wait_alu 0xfffe
	s_or_b32 exec_lo, exec_lo, s0
	s_and_saveexec_b32 s0, s8
	s_cbranch_execnz .LBB177_167
.LBB177_149:
	s_wait_alu 0xfffe
	s_or_b32 exec_lo, exec_lo, s0
	s_and_saveexec_b32 s0, s9
	s_cbranch_execz .LBB177_151
.LBB177_150:
	v_mad_co_u64_u32 v[0:1], null, 0x700, s22, v[0:1]
	s_wait_dscnt 0x0
	s_delay_alu instid0(VALU_DEP_1) | instskip(NEXT) | instid1(VALU_DEP_1)
	v_mad_co_u64_u32 v[3:4], null, 0x700, s23, v[1:2]
	v_mov_b32_e32 v1, v3
	global_store_b16 v[0:1], v2, off
.LBB177_151:
	s_wait_alu 0xfffe
	s_or_b32 exec_lo, exec_lo, s0
	s_wait_dscnt 0x0
	v_mad_co_u64_u32 v[2:3], null, s28, v41, 0
	s_wait_loadcnt 0x0
	s_wait_storecnt 0x0
	s_barrier_signal -1
	s_barrier_wait -1
	global_inv scope:SCOPE_SE
	ds_store_2addr_b64 v63, v[29:30], v[31:32] offset1:1
	ds_store_2addr_b64 v63, v[25:26], v[27:28] offset0:2 offset1:3
	ds_store_2addr_b64 v63, v[21:22], v[23:24] offset0:4 offset1:5
	;; [unrolled: 1-line block ×3, first 2 shown]
	s_wait_loadcnt_dscnt 0x0
	v_mov_b32_e32 v0, v3
	s_barrier_signal -1
	s_barrier_wait -1
	global_inv scope:SCOPE_SE
	v_mad_co_u64_u32 v[3:4], null, s29, v41, v[0:1]
	ds_load_b64 v[14:15], v56 offset:1024
	ds_load_b64 v[12:13], v57 offset:2048
	;; [unrolled: 1-line block ×7, first 2 shown]
	v_lshlrev_b64_e32 v[2:3], 3, v[2:3]
	s_delay_alu instid0(VALU_DEP_1) | instskip(SKIP_1) | instid1(VALU_DEP_2)
	v_add_co_u32 v2, vcc_lo, s34, v2
	s_wait_alu 0xfffd
	v_add_co_ci_u32_e64 v3, null, s35, v3, vcc_lo
	s_and_saveexec_b32 s0, s2
	s_cbranch_execnz .LBB177_168
; %bb.152:
	s_wait_alu 0xfffe
	s_or_b32 exec_lo, exec_lo, s0
	s_and_saveexec_b32 s0, s3
	s_cbranch_execnz .LBB177_169
.LBB177_153:
	s_wait_alu 0xfffe
	s_or_b32 exec_lo, exec_lo, s0
	s_and_saveexec_b32 s0, s4
	s_cbranch_execnz .LBB177_170
.LBB177_154:
	s_wait_alu 0xfffe
	s_or_b32 exec_lo, exec_lo, s0
	s_and_saveexec_b32 s0, s5
	s_cbranch_execnz .LBB177_171
.LBB177_155:
	s_wait_alu 0xfffe
	s_or_b32 exec_lo, exec_lo, s0
	s_and_saveexec_b32 s0, s6
	s_cbranch_execnz .LBB177_172
.LBB177_156:
	s_wait_alu 0xfffe
	s_or_b32 exec_lo, exec_lo, s0
	s_and_saveexec_b32 s0, s7
	s_cbranch_execnz .LBB177_173
.LBB177_157:
	s_wait_alu 0xfffe
	s_or_b32 exec_lo, exec_lo, s0
	s_and_saveexec_b32 s0, s8
	s_cbranch_execnz .LBB177_174
.LBB177_158:
	s_wait_alu 0xfffe
	s_or_b32 exec_lo, exec_lo, s0
	s_and_saveexec_b32 s0, s9
	s_cbranch_execz .LBB177_160
.LBB177_159:
	v_mad_co_u64_u32 v[2:3], null, 0x1c00, s28, v[2:3]
	s_wait_dscnt 0x1
	s_delay_alu instid0(VALU_DEP_1)
	v_mad_co_u64_u32 v[3:4], null, 0x1c00, s29, v[3:4]
	s_wait_dscnt 0x0
	global_store_b64 v[2:3], v[0:1], off
.LBB177_160:
	s_nop 0
	s_sendmsg sendmsg(MSG_DEALLOC_VGPRS)
	s_endpgm
.LBB177_161:
	ds_load_u16 v9, v46
	s_wait_dscnt 0x0
	global_store_b16 v[0:1], v9, off
	s_wait_alu 0xfffe
	s_or_b32 exec_lo, exec_lo, s0
	s_and_saveexec_b32 s0, s3
	s_cbranch_execz .LBB177_144
.LBB177_162:
	s_lshl_b64 s[10:11], s[22:23], 8
	s_wait_alu 0xfffe
	v_add_co_u32 v9, vcc_lo, v0, s10
	s_wait_alu 0xfffd
	v_add_co_ci_u32_e64 v10, null, s11, v1, vcc_lo
	s_wait_dscnt 0x6
	global_store_b16 v[9:10], v8, off
	s_or_b32 exec_lo, exec_lo, s0
	s_and_saveexec_b32 s0, s4
	s_cbranch_execz .LBB177_145
.LBB177_163:
	s_lshl_b64 s[10:11], s[22:23], 9
	s_wait_dscnt 0x6
	s_wait_alu 0xfffe
	v_add_co_u32 v8, vcc_lo, v0, s10
	s_wait_alu 0xfffd
	v_add_co_ci_u32_e64 v9, null, s11, v1, vcc_lo
	s_wait_dscnt 0x5
	global_store_b16 v[8:9], v7, off
	s_or_b32 exec_lo, exec_lo, s0
	s_and_saveexec_b32 s0, s5
	s_cbranch_execz .LBB177_146
.LBB177_164:
	s_wait_dscnt 0x5
	v_mad_co_u64_u32 v[7:8], null, 0x300, s22, v[0:1]
	s_delay_alu instid0(VALU_DEP_1)
	v_mad_co_u64_u32 v[8:9], null, 0x300, s23, v[8:9]
	s_wait_dscnt 0x4
	global_store_b16 v[7:8], v6, off
	s_wait_alu 0xfffe
	s_or_b32 exec_lo, exec_lo, s0
	s_and_saveexec_b32 s0, s6
	s_cbranch_execz .LBB177_147
.LBB177_165:
	s_lshl_b64 s[10:11], s[22:23], 10
	s_wait_dscnt 0x4
	s_wait_alu 0xfffe
	v_add_co_u32 v6, vcc_lo, v0, s10
	s_wait_alu 0xfffd
	v_add_co_ci_u32_e64 v7, null, s11, v1, vcc_lo
	s_wait_dscnt 0x3
	global_store_b16 v[6:7], v5, off
	s_or_b32 exec_lo, exec_lo, s0
	s_and_saveexec_b32 s0, s7
	s_cbranch_execz .LBB177_148
.LBB177_166:
	s_wait_dscnt 0x3
	v_mad_co_u64_u32 v[5:6], null, 0x500, s22, v[0:1]
	s_delay_alu instid0(VALU_DEP_1)
	v_mad_co_u64_u32 v[6:7], null, 0x500, s23, v[6:7]
	s_wait_dscnt 0x2
	global_store_b16 v[5:6], v4, off
	s_wait_alu 0xfffe
	s_or_b32 exec_lo, exec_lo, s0
	s_and_saveexec_b32 s0, s8
	s_cbranch_execz .LBB177_149
.LBB177_167:
	s_wait_dscnt 0x2
	v_mad_co_u64_u32 v[4:5], null, 0x600, s22, v[0:1]
	s_delay_alu instid0(VALU_DEP_1)
	v_mad_co_u64_u32 v[5:6], null, 0x600, s23, v[5:6]
	s_wait_dscnt 0x1
	global_store_b16 v[4:5], v3, off
	s_wait_alu 0xfffe
	s_or_b32 exec_lo, exec_lo, s0
	s_and_saveexec_b32 s0, s9
	s_cbranch_execnz .LBB177_150
	s_branch .LBB177_151
.LBB177_168:
	ds_load_b64 v[16:17], v55
	s_wait_dscnt 0x0
	global_store_b64 v[2:3], v[16:17], off
	s_wait_alu 0xfffe
	s_or_b32 exec_lo, exec_lo, s0
	s_and_saveexec_b32 s0, s3
	s_cbranch_execz .LBB177_153
.LBB177_169:
	s_lshl_b64 s[2:3], s[28:29], 10
	s_wait_alu 0xfffe
	v_add_co_u32 v16, vcc_lo, v2, s2
	s_wait_alu 0xfffd
	v_add_co_ci_u32_e64 v17, null, s3, v3, vcc_lo
	s_wait_dscnt 0x6
	global_store_b64 v[16:17], v[14:15], off
	s_or_b32 exec_lo, exec_lo, s0
	s_and_saveexec_b32 s0, s4
	s_cbranch_execz .LBB177_154
.LBB177_170:
	s_lshl_b64 s[2:3], s[28:29], 11
	s_wait_dscnt 0x6
	s_wait_alu 0xfffe
	v_add_co_u32 v14, vcc_lo, v2, s2
	s_wait_alu 0xfffd
	v_add_co_ci_u32_e64 v15, null, s3, v3, vcc_lo
	s_wait_dscnt 0x5
	global_store_b64 v[14:15], v[12:13], off
	s_or_b32 exec_lo, exec_lo, s0
	s_and_saveexec_b32 s0, s5
	s_cbranch_execz .LBB177_155
.LBB177_171:
	s_wait_dscnt 0x5
	v_mad_co_u64_u32 v[12:13], null, 0xc00, s28, v[2:3]
	s_delay_alu instid0(VALU_DEP_1)
	v_mad_co_u64_u32 v[13:14], null, 0xc00, s29, v[13:14]
	s_wait_dscnt 0x4
	global_store_b64 v[12:13], v[10:11], off
	s_wait_alu 0xfffe
	s_or_b32 exec_lo, exec_lo, s0
	s_and_saveexec_b32 s0, s6
	s_cbranch_execz .LBB177_156
.LBB177_172:
	s_lshl_b64 s[2:3], s[28:29], 12
	s_wait_dscnt 0x4
	s_wait_alu 0xfffe
	v_add_co_u32 v10, vcc_lo, v2, s2
	s_wait_alu 0xfffd
	v_add_co_ci_u32_e64 v11, null, s3, v3, vcc_lo
	s_wait_dscnt 0x3
	global_store_b64 v[10:11], v[8:9], off
	s_or_b32 exec_lo, exec_lo, s0
	s_and_saveexec_b32 s0, s7
	s_cbranch_execz .LBB177_157
.LBB177_173:
	s_wait_dscnt 0x3
	v_mad_co_u64_u32 v[8:9], null, 0x1400, s28, v[2:3]
	s_delay_alu instid0(VALU_DEP_1)
	v_mad_co_u64_u32 v[9:10], null, 0x1400, s29, v[9:10]
	s_wait_dscnt 0x2
	global_store_b64 v[8:9], v[6:7], off
	s_wait_alu 0xfffe
	s_or_b32 exec_lo, exec_lo, s0
	s_and_saveexec_b32 s0, s8
	s_cbranch_execz .LBB177_158
.LBB177_174:
	s_wait_dscnt 0x2
	v_mad_co_u64_u32 v[6:7], null, 0x1800, s28, v[2:3]
	s_delay_alu instid0(VALU_DEP_1)
	v_mad_co_u64_u32 v[7:8], null, 0x1800, s29, v[7:8]
	s_wait_dscnt 0x1
	global_store_b64 v[6:7], v[4:5], off
	s_wait_alu 0xfffe
	s_or_b32 exec_lo, exec_lo, s0
	s_and_saveexec_b32 s0, s9
	s_cbranch_execnz .LBB177_159
	s_branch .LBB177_160
	.section	.rodata,"a",@progbits
	.p2align	6, 0x0
	.amdhsa_kernel _ZN2at6native18radixSortKVInPlaceILin1ELin1ELi128ELi8EslmEEvNS_4cuda6detail10TensorInfoIT3_T5_EES6_S6_S6_NS4_IT4_S6_EES6_b
		.amdhsa_group_segment_fixed_size 8448
		.amdhsa_private_segment_fixed_size 0
		.amdhsa_kernarg_size 1128
		.amdhsa_user_sgpr_count 2
		.amdhsa_user_sgpr_dispatch_ptr 0
		.amdhsa_user_sgpr_queue_ptr 0
		.amdhsa_user_sgpr_kernarg_segment_ptr 1
		.amdhsa_user_sgpr_dispatch_id 0
		.amdhsa_user_sgpr_private_segment_size 0
		.amdhsa_wavefront_size32 1
		.amdhsa_uses_dynamic_stack 0
		.amdhsa_enable_private_segment 0
		.amdhsa_system_sgpr_workgroup_id_x 1
		.amdhsa_system_sgpr_workgroup_id_y 1
		.amdhsa_system_sgpr_workgroup_id_z 1
		.amdhsa_system_sgpr_workgroup_info 0
		.amdhsa_system_vgpr_workitem_id 2
		.amdhsa_next_free_vgpr 115
		.amdhsa_next_free_sgpr 38
		.amdhsa_reserve_vcc 1
		.amdhsa_float_round_mode_32 0
		.amdhsa_float_round_mode_16_64 0
		.amdhsa_float_denorm_mode_32 3
		.amdhsa_float_denorm_mode_16_64 3
		.amdhsa_fp16_overflow 0
		.amdhsa_workgroup_processor_mode 1
		.amdhsa_memory_ordered 1
		.amdhsa_forward_progress 1
		.amdhsa_inst_pref_size 178
		.amdhsa_round_robin_scheduling 0
		.amdhsa_exception_fp_ieee_invalid_op 0
		.amdhsa_exception_fp_denorm_src 0
		.amdhsa_exception_fp_ieee_div_zero 0
		.amdhsa_exception_fp_ieee_overflow 0
		.amdhsa_exception_fp_ieee_underflow 0
		.amdhsa_exception_fp_ieee_inexact 0
		.amdhsa_exception_int_div_zero 0
	.end_amdhsa_kernel
	.section	.text._ZN2at6native18radixSortKVInPlaceILin1ELin1ELi128ELi8EslmEEvNS_4cuda6detail10TensorInfoIT3_T5_EES6_S6_S6_NS4_IT4_S6_EES6_b,"axG",@progbits,_ZN2at6native18radixSortKVInPlaceILin1ELin1ELi128ELi8EslmEEvNS_4cuda6detail10TensorInfoIT3_T5_EES6_S6_S6_NS4_IT4_S6_EES6_b,comdat
.Lfunc_end177:
	.size	_ZN2at6native18radixSortKVInPlaceILin1ELin1ELi128ELi8EslmEEvNS_4cuda6detail10TensorInfoIT3_T5_EES6_S6_S6_NS4_IT4_S6_EES6_b, .Lfunc_end177-_ZN2at6native18radixSortKVInPlaceILin1ELin1ELi128ELi8EslmEEvNS_4cuda6detail10TensorInfoIT3_T5_EES6_S6_S6_NS4_IT4_S6_EES6_b
                                        ; -- End function
	.set _ZN2at6native18radixSortKVInPlaceILin1ELin1ELi128ELi8EslmEEvNS_4cuda6detail10TensorInfoIT3_T5_EES6_S6_S6_NS4_IT4_S6_EES6_b.num_vgpr, 115
	.set _ZN2at6native18radixSortKVInPlaceILin1ELin1ELi128ELi8EslmEEvNS_4cuda6detail10TensorInfoIT3_T5_EES6_S6_S6_NS4_IT4_S6_EES6_b.num_agpr, 0
	.set _ZN2at6native18radixSortKVInPlaceILin1ELin1ELi128ELi8EslmEEvNS_4cuda6detail10TensorInfoIT3_T5_EES6_S6_S6_NS4_IT4_S6_EES6_b.numbered_sgpr, 38
	.set _ZN2at6native18radixSortKVInPlaceILin1ELin1ELi128ELi8EslmEEvNS_4cuda6detail10TensorInfoIT3_T5_EES6_S6_S6_NS4_IT4_S6_EES6_b.num_named_barrier, 0
	.set _ZN2at6native18radixSortKVInPlaceILin1ELin1ELi128ELi8EslmEEvNS_4cuda6detail10TensorInfoIT3_T5_EES6_S6_S6_NS4_IT4_S6_EES6_b.private_seg_size, 0
	.set _ZN2at6native18radixSortKVInPlaceILin1ELin1ELi128ELi8EslmEEvNS_4cuda6detail10TensorInfoIT3_T5_EES6_S6_S6_NS4_IT4_S6_EES6_b.uses_vcc, 1
	.set _ZN2at6native18radixSortKVInPlaceILin1ELin1ELi128ELi8EslmEEvNS_4cuda6detail10TensorInfoIT3_T5_EES6_S6_S6_NS4_IT4_S6_EES6_b.uses_flat_scratch, 0
	.set _ZN2at6native18radixSortKVInPlaceILin1ELin1ELi128ELi8EslmEEvNS_4cuda6detail10TensorInfoIT3_T5_EES6_S6_S6_NS4_IT4_S6_EES6_b.has_dyn_sized_stack, 0
	.set _ZN2at6native18radixSortKVInPlaceILin1ELin1ELi128ELi8EslmEEvNS_4cuda6detail10TensorInfoIT3_T5_EES6_S6_S6_NS4_IT4_S6_EES6_b.has_recursion, 0
	.set _ZN2at6native18radixSortKVInPlaceILin1ELin1ELi128ELi8EslmEEvNS_4cuda6detail10TensorInfoIT3_T5_EES6_S6_S6_NS4_IT4_S6_EES6_b.has_indirect_call, 0
	.section	.AMDGPU.csdata,"",@progbits
; Kernel info:
; codeLenInByte = 22688
; TotalNumSgprs: 40
; NumVgprs: 115
; ScratchSize: 0
; MemoryBound: 0
; FloatMode: 240
; IeeeMode: 1
; LDSByteSize: 8448 bytes/workgroup (compile time only)
; SGPRBlocks: 0
; VGPRBlocks: 14
; NumSGPRsForWavesPerEU: 40
; NumVGPRsForWavesPerEU: 115
; Occupancy: 12
; WaveLimiterHint : 1
; COMPUTE_PGM_RSRC2:SCRATCH_EN: 0
; COMPUTE_PGM_RSRC2:USER_SGPR: 2
; COMPUTE_PGM_RSRC2:TRAP_HANDLER: 0
; COMPUTE_PGM_RSRC2:TGID_X_EN: 1
; COMPUTE_PGM_RSRC2:TGID_Y_EN: 1
; COMPUTE_PGM_RSRC2:TGID_Z_EN: 1
; COMPUTE_PGM_RSRC2:TIDIG_COMP_CNT: 2
	.section	.text._ZN2at6native18radixSortKVInPlaceILin1ELin1ELi32ELi4EslmEEvNS_4cuda6detail10TensorInfoIT3_T5_EES6_S6_S6_NS4_IT4_S6_EES6_b,"axG",@progbits,_ZN2at6native18radixSortKVInPlaceILin1ELin1ELi32ELi4EslmEEvNS_4cuda6detail10TensorInfoIT3_T5_EES6_S6_S6_NS4_IT4_S6_EES6_b,comdat
	.protected	_ZN2at6native18radixSortKVInPlaceILin1ELin1ELi32ELi4EslmEEvNS_4cuda6detail10TensorInfoIT3_T5_EES6_S6_S6_NS4_IT4_S6_EES6_b ; -- Begin function _ZN2at6native18radixSortKVInPlaceILin1ELin1ELi32ELi4EslmEEvNS_4cuda6detail10TensorInfoIT3_T5_EES6_S6_S6_NS4_IT4_S6_EES6_b
	.globl	_ZN2at6native18radixSortKVInPlaceILin1ELin1ELi32ELi4EslmEEvNS_4cuda6detail10TensorInfoIT3_T5_EES6_S6_S6_NS4_IT4_S6_EES6_b
	.p2align	8
	.type	_ZN2at6native18radixSortKVInPlaceILin1ELin1ELi32ELi4EslmEEvNS_4cuda6detail10TensorInfoIT3_T5_EES6_S6_S6_NS4_IT4_S6_EES6_b,@function
_ZN2at6native18radixSortKVInPlaceILin1ELin1ELi32ELi4EslmEEvNS_4cuda6detail10TensorInfoIT3_T5_EES6_S6_S6_NS4_IT4_S6_EES6_b: ; @_ZN2at6native18radixSortKVInPlaceILin1ELin1ELi32ELi4EslmEEvNS_4cuda6detail10TensorInfoIT3_T5_EES6_S6_S6_NS4_IT4_S6_EES6_b
; %bb.0:
	s_clause 0x1
	s_load_b64 s[2:3], s[0:1], 0x368
	s_load_b128 s[4:7], s[0:1], 0x1a0
	s_wait_kmcnt 0x0
	s_lshr_b32 s7, ttmp7, 16
	s_and_b32 s8, ttmp7, 0xffff
	s_mul_i32 s3, s3, s7
	s_delay_alu instid0(SALU_CYCLE_1) | instskip(NEXT) | instid1(SALU_CYCLE_1)
	s_add_co_i32 s3, s3, s8
	s_mul_i32 s2, s3, s2
	s_mov_b32 s3, 0
	s_add_co_i32 s2, s2, ttmp9
	s_delay_alu instid0(SALU_CYCLE_1)
	v_cmp_le_u64_e64 s4, s[4:5], s[2:3]
	s_and_b32 vcc_lo, exec_lo, s4
	s_cbranch_vccnz .LBB178_88
; %bb.1:
	s_clause 0x1
	s_load_b32 s7, s[0:1], 0x198
	s_load_b64 s[14:15], s[0:1], 0x1b0
	s_mov_b64 s[4:5], 0
	s_mov_b64 s[10:11], s[2:3]
	s_wait_kmcnt 0x0
	s_cmp_lt_i32 s7, 2
	s_cbranch_scc1 .LBB178_9
; %bb.2:
	s_mov_b32 s8, 0
	s_add_co_i32 s4, s7, -1
	s_mov_b32 s5, s8
	s_add_co_i32 s7, s7, 1
	s_wait_alu 0xfffe
	s_lshl_b64 s[4:5], s[4:5], 3
	s_mov_b64 s[16:17], s[2:3]
	s_wait_alu 0xfffe
	s_add_nc_u64 s[10:11], s[0:1], s[4:5]
	s_mov_b64 s[4:5], 0
	s_add_nc_u64 s[12:13], s[10:11], 8
.LBB178_3:                              ; =>This Inner Loop Header: Depth=1
	s_load_b64 s[18:19], s[12:13], 0x0
	s_wait_kmcnt 0x0
	s_or_b64 s[10:11], s[16:17], s[18:19]
	s_delay_alu instid0(SALU_CYCLE_1)
	s_mov_b32 s9, s11
                                        ; implicit-def: $sgpr10_sgpr11
	s_wait_alu 0xfffe
	s_cmp_lg_u64 s[8:9], 0
	s_mov_b32 s9, -1
	s_cbranch_scc0 .LBB178_5
; %bb.4:                                ;   in Loop: Header=BB178_3 Depth=1
	s_cvt_f32_u32 s9, s18
	s_cvt_f32_u32 s10, s19
	s_sub_nc_u64 s[20:21], 0, s[18:19]
	s_mov_b32 s23, s8
	s_mov_b32 s27, s8
	s_wait_alu 0xfffe
	s_fmamk_f32 s9, s10, 0x4f800000, s9
	s_wait_alu 0xfffe
	s_delay_alu instid0(SALU_CYCLE_2) | instskip(NEXT) | instid1(TRANS32_DEP_1)
	v_s_rcp_f32 s9, s9
	s_mul_f32 s9, s9, 0x5f7ffffc
	s_wait_alu 0xfffe
	s_delay_alu instid0(SALU_CYCLE_2) | instskip(NEXT) | instid1(SALU_CYCLE_3)
	s_mul_f32 s10, s9, 0x2f800000
	s_trunc_f32 s10, s10
	s_delay_alu instid0(SALU_CYCLE_3) | instskip(SKIP_2) | instid1(SALU_CYCLE_1)
	s_fmamk_f32 s9, s10, 0xcf800000, s9
	s_cvt_u32_f32 s11, s10
	s_wait_alu 0xfffe
	s_cvt_u32_f32 s10, s9
	s_delay_alu instid0(SALU_CYCLE_3) | instskip(NEXT) | instid1(SALU_CYCLE_1)
	s_mul_u64 s[24:25], s[20:21], s[10:11]
	s_mul_hi_u32 s29, s10, s25
	s_mul_i32 s28, s10, s25
	s_mul_hi_u32 s22, s10, s24
	s_mul_i32 s26, s11, s24
	s_add_nc_u64 s[22:23], s[22:23], s[28:29]
	s_mul_hi_u32 s9, s11, s24
	s_mul_hi_u32 s30, s11, s25
	s_add_co_u32 s22, s22, s26
	s_wait_alu 0xfffe
	s_add_co_ci_u32 s26, s23, s9
	s_mul_i32 s24, s11, s25
	s_add_co_ci_u32 s25, s30, 0
	s_delay_alu instid0(SALU_CYCLE_1)
	s_add_nc_u64 s[22:23], s[26:27], s[24:25]
	s_mov_b32 s25, s8
	s_add_co_u32 s10, s10, s22
	s_cselect_b32 s9, -1, 0
	s_wait_alu 0xfffe
	s_cmp_lg_u32 s9, 0
	s_add_co_ci_u32 s11, s11, s23
	s_mov_b32 s23, s8
	s_mul_u64 s[20:21], s[20:21], s[10:11]
	s_delay_alu instid0(SALU_CYCLE_1)
	s_mul_hi_u32 s27, s10, s21
	s_mul_i32 s26, s10, s21
	s_mul_hi_u32 s22, s10, s20
	s_mul_i32 s24, s11, s20
	s_add_nc_u64 s[22:23], s[22:23], s[26:27]
	s_mul_hi_u32 s9, s11, s20
	s_mul_hi_u32 s28, s11, s21
	s_mul_i32 s20, s11, s21
	s_add_co_u32 s21, s22, s24
	s_wait_alu 0xfffe
	s_add_co_ci_u32 s24, s23, s9
	s_add_co_ci_u32 s21, s28, 0
	s_mov_b32 s23, s8
	s_add_nc_u64 s[20:21], s[24:25], s[20:21]
	s_delay_alu instid0(SALU_CYCLE_1)
	s_add_co_u32 s9, s10, s20
	s_cselect_b32 s10, -1, 0
	s_wait_alu 0xfffe
	s_mul_hi_u32 s22, s16, s9
	s_cmp_lg_u32 s10, 0
	s_mul_hi_u32 s24, s17, s9
	s_add_co_ci_u32 s20, s11, s21
	s_mul_i32 s9, s17, s9
	s_mul_hi_u32 s11, s16, s20
	s_mul_i32 s10, s16, s20
	s_mul_hi_u32 s21, s17, s20
	s_add_nc_u64 s[10:11], s[22:23], s[10:11]
	s_mul_i32 s20, s17, s20
	s_wait_alu 0xfffe
	s_add_co_u32 s9, s10, s9
	s_add_co_ci_u32 s24, s11, s24
	s_add_co_ci_u32 s21, s21, 0
	s_delay_alu instid0(SALU_CYCLE_1) | instskip(NEXT) | instid1(SALU_CYCLE_1)
	s_add_nc_u64 s[10:11], s[24:25], s[20:21]
	s_mul_u64 s[20:21], s[18:19], s[10:11]
	s_delay_alu instid0(SALU_CYCLE_1)
	s_sub_co_u32 s9, s16, s20
	s_cselect_b32 s20, -1, 0
	s_sub_co_i32 s22, s17, s21
	s_cmp_lg_u32 s20, 0
	s_sub_co_ci_u32 s22, s22, s19
	s_wait_alu 0xfffe
	s_sub_co_u32 s23, s9, s18
	s_cselect_b32 s24, -1, 0
	s_delay_alu instid0(SALU_CYCLE_1) | instskip(SKIP_1) | instid1(SALU_CYCLE_1)
	s_cmp_lg_u32 s24, 0
	s_sub_co_ci_u32 s22, s22, 0
	s_cmp_ge_u32 s22, s19
	s_cselect_b32 s24, -1, 0
	s_cmp_ge_u32 s23, s18
	s_cselect_b32 s25, -1, 0
	s_cmp_eq_u32 s22, s19
	s_add_nc_u64 s[22:23], s[10:11], 1
	s_cselect_b32 s26, s25, s24
	s_add_nc_u64 s[24:25], s[10:11], 2
	s_cmp_lg_u32 s26, 0
	s_cselect_b32 s22, s24, s22
	s_cselect_b32 s23, s25, s23
	s_cmp_lg_u32 s20, 0
	s_sub_co_ci_u32 s20, s17, s21
	s_delay_alu instid0(SALU_CYCLE_1)
	s_cmp_ge_u32 s20, s19
	s_cselect_b32 s21, -1, 0
	s_cmp_ge_u32 s9, s18
	s_cselect_b32 s9, -1, 0
	s_cmp_eq_u32 s20, s19
	s_wait_alu 0xfffe
	s_cselect_b32 s9, s9, s21
	s_wait_alu 0xfffe
	s_cmp_lg_u32 s9, 0
	s_mov_b32 s9, 0
	s_cselect_b32 s11, s23, s11
	s_cselect_b32 s10, s22, s10
.LBB178_5:                              ;   in Loop: Header=BB178_3 Depth=1
	s_wait_alu 0xfffe
	s_and_not1_b32 vcc_lo, exec_lo, s9
	s_cbranch_vccnz .LBB178_7
; %bb.6:                                ;   in Loop: Header=BB178_3 Depth=1
	v_cvt_f32_u32_e32 v1, s18
	s_sub_co_i32 s10, 0, s18
	s_delay_alu instid0(VALU_DEP_1) | instskip(NEXT) | instid1(TRANS32_DEP_1)
	v_rcp_iflag_f32_e32 v1, v1
	v_mul_f32_e32 v1, 0x4f7ffffe, v1
	s_delay_alu instid0(VALU_DEP_1) | instskip(NEXT) | instid1(VALU_DEP_1)
	v_cvt_u32_f32_e32 v1, v1
	v_readfirstlane_b32 s9, v1
	s_mul_i32 s10, s10, s9
	s_delay_alu instid0(SALU_CYCLE_1) | instskip(NEXT) | instid1(SALU_CYCLE_1)
	s_mul_hi_u32 s10, s9, s10
	s_add_co_i32 s9, s9, s10
	s_wait_alu 0xfffe
	s_mul_hi_u32 s9, s16, s9
	s_wait_alu 0xfffe
	s_mul_i32 s10, s9, s18
	s_add_co_i32 s11, s9, 1
	s_sub_co_i32 s10, s16, s10
	s_delay_alu instid0(SALU_CYCLE_1)
	s_sub_co_i32 s20, s10, s18
	s_cmp_ge_u32 s10, s18
	s_cselect_b32 s9, s11, s9
	s_cselect_b32 s10, s20, s10
	s_wait_alu 0xfffe
	s_add_co_i32 s11, s9, 1
	s_cmp_ge_u32 s10, s18
	s_cselect_b32 s10, s11, s9
	s_mov_b32 s11, s8
.LBB178_7:                              ;   in Loop: Header=BB178_3 Depth=1
	s_load_b64 s[20:21], s[12:13], 0xc8
	s_mul_u64 s[18:19], s[10:11], s[18:19]
	s_add_co_i32 s7, s7, -1
	s_wait_alu 0xfffe
	s_sub_nc_u64 s[16:17], s[16:17], s[18:19]
	s_cmp_gt_u32 s7, 2
	s_add_nc_u64 s[12:13], s[12:13], -8
	s_wait_kmcnt 0x0
	s_mul_u64 s[16:17], s[20:21], s[16:17]
	s_delay_alu instid0(SALU_CYCLE_1)
	s_add_nc_u64 s[4:5], s[16:17], s[4:5]
	s_cbranch_scc0 .LBB178_9
; %bb.8:                                ;   in Loop: Header=BB178_3 Depth=1
	s_mov_b64 s[16:17], s[10:11]
	s_branch .LBB178_3
.LBB178_9:
	s_load_b32 s7, s[0:1], 0x350
	s_add_nc_u64 s[22:23], s[0:1], 0x368
	s_mov_b64 s[8:9], 0
	s_wait_kmcnt 0x0
	s_cmp_lt_i32 s7, 2
	s_cbranch_scc1 .LBB178_17
; %bb.10:
	s_mov_b32 s12, 0
	s_add_co_i32 s8, s7, -1
	s_mov_b32 s9, s12
	s_add_co_i32 s7, s7, 1
	s_wait_alu 0xfffe
	s_lshl_b64 s[8:9], s[8:9], 3
	s_wait_alu 0xfffe
	s_add_nc_u64 s[8:9], s[0:1], s[8:9]
	s_wait_alu 0xfffe
	s_add_nc_u64 s[16:17], s[8:9], 0x1c0
	s_mov_b64 s[8:9], 0
.LBB178_11:                             ; =>This Inner Loop Header: Depth=1
	s_load_b64 s[18:19], s[16:17], 0x0
	s_wait_kmcnt 0x0
	s_or_b64 s[20:21], s[2:3], s[18:19]
	s_delay_alu instid0(SALU_CYCLE_1)
	s_mov_b32 s13, s21
                                        ; implicit-def: $sgpr20_sgpr21
	s_wait_alu 0xfffe
	s_cmp_lg_u64 s[12:13], 0
	s_mov_b32 s13, -1
	s_cbranch_scc0 .LBB178_13
; %bb.12:                               ;   in Loop: Header=BB178_11 Depth=1
	s_cvt_f32_u32 s13, s18
	s_cvt_f32_u32 s20, s19
	s_sub_nc_u64 s[24:25], 0, s[18:19]
	s_mov_b32 s27, s12
	s_mov_b32 s31, s12
	s_wait_alu 0xfffe
	s_fmamk_f32 s13, s20, 0x4f800000, s13
	s_wait_alu 0xfffe
	s_delay_alu instid0(SALU_CYCLE_2) | instskip(NEXT) | instid1(TRANS32_DEP_1)
	v_s_rcp_f32 s13, s13
	s_mul_f32 s13, s13, 0x5f7ffffc
	s_wait_alu 0xfffe
	s_delay_alu instid0(SALU_CYCLE_2) | instskip(NEXT) | instid1(SALU_CYCLE_3)
	s_mul_f32 s20, s13, 0x2f800000
	s_trunc_f32 s20, s20
	s_delay_alu instid0(SALU_CYCLE_3) | instskip(SKIP_2) | instid1(SALU_CYCLE_1)
	s_fmamk_f32 s13, s20, 0xcf800000, s13
	s_cvt_u32_f32 s21, s20
	s_wait_alu 0xfffe
	s_cvt_u32_f32 s20, s13
	s_delay_alu instid0(SALU_CYCLE_3) | instskip(NEXT) | instid1(SALU_CYCLE_1)
	s_mul_u64 s[28:29], s[24:25], s[20:21]
	s_mul_hi_u32 s35, s20, s29
	s_mul_i32 s34, s20, s29
	s_mul_hi_u32 s26, s20, s28
	s_mul_i32 s30, s21, s28
	s_add_nc_u64 s[26:27], s[26:27], s[34:35]
	s_mul_hi_u32 s13, s21, s28
	s_mul_hi_u32 s33, s21, s29
	s_add_co_u32 s26, s26, s30
	s_wait_alu 0xfffe
	s_add_co_ci_u32 s30, s27, s13
	s_mul_i32 s28, s21, s29
	s_add_co_ci_u32 s29, s33, 0
	s_delay_alu instid0(SALU_CYCLE_1)
	s_add_nc_u64 s[26:27], s[30:31], s[28:29]
	s_mov_b32 s29, s12
	s_add_co_u32 s20, s20, s26
	s_cselect_b32 s13, -1, 0
	s_wait_alu 0xfffe
	s_cmp_lg_u32 s13, 0
	s_add_co_ci_u32 s21, s21, s27
	s_mov_b32 s27, s12
	s_mul_u64 s[24:25], s[24:25], s[20:21]
	s_delay_alu instid0(SALU_CYCLE_1)
	s_mul_hi_u32 s31, s20, s25
	s_mul_i32 s30, s20, s25
	s_mul_hi_u32 s26, s20, s24
	s_mul_i32 s28, s21, s24
	s_add_nc_u64 s[26:27], s[26:27], s[30:31]
	s_mul_hi_u32 s13, s21, s24
	s_mul_hi_u32 s33, s21, s25
	s_mul_i32 s24, s21, s25
	s_add_co_u32 s25, s26, s28
	s_wait_alu 0xfffe
	s_add_co_ci_u32 s28, s27, s13
	s_add_co_ci_u32 s25, s33, 0
	s_mov_b32 s27, s12
	s_add_nc_u64 s[24:25], s[28:29], s[24:25]
	s_delay_alu instid0(SALU_CYCLE_1)
	s_add_co_u32 s13, s20, s24
	s_cselect_b32 s20, -1, 0
	s_wait_alu 0xfffe
	s_mul_hi_u32 s26, s2, s13
	s_cmp_lg_u32 s20, 0
	s_mul_hi_u32 s28, s3, s13
	s_add_co_ci_u32 s24, s21, s25
	s_mul_i32 s13, s3, s13
	s_mul_hi_u32 s21, s2, s24
	s_mul_i32 s20, s2, s24
	s_mul_hi_u32 s25, s3, s24
	s_add_nc_u64 s[20:21], s[26:27], s[20:21]
	s_mul_i32 s24, s3, s24
	s_wait_alu 0xfffe
	s_add_co_u32 s13, s20, s13
	s_add_co_ci_u32 s28, s21, s28
	s_add_co_ci_u32 s25, s25, 0
	s_delay_alu instid0(SALU_CYCLE_1) | instskip(NEXT) | instid1(SALU_CYCLE_1)
	s_add_nc_u64 s[20:21], s[28:29], s[24:25]
	s_mul_u64 s[24:25], s[18:19], s[20:21]
	s_delay_alu instid0(SALU_CYCLE_1)
	s_sub_co_u32 s13, s2, s24
	s_cselect_b32 s24, -1, 0
	s_sub_co_i32 s26, s3, s25
	s_cmp_lg_u32 s24, 0
	s_sub_co_ci_u32 s26, s26, s19
	s_wait_alu 0xfffe
	s_sub_co_u32 s27, s13, s18
	s_cselect_b32 s28, -1, 0
	s_delay_alu instid0(SALU_CYCLE_1) | instskip(SKIP_1) | instid1(SALU_CYCLE_1)
	s_cmp_lg_u32 s28, 0
	s_sub_co_ci_u32 s26, s26, 0
	s_cmp_ge_u32 s26, s19
	s_cselect_b32 s28, -1, 0
	s_cmp_ge_u32 s27, s18
	s_cselect_b32 s29, -1, 0
	s_cmp_eq_u32 s26, s19
	s_add_nc_u64 s[26:27], s[20:21], 1
	s_cselect_b32 s30, s29, s28
	s_add_nc_u64 s[28:29], s[20:21], 2
	s_cmp_lg_u32 s30, 0
	s_cselect_b32 s26, s28, s26
	s_cselect_b32 s27, s29, s27
	s_cmp_lg_u32 s24, 0
	s_sub_co_ci_u32 s24, s3, s25
	s_delay_alu instid0(SALU_CYCLE_1)
	s_cmp_ge_u32 s24, s19
	s_cselect_b32 s25, -1, 0
	s_cmp_ge_u32 s13, s18
	s_cselect_b32 s13, -1, 0
	s_cmp_eq_u32 s24, s19
	s_wait_alu 0xfffe
	s_cselect_b32 s13, s13, s25
	s_wait_alu 0xfffe
	s_cmp_lg_u32 s13, 0
	s_mov_b32 s13, 0
	s_cselect_b32 s21, s27, s21
	s_cselect_b32 s20, s26, s20
.LBB178_13:                             ;   in Loop: Header=BB178_11 Depth=1
	s_wait_alu 0xfffe
	s_and_not1_b32 vcc_lo, exec_lo, s13
	s_cbranch_vccnz .LBB178_15
; %bb.14:                               ;   in Loop: Header=BB178_11 Depth=1
	v_cvt_f32_u32_e32 v1, s18
	s_sub_co_i32 s20, 0, s18
	s_delay_alu instid0(VALU_DEP_1) | instskip(NEXT) | instid1(TRANS32_DEP_1)
	v_rcp_iflag_f32_e32 v1, v1
	v_mul_f32_e32 v1, 0x4f7ffffe, v1
	s_delay_alu instid0(VALU_DEP_1) | instskip(NEXT) | instid1(VALU_DEP_1)
	v_cvt_u32_f32_e32 v1, v1
	v_readfirstlane_b32 s13, v1
	s_mul_i32 s20, s20, s13
	s_delay_alu instid0(SALU_CYCLE_1) | instskip(NEXT) | instid1(SALU_CYCLE_1)
	s_mul_hi_u32 s20, s13, s20
	s_add_co_i32 s13, s13, s20
	s_wait_alu 0xfffe
	s_mul_hi_u32 s13, s2, s13
	s_wait_alu 0xfffe
	s_mul_i32 s20, s13, s18
	s_add_co_i32 s21, s13, 1
	s_sub_co_i32 s20, s2, s20
	s_delay_alu instid0(SALU_CYCLE_1)
	s_sub_co_i32 s24, s20, s18
	s_cmp_ge_u32 s20, s18
	s_cselect_b32 s13, s21, s13
	s_cselect_b32 s20, s24, s20
	s_wait_alu 0xfffe
	s_add_co_i32 s21, s13, 1
	s_cmp_ge_u32 s20, s18
	s_cselect_b32 s20, s21, s13
	s_mov_b32 s21, s12
.LBB178_15:                             ;   in Loop: Header=BB178_11 Depth=1
	s_load_b64 s[24:25], s[16:17], 0xc8
	s_mul_u64 s[18:19], s[20:21], s[18:19]
	s_add_co_i32 s7, s7, -1
	s_wait_alu 0xfffe
	s_sub_nc_u64 s[2:3], s[2:3], s[18:19]
	s_cmp_gt_u32 s7, 2
	s_add_nc_u64 s[16:17], s[16:17], -8
	s_wait_kmcnt 0x0
	s_wait_alu 0xfffe
	s_mul_u64 s[2:3], s[24:25], s[2:3]
	s_wait_alu 0xfffe
	s_add_nc_u64 s[8:9], s[2:3], s[8:9]
	s_cbranch_scc0 .LBB178_18
; %bb.16:                               ;   in Loop: Header=BB178_11 Depth=1
	s_mov_b64 s[2:3], s[20:21]
	s_branch .LBB178_11
.LBB178_17:
	s_mov_b64 s[20:21], s[2:3]
.LBB178_18:
	s_clause 0x2
	s_load_b64 s[2:3], s[0:1], 0xd0
	s_load_b32 s7, s[0:1], 0x360
	s_load_b64 s[12:13], s[0:1], 0x0
	s_wait_kmcnt 0x0
	s_mul_u64 s[16:17], s[2:3], s[10:11]
	s_bitcmp1_b32 s7, 0
	s_mov_b32 s2, 0x8000
	s_cselect_b32 s7, -1, 0
	s_delay_alu instid0(SALU_CYCLE_1)
	s_and_b32 s3, s7, exec_lo
	s_wait_alu 0xfffe
	s_cselect_b32 s3, s2, 0x7fff
	s_lshl_b64 s[16:17], s[16:17], 1
	s_wait_alu 0xfffe
	s_pack_ll_b32_b16 s10, s3, s3
	v_mov_b32_e32 v3, s3
	s_mov_b32 s11, s10
	v_and_b32_e32 v17, 0x3ff, v0
	v_dual_mov_b32 v1, s10 :: v_dual_mov_b32 v2, s11
	s_add_nc_u64 s[12:13], s[12:13], s[16:17]
	s_lshl_b64 s[4:5], s[4:5], 1
	s_delay_alu instid0(VALU_DEP_2)
	v_cmp_gt_u32_e64 s2, s6, v17
	s_wait_alu 0xfffe
	s_add_nc_u64 s[18:19], s[12:13], s[4:5]
	s_and_saveexec_b32 s3, s2
	s_cbranch_execz .LBB178_20
; %bb.19:
	v_mad_co_u64_u32 v[1:2], null, s14, v17, 0
	s_delay_alu instid0(VALU_DEP_1) | instskip(NEXT) | instid1(VALU_DEP_1)
	v_mad_co_u64_u32 v[2:3], null, s15, v17, v[2:3]
	v_lshlrev_b64_e32 v[1:2], 1, v[1:2]
	s_wait_alu 0xfffe
	s_delay_alu instid0(VALU_DEP_1) | instskip(NEXT) | instid1(VALU_DEP_1)
	v_add_co_u32 v1, vcc_lo, s18, v1
	v_add_co_ci_u32_e64 v2, null, s19, v2, vcc_lo
	global_load_u16 v3, v[1:2], off
	v_mov_b32_e32 v2, s10
	s_wait_loadcnt 0x0
	v_bfi_b32 v1, 0xffff, v3, s10
.LBB178_20:
	s_wait_alu 0xfffe
	s_or_b32 exec_lo, exec_lo, s3
	v_add_nc_u32_e32 v9, 32, v17
	s_delay_alu instid0(VALU_DEP_1)
	v_cmp_gt_u32_e64 s3, s6, v9
	s_and_saveexec_b32 s4, s3
	s_cbranch_execz .LBB178_22
; %bb.21:
	v_mad_co_u64_u32 v[4:5], null, s14, v9, 0
	s_delay_alu instid0(VALU_DEP_1) | instskip(NEXT) | instid1(VALU_DEP_1)
	v_mad_co_u64_u32 v[5:6], null, s15, v9, v[5:6]
	v_lshlrev_b64_e32 v[4:5], 1, v[4:5]
	s_delay_alu instid0(VALU_DEP_1) | instskip(SKIP_1) | instid1(VALU_DEP_2)
	v_add_co_u32 v4, vcc_lo, s18, v4
	s_wait_alu 0xfffd
	v_add_co_ci_u32_e64 v5, null, s19, v5, vcc_lo
	global_load_d16_hi_b16 v1, v[4:5], off
.LBB178_22:
	s_wait_alu 0xfffe
	s_or_b32 exec_lo, exec_lo, s4
	v_add_nc_u32_e32 v10, 64, v17
	s_delay_alu instid0(VALU_DEP_1)
	v_cmp_gt_u32_e64 s4, s6, v10
	s_and_saveexec_b32 s5, s4
	s_cbranch_execz .LBB178_24
; %bb.23:
	v_mad_co_u64_u32 v[4:5], null, s14, v10, 0
	s_delay_alu instid0(VALU_DEP_1) | instskip(NEXT) | instid1(VALU_DEP_1)
	v_mad_co_u64_u32 v[5:6], null, s15, v10, v[5:6]
	v_lshlrev_b64_e32 v[4:5], 1, v[4:5]
	s_delay_alu instid0(VALU_DEP_1) | instskip(SKIP_1) | instid1(VALU_DEP_2)
	v_add_co_u32 v4, vcc_lo, s18, v4
	s_wait_alu 0xfffd
	v_add_co_ci_u32_e64 v5, null, s19, v5, vcc_lo
	global_load_d16_b16 v2, v[4:5], off
.LBB178_24:
	s_wait_alu 0xfffe
	s_or_b32 exec_lo, exec_lo, s5
	s_clause 0x1
	s_load_b64 s[12:13], s[0:1], 0x288
	s_load_b64 s[10:11], s[0:1], 0x1b8
	v_add_nc_u32_e32 v11, 0x60, v17
	s_delay_alu instid0(VALU_DEP_1)
	v_cmp_gt_u32_e64 s5, s6, v11
	s_and_saveexec_b32 s6, s5
	s_cbranch_execz .LBB178_26
; %bb.25:
	v_mad_co_u64_u32 v[4:5], null, s14, v11, 0
	s_delay_alu instid0(VALU_DEP_1) | instskip(NEXT) | instid1(VALU_DEP_1)
	v_mad_co_u64_u32 v[5:6], null, s15, v11, v[5:6]
	v_lshlrev_b64_e32 v[4:5], 1, v[4:5]
	s_delay_alu instid0(VALU_DEP_1) | instskip(SKIP_1) | instid1(VALU_DEP_2)
	v_add_co_u32 v4, vcc_lo, s18, v4
	s_wait_alu 0xfffd
	v_add_co_ci_u32_e64 v5, null, s19, v5, vcc_lo
	s_wait_loadcnt 0x0
	global_load_d16_hi_b16 v2, v[4:5], off
.LBB178_26:
	s_wait_alu 0xfffe
	s_or_b32 exec_lo, exec_lo, s6
	v_lshrrev_b32_e32 v4, 4, v17
	v_lshrrev_b32_e32 v5, 4, v9
	;; [unrolled: 1-line block ×3, first 2 shown]
	v_lshlrev_b32_e32 v8, 1, v17
	v_lshrrev_b32_e32 v12, 2, v17
	v_and_b32_e32 v4, 60, v4
	v_lshrrev_b32_e32 v7, 4, v11
	v_and_b32_e32 v5, 0x7c, v5
	v_and_b32_e32 v6, 0x7c, v6
	s_load_b64 s[16:17], s[0:1], 0x358
	v_add_nc_u32_e32 v28, v4, v8
	v_and_b32_e32 v4, 0xfc, v12
	v_and_b32_e32 v7, 0x7c, v7
	v_add_nc_u32_e32 v29, v5, v8
	s_wait_kmcnt 0x0
	s_mul_u64 s[0:1], s[12:13], s[20:21]
	ds_store_b16 v28, v3
	s_wait_loadcnt 0x0
	ds_store_b16_d16_hi v29, v1 offset:64
	v_lshl_add_u32 v32, v17, 3, v4
	v_dual_mov_b32 v3, 0 :: v_dual_add_nc_u32 v30, v6, v8
	v_dual_mov_b32 v4, 0 :: v_dual_add_nc_u32 v31, v7, v8
	ds_store_b16 v30, v2 offset:128
	ds_store_b16_d16_hi v31, v2 offset:192
	s_wait_dscnt 0x0
	; wave barrier
	global_inv scope:SCOPE_SE
	ds_load_2addr_b32 v[18:19], v32 offset1:1
	s_lshl_b64 s[0:1], s[0:1], 3
	v_mov_b32_e32 v1, 0
	v_mov_b32_e32 v2, 0
	s_add_nc_u64 s[0:1], s[10:11], s[0:1]
	s_lshl_b64 s[8:9], s[8:9], 3
	s_wait_loadcnt_dscnt 0x0
	s_wait_alu 0xfffe
	s_add_nc_u64 s[20:21], s[0:1], s[8:9]
	; wave barrier
	global_inv scope:SCOPE_SE
	s_and_saveexec_b32 s0, s2
	s_cbranch_execz .LBB178_28
; %bb.27:
	v_mad_co_u64_u32 v[3:4], null, s16, v17, 0
	s_delay_alu instid0(VALU_DEP_1) | instskip(NEXT) | instid1(VALU_DEP_1)
	v_mad_co_u64_u32 v[4:5], null, s17, v17, v[4:5]
	v_lshlrev_b64_e32 v[3:4], 3, v[3:4]
	s_delay_alu instid0(VALU_DEP_1) | instskip(SKIP_1) | instid1(VALU_DEP_2)
	v_add_co_u32 v3, vcc_lo, s20, v3
	s_wait_alu 0xfffd
	v_add_co_ci_u32_e64 v4, null, s21, v4, vcc_lo
	global_load_b64 v[3:4], v[3:4], off
.LBB178_28:
	s_or_b32 exec_lo, exec_lo, s0
	s_and_saveexec_b32 s0, s3
	s_cbranch_execz .LBB178_30
; %bb.29:
	v_mad_co_u64_u32 v[1:2], null, s16, v9, 0
	s_wait_loadcnt 0x0
	s_delay_alu instid0(VALU_DEP_1) | instskip(NEXT) | instid1(VALU_DEP_1)
	v_mad_co_u64_u32 v[5:6], null, s17, v9, v[2:3]
	v_mov_b32_e32 v2, v5
	s_delay_alu instid0(VALU_DEP_1) | instskip(NEXT) | instid1(VALU_DEP_1)
	v_lshlrev_b64_e32 v[1:2], 3, v[1:2]
	v_add_co_u32 v1, vcc_lo, s20, v1
	s_wait_alu 0xfffd
	s_delay_alu instid0(VALU_DEP_2)
	v_add_co_ci_u32_e64 v2, null, s21, v2, vcc_lo
	global_load_b64 v[1:2], v[1:2], off
.LBB178_30:
	s_or_b32 exec_lo, exec_lo, s0
	v_mov_b32_e32 v5, 0
	v_dual_mov_b32 v6, 0 :: v_dual_mov_b32 v7, 0
	v_mov_b32_e32 v8, 0
	s_and_saveexec_b32 s0, s4
	s_cbranch_execz .LBB178_32
; %bb.31:
	v_mad_co_u64_u32 v[7:8], null, s16, v10, 0
	s_delay_alu instid0(VALU_DEP_1) | instskip(NEXT) | instid1(VALU_DEP_1)
	v_mad_co_u64_u32 v[12:13], null, s17, v10, v[8:9]
	v_mov_b32_e32 v8, v12
	s_delay_alu instid0(VALU_DEP_1) | instskip(NEXT) | instid1(VALU_DEP_1)
	v_lshlrev_b64_e32 v[7:8], 3, v[7:8]
	v_add_co_u32 v7, vcc_lo, s20, v7
	s_wait_alu 0xfffd
	s_delay_alu instid0(VALU_DEP_2)
	v_add_co_ci_u32_e64 v8, null, s21, v8, vcc_lo
	global_load_b64 v[7:8], v[7:8], off
.LBB178_32:
	s_or_b32 exec_lo, exec_lo, s0
	v_lshrrev_b32_e32 v12, 5, v17
	v_lshrrev_b32_e32 v9, 5, v9
	;; [unrolled: 1-line block ×4, first 2 shown]
	v_lshlrev_b32_e32 v39, 2, v17
	v_lshrrev_b32_e32 v14, 3, v17
	s_xor_b32 s7, s7, -1
	s_and_saveexec_b32 s0, s5
	s_cbranch_execz .LBB178_34
; %bb.33:
	v_mad_co_u64_u32 v[5:6], null, s16, v11, 0
	s_wait_loadcnt 0x0
	s_delay_alu instid0(VALU_DEP_1) | instskip(NEXT) | instid1(VALU_DEP_1)
	v_mad_co_u64_u32 v[15:16], null, s17, v11, v[6:7]
	v_mov_b32_e32 v6, v15
	s_delay_alu instid0(VALU_DEP_1) | instskip(NEXT) | instid1(VALU_DEP_1)
	v_lshlrev_b64_e32 v[5:6], 3, v[5:6]
	v_add_co_u32 v5, vcc_lo, s20, v5
	s_wait_alu 0xfffd
	s_delay_alu instid0(VALU_DEP_2)
	v_add_co_ci_u32_e64 v6, null, s21, v6, vcc_lo
	global_load_b64 v[5:6], v[5:6], off
.LBB178_34:
	s_or_b32 exec_lo, exec_lo, s0
	v_lshlrev_b32_e32 v11, 3, v17
	v_lshlrev_b32_e32 v38, 3, v39
	v_mbcnt_lo_u32_b32 v41, -1, 0
	v_lshrrev_b32_e32 v46, 16, v18
	v_lshrrev_b32_e32 v45, 16, v19
	v_lshl_add_u32 v33, v12, 3, v11
	v_lshl_add_u32 v37, v14, 3, v38
	;; [unrolled: 1-line block ×5, first 2 shown]
	s_wait_loadcnt 0x0
	ds_store_b64 v33, v[3:4]
	ds_store_b64 v34, v[1:2] offset:256
	ds_store_b64 v35, v[7:8] offset:512
	;; [unrolled: 1-line block ×3, first 2 shown]
	s_wait_dscnt 0x0
	; wave barrier
	global_inv scope:SCOPE_SE
	ds_load_2addr_b64 v[5:8], v37 offset1:1
	ds_load_2addr_b64 v[1:4], v37 offset0:2 offset1:3
	v_and_b32_e32 v44, 3, v41
	v_and_b32_e32 v42, 28, v41
	s_wait_alu 0xfffe
	s_and_b32 vcc_lo, exec_lo, s7
	v_bfe_u32 v43, v0, 10, 10
	v_bfe_u32 v0, v0, 20, 10
	v_cmp_eq_u32_e64 s6, 0, v44
	v_cmp_eq_u32_e64 s1, 1, v44
	;; [unrolled: 1-line block ×4, first 2 shown]
	v_lshlrev_b32_e32 v40, 5, v17
	s_mov_b32 s8, -1
	; wave barrier
	s_wait_loadcnt_dscnt 0x0
	global_inv scope:SCOPE_SE
                                        ; implicit-def: $vgpr14
                                        ; implicit-def: $vgpr13
	s_wait_alu 0xfffe
	s_cbranch_vccz .LBB178_56
; %bb.35:
	v_xor_b32_e32 v9, 0xffff8000, v18
	v_xor_b32_e32 v10, 0xffff8000, v46
	;; [unrolled: 1-line block ×4, first 2 shown]
	s_getpc_b64 s[8:9]
	s_wait_alu 0xfffe
	s_sext_i32_i16 s9, s9
	s_add_co_u32 s8, s8, _ZN7rocprim17ROCPRIM_400000_NS16block_radix_sortIsLj32ELj4ElLj1ELj1ELj0ELNS0_26block_radix_rank_algorithmE1ELNS0_18block_padding_hintE2ELNS0_4arch9wavefront6targetE0EE19radix_bits_per_passE@rel32@lo+12
	s_wait_alu 0xfffe
	s_add_co_ci_u32 s9, s9, _ZN7rocprim17ROCPRIM_400000_NS16block_radix_sortIsLj32ELj4ElLj1ELj1ELj0ELNS0_26block_radix_rank_algorithmE1ELNS0_18block_padding_hintE2ELNS0_4arch9wavefront6targetE0EE19radix_bits_per_passE@rel32@hi+24
	v_and_b32_e32 v9, 0xffff, v9
	v_and_b32_e32 v10, 0xffff, v10
	v_and_b32_e32 v11, 0xffff, v11
	v_and_b32_e32 v13, 0xffff, v13
	s_load_b32 s24, s[8:9], 0x0
	ds_bpermute_b32 v12, v42, v9
	ds_bpermute_b32 v14, v42, v10
	ds_bpermute_b32 v15, v42, v11
	ds_bpermute_b32 v16, v42, v13
	ds_bpermute_b32 v20, v42, v9 offset:64
	ds_bpermute_b32 v50, v42, v9 offset:32
	;; [unrolled: 1-line block ×6, first 2 shown]
	; wave barrier
	s_wait_loadcnt_dscnt 0x0
	global_inv scope:SCOPE_SE
	s_load_b32 s8, s[22:23], 0xc
	ds_bpermute_b32 v63, v42, v5
	ds_bpermute_b32 v64, v42, v6
	;; [unrolled: 1-line block ×6, first 2 shown]
	s_wait_kmcnt 0x0
	s_min_u32 s9, s24, 16
	v_and_b32_e32 v12, 0xffff, v12
	v_and_b32_e32 v14, 0xffff, v14
	;; [unrolled: 1-line block ×5, first 2 shown]
	v_cndmask_b32_e64 v12, 0, v12, s6
	s_wait_alu 0xfffe
	s_lshl_b32 s9, -1, s9
	ds_bpermute_b32 v21, v42, v3
	s_wait_alu 0xfffe
	s_not_b32 s9, s9
	v_cndmask_b32_e64 v20, 0, v20, s6
	v_cndmask_b32_e64 v12, v12, v14, s1
	ds_bpermute_b32 v14, v42, v10 offset:32
	s_lshr_b32 s10, s8, 16
	s_and_b32 s11, s8, 0xffff
	v_bfi_b32 v55, 0xffff, v51, v20
	v_cndmask_b32_e64 v12, v12, v15, s0
	ds_bpermute_b32 v15, v42, v11 offset:64
	ds_bpermute_b32 v10, v42, v10 offset:96
	ds_bpermute_b32 v22, v42, v4
	v_cndmask_b32_e64 v20, v20, v55, s1
	v_cndmask_b32_e64 v12, v12, v16, s7
	ds_bpermute_b32 v16, v42, v11 offset:32
	ds_bpermute_b32 v66, v42, v5 offset:32
	;; [unrolled: 1-line block ×4, first 2 shown]
	v_perm_b32 v54, v50, v12, 0x5040100
	ds_bpermute_b32 v53, v42, v8 offset:32
	ds_bpermute_b32 v26, v42, v1 offset:32
	;; [unrolled: 1-line block ×4, first 2 shown]
	v_cndmask_b32_e64 v12, v12, v54, s6
	ds_bpermute_b32 v27, v42, v4 offset:32
	ds_bpermute_b32 v65, v42, v5 offset:64
	;; [unrolled: 1-line block ×4, first 2 shown]
	s_wait_dscnt 0xf
	v_perm_b32 v14, v14, v12, 0x5040100
	s_wait_dscnt 0xe
	v_bfi_b32 v15, 0xffff, v15, v20
	ds_bpermute_b32 v57, v42, v8 offset:64
	ds_bpermute_b32 v50, v42, v1 offset:64
	;; [unrolled: 1-line block ×3, first 2 shown]
	v_cndmask_b32_e64 v12, v12, v14, s1
	v_cndmask_b32_e64 v14, v20, v15, s0
	ds_bpermute_b32 v54, v42, v3 offset:64
	ds_bpermute_b32 v55, v42, v4 offset:64
	;; [unrolled: 1-line block ×3, first 2 shown]
	s_wait_dscnt 0x11
	v_perm_b32 v15, v16, v12, 0x5040100
	v_bfi_b32 v16, 0xffff, v58, v14
	ds_bpermute_b32 v67, v42, v6 offset:96
	ds_bpermute_b32 v59, v42, v7 offset:96
	;; [unrolled: 1-line block ×3, first 2 shown]
	v_cndmask_b32_e64 v12, v12, v15, s0
	v_cndmask_b32_e64 v14, v14, v16, s7
	ds_bpermute_b32 v16, v42, v11 offset:96
	s_wait_alu 0xfffe
	v_mad_u32_u24 v11, v0, s10, v43
	ds_bpermute_b32 v58, v42, v1 offset:96
	v_perm_b32 v15, v62, v12, 0x5040100
	v_perm_b32 v9, v9, v14, 0x5040100
	s_delay_alu instid0(VALU_DEP_2) | instskip(SKIP_3) | instid1(VALU_DEP_2)
	v_cndmask_b32_e64 v62, v12, v15, s7
	ds_bpermute_b32 v12, v42, v13 offset:96
	v_cndmask_b32_e64 v9, v14, v9, s6
	v_and_b32_e32 v13, s9, v62
	v_perm_b32 v10, v10, v9, 0x5040100
	s_delay_alu instid0(VALU_DEP_2)
	v_and_b32_e32 v14, 1, v13
	v_lshlrev_b32_e32 v15, 30, v13
	v_lshlrev_b32_e32 v20, 29, v13
	;; [unrolled: 1-line block ×4, first 2 shown]
	v_add_co_u32 v14, s8, v14, -1
	s_wait_alu 0xf1ff
	v_cndmask_b32_e64 v71, 0, 1, s8
	v_not_b32_e32 v75, v15
	v_cmp_gt_i32_e64 s8, 0, v15
	v_not_b32_e32 v15, v20
	v_lshlrev_b32_e32 v73, 26, v13
	v_cmp_ne_u32_e32 vcc_lo, 0, v71
	v_ashrrev_i32_e32 v75, 31, v75
	v_lshlrev_b32_e32 v74, 25, v13
	v_ashrrev_i32_e32 v15, 31, v15
	v_lshlrev_b32_e32 v71, 24, v13
	s_wait_alu 0xfffd
	v_xor_b32_e32 v14, vcc_lo, v14
	v_cmp_gt_i32_e32 vcc_lo, 0, v20
	v_not_b32_e32 v20, v69
	s_wait_alu 0xf1ff
	v_xor_b32_e32 v75, s8, v75
	v_cmp_gt_i32_e64 s8, 0, v69
	v_and_b32_e32 v14, exec_lo, v14
	v_not_b32_e32 v69, v72
	v_ashrrev_i32_e32 v20, 31, v20
	s_wait_alu 0xfffd
	v_xor_b32_e32 v15, vcc_lo, v15
	v_cmp_gt_i32_e32 vcc_lo, 0, v72
	v_and_b32_e32 v14, v14, v75
	v_not_b32_e32 v72, v73
	v_ashrrev_i32_e32 v69, 31, v69
	s_wait_alu 0xf1ff
	v_xor_b32_e32 v20, s8, v20
	v_cmp_gt_i32_e64 s8, 0, v73
	v_and_b32_e32 v14, v14, v15
	v_not_b32_e32 v15, v74
	v_ashrrev_i32_e32 v72, 31, v72
	s_wait_alu 0xfffd
	v_xor_b32_e32 v69, vcc_lo, v69
	v_cmp_gt_i32_e32 vcc_lo, 0, v74
	v_and_b32_e32 v14, v14, v20
	v_not_b32_e32 v20, v71
	v_ashrrev_i32_e32 v15, 31, v15
	s_wait_alu 0xf1ff
	v_xor_b32_e32 v72, s8, v72
	v_cndmask_b32_e64 v9, v9, v10, s1
	v_and_b32_e32 v14, v14, v69
	v_cmp_gt_i32_e64 s8, 0, v71
	v_ashrrev_i32_e32 v20, 31, v20
	s_wait_alu 0xfffd
	v_xor_b32_e32 v15, vcc_lo, v15
	v_mad_co_u64_u32 v[10:11], null, v11, s11, v[17:18]
	v_and_b32_e32 v14, v14, v72
	s_wait_dscnt 0x2
	v_perm_b32 v11, v16, v9, 0x5040100
	s_wait_alu 0xf1ff
	v_xor_b32_e32 v16, s8, v20
	ds_bpermute_b32 v73, v42, v2 offset:96
	ds_bpermute_b32 v71, v42, v3 offset:96
	v_and_b32_e32 v14, v14, v15
	ds_bpermute_b32 v72, v42, v4 offset:96
	v_cndmask_b32_e64 v11, v9, v11, s0
	v_lshrrev_b32_e32 v10, 5, v10
	v_dual_mov_b32 v14, 0 :: v_dual_and_b32 v9, v14, v16
	s_wait_dscnt 0x3
	s_delay_alu instid0(VALU_DEP_3) | instskip(NEXT) | instid1(VALU_DEP_3)
	v_perm_b32 v12, v12, v11, 0x5040100
	v_lshlrev_b32_e32 v20, 2, v10
	v_and_b32_e32 v10, 0xffff, v13
	v_mbcnt_lo_u32_b32 v75, v9, 0
	v_cmp_ne_u32_e64 s8, 0, v9
	v_cndmask_b32_e64 v74, v11, v12, s7
	ds_store_2addr_b32 v40, v14, v14 offset0:1 offset1:2
	ds_store_2addr_b32 v40, v14, v14 offset0:3 offset1:4
	;; [unrolled: 1-line block ×4, first 2 shown]
	v_lshl_add_u32 v77, v10, 2, v20
	v_cmp_eq_u32_e32 vcc_lo, 0, v75
	; wave barrier
	s_wait_loadcnt_dscnt 0x0
	global_inv scope:SCOPE_SE
	; wave barrier
	s_and_b32 s10, s8, vcc_lo
	s_wait_alu 0xfffe
	s_and_saveexec_b32 s8, s10
; %bb.36:
	v_bcnt_u32_b32 v9, v9, 0
	ds_store_b32 v77, v9 offset:4
; %bb.37:
	s_wait_alu 0xfffe
	s_or_b32 exec_lo, exec_lo, s8
	v_lshrrev_b32_e32 v76, 16, v62
	; wave barrier
	s_delay_alu instid0(VALU_DEP_1) | instskip(NEXT) | instid1(VALU_DEP_1)
	v_and_b32_e32 v9, s9, v76
	v_and_b32_e32 v10, 1, v9
	v_lshlrev_b32_e32 v11, 30, v9
	v_lshlrev_b32_e32 v12, 29, v9
	;; [unrolled: 1-line block ×4, first 2 shown]
	v_add_co_u32 v10, s8, v10, -1
	s_wait_alu 0xf1ff
	v_cndmask_b32_e64 v14, 0, 1, s8
	v_not_b32_e32 v78, v11
	v_cmp_gt_i32_e64 s8, 0, v11
	v_not_b32_e32 v11, v12
	v_lshlrev_b32_e32 v16, 26, v9
	v_cmp_ne_u32_e32 vcc_lo, 0, v14
	v_ashrrev_i32_e32 v78, 31, v78
	v_lshlrev_b32_e32 v69, 25, v9
	v_ashrrev_i32_e32 v11, 31, v11
	v_lshlrev_b32_e32 v14, 24, v9
	s_wait_alu 0xfffd
	v_xor_b32_e32 v10, vcc_lo, v10
	v_cmp_gt_i32_e32 vcc_lo, 0, v12
	v_not_b32_e32 v12, v13
	s_wait_alu 0xf1ff
	v_xor_b32_e32 v78, s8, v78
	v_cmp_gt_i32_e64 s8, 0, v13
	v_and_b32_e32 v10, exec_lo, v10
	v_not_b32_e32 v13, v15
	v_ashrrev_i32_e32 v12, 31, v12
	s_wait_alu 0xfffd
	v_xor_b32_e32 v11, vcc_lo, v11
	v_cmp_gt_i32_e32 vcc_lo, 0, v15
	v_and_b32_e32 v10, v10, v78
	v_not_b32_e32 v15, v16
	v_ashrrev_i32_e32 v13, 31, v13
	s_wait_alu 0xf1ff
	v_xor_b32_e32 v12, s8, v12
	v_cmp_gt_i32_e64 s8, 0, v16
	v_and_b32_e32 v10, v10, v11
	v_not_b32_e32 v11, v69
	v_ashrrev_i32_e32 v15, 31, v15
	s_wait_alu 0xfffd
	v_xor_b32_e32 v13, vcc_lo, v13
	v_cmp_gt_i32_e32 vcc_lo, 0, v69
	v_and_b32_e32 v10, v10, v12
	v_not_b32_e32 v12, v14
	v_ashrrev_i32_e32 v11, 31, v11
	s_wait_alu 0xf1ff
	v_xor_b32_e32 v15, s8, v15
	v_cmp_gt_i32_e64 s8, 0, v14
	v_and_b32_e32 v10, v10, v13
	v_ashrrev_i32_e32 v12, 31, v12
	s_wait_alu 0xfffd
	v_xor_b32_e32 v11, vcc_lo, v11
	v_lshl_add_u32 v80, v9, 2, v20
	v_and_b32_e32 v10, v10, v15
	s_wait_alu 0xf1ff
	v_xor_b32_e32 v9, s8, v12
	ds_load_b32 v78, v80 offset:4
	v_and_b32_e32 v10, v10, v11
	; wave barrier
	s_delay_alu instid0(VALU_DEP_1) | instskip(NEXT) | instid1(VALU_DEP_1)
	v_and_b32_e32 v9, v10, v9
	v_mbcnt_lo_u32_b32 v79, v9, 0
	v_cmp_ne_u32_e64 s8, 0, v9
	s_delay_alu instid0(VALU_DEP_2)
	v_cmp_eq_u32_e32 vcc_lo, 0, v79
	s_and_b32 s10, s8, vcc_lo
	s_wait_alu 0xfffe
	s_and_saveexec_b32 s8, s10
	s_cbranch_execz .LBB178_39
; %bb.38:
	s_wait_dscnt 0x0
	v_bcnt_u32_b32 v9, v9, v78
	ds_store_b32 v80, v9 offset:4
.LBB178_39:
	s_wait_alu 0xfffe
	s_or_b32 exec_lo, exec_lo, s8
	v_and_b32_e32 v9, s9, v74
	; wave barrier
	s_delay_alu instid0(VALU_DEP_1)
	v_and_b32_e32 v10, 1, v9
	v_lshlrev_b32_e32 v11, 30, v9
	v_lshlrev_b32_e32 v12, 29, v9
	;; [unrolled: 1-line block ×4, first 2 shown]
	v_add_co_u32 v10, s8, v10, -1
	s_wait_alu 0xf1ff
	v_cndmask_b32_e64 v14, 0, 1, s8
	v_not_b32_e32 v81, v11
	v_cmp_gt_i32_e64 s8, 0, v11
	v_not_b32_e32 v11, v12
	v_lshlrev_b32_e32 v16, 26, v9
	v_cmp_ne_u32_e32 vcc_lo, 0, v14
	v_ashrrev_i32_e32 v81, 31, v81
	v_lshlrev_b32_e32 v69, 25, v9
	v_ashrrev_i32_e32 v11, 31, v11
	v_lshlrev_b32_e32 v14, 24, v9
	s_wait_alu 0xfffd
	v_xor_b32_e32 v10, vcc_lo, v10
	v_cmp_gt_i32_e32 vcc_lo, 0, v12
	v_not_b32_e32 v12, v13
	s_wait_alu 0xf1ff
	v_xor_b32_e32 v81, s8, v81
	v_cmp_gt_i32_e64 s8, 0, v13
	v_and_b32_e32 v10, exec_lo, v10
	v_not_b32_e32 v13, v15
	v_ashrrev_i32_e32 v12, 31, v12
	s_wait_alu 0xfffd
	v_xor_b32_e32 v11, vcc_lo, v11
	v_cmp_gt_i32_e32 vcc_lo, 0, v15
	v_and_b32_e32 v10, v10, v81
	v_not_b32_e32 v15, v16
	v_ashrrev_i32_e32 v13, 31, v13
	s_wait_alu 0xf1ff
	v_xor_b32_e32 v12, s8, v12
	v_cmp_gt_i32_e64 s8, 0, v16
	v_and_b32_e32 v10, v10, v11
	v_not_b32_e32 v11, v69
	v_ashrrev_i32_e32 v15, 31, v15
	s_wait_alu 0xfffd
	v_xor_b32_e32 v13, vcc_lo, v13
	v_cmp_gt_i32_e32 vcc_lo, 0, v69
	v_and_b32_e32 v10, v10, v12
	v_not_b32_e32 v12, v14
	v_ashrrev_i32_e32 v11, 31, v11
	s_wait_alu 0xf1ff
	v_xor_b32_e32 v15, s8, v15
	v_and_b32_e32 v9, 0xffff, v9
	v_and_b32_e32 v10, v10, v13
	v_cmp_gt_i32_e64 s8, 0, v14
	v_ashrrev_i32_e32 v12, 31, v12
	s_wait_alu 0xfffd
	v_xor_b32_e32 v11, vcc_lo, v11
	v_lshl_add_u32 v84, v9, 2, v20
	v_and_b32_e32 v10, v10, v15
	s_wait_alu 0xf1ff
	v_xor_b32_e32 v9, s8, v12
	ds_load_b32 v81, v84 offset:4
	v_and_b32_e32 v10, v10, v11
	; wave barrier
	s_delay_alu instid0(VALU_DEP_1) | instskip(NEXT) | instid1(VALU_DEP_1)
	v_and_b32_e32 v9, v10, v9
	v_mbcnt_lo_u32_b32 v82, v9, 0
	v_cmp_ne_u32_e64 s8, 0, v9
	s_delay_alu instid0(VALU_DEP_2)
	v_cmp_eq_u32_e32 vcc_lo, 0, v82
	s_and_b32 s10, s8, vcc_lo
	s_wait_alu 0xfffe
	s_and_saveexec_b32 s8, s10
	s_cbranch_execz .LBB178_41
; %bb.40:
	s_wait_dscnt 0x0
	v_bcnt_u32_b32 v9, v9, v81
	ds_store_b32 v84, v9 offset:4
.LBB178_41:
	s_wait_alu 0xfffe
	s_or_b32 exec_lo, exec_lo, s8
	v_lshrrev_b32_e32 v83, 16, v74
	; wave barrier
	v_and_or_b32 v87, 0xf80, v39, v41
	s_delay_alu instid0(VALU_DEP_2) | instskip(NEXT) | instid1(VALU_DEP_1)
	v_and_b32_e32 v9, s9, v83
	v_and_b32_e32 v10, 1, v9
	v_lshlrev_b32_e32 v11, 30, v9
	v_lshlrev_b32_e32 v12, 29, v9
	;; [unrolled: 1-line block ×4, first 2 shown]
	v_add_co_u32 v10, s8, v10, -1
	s_wait_alu 0xf1ff
	v_cndmask_b32_e64 v14, 0, 1, s8
	v_not_b32_e32 v85, v11
	v_cmp_gt_i32_e64 s8, 0, v11
	v_not_b32_e32 v11, v12
	v_lshlrev_b32_e32 v16, 26, v9
	v_cmp_ne_u32_e32 vcc_lo, 0, v14
	v_ashrrev_i32_e32 v85, 31, v85
	v_lshlrev_b32_e32 v69, 25, v9
	v_ashrrev_i32_e32 v11, 31, v11
	v_lshlrev_b32_e32 v14, 24, v9
	s_wait_alu 0xfffd
	v_xor_b32_e32 v10, vcc_lo, v10
	v_cmp_gt_i32_e32 vcc_lo, 0, v12
	v_not_b32_e32 v12, v13
	s_wait_alu 0xf1ff
	v_xor_b32_e32 v85, s8, v85
	v_cmp_gt_i32_e64 s8, 0, v13
	v_and_b32_e32 v10, exec_lo, v10
	v_not_b32_e32 v13, v15
	v_ashrrev_i32_e32 v12, 31, v12
	s_wait_alu 0xfffd
	v_xor_b32_e32 v11, vcc_lo, v11
	v_cmp_gt_i32_e32 vcc_lo, 0, v15
	v_and_b32_e32 v10, v10, v85
	v_not_b32_e32 v15, v16
	v_ashrrev_i32_e32 v13, 31, v13
	s_wait_alu 0xf1ff
	v_xor_b32_e32 v12, s8, v12
	v_cmp_gt_i32_e64 s8, 0, v16
	v_and_b32_e32 v10, v10, v11
	v_not_b32_e32 v11, v69
	v_ashrrev_i32_e32 v15, 31, v15
	s_wait_alu 0xfffd
	v_xor_b32_e32 v13, vcc_lo, v13
	v_cmp_gt_i32_e32 vcc_lo, 0, v69
	v_and_b32_e32 v10, v10, v12
	v_not_b32_e32 v12, v14
	v_ashrrev_i32_e32 v11, 31, v11
	s_wait_alu 0xf1ff
	v_xor_b32_e32 v15, s8, v15
	v_cmp_gt_i32_e64 s8, 0, v14
	v_and_b32_e32 v10, v10, v13
	v_ashrrev_i32_e32 v12, 31, v12
	s_wait_alu 0xfffd
	v_xor_b32_e32 v11, vcc_lo, v11
	v_lshl_add_u32 v88, v9, 2, v20
	v_and_b32_e32 v10, v10, v15
	s_wait_alu 0xf1ff
	v_xor_b32_e32 v9, s8, v12
	ds_load_b32 v85, v88 offset:4
	v_and_b32_e32 v10, v10, v11
	; wave barrier
	s_delay_alu instid0(VALU_DEP_1) | instskip(NEXT) | instid1(VALU_DEP_1)
	v_and_b32_e32 v9, v10, v9
	v_mbcnt_lo_u32_b32 v86, v9, 0
	v_cmp_ne_u32_e64 s8, 0, v9
	s_delay_alu instid0(VALU_DEP_2)
	v_cmp_eq_u32_e32 vcc_lo, 0, v86
	s_and_b32 s9, s8, vcc_lo
	s_wait_alu 0xfffe
	s_and_saveexec_b32 s8, s9
	s_cbranch_execz .LBB178_43
; %bb.42:
	s_wait_dscnt 0x0
	v_bcnt_u32_b32 v9, v9, v85
	ds_store_b32 v88, v9 offset:4
.LBB178_43:
	s_wait_alu 0xfffe
	s_or_b32 exec_lo, exec_lo, s8
	; wave barrier
	; wave barrier
	s_wait_loadcnt_dscnt 0x0
	global_inv scope:SCOPE_SE
	ds_load_2addr_b32 v[15:16], v40 offset0:1 offset1:2
	ds_load_2addr_b32 v[13:14], v40 offset0:3 offset1:4
	;; [unrolled: 1-line block ×4, first 2 shown]
	v_and_b32_e32 v90, 16, v41
	v_cmp_eq_u32_e64 s11, 31, v17
	s_delay_alu instid0(VALU_DEP_2) | instskip(SKIP_3) | instid1(VALU_DEP_1)
	v_cmp_eq_u32_e64 s12, 0, v90
	s_wait_dscnt 0x3
	v_add_nc_u32_e32 v69, v16, v15
	s_wait_dscnt 0x2
	v_add3_u32 v69, v69, v13, v14
	s_wait_dscnt 0x1
	s_delay_alu instid0(VALU_DEP_1) | instskip(SKIP_1) | instid1(VALU_DEP_1)
	v_add3_u32 v69, v69, v11, v12
	s_wait_dscnt 0x0
	v_add3_u32 v10, v69, v9, v10
	v_and_b32_e32 v69, 15, v41
	s_delay_alu instid0(VALU_DEP_2) | instskip(NEXT) | instid1(VALU_DEP_2)
	v_mov_b32_dpp v89, v10 row_shr:1 row_mask:0xf bank_mask:0xf
	v_cmp_eq_u32_e32 vcc_lo, 0, v69
	v_cmp_lt_u32_e64 s8, 1, v69
	v_cmp_lt_u32_e64 s9, 3, v69
	;; [unrolled: 1-line block ×3, first 2 shown]
	s_wait_alu 0xfffd
	v_cndmask_b32_e64 v89, v89, 0, vcc_lo
	s_delay_alu instid0(VALU_DEP_1) | instskip(NEXT) | instid1(VALU_DEP_1)
	v_add_nc_u32_e32 v10, v89, v10
	v_mov_b32_dpp v89, v10 row_shr:2 row_mask:0xf bank_mask:0xf
	s_wait_alu 0xf1ff
	s_delay_alu instid0(VALU_DEP_1) | instskip(NEXT) | instid1(VALU_DEP_1)
	v_cndmask_b32_e64 v89, 0, v89, s8
	v_add_nc_u32_e32 v10, v10, v89
	s_delay_alu instid0(VALU_DEP_1) | instskip(NEXT) | instid1(VALU_DEP_1)
	v_mov_b32_dpp v89, v10 row_shr:4 row_mask:0xf bank_mask:0xf
	v_cndmask_b32_e64 v89, 0, v89, s9
	s_delay_alu instid0(VALU_DEP_1) | instskip(NEXT) | instid1(VALU_DEP_1)
	v_add_nc_u32_e32 v10, v10, v89
	v_mov_b32_dpp v89, v10 row_shr:8 row_mask:0xf bank_mask:0xf
	s_delay_alu instid0(VALU_DEP_1) | instskip(NEXT) | instid1(VALU_DEP_1)
	v_cndmask_b32_e64 v69, 0, v89, s10
	v_add_nc_u32_e32 v89, v10, v69
	v_bfe_i32 v69, v41, 4, 1
	ds_swizzle_b32 v10, v89 offset:swizzle(BROADCAST,32,15)
	s_wait_dscnt 0x0
	v_and_b32_e32 v91, v69, v10
	v_sub_co_u32 v69, s25, v41, 1
	v_mul_u32_u24_e32 v10, 6, v87
	s_delay_alu instid0(VALU_DEP_3)
	v_add_nc_u32_e32 v89, v89, v91
	s_and_saveexec_b32 s13, s11
; %bb.44:
	v_mov_b32_e32 v90, 0
	ds_store_b32 v90, v89
; %bb.45:
	s_wait_alu 0xfffe
	s_or_b32 exec_lo, exec_lo, s13
	v_cmp_gt_i32_e64 s13, 0, v69
	; wave barrier
	s_wait_loadcnt_dscnt 0x0
	global_inv scope:SCOPE_SE
	v_cndmask_b32_e64 v64, 0, v64, s6
	v_cndmask_b32_e64 v63, 0, v63, s6
	s_wait_alu 0xf1ff
	v_cndmask_b32_e64 v69, v69, v41, s13
	v_cmp_eq_u32_e64 s13, 0, v17
	v_cndmask_b32_e64 v66, 0, v66, s6
	v_cndmask_b32_e64 v49, v64, v49, s1
	;; [unrolled: 1-line block ×3, first 2 shown]
	v_lshlrev_b32_e32 v69, 2, v69
	s_or_b32 s25, s13, s25
	v_cndmask_b32_e64 v52, v66, v52, s1
	s_min_u32 s13, s24, 8
	s_wait_alu 0xfffe
	s_lshl_b32 s13, -1, s13
	ds_bpermute_b32 v89, v69, v89
	s_wait_alu 0xfffe
	s_not_b32 s24, s13
	s_wait_dscnt 0x0
	v_cndmask_b32_e64 v89, v89, 0, s25
	s_delay_alu instid0(VALU_DEP_1) | instskip(NEXT) | instid1(VALU_DEP_1)
	v_add_nc_u32_e32 v15, v89, v15
	v_add_nc_u32_e32 v16, v15, v16
	s_delay_alu instid0(VALU_DEP_1) | instskip(NEXT) | instid1(VALU_DEP_1)
	v_add_nc_u32_e32 v13, v16, v13
	v_add_nc_u32_e32 v14, v13, v14
	;; [unrolled: 3-line block ×3, first 2 shown]
	s_delay_alu instid0(VALU_DEP_1)
	v_add_nc_u32_e32 v9, v12, v9
	ds_store_2addr_b32 v40, v89, v15 offset0:1 offset1:2
	ds_store_2addr_b32 v40, v16, v13 offset0:3 offset1:4
	ds_store_2addr_b32 v40, v14, v11 offset0:5 offset1:6
	ds_store_2addr_b32 v40, v12, v9 offset0:7 offset1:8
	; wave barrier
	s_wait_loadcnt_dscnt 0x0
	global_inv scope:SCOPE_SE
	ds_load_b32 v9, v77 offset:4
	ds_load_b32 v11, v80 offset:4
	;; [unrolled: 1-line block ×4, first 2 shown]
	v_cndmask_b32_e64 v15, 0, v65, s6
	v_cndmask_b32_e64 v16, 0, v68, s6
	;; [unrolled: 1-line block ×4, first 2 shown]
	v_lshlrev_b32_e32 v67, 1, v87
	v_cndmask_b32_e64 v15, v15, v56, s1
	v_cndmask_b32_e64 v16, v16, v57, s1
	;; [unrolled: 1-line block ×4, first 2 shown]
	; wave barrier
	s_wait_loadcnt_dscnt 0x0
	global_inv scope:SCOPE_SE
	v_cndmask_b32_e64 v60, 0, v70, s6
	v_cndmask_b32_e64 v16, v16, v51, s0
	v_add_nc_u32_e32 v56, v9, v75
	v_add3_u32 v57, v79, v78, v11
	v_add3_u32 v61, v82, v81, v12
	;; [unrolled: 1-line block ×3, first 2 shown]
	v_cndmask_b32_e64 v59, v60, v59, s1
	v_lshlrev_b32_e32 v9, 1, v56
	v_lshlrev_b32_e32 v11, 1, v57
	;; [unrolled: 1-line block ×4, first 2 shown]
	ds_store_b16 v9, v62
	ds_store_b16 v11, v76
	;; [unrolled: 1-line block ×4, first 2 shown]
	; wave barrier
	s_wait_loadcnt_dscnt 0x0
	global_inv scope:SCOPE_SE
	ds_load_u16 v48, v67
	v_add_nc_u32_e32 v60, v67, v10
	v_cndmask_b32_e64 v10, v63, v23, s0
	v_cndmask_b32_e64 v23, v49, v24, s0
	v_cndmask_b32_e64 v24, v52, v26, s0
	v_cndmask_b32_e64 v26, v14, v47, s0
	v_cndmask_b32_e64 v47, v15, v50, s0
	v_cndmask_b32_e64 v14, v10, v21, s7
	v_cndmask_b32_e64 v15, v23, v22, s7
	v_cndmask_b32_e64 v21, v24, v25, s7
	v_cndmask_b32_e64 v24, v16, v55, s7
	v_cndmask_b32_e64 v22, v26, v27, s7
	v_cndmask_b32_e64 v51, v59, v58, s0
	v_cndmask_b32_e64 v52, v53, v73, s0
	v_cndmask_b32_e64 v23, v47, v54, s7
	ds_load_u16 v47, v67 offset:64
	ds_load_u16 v49, v67 offset:128
	ds_load_u16 v50, v67 offset:192
	; wave barrier
	s_wait_loadcnt_dscnt 0x0
	global_inv scope:SCOPE_SE
	v_cndmask_b32_e64 v26, v52, v72, s7
	v_cndmask_b32_e64 v25, v51, v71, s7
	v_lshrrev_b16 v10, 8, v48
	s_delay_alu instid0(VALU_DEP_1) | instskip(SKIP_2) | instid1(VALU_DEP_3)
	v_and_b32_e32 v16, 0xffff, v10
	v_mad_co_u64_u32 v[9:10], null, v56, 6, v[9:10]
	v_mad_co_u64_u32 v[10:11], null, v57, 6, v[11:12]
	v_and_b32_e32 v27, s24, v16
	v_mad_co_u64_u32 v[11:12], null, v61, 6, v[12:13]
	v_mad_co_u64_u32 v[12:13], null, v64, 6, v[13:14]
	ds_store_b64 v9, v[14:15]
	v_and_b32_e32 v9, 1, v27
	v_lshlrev_b32_e32 v13, 30, v27
	v_lshlrev_b32_e32 v14, 29, v27
	;; [unrolled: 1-line block ×4, first 2 shown]
	v_add_co_u32 v9, s7, v9, -1
	s_wait_alu 0xf1ff
	v_cndmask_b32_e64 v16, 0, 1, s7
	v_not_b32_e32 v54, v13
	v_cmp_gt_i32_e64 s13, 0, v13
	v_not_b32_e32 v13, v14
	v_lshlrev_b32_e32 v52, 26, v27
	v_cmp_ne_u32_e64 s7, 0, v16
	v_ashrrev_i32_e32 v54, 31, v54
	v_lshlrev_b32_e32 v53, 25, v27
	v_ashrrev_i32_e32 v13, 31, v13
	v_lshlrev_b32_e32 v16, 24, v27
	s_wait_alu 0xf1ff
	v_xor_b32_e32 v9, s7, v9
	v_cmp_gt_i32_e64 s7, 0, v14
	v_not_b32_e32 v14, v15
	v_xor_b32_e32 v54, s13, v54
	v_cmp_gt_i32_e64 s13, 0, v15
	v_and_b32_e32 v9, exec_lo, v9
	v_not_b32_e32 v15, v51
	v_ashrrev_i32_e32 v14, 31, v14
	s_wait_alu 0xf1ff
	v_xor_b32_e32 v13, s7, v13
	v_cmp_gt_i32_e64 s7, 0, v51
	v_and_b32_e32 v9, v9, v54
	v_not_b32_e32 v51, v52
	v_ashrrev_i32_e32 v15, 31, v15
	v_xor_b32_e32 v14, s13, v14
	v_cmp_gt_i32_e64 s13, 0, v52
	v_and_b32_e32 v9, v9, v13
	v_not_b32_e32 v13, v53
	v_ashrrev_i32_e32 v51, 31, v51
	s_wait_alu 0xf1ff
	v_xor_b32_e32 v15, s7, v15
	v_cmp_gt_i32_e64 s7, 0, v53
	v_and_b32_e32 v9, v9, v14
	v_not_b32_e32 v14, v16
	v_ashrrev_i32_e32 v13, 31, v13
	v_xor_b32_e32 v51, s13, v51
	ds_store_b64 v10, v[21:22]
	v_and_b32_e32 v9, v9, v15
	v_cmp_gt_i32_e64 s13, 0, v16
	v_ashrrev_i32_e32 v10, 31, v14
	s_wait_alu 0xf1ff
	v_xor_b32_e32 v13, s7, v13
	ds_store_b64 v11, v[23:24]
	ds_store_b64 v12, v[25:26]
	v_and_b32_e32 v9, v9, v51
	s_wait_loadcnt_dscnt 0x0
	v_xor_b32_e32 v21, s13, v10
	; wave barrier
	global_inv scope:SCOPE_SE
	v_lshl_add_u32 v52, v27, 2, v20
	v_and_b32_e32 v22, v9, v13
	ds_load_2addr_b64 v[13:16], v60 offset1:32
	ds_load_2addr_b64 v[9:12], v60 offset0:64 offset1:96
	; wave barrier
	s_wait_loadcnt_dscnt 0x0
	global_inv scope:SCOPE_SE
	v_dual_mov_b32 v22, 0 :: v_dual_and_b32 v21, v22, v21
	ds_store_2addr_b32 v40, v22, v22 offset0:1 offset1:2
	ds_store_2addr_b32 v40, v22, v22 offset0:3 offset1:4
	;; [unrolled: 1-line block ×4, first 2 shown]
	v_mbcnt_lo_u32_b32 v51, v21, 0
	v_cmp_ne_u32_e64 s13, 0, v21
	; wave barrier
	s_wait_loadcnt_dscnt 0x0
	global_inv scope:SCOPE_SE
	v_cmp_eq_u32_e64 s7, 0, v51
	; wave barrier
	s_and_b32 s13, s13, s7
	s_wait_alu 0xfffe
	s_and_saveexec_b32 s7, s13
; %bb.46:
	v_bcnt_u32_b32 v21, v21, 0
	ds_store_b32 v52, v21 offset:4
; %bb.47:
	s_wait_alu 0xfffe
	s_or_b32 exec_lo, exec_lo, s7
	v_lshrrev_b16 v21, 8, v47
	; wave barrier
	s_delay_alu instid0(VALU_DEP_1) | instskip(NEXT) | instid1(VALU_DEP_1)
	v_and_b32_e32 v21, s24, v21
	v_and_b32_e32 v22, 1, v21
	v_lshlrev_b32_e32 v23, 30, v21
	v_lshlrev_b32_e32 v24, 29, v21
	;; [unrolled: 1-line block ×4, first 2 shown]
	v_add_co_u32 v22, s7, v22, -1
	s_wait_alu 0xf1ff
	v_cndmask_b32_e64 v26, 0, 1, s7
	v_not_b32_e32 v55, v23
	v_cmp_gt_i32_e64 s13, 0, v23
	v_not_b32_e32 v23, v24
	v_lshlrev_b32_e32 v53, 26, v21
	v_cmp_ne_u32_e64 s7, 0, v26
	v_ashrrev_i32_e32 v55, 31, v55
	v_lshlrev_b32_e32 v54, 25, v21
	v_ashrrev_i32_e32 v23, 31, v23
	v_lshlrev_b32_e32 v26, 24, v21
	s_wait_alu 0xf1ff
	v_xor_b32_e32 v22, s7, v22
	v_cmp_gt_i32_e64 s7, 0, v24
	v_not_b32_e32 v24, v25
	v_xor_b32_e32 v55, s13, v55
	v_cmp_gt_i32_e64 s13, 0, v25
	v_and_b32_e32 v22, exec_lo, v22
	v_not_b32_e32 v25, v27
	v_ashrrev_i32_e32 v24, 31, v24
	s_wait_alu 0xf1ff
	v_xor_b32_e32 v23, s7, v23
	v_cmp_gt_i32_e64 s7, 0, v27
	v_and_b32_e32 v22, v22, v55
	v_not_b32_e32 v27, v53
	v_ashrrev_i32_e32 v25, 31, v25
	v_xor_b32_e32 v24, s13, v24
	v_cmp_gt_i32_e64 s13, 0, v53
	v_and_b32_e32 v22, v22, v23
	v_not_b32_e32 v23, v54
	v_ashrrev_i32_e32 v27, 31, v27
	s_wait_alu 0xf1ff
	v_xor_b32_e32 v25, s7, v25
	v_cmp_gt_i32_e64 s7, 0, v54
	v_and_b32_e32 v22, v22, v24
	v_not_b32_e32 v24, v26
	v_ashrrev_i32_e32 v23, 31, v23
	v_xor_b32_e32 v27, s13, v27
	v_cmp_gt_i32_e64 s13, 0, v26
	v_and_b32_e32 v22, v22, v25
	v_ashrrev_i32_e32 v24, 31, v24
	s_wait_alu 0xf1ff
	v_xor_b32_e32 v23, s7, v23
	v_lshl_add_u32 v55, v21, 2, v20
	v_and_b32_e32 v22, v22, v27
	v_xor_b32_e32 v21, s13, v24
	ds_load_b32 v53, v55 offset:4
	v_and_b32_e32 v22, v22, v23
	; wave barrier
	s_delay_alu instid0(VALU_DEP_1) | instskip(NEXT) | instid1(VALU_DEP_1)
	v_and_b32_e32 v21, v22, v21
	v_mbcnt_lo_u32_b32 v54, v21, 0
	v_cmp_ne_u32_e64 s13, 0, v21
	s_delay_alu instid0(VALU_DEP_2)
	v_cmp_eq_u32_e64 s7, 0, v54
	s_and_b32 s13, s13, s7
	s_wait_alu 0xfffe
	s_and_saveexec_b32 s7, s13
	s_cbranch_execz .LBB178_49
; %bb.48:
	s_wait_dscnt 0x0
	v_bcnt_u32_b32 v21, v21, v53
	ds_store_b32 v55, v21 offset:4
.LBB178_49:
	s_wait_alu 0xfffe
	s_or_b32 exec_lo, exec_lo, s7
	v_lshrrev_b16 v21, 8, v49
	; wave barrier
	s_delay_alu instid0(VALU_DEP_1) | instskip(NEXT) | instid1(VALU_DEP_1)
	v_and_b32_e32 v21, s24, v21
	v_and_b32_e32 v22, 1, v21
	v_lshlrev_b32_e32 v23, 30, v21
	v_lshlrev_b32_e32 v24, 29, v21
	;; [unrolled: 1-line block ×4, first 2 shown]
	v_add_co_u32 v22, s7, v22, -1
	s_wait_alu 0xf1ff
	v_cndmask_b32_e64 v26, 0, 1, s7
	v_not_b32_e32 v58, v23
	v_cmp_gt_i32_e64 s13, 0, v23
	v_not_b32_e32 v23, v24
	v_lshlrev_b32_e32 v56, 26, v21
	v_cmp_ne_u32_e64 s7, 0, v26
	v_ashrrev_i32_e32 v58, 31, v58
	v_lshlrev_b32_e32 v57, 25, v21
	v_ashrrev_i32_e32 v23, 31, v23
	v_lshlrev_b32_e32 v26, 24, v21
	s_wait_alu 0xf1ff
	v_xor_b32_e32 v22, s7, v22
	v_cmp_gt_i32_e64 s7, 0, v24
	v_not_b32_e32 v24, v25
	v_xor_b32_e32 v58, s13, v58
	v_cmp_gt_i32_e64 s13, 0, v25
	v_and_b32_e32 v22, exec_lo, v22
	v_not_b32_e32 v25, v27
	v_ashrrev_i32_e32 v24, 31, v24
	s_wait_alu 0xf1ff
	v_xor_b32_e32 v23, s7, v23
	v_cmp_gt_i32_e64 s7, 0, v27
	v_and_b32_e32 v22, v22, v58
	v_not_b32_e32 v27, v56
	v_ashrrev_i32_e32 v25, 31, v25
	v_xor_b32_e32 v24, s13, v24
	v_cmp_gt_i32_e64 s13, 0, v56
	v_and_b32_e32 v22, v22, v23
	v_not_b32_e32 v23, v57
	v_ashrrev_i32_e32 v27, 31, v27
	s_wait_alu 0xf1ff
	v_xor_b32_e32 v25, s7, v25
	v_cmp_gt_i32_e64 s7, 0, v57
	v_and_b32_e32 v22, v22, v24
	v_not_b32_e32 v24, v26
	v_ashrrev_i32_e32 v23, 31, v23
	v_xor_b32_e32 v27, s13, v27
	v_cmp_gt_i32_e64 s13, 0, v26
	v_and_b32_e32 v22, v22, v25
	v_ashrrev_i32_e32 v24, 31, v24
	s_wait_alu 0xf1ff
	v_xor_b32_e32 v23, s7, v23
	v_lshl_add_u32 v58, v21, 2, v20
	v_and_b32_e32 v22, v22, v27
	v_xor_b32_e32 v21, s13, v24
	ds_load_b32 v56, v58 offset:4
	v_and_b32_e32 v22, v22, v23
	; wave barrier
	s_delay_alu instid0(VALU_DEP_1) | instskip(NEXT) | instid1(VALU_DEP_1)
	v_and_b32_e32 v21, v22, v21
	v_mbcnt_lo_u32_b32 v57, v21, 0
	v_cmp_ne_u32_e64 s13, 0, v21
	s_delay_alu instid0(VALU_DEP_2)
	v_cmp_eq_u32_e64 s7, 0, v57
	s_and_b32 s13, s13, s7
	s_wait_alu 0xfffe
	s_and_saveexec_b32 s7, s13
	s_cbranch_execz .LBB178_51
; %bb.50:
	s_wait_dscnt 0x0
	v_bcnt_u32_b32 v21, v21, v56
	ds_store_b32 v58, v21 offset:4
.LBB178_51:
	s_wait_alu 0xfffe
	s_or_b32 exec_lo, exec_lo, s7
	v_lshrrev_b16 v21, 8, v50
	; wave barrier
	s_delay_alu instid0(VALU_DEP_1) | instskip(NEXT) | instid1(VALU_DEP_1)
	v_and_b32_e32 v21, s24, v21
	v_and_b32_e32 v22, 1, v21
	v_lshlrev_b32_e32 v23, 30, v21
	v_lshlrev_b32_e32 v24, 29, v21
	;; [unrolled: 1-line block ×4, first 2 shown]
	v_add_co_u32 v22, s7, v22, -1
	s_wait_alu 0xf1ff
	v_cndmask_b32_e64 v26, 0, 1, s7
	v_not_b32_e32 v61, v23
	v_cmp_gt_i32_e64 s13, 0, v23
	v_not_b32_e32 v23, v24
	v_lshlrev_b32_e32 v59, 26, v21
	v_cmp_ne_u32_e64 s7, 0, v26
	v_ashrrev_i32_e32 v61, 31, v61
	v_lshlrev_b32_e32 v60, 25, v21
	v_ashrrev_i32_e32 v23, 31, v23
	v_lshlrev_b32_e32 v26, 24, v21
	s_wait_alu 0xf1ff
	v_xor_b32_e32 v22, s7, v22
	v_cmp_gt_i32_e64 s7, 0, v24
	v_not_b32_e32 v24, v25
	v_xor_b32_e32 v61, s13, v61
	v_cmp_gt_i32_e64 s13, 0, v25
	v_and_b32_e32 v22, exec_lo, v22
	v_not_b32_e32 v25, v27
	v_ashrrev_i32_e32 v24, 31, v24
	s_wait_alu 0xf1ff
	v_xor_b32_e32 v23, s7, v23
	v_cmp_gt_i32_e64 s7, 0, v27
	v_and_b32_e32 v22, v22, v61
	v_not_b32_e32 v27, v59
	v_ashrrev_i32_e32 v25, 31, v25
	v_xor_b32_e32 v24, s13, v24
	v_cmp_gt_i32_e64 s13, 0, v59
	v_and_b32_e32 v22, v22, v23
	v_not_b32_e32 v23, v60
	v_ashrrev_i32_e32 v27, 31, v27
	s_wait_alu 0xf1ff
	v_xor_b32_e32 v25, s7, v25
	v_cmp_gt_i32_e64 s7, 0, v60
	v_and_b32_e32 v22, v22, v24
	v_not_b32_e32 v24, v26
	v_ashrrev_i32_e32 v23, 31, v23
	v_xor_b32_e32 v27, s13, v27
	v_cmp_gt_i32_e64 s13, 0, v26
	v_and_b32_e32 v22, v22, v25
	v_ashrrev_i32_e32 v24, 31, v24
	s_wait_alu 0xf1ff
	v_xor_b32_e32 v23, s7, v23
	v_lshl_add_u32 v61, v21, 2, v20
	v_and_b32_e32 v22, v22, v27
	v_xor_b32_e32 v20, s13, v24
	ds_load_b32 v59, v61 offset:4
	v_and_b32_e32 v21, v22, v23
	; wave barrier
	s_delay_alu instid0(VALU_DEP_1) | instskip(NEXT) | instid1(VALU_DEP_1)
	v_and_b32_e32 v20, v21, v20
	v_mbcnt_lo_u32_b32 v60, v20, 0
	v_cmp_ne_u32_e64 s13, 0, v20
	s_delay_alu instid0(VALU_DEP_2)
	v_cmp_eq_u32_e64 s7, 0, v60
	s_and_b32 s13, s13, s7
	s_wait_alu 0xfffe
	s_and_saveexec_b32 s7, s13
	s_cbranch_execz .LBB178_53
; %bb.52:
	s_wait_dscnt 0x0
	v_bcnt_u32_b32 v20, v20, v59
	ds_store_b32 v61, v20 offset:4
.LBB178_53:
	s_wait_alu 0xfffe
	s_or_b32 exec_lo, exec_lo, s7
	; wave barrier
	; wave barrier
	s_wait_loadcnt_dscnt 0x0
	global_inv scope:SCOPE_SE
	ds_load_2addr_b32 v[26:27], v40 offset0:1 offset1:2
	ds_load_2addr_b32 v[24:25], v40 offset0:3 offset1:4
	;; [unrolled: 1-line block ×4, first 2 shown]
	s_wait_dscnt 0x3
	v_add_nc_u32_e32 v62, v27, v26
	s_wait_dscnt 0x2
	s_delay_alu instid0(VALU_DEP_1) | instskip(SKIP_1) | instid1(VALU_DEP_1)
	v_add3_u32 v62, v62, v24, v25
	s_wait_dscnt 0x1
	v_add3_u32 v62, v62, v22, v23
	s_wait_dscnt 0x0
	s_delay_alu instid0(VALU_DEP_1) | instskip(NEXT) | instid1(VALU_DEP_1)
	v_add3_u32 v21, v62, v20, v21
	v_mov_b32_dpp v62, v21 row_shr:1 row_mask:0xf bank_mask:0xf
	s_delay_alu instid0(VALU_DEP_1) | instskip(NEXT) | instid1(VALU_DEP_1)
	v_cndmask_b32_e64 v62, v62, 0, vcc_lo
	v_add_nc_u32_e32 v21, v62, v21
	s_delay_alu instid0(VALU_DEP_1) | instskip(NEXT) | instid1(VALU_DEP_1)
	v_mov_b32_dpp v62, v21 row_shr:2 row_mask:0xf bank_mask:0xf
	v_cndmask_b32_e64 v62, 0, v62, s8
	s_mov_b32 s8, 0
	s_delay_alu instid0(VALU_DEP_1) | instskip(NEXT) | instid1(VALU_DEP_1)
	v_add_nc_u32_e32 v21, v21, v62
	v_mov_b32_dpp v62, v21 row_shr:4 row_mask:0xf bank_mask:0xf
	s_delay_alu instid0(VALU_DEP_1) | instskip(NEXT) | instid1(VALU_DEP_1)
	v_cndmask_b32_e64 v62, 0, v62, s9
	v_add_nc_u32_e32 v21, v21, v62
	s_delay_alu instid0(VALU_DEP_1) | instskip(NEXT) | instid1(VALU_DEP_1)
	v_mov_b32_dpp v62, v21 row_shr:8 row_mask:0xf bank_mask:0xf
	v_cndmask_b32_e64 v62, 0, v62, s10
	s_delay_alu instid0(VALU_DEP_1) | instskip(SKIP_3) | instid1(VALU_DEP_1)
	v_add_nc_u32_e32 v21, v21, v62
	ds_swizzle_b32 v62, v21 offset:swizzle(BROADCAST,32,15)
	s_wait_dscnt 0x0
	v_cndmask_b32_e64 v62, v62, 0, s12
	v_add_nc_u32_e32 v21, v21, v62
	s_and_saveexec_b32 s7, s11
; %bb.54:
	v_mov_b32_e32 v62, 0
	ds_store_b32 v62, v21
; %bb.55:
	s_wait_alu 0xfffe
	s_or_b32 exec_lo, exec_lo, s7
	ds_bpermute_b32 v21, v69, v21
	; wave barrier
	s_wait_loadcnt_dscnt 0x0
	global_inv scope:SCOPE_SE
	v_cndmask_b32_e64 v21, v21, 0, s25
	s_delay_alu instid0(VALU_DEP_1) | instskip(NEXT) | instid1(VALU_DEP_1)
	v_add_nc_u32_e32 v26, v21, v26
	v_add_nc_u32_e32 v27, v26, v27
	s_delay_alu instid0(VALU_DEP_1) | instskip(NEXT) | instid1(VALU_DEP_1)
	v_add_nc_u32_e32 v24, v27, v24
	v_add_nc_u32_e32 v25, v24, v25
	;; [unrolled: 3-line block ×3, first 2 shown]
	s_delay_alu instid0(VALU_DEP_1)
	v_add_nc_u32_e32 v20, v23, v20
	ds_store_2addr_b32 v40, v21, v26 offset0:1 offset1:2
	ds_store_2addr_b32 v40, v27, v24 offset0:3 offset1:4
	;; [unrolled: 1-line block ×4, first 2 shown]
	; wave barrier
	s_wait_loadcnt_dscnt 0x0
	global_inv scope:SCOPE_SE
	ds_load_b32 v20, v52 offset:4
	ds_load_b32 v21, v55 offset:4
	;; [unrolled: 1-line block ×4, first 2 shown]
	v_lshlrev_b32_e32 v24, 1, v39
	; wave barrier
	s_wait_loadcnt_dscnt 0x0
	global_inv scope:SCOPE_SE
	v_add_nc_u32_e32 v26, v20, v51
	v_add3_u32 v51, v54, v53, v21
	v_add3_u32 v52, v57, v56, v22
	;; [unrolled: 1-line block ×3, first 2 shown]
	s_delay_alu instid0(VALU_DEP_4) | instskip(NEXT) | instid1(VALU_DEP_4)
	v_lshlrev_b32_e32 v20, 1, v26
	v_lshlrev_b32_e32 v21, 1, v51
	s_delay_alu instid0(VALU_DEP_4) | instskip(NEXT) | instid1(VALU_DEP_4)
	v_lshlrev_b32_e32 v22, 1, v52
	v_lshlrev_b32_e32 v23, 1, v53
	ds_store_b16 v20, v48
	ds_store_b16 v21, v47
	;; [unrolled: 1-line block ×4, first 2 shown]
	; wave barrier
	s_wait_loadcnt_dscnt 0x0
	global_inv scope:SCOPE_SE
	ds_load_b64 v[24:25], v24
	v_mad_co_u64_u32 v[26:27], null, v26, 6, v[20:21]
	v_mad_co_u64_u32 v[20:21], null, v51, 6, v[21:22]
	;; [unrolled: 1-line block ×3, first 2 shown]
	; wave barrier
	s_wait_loadcnt_dscnt 0x0
	global_inv scope:SCOPE_SE
	ds_store_b64 v26, v[13:14]
	ds_store_b64 v20, v[15:16]
	v_mad_co_u64_u32 v[22:23], null, v53, 6, v[23:24]
	v_xor_b32_e32 v13, 0x80008000, v24
	v_xor_b32_e32 v14, 0x80008000, v25
	ds_store_b64 v21, v[9:10]
	ds_store_b64 v22, v[11:12]
	; wave barrier
	s_wait_loadcnt_dscnt 0x0
	global_inv scope:SCOPE_SE
.LBB178_56:
	s_and_b32 vcc_lo, exec_lo, s8
	s_wait_alu 0xfffe
	s_cbranch_vccz .LBB178_78
; %bb.57:
	v_xor_b32_e32 v10, 0x7fff, v46
	v_cmp_eq_u32_e32 vcc_lo, 3, v44
	v_xor_b32_e32 v9, 0x7fff, v18
	s_getpc_b64 s[8:9]
	s_wait_alu 0xfffe
	s_sext_i32_i16 s9, s9
	s_add_co_u32 s8, s8, _ZN7rocprim17ROCPRIM_400000_NS16block_radix_sortIsLj32ELj4ElLj1ELj1ELj0ELNS0_26block_radix_rank_algorithmE1ELNS0_18block_padding_hintE2ELNS0_4arch9wavefront6targetE0EE19radix_bits_per_passE@rel32@lo+12
	s_wait_alu 0xfffe
	s_add_co_ci_u32 s9, s9, _ZN7rocprim17ROCPRIM_400000_NS16block_radix_sortIsLj32ELj4ElLj1ELj1ELj0ELNS0_26block_radix_rank_algorithmE1ELNS0_18block_padding_hintE2ELNS0_4arch9wavefront6targetE0EE19radix_bits_per_passE@rel32@hi+24
	ds_bpermute_b32 v18, v42, v7
	v_and_b32_e32 v47, 0xffff, v10
	v_xor_b32_e32 v10, 0x7fff, v45
	s_load_b32 s24, s[8:9], 0x0
	ds_bpermute_b32 v21, v42, v7 offset:32
	s_wait_loadcnt_dscnt 0x0
	ds_bpermute_b32 v14, v42, v47
	v_and_b32_e32 v56, 0xffff, v10
	ds_bpermute_b32 v45, v42, v47 offset:64
	ds_bpermute_b32 v53, v42, v47 offset:32
	; wave barrier
	s_wait_dscnt 0x0
	global_inv scope:SCOPE_SE
	s_load_b32 s7, s[22:23], 0xc
	ds_bpermute_b32 v22, v42, v56
	ds_bpermute_b32 v58, v42, v56 offset:64
	ds_bpermute_b32 v59, v42, v56 offset:32
	ds_bpermute_b32 v50, v42, v6
	ds_bpermute_b32 v11, v42, v1
	ds_bpermute_b32 v46, v42, v6 offset:32
	ds_bpermute_b32 v15, v42, v1 offset:32
	;; [unrolled: 1-line block ×3, first 2 shown]
	ds_bpermute_b32 v49, v42, v5
	ds_bpermute_b32 v52, v42, v5 offset:32
	ds_bpermute_b32 v23, v42, v8 offset:32
	s_wait_kmcnt 0x0
	s_min_u32 s8, s24, 16
	ds_bpermute_b32 v51, v42, v5 offset:64
	s_wait_alu 0xfffe
	s_lshl_b32 s8, -1, s8
	v_and_b32_e32 v14, 0xffff, v14
	s_wait_alu 0xfffe
	s_not_b32 s9, s8
	ds_bpermute_b32 v12, v42, v2
	ds_bpermute_b32 v10, v42, v4
	ds_bpermute_b32 v16, v42, v2 offset:32
	s_lshr_b32 s8, s7, 16
	s_wait_dscnt 0xe
	v_and_b32_e32 v22, 0xffff, v22
	v_and_b32_e32 v25, 0xffff, v9
	v_xor_b32_e32 v9, 0x7fff, v19
	ds_bpermute_b32 v19, v42, v8
	s_and_b32 s10, s7, 0xffff
	s_wait_alu 0xfffe
	v_mad_u32_u24 v0, v0, s8, v43
	ds_bpermute_b32 v13, v42, v25
	v_and_b32_e32 v48, 0xffff, v9
	ds_bpermute_b32 v9, v42, v3
	ds_bpermute_b32 v20, v42, v48
	ds_bpermute_b32 v55, v42, v48 offset:64
	ds_bpermute_b32 v44, v42, v48 offset:32
	s_wait_dscnt 0x4
	v_and_b32_e32 v13, 0xffff, v13
	s_delay_alu instid0(VALU_DEP_1) | instskip(SKIP_2) | instid1(VALU_DEP_2)
	v_cndmask_b32_e64 v13, 0, v13, s6
	s_wait_dscnt 0x2
	v_and_b32_e32 v20, 0xffff, v20
	v_cndmask_b32_e64 v26, v13, v14, s1
	ds_bpermute_b32 v13, v42, v3 offset:32
	ds_bpermute_b32 v14, v42, v4 offset:32
	v_cndmask_b32_e64 v20, v26, v20, s0
	ds_bpermute_b32 v26, v42, v7 offset:64
	v_cndmask_b32_e32 v22, v20, v22, vcc_lo
	ds_bpermute_b32 v24, v42, v25 offset:64
	ds_bpermute_b32 v27, v42, v25 offset:32
	;; [unrolled: 1-line block ×5, first 2 shown]
	s_wait_dscnt 0x4
	v_and_b32_e32 v24, 0xffff, v24
	s_wait_dscnt 0x3
	v_perm_b32 v57, v27, v22, 0x5040100
	ds_bpermute_b32 v27, v42, v8 offset:64
	v_cndmask_b32_e64 v24, 0, v24, s6
	v_cndmask_b32_e64 v57, v22, v57, s6
	ds_bpermute_b32 v22, v42, v2 offset:64
	v_bfi_b32 v45, 0xffff, v45, v24
	v_perm_b32 v53, v53, v57, 0x5040100
	s_delay_alu instid0(VALU_DEP_2) | instskip(NEXT) | instid1(VALU_DEP_2)
	v_cndmask_b32_e64 v45, v24, v45, s1
	v_cndmask_b32_e64 v53, v57, v53, s1
	ds_bpermute_b32 v24, v42, v3 offset:64
	v_bfi_b32 v55, 0xffff, v55, v45
	v_perm_b32 v44, v44, v53, 0x5040100
	s_delay_alu instid0(VALU_DEP_2) | instskip(NEXT) | instid1(VALU_DEP_2)
	v_cndmask_b32_e64 v57, v45, v55, s0
	v_cndmask_b32_e64 v61, v53, v44, s0
	ds_bpermute_b32 v45, v42, v7 offset:96
	ds_bpermute_b32 v53, v42, v6 offset:96
	;; [unrolled: 1-line block ×3, first 2 shown]
	v_bfi_b32 v58, 0xffff, v58, v57
	v_perm_b32 v7, v59, v61, 0x5040100
	ds_bpermute_b32 v1, v42, v48 offset:96
	ds_bpermute_b32 v55, v42, v5 offset:96
	v_cndmask_b32_e32 v6, v57, v58, vcc_lo
	v_cndmask_b32_e32 v48, v61, v7, vcc_lo
	ds_bpermute_b32 v5, v42, v47 offset:96
	ds_bpermute_b32 v47, v42, v8 offset:96
	;; [unrolled: 1-line block ×3, first 2 shown]
	s_wait_dscnt 0xd
	v_perm_b32 v8, v60, v6, 0x5040100
	v_and_b32_e32 v57, s9, v48
	s_delay_alu instid0(VALU_DEP_2) | instskip(NEXT) | instid1(VALU_DEP_2)
	v_cndmask_b32_e64 v6, v6, v8, s6
	v_and_b32_e32 v8, 1, v57
	v_lshlrev_b32_e32 v43, 30, v57
	v_lshlrev_b32_e32 v56, 29, v57
	;; [unrolled: 1-line block ×4, first 2 shown]
	v_add_co_u32 v8, s7, v8, -1
	s_wait_alu 0xf1ff
	v_cndmask_b32_e64 v59, 0, 1, s7
	v_not_b32_e32 v63, v43
	v_cmp_gt_i32_e64 s8, 0, v43
	v_not_b32_e32 v43, v56
	v_lshlrev_b32_e32 v61, 26, v57
	v_cmp_ne_u32_e64 s7, 0, v59
	v_ashrrev_i32_e32 v63, 31, v63
	v_lshlrev_b32_e32 v62, 25, v57
	v_ashrrev_i32_e32 v43, 31, v43
	v_lshlrev_b32_e32 v59, 24, v57
	s_wait_alu 0xf1ff
	v_xor_b32_e32 v8, s7, v8
	v_cmp_gt_i32_e64 s7, 0, v56
	v_not_b32_e32 v56, v58
	v_xor_b32_e32 v63, s8, v63
	v_cmp_gt_i32_e64 s8, 0, v58
	v_and_b32_e32 v8, exec_lo, v8
	v_not_b32_e32 v58, v60
	v_ashrrev_i32_e32 v56, 31, v56
	s_wait_alu 0xf1ff
	v_xor_b32_e32 v43, s7, v43
	v_cmp_gt_i32_e64 s7, 0, v60
	v_and_b32_e32 v8, v8, v63
	v_not_b32_e32 v60, v61
	v_ashrrev_i32_e32 v58, 31, v58
	v_xor_b32_e32 v56, s8, v56
	v_cmp_gt_i32_e64 s8, 0, v61
	v_and_b32_e32 v8, v8, v43
	v_not_b32_e32 v43, v62
	v_ashrrev_i32_e32 v60, 31, v60
	s_wait_alu 0xf1ff
	v_xor_b32_e32 v58, s7, v58
	s_wait_dscnt 0x2
	v_perm_b32 v5, v5, v6, 0x5040100
	v_and_b32_e32 v8, v8, v56
	v_cmp_gt_i32_e64 s7, 0, v62
	v_not_b32_e32 v56, v59
	v_ashrrev_i32_e32 v43, 31, v43
	v_xor_b32_e32 v60, s8, v60
	v_and_b32_e32 v8, v8, v58
	v_cndmask_b32_e64 v58, v6, v5, s1
	v_cmp_gt_i32_e64 s8, 0, v59
	v_ashrrev_i32_e32 v56, 31, v56
	s_wait_alu 0xf1ff
	v_xor_b32_e32 v43, s7, v43
	v_and_b32_e32 v8, v8, v60
	v_mad_co_u64_u32 v[5:6], null, v0, s10, v[17:18]
	v_perm_b32 v0, v1, v58, 0x5040100
	v_xor_b32_e32 v1, s8, v56
	s_delay_alu instid0(VALU_DEP_4)
	v_and_b32_e32 v6, v8, v43
	ds_bpermute_b32 v56, v42, v2 offset:96
	ds_bpermute_b32 v43, v42, v3 offset:96
	;; [unrolled: 1-line block ×3, first 2 shown]
	v_cndmask_b32_e64 v2, v58, v0, s0
	v_dual_mov_b32 v1, 0 :: v_dual_and_b32 v0, v6, v1
	v_lshrrev_b32_e32 v3, 5, v5
	ds_store_2addr_b32 v40, v1, v1 offset0:1 offset1:2
	ds_store_2addr_b32 v40, v1, v1 offset0:3 offset1:4
	;; [unrolled: 1-line block ×4, first 2 shown]
	v_mbcnt_lo_u32_b32 v58, v0, 0
	s_wait_dscnt 0x7
	v_perm_b32 v4, v7, v2, 0x5040100
	v_lshlrev_b32_e32 v8, 2, v3
	v_and_b32_e32 v1, 0xffff, v57
	v_cmp_ne_u32_e64 s8, 0, v0
	v_cmp_eq_u32_e64 s7, 0, v58
	v_cndmask_b32_e32 v57, v2, v4, vcc_lo
	s_wait_loadcnt_dscnt 0x0
	v_lshl_add_u32 v60, v1, 2, v8
	; wave barrier
	global_inv scope:SCOPE_SE
	s_and_b32 s8, s8, s7
	; wave barrier
	s_wait_alu 0xfffe
	s_and_saveexec_b32 s7, s8
; %bb.58:
	v_bcnt_u32_b32 v0, v0, 0
	ds_store_b32 v60, v0 offset:4
; %bb.59:
	s_wait_alu 0xfffe
	s_or_b32 exec_lo, exec_lo, s7
	v_lshrrev_b32_e32 v59, 16, v48
	; wave barrier
	s_delay_alu instid0(VALU_DEP_1) | instskip(NEXT) | instid1(VALU_DEP_1)
	v_and_b32_e32 v0, s9, v59
	v_and_b32_e32 v1, 1, v0
	v_lshlrev_b32_e32 v2, 30, v0
	v_lshlrev_b32_e32 v3, 29, v0
	;; [unrolled: 1-line block ×4, first 2 shown]
	v_add_co_u32 v1, s7, v1, -1
	s_wait_alu 0xf1ff
	v_cndmask_b32_e64 v5, 0, 1, s7
	v_not_b32_e32 v62, v2
	v_cmp_gt_i32_e64 s8, 0, v2
	v_not_b32_e32 v2, v3
	v_lshlrev_b32_e32 v7, 26, v0
	v_cmp_ne_u32_e64 s7, 0, v5
	v_ashrrev_i32_e32 v62, 31, v62
	v_lshlrev_b32_e32 v61, 25, v0
	v_ashrrev_i32_e32 v2, 31, v2
	v_lshlrev_b32_e32 v5, 24, v0
	s_wait_alu 0xf1ff
	v_xor_b32_e32 v1, s7, v1
	v_cmp_gt_i32_e64 s7, 0, v3
	v_not_b32_e32 v3, v4
	v_xor_b32_e32 v62, s8, v62
	v_cmp_gt_i32_e64 s8, 0, v4
	v_and_b32_e32 v1, exec_lo, v1
	v_not_b32_e32 v4, v6
	v_ashrrev_i32_e32 v3, 31, v3
	s_wait_alu 0xf1ff
	v_xor_b32_e32 v2, s7, v2
	v_cmp_gt_i32_e64 s7, 0, v6
	v_and_b32_e32 v1, v1, v62
	v_not_b32_e32 v6, v7
	v_ashrrev_i32_e32 v4, 31, v4
	v_xor_b32_e32 v3, s8, v3
	v_cmp_gt_i32_e64 s8, 0, v7
	v_and_b32_e32 v1, v1, v2
	v_not_b32_e32 v2, v61
	v_ashrrev_i32_e32 v6, 31, v6
	s_wait_alu 0xf1ff
	v_xor_b32_e32 v4, s7, v4
	v_cmp_gt_i32_e64 s7, 0, v61
	v_and_b32_e32 v1, v1, v3
	v_not_b32_e32 v3, v5
	v_ashrrev_i32_e32 v2, 31, v2
	v_xor_b32_e32 v6, s8, v6
	v_cmp_gt_i32_e64 s8, 0, v5
	v_and_b32_e32 v1, v1, v4
	v_ashrrev_i32_e32 v3, 31, v3
	s_wait_alu 0xf1ff
	v_xor_b32_e32 v2, s7, v2
	v_lshl_add_u32 v63, v0, 2, v8
	v_and_b32_e32 v1, v1, v6
	v_xor_b32_e32 v0, s8, v3
	ds_load_b32 v61, v63 offset:4
	v_and_b32_e32 v1, v1, v2
	; wave barrier
	s_delay_alu instid0(VALU_DEP_1) | instskip(NEXT) | instid1(VALU_DEP_1)
	v_and_b32_e32 v0, v1, v0
	v_mbcnt_lo_u32_b32 v62, v0, 0
	v_cmp_ne_u32_e64 s8, 0, v0
	s_delay_alu instid0(VALU_DEP_2)
	v_cmp_eq_u32_e64 s7, 0, v62
	s_and_b32 s8, s8, s7
	s_wait_alu 0xfffe
	s_and_saveexec_b32 s7, s8
	s_cbranch_execz .LBB178_61
; %bb.60:
	s_wait_dscnt 0x0
	v_bcnt_u32_b32 v0, v0, v61
	ds_store_b32 v63, v0 offset:4
.LBB178_61:
	s_wait_alu 0xfffe
	s_or_b32 exec_lo, exec_lo, s7
	v_and_b32_e32 v0, s9, v57
	; wave barrier
	s_delay_alu instid0(VALU_DEP_1)
	v_and_b32_e32 v1, 1, v0
	v_lshlrev_b32_e32 v2, 30, v0
	v_lshlrev_b32_e32 v3, 29, v0
	;; [unrolled: 1-line block ×4, first 2 shown]
	v_add_co_u32 v1, s7, v1, -1
	s_wait_alu 0xf1ff
	v_cndmask_b32_e64 v5, 0, 1, s7
	v_not_b32_e32 v65, v2
	v_cmp_gt_i32_e64 s8, 0, v2
	v_not_b32_e32 v2, v3
	v_lshlrev_b32_e32 v7, 26, v0
	v_cmp_ne_u32_e64 s7, 0, v5
	v_ashrrev_i32_e32 v65, 31, v65
	v_lshlrev_b32_e32 v64, 25, v0
	v_ashrrev_i32_e32 v2, 31, v2
	v_lshlrev_b32_e32 v5, 24, v0
	s_wait_alu 0xf1ff
	v_xor_b32_e32 v1, s7, v1
	v_cmp_gt_i32_e64 s7, 0, v3
	v_not_b32_e32 v3, v4
	v_xor_b32_e32 v65, s8, v65
	v_cmp_gt_i32_e64 s8, 0, v4
	v_and_b32_e32 v1, exec_lo, v1
	v_not_b32_e32 v4, v6
	v_ashrrev_i32_e32 v3, 31, v3
	s_wait_alu 0xf1ff
	v_xor_b32_e32 v2, s7, v2
	v_cmp_gt_i32_e64 s7, 0, v6
	v_and_b32_e32 v1, v1, v65
	v_not_b32_e32 v6, v7
	v_ashrrev_i32_e32 v4, 31, v4
	v_xor_b32_e32 v3, s8, v3
	v_cmp_gt_i32_e64 s8, 0, v7
	v_and_b32_e32 v1, v1, v2
	v_not_b32_e32 v2, v64
	v_ashrrev_i32_e32 v6, 31, v6
	s_wait_alu 0xf1ff
	v_xor_b32_e32 v4, s7, v4
	v_cmp_gt_i32_e64 s7, 0, v64
	v_and_b32_e32 v1, v1, v3
	v_not_b32_e32 v3, v5
	v_ashrrev_i32_e32 v2, 31, v2
	v_xor_b32_e32 v6, s8, v6
	v_and_b32_e32 v0, 0xffff, v0
	v_and_b32_e32 v1, v1, v4
	v_cmp_gt_i32_e64 s8, 0, v5
	v_ashrrev_i32_e32 v3, 31, v3
	s_wait_alu 0xf1ff
	v_xor_b32_e32 v2, s7, v2
	v_lshl_add_u32 v67, v0, 2, v8
	v_and_b32_e32 v1, v1, v6
	v_xor_b32_e32 v0, s8, v3
	ds_load_b32 v64, v67 offset:4
	v_and_b32_e32 v1, v1, v2
	; wave barrier
	s_delay_alu instid0(VALU_DEP_1) | instskip(NEXT) | instid1(VALU_DEP_1)
	v_and_b32_e32 v0, v1, v0
	v_mbcnt_lo_u32_b32 v65, v0, 0
	v_cmp_ne_u32_e64 s8, 0, v0
	s_delay_alu instid0(VALU_DEP_2)
	v_cmp_eq_u32_e64 s7, 0, v65
	s_and_b32 s8, s8, s7
	s_wait_alu 0xfffe
	s_and_saveexec_b32 s7, s8
	s_cbranch_execz .LBB178_63
; %bb.62:
	s_wait_dscnt 0x0
	v_bcnt_u32_b32 v0, v0, v64
	ds_store_b32 v67, v0 offset:4
.LBB178_63:
	s_wait_alu 0xfffe
	s_or_b32 exec_lo, exec_lo, s7
	v_lshrrev_b32_e32 v66, 16, v57
	; wave barrier
	v_and_or_b32 v70, 0xf80, v39, v41
	s_delay_alu instid0(VALU_DEP_2) | instskip(NEXT) | instid1(VALU_DEP_1)
	v_and_b32_e32 v0, s9, v66
	v_and_b32_e32 v1, 1, v0
	v_lshlrev_b32_e32 v2, 30, v0
	v_lshlrev_b32_e32 v3, 29, v0
	;; [unrolled: 1-line block ×4, first 2 shown]
	v_add_co_u32 v1, s7, v1, -1
	s_wait_alu 0xf1ff
	v_cndmask_b32_e64 v5, 0, 1, s7
	v_not_b32_e32 v69, v2
	v_cmp_gt_i32_e64 s8, 0, v2
	v_not_b32_e32 v2, v3
	v_lshlrev_b32_e32 v7, 26, v0
	v_cmp_ne_u32_e64 s7, 0, v5
	v_ashrrev_i32_e32 v69, 31, v69
	v_lshlrev_b32_e32 v68, 25, v0
	v_ashrrev_i32_e32 v2, 31, v2
	v_lshlrev_b32_e32 v5, 24, v0
	s_wait_alu 0xf1ff
	v_xor_b32_e32 v1, s7, v1
	v_cmp_gt_i32_e64 s7, 0, v3
	v_not_b32_e32 v3, v4
	v_xor_b32_e32 v69, s8, v69
	v_cmp_gt_i32_e64 s8, 0, v4
	v_and_b32_e32 v1, exec_lo, v1
	v_not_b32_e32 v4, v6
	v_ashrrev_i32_e32 v3, 31, v3
	s_wait_alu 0xf1ff
	v_xor_b32_e32 v2, s7, v2
	v_cmp_gt_i32_e64 s7, 0, v6
	v_and_b32_e32 v1, v1, v69
	v_not_b32_e32 v6, v7
	v_ashrrev_i32_e32 v4, 31, v4
	v_xor_b32_e32 v3, s8, v3
	v_cmp_gt_i32_e64 s8, 0, v7
	v_and_b32_e32 v1, v1, v2
	v_not_b32_e32 v2, v68
	v_ashrrev_i32_e32 v6, 31, v6
	s_wait_alu 0xf1ff
	v_xor_b32_e32 v4, s7, v4
	v_cmp_gt_i32_e64 s7, 0, v68
	v_and_b32_e32 v1, v1, v3
	v_not_b32_e32 v3, v5
	v_ashrrev_i32_e32 v2, 31, v2
	v_xor_b32_e32 v6, s8, v6
	v_cmp_gt_i32_e64 s8, 0, v5
	v_and_b32_e32 v1, v1, v4
	v_ashrrev_i32_e32 v3, 31, v3
	s_wait_alu 0xf1ff
	v_xor_b32_e32 v2, s7, v2
	v_lshl_add_u32 v71, v0, 2, v8
	v_and_b32_e32 v1, v1, v6
	v_xor_b32_e32 v0, s8, v3
	ds_load_b32 v68, v71 offset:4
	v_and_b32_e32 v1, v1, v2
	; wave barrier
	s_delay_alu instid0(VALU_DEP_1) | instskip(NEXT) | instid1(VALU_DEP_1)
	v_and_b32_e32 v0, v1, v0
	v_mbcnt_lo_u32_b32 v69, v0, 0
	v_cmp_ne_u32_e64 s8, 0, v0
	s_delay_alu instid0(VALU_DEP_2)
	v_cmp_eq_u32_e64 s7, 0, v69
	s_and_b32 s8, s8, s7
	s_wait_alu 0xfffe
	s_and_saveexec_b32 s7, s8
	s_cbranch_execz .LBB178_65
; %bb.64:
	s_wait_dscnt 0x0
	v_bcnt_u32_b32 v0, v0, v68
	ds_store_b32 v71, v0 offset:4
.LBB178_65:
	s_wait_alu 0xfffe
	s_or_b32 exec_lo, exec_lo, s7
	; wave barrier
	; wave barrier
	s_wait_loadcnt_dscnt 0x0
	global_inv scope:SCOPE_SE
	ds_load_2addr_b32 v[6:7], v40 offset0:1 offset1:2
	ds_load_2addr_b32 v[4:5], v40 offset0:3 offset1:4
	;; [unrolled: 1-line block ×4, first 2 shown]
	v_and_b32_e32 v74, 16, v41
	v_cmp_eq_u32_e64 s11, 31, v17
	s_delay_alu instid0(VALU_DEP_2) | instskip(SKIP_3) | instid1(VALU_DEP_1)
	v_cmp_eq_u32_e64 s12, 0, v74
	s_wait_dscnt 0x3
	v_add_nc_u32_e32 v72, v7, v6
	s_wait_dscnt 0x2
	v_add3_u32 v72, v72, v4, v5
	s_wait_dscnt 0x1
	s_delay_alu instid0(VALU_DEP_1) | instskip(SKIP_1) | instid1(VALU_DEP_1)
	v_add3_u32 v72, v72, v2, v3
	s_wait_dscnt 0x0
	v_add3_u32 v1, v72, v0, v1
	v_and_b32_e32 v72, 15, v41
	s_delay_alu instid0(VALU_DEP_2) | instskip(NEXT) | instid1(VALU_DEP_2)
	v_mov_b32_dpp v73, v1 row_shr:1 row_mask:0xf bank_mask:0xf
	v_cmp_eq_u32_e64 s7, 0, v72
	v_cmp_lt_u32_e64 s8, 1, v72
	v_cmp_lt_u32_e64 s9, 3, v72
	;; [unrolled: 1-line block ×3, first 2 shown]
	s_wait_alu 0xf1ff
	v_cndmask_b32_e64 v73, v73, 0, s7
	s_delay_alu instid0(VALU_DEP_1) | instskip(NEXT) | instid1(VALU_DEP_1)
	v_add_nc_u32_e32 v1, v73, v1
	v_mov_b32_dpp v73, v1 row_shr:2 row_mask:0xf bank_mask:0xf
	s_delay_alu instid0(VALU_DEP_1) | instskip(NEXT) | instid1(VALU_DEP_1)
	v_cndmask_b32_e64 v73, 0, v73, s8
	v_add_nc_u32_e32 v1, v1, v73
	s_delay_alu instid0(VALU_DEP_1) | instskip(NEXT) | instid1(VALU_DEP_1)
	v_mov_b32_dpp v73, v1 row_shr:4 row_mask:0xf bank_mask:0xf
	v_cndmask_b32_e64 v73, 0, v73, s9
	s_delay_alu instid0(VALU_DEP_1) | instskip(NEXT) | instid1(VALU_DEP_1)
	v_add_nc_u32_e32 v1, v1, v73
	v_mov_b32_dpp v73, v1 row_shr:8 row_mask:0xf bank_mask:0xf
	s_delay_alu instid0(VALU_DEP_1) | instskip(SKIP_1) | instid1(VALU_DEP_2)
	v_cndmask_b32_e64 v72, 0, v73, s10
	v_bfe_i32 v73, v41, 4, 1
	v_add_nc_u32_e32 v72, v1, v72
	ds_swizzle_b32 v1, v72 offset:swizzle(BROADCAST,32,15)
	s_wait_dscnt 0x0
	v_and_b32_e32 v75, v73, v1
	v_sub_co_u32 v73, s22, v41, 1
	v_mul_u32_u24_e32 v1, 6, v70
	s_delay_alu instid0(VALU_DEP_3)
	v_add_nc_u32_e32 v72, v72, v75
	s_and_saveexec_b32 s13, s11
; %bb.66:
	v_mov_b32_e32 v74, 0
	ds_store_b32 v74, v72
; %bb.67:
	s_wait_alu 0xfffe
	s_or_b32 exec_lo, exec_lo, s13
	v_cmp_gt_i32_e64 s13, 0, v73
	; wave barrier
	s_wait_loadcnt_dscnt 0x0
	global_inv scope:SCOPE_SE
	v_cndmask_b32_e64 v50, 0, v50, s6
	v_cndmask_b32_e64 v49, 0, v49, s6
	s_wait_alu 0xf1ff
	v_cndmask_b32_e64 v41, v73, v41, s13
	v_cmp_eq_u32_e64 s13, 0, v17
	v_cndmask_b32_e64 v52, 0, v52, s6
	v_cndmask_b32_e64 v19, v50, v19, s1
	;; [unrolled: 1-line block ×3, first 2 shown]
	v_lshlrev_b32_e32 v41, 2, v41
	s_or_b32 s13, s13, s22
	v_cndmask_b32_e64 v21, v52, v21, s1
	s_min_u32 s22, s24, 8
	ds_bpermute_b32 v72, v41, v72
	s_wait_dscnt 0x0
	s_wait_alu 0xfffe
	v_cndmask_b32_e64 v72, v72, 0, s13
	s_delay_alu instid0(VALU_DEP_1) | instskip(NEXT) | instid1(VALU_DEP_1)
	v_add_nc_u32_e32 v6, v72, v6
	v_add_nc_u32_e32 v7, v6, v7
	s_delay_alu instid0(VALU_DEP_1) | instskip(NEXT) | instid1(VALU_DEP_1)
	v_add_nc_u32_e32 v4, v7, v4
	v_add_nc_u32_e32 v5, v4, v5
	;; [unrolled: 3-line block ×3, first 2 shown]
	s_delay_alu instid0(VALU_DEP_1)
	v_add_nc_u32_e32 v0, v3, v0
	ds_store_2addr_b32 v40, v72, v6 offset0:1 offset1:2
	ds_store_2addr_b32 v40, v7, v4 offset0:3 offset1:4
	;; [unrolled: 1-line block ×4, first 2 shown]
	; wave barrier
	s_wait_loadcnt_dscnt 0x0
	global_inv scope:SCOPE_SE
	ds_load_b32 v0, v60 offset:4
	ds_load_b32 v2, v63 offset:4
	;; [unrolled: 1-line block ×4, first 2 shown]
	v_cndmask_b32_e64 v6, 0, v51, s6
	v_cndmask_b32_e64 v7, 0, v54, s6
	;; [unrolled: 1-line block ×4, first 2 shown]
	v_lshlrev_b32_e32 v53, 1, v70
	v_cndmask_b32_e64 v6, v6, v26, s1
	v_cndmask_b32_e64 v7, v7, v27, s1
	v_cndmask_b32_e64 v5, v5, v23, s1
	v_cndmask_b32_e64 v23, v51, v47, s1
	; wave barrier
	s_wait_loadcnt_dscnt 0x0
	global_inv scope:SCOPE_SE
	v_cndmask_b32_e64 v46, 0, v55, s6
	v_cndmask_b32_e64 v7, v7, v22, s0
	s_lshl_b32 s6, -1, s22
	v_cndmask_b32_e64 v22, v23, v56, s0
	s_wait_alu 0xfffe
	s_not_b32 s6, s6
	v_add_nc_u32_e32 v26, v0, v58
	v_add3_u32 v27, v62, v61, v2
	v_add3_u32 v47, v65, v64, v3
	;; [unrolled: 1-line block ×3, first 2 shown]
	v_cndmask_b32_e64 v45, v46, v45, s1
	v_lshlrev_b32_e32 v0, 1, v26
	v_lshlrev_b32_e32 v2, 1, v27
	;; [unrolled: 1-line block ×4, first 2 shown]
	ds_store_b16 v0, v48
	ds_store_b16 v2, v59
	;; [unrolled: 1-line block ×4, first 2 shown]
	; wave barrier
	s_wait_loadcnt_dscnt 0x0
	global_inv scope:SCOPE_SE
	ds_load_u16 v18, v53
	v_add_nc_u32_e32 v46, v53, v1
	v_cndmask_b32_e64 v1, v49, v11, s0
	v_cndmask_b32_e64 v11, v19, v12, s0
	;; [unrolled: 1-line block ×5, first 2 shown]
	s_delay_alu instid0(VALU_DEP_4) | instskip(NEXT) | instid1(VALU_DEP_4)
	v_dual_cndmask_b32 v5, v1, v9 :: v_dual_cndmask_b32 v6, v11, v10
	v_cndmask_b32_e32 v9, v12, v13, vcc_lo
	v_cndmask_b32_e32 v12, v7, v25, vcc_lo
	s_delay_alu instid0(VALU_DEP_4)
	v_dual_cndmask_b32 v10, v15, v14 :: v_dual_cndmask_b32 v11, v16, v24
	ds_load_u16 v16, v53 offset:64
	ds_load_u16 v19, v53 offset:128
	;; [unrolled: 1-line block ×3, first 2 shown]
	; wave barrier
	s_wait_loadcnt_dscnt 0x0
	global_inv scope:SCOPE_SE
	v_cndmask_b32_e64 v21, v45, v44, s0
	v_cndmask_b32_e32 v14, v22, v42, vcc_lo
	v_lshrrev_b16 v1, 8, v18
	s_delay_alu instid0(VALU_DEP_3) | instskip(NEXT) | instid1(VALU_DEP_2)
	v_cndmask_b32_e32 v13, v21, v43, vcc_lo
	v_and_b32_e32 v7, 0xffff, v1
	v_mad_co_u64_u32 v[0:1], null, v26, 6, v[0:1]
	v_mad_co_u64_u32 v[1:2], null, v27, 6, v[2:3]
	s_wait_alu 0xfffe
	s_delay_alu instid0(VALU_DEP_3)
	v_and_b32_e32 v15, s6, v7
	v_mad_co_u64_u32 v[2:3], null, v47, 6, v[3:4]
	v_mad_co_u64_u32 v[3:4], null, v50, 6, v[4:5]
	ds_store_b64 v0, v[5:6]
	v_and_b32_e32 v0, 1, v15
	v_lshlrev_b32_e32 v4, 30, v15
	v_lshlrev_b32_e32 v5, 29, v15
	;; [unrolled: 1-line block ×4, first 2 shown]
	v_add_co_u32 v0, s0, v0, -1
	s_wait_alu 0xf1ff
	v_cndmask_b32_e64 v7, 0, 1, s0
	v_not_b32_e32 v24, v4
	v_cmp_gt_i32_e64 s0, 0, v4
	v_not_b32_e32 v4, v5
	v_lshlrev_b32_e32 v22, 26, v15
	v_cmp_ne_u32_e32 vcc_lo, 0, v7
	v_ashrrev_i32_e32 v24, 31, v24
	v_lshlrev_b32_e32 v23, 25, v15
	v_ashrrev_i32_e32 v4, 31, v4
	v_lshlrev_b32_e32 v7, 24, v15
	s_wait_alu 0xfffd
	v_xor_b32_e32 v0, vcc_lo, v0
	v_cmp_gt_i32_e32 vcc_lo, 0, v5
	v_not_b32_e32 v5, v6
	s_wait_alu 0xf1ff
	v_xor_b32_e32 v24, s0, v24
	v_cmp_gt_i32_e64 s0, 0, v6
	v_and_b32_e32 v0, exec_lo, v0
	v_not_b32_e32 v6, v21
	v_ashrrev_i32_e32 v5, 31, v5
	s_wait_alu 0xfffd
	v_xor_b32_e32 v4, vcc_lo, v4
	v_cmp_gt_i32_e32 vcc_lo, 0, v21
	v_and_b32_e32 v0, v0, v24
	v_not_b32_e32 v21, v22
	v_ashrrev_i32_e32 v6, 31, v6
	s_wait_alu 0xf1ff
	v_xor_b32_e32 v5, s0, v5
	v_cmp_gt_i32_e64 s0, 0, v22
	v_and_b32_e32 v0, v0, v4
	v_not_b32_e32 v4, v23
	v_ashrrev_i32_e32 v21, 31, v21
	s_wait_alu 0xfffd
	v_xor_b32_e32 v6, vcc_lo, v6
	v_cmp_gt_i32_e32 vcc_lo, 0, v23
	v_and_b32_e32 v0, v0, v5
	v_not_b32_e32 v5, v7
	v_ashrrev_i32_e32 v4, 31, v4
	s_wait_alu 0xf1ff
	v_xor_b32_e32 v21, s0, v21
	ds_store_b64 v1, v[9:10]
	v_and_b32_e32 v0, v0, v6
	v_cmp_gt_i32_e64 s0, 0, v7
	v_ashrrev_i32_e32 v1, 31, v5
	s_wait_alu 0xfffd
	v_xor_b32_e32 v4, vcc_lo, v4
	ds_store_b64 v2, v[11:12]
	ds_store_b64 v3, v[13:14]
	v_and_b32_e32 v0, v0, v21
	s_wait_loadcnt_dscnt 0x0
	s_wait_alu 0xf1ff
	v_xor_b32_e32 v9, s0, v1
	; wave barrier
	global_inv scope:SCOPE_SE
	v_lshl_add_u32 v22, v15, 2, v8
	v_and_b32_e32 v10, v0, v4
	ds_load_2addr_b64 v[4:7], v46 offset1:32
	ds_load_2addr_b64 v[0:3], v46 offset0:64 offset1:96
	; wave barrier
	s_wait_loadcnt_dscnt 0x0
	global_inv scope:SCOPE_SE
	v_dual_mov_b32 v10, 0 :: v_dual_and_b32 v9, v10, v9
	ds_store_2addr_b32 v40, v10, v10 offset0:1 offset1:2
	ds_store_2addr_b32 v40, v10, v10 offset0:3 offset1:4
	;; [unrolled: 1-line block ×4, first 2 shown]
	v_mbcnt_lo_u32_b32 v21, v9, 0
	v_cmp_ne_u32_e64 s0, 0, v9
	; wave barrier
	s_wait_loadcnt_dscnt 0x0
	global_inv scope:SCOPE_SE
	v_cmp_eq_u32_e32 vcc_lo, 0, v21
	; wave barrier
	s_and_b32 s1, s0, vcc_lo
	s_wait_alu 0xfffe
	s_and_saveexec_b32 s0, s1
; %bb.68:
	v_bcnt_u32_b32 v9, v9, 0
	ds_store_b32 v22, v9 offset:4
; %bb.69:
	s_wait_alu 0xfffe
	s_or_b32 exec_lo, exec_lo, s0
	v_lshrrev_b16 v9, 8, v16
	; wave barrier
	s_delay_alu instid0(VALU_DEP_1) | instskip(NEXT) | instid1(VALU_DEP_1)
	v_and_b32_e32 v9, s6, v9
	v_and_b32_e32 v10, 1, v9
	v_lshlrev_b32_e32 v11, 30, v9
	v_lshlrev_b32_e32 v12, 29, v9
	;; [unrolled: 1-line block ×4, first 2 shown]
	v_add_co_u32 v10, s0, v10, -1
	s_wait_alu 0xf1ff
	v_cndmask_b32_e64 v14, 0, 1, s0
	v_not_b32_e32 v25, v11
	v_cmp_gt_i32_e64 s0, 0, v11
	v_not_b32_e32 v11, v12
	v_lshlrev_b32_e32 v23, 26, v9
	v_cmp_ne_u32_e32 vcc_lo, 0, v14
	v_ashrrev_i32_e32 v25, 31, v25
	v_lshlrev_b32_e32 v24, 25, v9
	v_ashrrev_i32_e32 v11, 31, v11
	v_lshlrev_b32_e32 v14, 24, v9
	s_wait_alu 0xfffd
	v_xor_b32_e32 v10, vcc_lo, v10
	v_cmp_gt_i32_e32 vcc_lo, 0, v12
	v_not_b32_e32 v12, v13
	s_wait_alu 0xf1ff
	v_xor_b32_e32 v25, s0, v25
	v_cmp_gt_i32_e64 s0, 0, v13
	v_and_b32_e32 v10, exec_lo, v10
	v_not_b32_e32 v13, v15
	v_ashrrev_i32_e32 v12, 31, v12
	s_wait_alu 0xfffd
	v_xor_b32_e32 v11, vcc_lo, v11
	v_cmp_gt_i32_e32 vcc_lo, 0, v15
	v_and_b32_e32 v10, v10, v25
	v_not_b32_e32 v15, v23
	v_ashrrev_i32_e32 v13, 31, v13
	s_wait_alu 0xf1ff
	v_xor_b32_e32 v12, s0, v12
	v_cmp_gt_i32_e64 s0, 0, v23
	v_and_b32_e32 v10, v10, v11
	v_not_b32_e32 v11, v24
	v_ashrrev_i32_e32 v15, 31, v15
	s_wait_alu 0xfffd
	v_xor_b32_e32 v13, vcc_lo, v13
	v_cmp_gt_i32_e32 vcc_lo, 0, v24
	v_and_b32_e32 v10, v10, v12
	v_not_b32_e32 v12, v14
	v_ashrrev_i32_e32 v11, 31, v11
	s_wait_alu 0xf1ff
	v_xor_b32_e32 v15, s0, v15
	v_cmp_gt_i32_e64 s0, 0, v14
	v_and_b32_e32 v10, v10, v13
	v_ashrrev_i32_e32 v12, 31, v12
	s_wait_alu 0xfffd
	v_xor_b32_e32 v11, vcc_lo, v11
	v_lshl_add_u32 v25, v9, 2, v8
	v_and_b32_e32 v10, v10, v15
	s_wait_alu 0xf1ff
	v_xor_b32_e32 v9, s0, v12
	ds_load_b32 v23, v25 offset:4
	v_and_b32_e32 v10, v10, v11
	; wave barrier
	s_delay_alu instid0(VALU_DEP_1) | instskip(NEXT) | instid1(VALU_DEP_1)
	v_and_b32_e32 v9, v10, v9
	v_mbcnt_lo_u32_b32 v24, v9, 0
	v_cmp_ne_u32_e64 s0, 0, v9
	s_delay_alu instid0(VALU_DEP_2)
	v_cmp_eq_u32_e32 vcc_lo, 0, v24
	s_and_b32 s1, s0, vcc_lo
	s_wait_alu 0xfffe
	s_and_saveexec_b32 s0, s1
	s_cbranch_execz .LBB178_71
; %bb.70:
	s_wait_dscnt 0x0
	v_bcnt_u32_b32 v9, v9, v23
	ds_store_b32 v25, v9 offset:4
.LBB178_71:
	s_wait_alu 0xfffe
	s_or_b32 exec_lo, exec_lo, s0
	v_lshrrev_b16 v9, 8, v19
	; wave barrier
	s_delay_alu instid0(VALU_DEP_1) | instskip(NEXT) | instid1(VALU_DEP_1)
	v_and_b32_e32 v9, s6, v9
	v_and_b32_e32 v10, 1, v9
	v_lshlrev_b32_e32 v11, 30, v9
	v_lshlrev_b32_e32 v12, 29, v9
	v_lshlrev_b32_e32 v13, 28, v9
	v_lshlrev_b32_e32 v15, 27, v9
	v_add_co_u32 v10, s0, v10, -1
	s_wait_alu 0xf1ff
	v_cndmask_b32_e64 v14, 0, 1, s0
	v_not_b32_e32 v42, v11
	v_cmp_gt_i32_e64 s0, 0, v11
	v_not_b32_e32 v11, v12
	v_lshlrev_b32_e32 v26, 26, v9
	v_cmp_ne_u32_e32 vcc_lo, 0, v14
	v_ashrrev_i32_e32 v42, 31, v42
	v_lshlrev_b32_e32 v27, 25, v9
	v_ashrrev_i32_e32 v11, 31, v11
	v_lshlrev_b32_e32 v14, 24, v9
	s_wait_alu 0xfffd
	v_xor_b32_e32 v10, vcc_lo, v10
	v_cmp_gt_i32_e32 vcc_lo, 0, v12
	v_not_b32_e32 v12, v13
	s_wait_alu 0xf1ff
	v_xor_b32_e32 v42, s0, v42
	v_cmp_gt_i32_e64 s0, 0, v13
	v_and_b32_e32 v10, exec_lo, v10
	v_not_b32_e32 v13, v15
	v_ashrrev_i32_e32 v12, 31, v12
	s_wait_alu 0xfffd
	v_xor_b32_e32 v11, vcc_lo, v11
	v_cmp_gt_i32_e32 vcc_lo, 0, v15
	v_and_b32_e32 v10, v10, v42
	v_not_b32_e32 v15, v26
	v_ashrrev_i32_e32 v13, 31, v13
	s_wait_alu 0xf1ff
	v_xor_b32_e32 v12, s0, v12
	v_cmp_gt_i32_e64 s0, 0, v26
	v_and_b32_e32 v10, v10, v11
	v_not_b32_e32 v11, v27
	v_ashrrev_i32_e32 v15, 31, v15
	s_wait_alu 0xfffd
	v_xor_b32_e32 v13, vcc_lo, v13
	v_cmp_gt_i32_e32 vcc_lo, 0, v27
	v_and_b32_e32 v10, v10, v12
	v_not_b32_e32 v12, v14
	v_ashrrev_i32_e32 v11, 31, v11
	s_wait_alu 0xf1ff
	v_xor_b32_e32 v15, s0, v15
	v_cmp_gt_i32_e64 s0, 0, v14
	v_and_b32_e32 v10, v10, v13
	v_ashrrev_i32_e32 v12, 31, v12
	s_wait_alu 0xfffd
	v_xor_b32_e32 v11, vcc_lo, v11
	v_lshl_add_u32 v42, v9, 2, v8
	v_and_b32_e32 v10, v10, v15
	s_wait_alu 0xf1ff
	v_xor_b32_e32 v9, s0, v12
	ds_load_b32 v26, v42 offset:4
	v_and_b32_e32 v10, v10, v11
	; wave barrier
	s_delay_alu instid0(VALU_DEP_1) | instskip(NEXT) | instid1(VALU_DEP_1)
	v_and_b32_e32 v9, v10, v9
	v_mbcnt_lo_u32_b32 v27, v9, 0
	v_cmp_ne_u32_e64 s0, 0, v9
	s_delay_alu instid0(VALU_DEP_2)
	v_cmp_eq_u32_e32 vcc_lo, 0, v27
	s_and_b32 s1, s0, vcc_lo
	s_wait_alu 0xfffe
	s_and_saveexec_b32 s0, s1
	s_cbranch_execz .LBB178_73
; %bb.72:
	s_wait_dscnt 0x0
	v_bcnt_u32_b32 v9, v9, v26
	ds_store_b32 v42, v9 offset:4
.LBB178_73:
	s_wait_alu 0xfffe
	s_or_b32 exec_lo, exec_lo, s0
	v_lshrrev_b16 v9, 8, v20
	; wave barrier
	s_delay_alu instid0(VALU_DEP_1) | instskip(NEXT) | instid1(VALU_DEP_1)
	v_and_b32_e32 v9, s6, v9
	v_and_b32_e32 v10, 1, v9
	v_lshlrev_b32_e32 v11, 30, v9
	v_lshlrev_b32_e32 v12, 29, v9
	;; [unrolled: 1-line block ×4, first 2 shown]
	v_add_co_u32 v10, s0, v10, -1
	s_wait_alu 0xf1ff
	v_cndmask_b32_e64 v14, 0, 1, s0
	v_not_b32_e32 v45, v11
	v_cmp_gt_i32_e64 s0, 0, v11
	v_not_b32_e32 v11, v12
	v_lshlrev_b32_e32 v43, 26, v9
	v_cmp_ne_u32_e32 vcc_lo, 0, v14
	v_ashrrev_i32_e32 v45, 31, v45
	v_lshlrev_b32_e32 v44, 25, v9
	v_ashrrev_i32_e32 v11, 31, v11
	v_lshlrev_b32_e32 v14, 24, v9
	s_wait_alu 0xfffd
	v_xor_b32_e32 v10, vcc_lo, v10
	v_cmp_gt_i32_e32 vcc_lo, 0, v12
	v_not_b32_e32 v12, v13
	s_wait_alu 0xf1ff
	v_xor_b32_e32 v45, s0, v45
	v_cmp_gt_i32_e64 s0, 0, v13
	v_and_b32_e32 v10, exec_lo, v10
	v_not_b32_e32 v13, v15
	v_ashrrev_i32_e32 v12, 31, v12
	s_wait_alu 0xfffd
	v_xor_b32_e32 v11, vcc_lo, v11
	v_cmp_gt_i32_e32 vcc_lo, 0, v15
	v_and_b32_e32 v10, v10, v45
	v_not_b32_e32 v15, v43
	v_ashrrev_i32_e32 v13, 31, v13
	s_wait_alu 0xf1ff
	v_xor_b32_e32 v12, s0, v12
	v_cmp_gt_i32_e64 s0, 0, v43
	v_and_b32_e32 v10, v10, v11
	v_not_b32_e32 v11, v44
	v_ashrrev_i32_e32 v15, 31, v15
	s_wait_alu 0xfffd
	v_xor_b32_e32 v13, vcc_lo, v13
	v_cmp_gt_i32_e32 vcc_lo, 0, v44
	v_and_b32_e32 v10, v10, v12
	v_not_b32_e32 v12, v14
	v_ashrrev_i32_e32 v11, 31, v11
	s_wait_alu 0xf1ff
	v_xor_b32_e32 v15, s0, v15
	v_cmp_gt_i32_e64 s0, 0, v14
	v_and_b32_e32 v10, v10, v13
	v_ashrrev_i32_e32 v12, 31, v12
	s_wait_alu 0xfffd
	v_xor_b32_e32 v11, vcc_lo, v11
	v_lshl_add_u32 v45, v9, 2, v8
	v_and_b32_e32 v10, v10, v15
	s_wait_alu 0xf1ff
	v_xor_b32_e32 v8, s0, v12
	ds_load_b32 v43, v45 offset:4
	v_and_b32_e32 v9, v10, v11
	; wave barrier
	s_delay_alu instid0(VALU_DEP_1) | instskip(NEXT) | instid1(VALU_DEP_1)
	v_and_b32_e32 v8, v9, v8
	v_mbcnt_lo_u32_b32 v44, v8, 0
	v_cmp_ne_u32_e64 s0, 0, v8
	s_delay_alu instid0(VALU_DEP_2)
	v_cmp_eq_u32_e32 vcc_lo, 0, v44
	s_and_b32 s1, s0, vcc_lo
	s_wait_alu 0xfffe
	s_and_saveexec_b32 s0, s1
	s_cbranch_execz .LBB178_75
; %bb.74:
	s_wait_dscnt 0x0
	v_bcnt_u32_b32 v8, v8, v43
	ds_store_b32 v45, v8 offset:4
.LBB178_75:
	s_wait_alu 0xfffe
	s_or_b32 exec_lo, exec_lo, s0
	; wave barrier
	; wave barrier
	s_wait_loadcnt_dscnt 0x0
	global_inv scope:SCOPE_SE
	ds_load_2addr_b32 v[14:15], v40 offset0:1 offset1:2
	ds_load_2addr_b32 v[12:13], v40 offset0:3 offset1:4
	;; [unrolled: 1-line block ×4, first 2 shown]
	s_wait_dscnt 0x3
	v_add_nc_u32_e32 v46, v15, v14
	s_wait_dscnt 0x2
	s_delay_alu instid0(VALU_DEP_1) | instskip(SKIP_1) | instid1(VALU_DEP_1)
	v_add3_u32 v46, v46, v12, v13
	s_wait_dscnt 0x1
	v_add3_u32 v46, v46, v10, v11
	s_wait_dscnt 0x0
	s_delay_alu instid0(VALU_DEP_1) | instskip(NEXT) | instid1(VALU_DEP_1)
	v_add3_u32 v9, v46, v8, v9
	v_mov_b32_dpp v46, v9 row_shr:1 row_mask:0xf bank_mask:0xf
	s_delay_alu instid0(VALU_DEP_1) | instskip(NEXT) | instid1(VALU_DEP_1)
	v_cndmask_b32_e64 v46, v46, 0, s7
	v_add_nc_u32_e32 v9, v46, v9
	s_delay_alu instid0(VALU_DEP_1) | instskip(NEXT) | instid1(VALU_DEP_1)
	v_mov_b32_dpp v46, v9 row_shr:2 row_mask:0xf bank_mask:0xf
	v_cndmask_b32_e64 v46, 0, v46, s8
	s_delay_alu instid0(VALU_DEP_1) | instskip(NEXT) | instid1(VALU_DEP_1)
	v_add_nc_u32_e32 v9, v9, v46
	v_mov_b32_dpp v46, v9 row_shr:4 row_mask:0xf bank_mask:0xf
	s_delay_alu instid0(VALU_DEP_1) | instskip(NEXT) | instid1(VALU_DEP_1)
	v_cndmask_b32_e64 v46, 0, v46, s9
	v_add_nc_u32_e32 v9, v9, v46
	s_delay_alu instid0(VALU_DEP_1) | instskip(NEXT) | instid1(VALU_DEP_1)
	v_mov_b32_dpp v46, v9 row_shr:8 row_mask:0xf bank_mask:0xf
	v_cndmask_b32_e64 v46, 0, v46, s10
	s_delay_alu instid0(VALU_DEP_1) | instskip(SKIP_3) | instid1(VALU_DEP_1)
	v_add_nc_u32_e32 v9, v9, v46
	ds_swizzle_b32 v46, v9 offset:swizzle(BROADCAST,32,15)
	s_wait_dscnt 0x0
	v_cndmask_b32_e64 v46, v46, 0, s12
	v_add_nc_u32_e32 v9, v9, v46
	s_and_saveexec_b32 s0, s11
; %bb.76:
	v_mov_b32_e32 v46, 0
	ds_store_b32 v46, v9
; %bb.77:
	s_wait_alu 0xfffe
	s_or_b32 exec_lo, exec_lo, s0
	ds_bpermute_b32 v9, v41, v9
	; wave barrier
	s_wait_loadcnt_dscnt 0x0
	global_inv scope:SCOPE_SE
	v_cndmask_b32_e64 v9, v9, 0, s13
	s_delay_alu instid0(VALU_DEP_1) | instskip(NEXT) | instid1(VALU_DEP_1)
	v_add_nc_u32_e32 v14, v9, v14
	v_add_nc_u32_e32 v15, v14, v15
	s_delay_alu instid0(VALU_DEP_1) | instskip(NEXT) | instid1(VALU_DEP_1)
	v_add_nc_u32_e32 v12, v15, v12
	v_add_nc_u32_e32 v13, v12, v13
	;; [unrolled: 3-line block ×3, first 2 shown]
	s_delay_alu instid0(VALU_DEP_1)
	v_add_nc_u32_e32 v8, v11, v8
	ds_store_2addr_b32 v40, v9, v14 offset0:1 offset1:2
	ds_store_2addr_b32 v40, v15, v12 offset0:3 offset1:4
	;; [unrolled: 1-line block ×4, first 2 shown]
	; wave barrier
	s_wait_loadcnt_dscnt 0x0
	global_inv scope:SCOPE_SE
	ds_load_b32 v8, v22 offset:4
	ds_load_b32 v9, v25 offset:4
	;; [unrolled: 1-line block ×4, first 2 shown]
	v_lshlrev_b32_e32 v12, 1, v39
	; wave barrier
	s_wait_loadcnt_dscnt 0x0
	global_inv scope:SCOPE_SE
	v_add_nc_u32_e32 v15, v8, v21
	v_add3_u32 v21, v24, v23, v9
	v_add3_u32 v22, v27, v26, v10
	;; [unrolled: 1-line block ×3, first 2 shown]
	s_delay_alu instid0(VALU_DEP_4) | instskip(NEXT) | instid1(VALU_DEP_4)
	v_lshlrev_b32_e32 v8, 1, v15
	v_lshlrev_b32_e32 v9, 1, v21
	s_delay_alu instid0(VALU_DEP_4) | instskip(NEXT) | instid1(VALU_DEP_4)
	v_lshlrev_b32_e32 v10, 1, v22
	v_lshlrev_b32_e32 v11, 1, v23
	ds_store_b16 v8, v18
	ds_store_b16 v9, v16
	;; [unrolled: 1-line block ×4, first 2 shown]
	; wave barrier
	s_wait_loadcnt_dscnt 0x0
	global_inv scope:SCOPE_SE
	ds_load_b64 v[13:14], v12
	v_mad_co_u64_u32 v[15:16], null, v15, 6, v[8:9]
	v_mad_co_u64_u32 v[8:9], null, v21, 6, v[9:10]
	v_mad_co_u64_u32 v[9:10], null, v22, 6, v[10:11]
	v_mad_co_u64_u32 v[10:11], null, v23, 6, v[11:12]
	; wave barrier
	s_wait_loadcnt_dscnt 0x0
	global_inv scope:SCOPE_SE
	ds_store_b64 v15, v[4:5]
	ds_store_b64 v8, v[6:7]
	;; [unrolled: 1-line block ×4, first 2 shown]
	; wave barrier
	s_wait_loadcnt_dscnt 0x0
	global_inv scope:SCOPE_SE
	v_xor_b32_e32 v13, 0x7fff7fff, v13
	v_xor_b32_e32 v14, 0x7fff7fff, v14
.LBB178_78:
	v_mad_co_u64_u32 v[8:9], null, s14, v17, 0
	ds_load_b128 v[4:7], v38
	ds_load_b128 v[0:3], v38 offset:16
	; wave barrier
	s_wait_loadcnt_dscnt 0x0
	global_inv scope:SCOPE_SE
	ds_store_2addr_b32 v32, v13, v14 offset1:1
	; wave barrier
	s_wait_loadcnt_dscnt 0x0
	global_inv scope:SCOPE_SE
	v_mad_co_u64_u32 v[9:10], null, s15, v17, v[9:10]
	ds_load_u16 v12, v29 offset:64
	ds_load_u16 v11, v30 offset:128
	ds_load_u16 v10, v31 offset:192
	v_lshlrev_b64_e32 v[8:9], 1, v[8:9]
	s_delay_alu instid0(VALU_DEP_1) | instskip(SKIP_1) | instid1(VALU_DEP_2)
	v_add_co_u32 v8, vcc_lo, s18, v8
	s_wait_alu 0xfffd
	v_add_co_ci_u32_e64 v9, null, s19, v9, vcc_lo
	s_and_saveexec_b32 s0, s2
	s_cbranch_execnz .LBB178_89
; %bb.79:
	s_wait_alu 0xfffe
	s_or_b32 exec_lo, exec_lo, s0
	s_and_saveexec_b32 s0, s3
	s_cbranch_execnz .LBB178_90
.LBB178_80:
	s_wait_alu 0xfffe
	s_or_b32 exec_lo, exec_lo, s0
	s_and_saveexec_b32 s0, s4
	s_cbranch_execnz .LBB178_91
.LBB178_81:
	s_wait_alu 0xfffe
	s_or_b32 exec_lo, exec_lo, s0
	s_and_saveexec_b32 s0, s5
	s_cbranch_execz .LBB178_83
.LBB178_82:
	v_mad_co_u64_u32 v[8:9], null, 0xc0, s14, v[8:9]
	s_wait_dscnt 0x0
	s_delay_alu instid0(VALU_DEP_1) | instskip(NEXT) | instid1(VALU_DEP_1)
	v_mad_co_u64_u32 v[11:12], null, 0xc0, s15, v[9:10]
	v_mov_b32_e32 v9, v11
	global_store_b16 v[8:9], v10, off
.LBB178_83:
	s_wait_alu 0xfffe
	s_or_b32 exec_lo, exec_lo, s0
	v_mad_co_u64_u32 v[8:9], null, s16, v17, 0
	s_wait_storecnt 0x0
	; wave barrier
	s_wait_loadcnt_dscnt 0x0
	global_inv scope:SCOPE_SE
	ds_store_2addr_b64 v37, v[4:5], v[6:7] offset1:1
	ds_store_2addr_b64 v37, v[0:1], v[2:3] offset0:2 offset1:3
	; wave barrier
	s_wait_loadcnt_dscnt 0x0
	global_inv scope:SCOPE_SE
	ds_load_b64 v[6:7], v34 offset:256
	ds_load_b64 v[4:5], v35 offset:512
	;; [unrolled: 1-line block ×3, first 2 shown]
	v_mad_co_u64_u32 v[9:10], null, s17, v17, v[9:10]
	s_delay_alu instid0(VALU_DEP_1) | instskip(NEXT) | instid1(VALU_DEP_1)
	v_lshlrev_b64_e32 v[2:3], 3, v[8:9]
	v_add_co_u32 v2, vcc_lo, s20, v2
	s_wait_alu 0xfffd
	s_delay_alu instid0(VALU_DEP_2)
	v_add_co_ci_u32_e64 v3, null, s21, v3, vcc_lo
	s_and_saveexec_b32 s0, s2
	s_cbranch_execnz .LBB178_92
; %bb.84:
	s_wait_alu 0xfffe
	s_or_b32 exec_lo, exec_lo, s0
	s_and_saveexec_b32 s0, s3
	s_cbranch_execnz .LBB178_93
.LBB178_85:
	s_wait_alu 0xfffe
	s_or_b32 exec_lo, exec_lo, s0
	s_and_saveexec_b32 s0, s4
	s_cbranch_execnz .LBB178_94
.LBB178_86:
	s_wait_alu 0xfffe
	s_or_b32 exec_lo, exec_lo, s0
	s_and_saveexec_b32 s0, s5
	s_cbranch_execz .LBB178_88
.LBB178_87:
	v_mad_co_u64_u32 v[2:3], null, 0x300, s16, v[2:3]
	s_wait_dscnt 0x1
	s_delay_alu instid0(VALU_DEP_1)
	v_mad_co_u64_u32 v[3:4], null, 0x300, s17, v[3:4]
	s_wait_dscnt 0x0
	global_store_b64 v[2:3], v[0:1], off
.LBB178_88:
	s_endpgm
.LBB178_89:
	ds_load_u16 v13, v28
	s_wait_dscnt 0x0
	global_store_b16 v[8:9], v13, off
	s_wait_alu 0xfffe
	s_or_b32 exec_lo, exec_lo, s0
	s_and_saveexec_b32 s0, s3
	s_cbranch_execz .LBB178_80
.LBB178_90:
	s_lshl_b64 s[6:7], s[14:15], 6
	s_wait_alu 0xfffe
	v_add_co_u32 v13, vcc_lo, v8, s6
	s_wait_alu 0xfffd
	v_add_co_ci_u32_e64 v14, null, s7, v9, vcc_lo
	s_wait_dscnt 0x2
	global_store_b16 v[13:14], v12, off
	s_or_b32 exec_lo, exec_lo, s0
	s_and_saveexec_b32 s0, s4
	s_cbranch_execz .LBB178_81
.LBB178_91:
	s_lshl_b64 s[6:7], s[14:15], 7
	s_wait_dscnt 0x2
	s_wait_alu 0xfffe
	v_add_co_u32 v12, vcc_lo, v8, s6
	s_wait_alu 0xfffd
	v_add_co_ci_u32_e64 v13, null, s7, v9, vcc_lo
	s_wait_dscnt 0x1
	global_store_b16 v[12:13], v11, off
	s_or_b32 exec_lo, exec_lo, s0
	s_and_saveexec_b32 s0, s5
	s_cbranch_execnz .LBB178_82
	s_branch .LBB178_83
.LBB178_92:
	ds_load_b64 v[8:9], v33
	s_wait_dscnt 0x0
	global_store_b64 v[2:3], v[8:9], off
	s_wait_alu 0xfffe
	s_or_b32 exec_lo, exec_lo, s0
	s_and_saveexec_b32 s0, s3
	s_cbranch_execz .LBB178_85
.LBB178_93:
	s_lshl_b64 s[2:3], s[16:17], 8
	s_wait_alu 0xfffe
	v_add_co_u32 v8, vcc_lo, v2, s2
	s_wait_alu 0xfffd
	v_add_co_ci_u32_e64 v9, null, s3, v3, vcc_lo
	s_wait_dscnt 0x2
	global_store_b64 v[8:9], v[6:7], off
	s_or_b32 exec_lo, exec_lo, s0
	s_and_saveexec_b32 s0, s4
	s_cbranch_execz .LBB178_86
.LBB178_94:
	s_lshl_b64 s[2:3], s[16:17], 9
	s_wait_dscnt 0x2
	s_wait_alu 0xfffe
	v_add_co_u32 v6, vcc_lo, v2, s2
	s_wait_alu 0xfffd
	v_add_co_ci_u32_e64 v7, null, s3, v3, vcc_lo
	s_wait_dscnt 0x1
	global_store_b64 v[6:7], v[4:5], off
	s_or_b32 exec_lo, exec_lo, s0
	s_and_saveexec_b32 s0, s5
	s_cbranch_execnz .LBB178_87
	s_branch .LBB178_88
	.section	.rodata,"a",@progbits
	.p2align	6, 0x0
	.amdhsa_kernel _ZN2at6native18radixSortKVInPlaceILin1ELin1ELi32ELi4EslmEEvNS_4cuda6detail10TensorInfoIT3_T5_EES6_S6_S6_NS4_IT4_S6_EES6_b
		.amdhsa_group_segment_fixed_size 1056
		.amdhsa_private_segment_fixed_size 0
		.amdhsa_kernarg_size 1128
		.amdhsa_user_sgpr_count 2
		.amdhsa_user_sgpr_dispatch_ptr 0
		.amdhsa_user_sgpr_queue_ptr 0
		.amdhsa_user_sgpr_kernarg_segment_ptr 1
		.amdhsa_user_sgpr_dispatch_id 0
		.amdhsa_user_sgpr_private_segment_size 0
		.amdhsa_wavefront_size32 1
		.amdhsa_uses_dynamic_stack 0
		.amdhsa_enable_private_segment 0
		.amdhsa_system_sgpr_workgroup_id_x 1
		.amdhsa_system_sgpr_workgroup_id_y 1
		.amdhsa_system_sgpr_workgroup_id_z 1
		.amdhsa_system_sgpr_workgroup_info 0
		.amdhsa_system_vgpr_workitem_id 2
		.amdhsa_next_free_vgpr 92
		.amdhsa_next_free_sgpr 36
		.amdhsa_reserve_vcc 1
		.amdhsa_float_round_mode_32 0
		.amdhsa_float_round_mode_16_64 0
		.amdhsa_float_denorm_mode_32 3
		.amdhsa_float_denorm_mode_16_64 3
		.amdhsa_fp16_overflow 0
		.amdhsa_workgroup_processor_mode 1
		.amdhsa_memory_ordered 1
		.amdhsa_forward_progress 1
		.amdhsa_inst_pref_size 117
		.amdhsa_round_robin_scheduling 0
		.amdhsa_exception_fp_ieee_invalid_op 0
		.amdhsa_exception_fp_denorm_src 0
		.amdhsa_exception_fp_ieee_div_zero 0
		.amdhsa_exception_fp_ieee_overflow 0
		.amdhsa_exception_fp_ieee_underflow 0
		.amdhsa_exception_fp_ieee_inexact 0
		.amdhsa_exception_int_div_zero 0
	.end_amdhsa_kernel
	.section	.text._ZN2at6native18radixSortKVInPlaceILin1ELin1ELi32ELi4EslmEEvNS_4cuda6detail10TensorInfoIT3_T5_EES6_S6_S6_NS4_IT4_S6_EES6_b,"axG",@progbits,_ZN2at6native18radixSortKVInPlaceILin1ELin1ELi32ELi4EslmEEvNS_4cuda6detail10TensorInfoIT3_T5_EES6_S6_S6_NS4_IT4_S6_EES6_b,comdat
.Lfunc_end178:
	.size	_ZN2at6native18radixSortKVInPlaceILin1ELin1ELi32ELi4EslmEEvNS_4cuda6detail10TensorInfoIT3_T5_EES6_S6_S6_NS4_IT4_S6_EES6_b, .Lfunc_end178-_ZN2at6native18radixSortKVInPlaceILin1ELin1ELi32ELi4EslmEEvNS_4cuda6detail10TensorInfoIT3_T5_EES6_S6_S6_NS4_IT4_S6_EES6_b
                                        ; -- End function
	.set _ZN2at6native18radixSortKVInPlaceILin1ELin1ELi32ELi4EslmEEvNS_4cuda6detail10TensorInfoIT3_T5_EES6_S6_S6_NS4_IT4_S6_EES6_b.num_vgpr, 92
	.set _ZN2at6native18radixSortKVInPlaceILin1ELin1ELi32ELi4EslmEEvNS_4cuda6detail10TensorInfoIT3_T5_EES6_S6_S6_NS4_IT4_S6_EES6_b.num_agpr, 0
	.set _ZN2at6native18radixSortKVInPlaceILin1ELin1ELi32ELi4EslmEEvNS_4cuda6detail10TensorInfoIT3_T5_EES6_S6_S6_NS4_IT4_S6_EES6_b.numbered_sgpr, 36
	.set _ZN2at6native18radixSortKVInPlaceILin1ELin1ELi32ELi4EslmEEvNS_4cuda6detail10TensorInfoIT3_T5_EES6_S6_S6_NS4_IT4_S6_EES6_b.num_named_barrier, 0
	.set _ZN2at6native18radixSortKVInPlaceILin1ELin1ELi32ELi4EslmEEvNS_4cuda6detail10TensorInfoIT3_T5_EES6_S6_S6_NS4_IT4_S6_EES6_b.private_seg_size, 0
	.set _ZN2at6native18radixSortKVInPlaceILin1ELin1ELi32ELi4EslmEEvNS_4cuda6detail10TensorInfoIT3_T5_EES6_S6_S6_NS4_IT4_S6_EES6_b.uses_vcc, 1
	.set _ZN2at6native18radixSortKVInPlaceILin1ELin1ELi32ELi4EslmEEvNS_4cuda6detail10TensorInfoIT3_T5_EES6_S6_S6_NS4_IT4_S6_EES6_b.uses_flat_scratch, 0
	.set _ZN2at6native18radixSortKVInPlaceILin1ELin1ELi32ELi4EslmEEvNS_4cuda6detail10TensorInfoIT3_T5_EES6_S6_S6_NS4_IT4_S6_EES6_b.has_dyn_sized_stack, 0
	.set _ZN2at6native18radixSortKVInPlaceILin1ELin1ELi32ELi4EslmEEvNS_4cuda6detail10TensorInfoIT3_T5_EES6_S6_S6_NS4_IT4_S6_EES6_b.has_recursion, 0
	.set _ZN2at6native18radixSortKVInPlaceILin1ELin1ELi32ELi4EslmEEvNS_4cuda6detail10TensorInfoIT3_T5_EES6_S6_S6_NS4_IT4_S6_EES6_b.has_indirect_call, 0
	.section	.AMDGPU.csdata,"",@progbits
; Kernel info:
; codeLenInByte = 14960
; TotalNumSgprs: 38
; NumVgprs: 92
; ScratchSize: 0
; MemoryBound: 0
; FloatMode: 240
; IeeeMode: 1
; LDSByteSize: 1056 bytes/workgroup (compile time only)
; SGPRBlocks: 0
; VGPRBlocks: 11
; NumSGPRsForWavesPerEU: 38
; NumVGPRsForWavesPerEU: 92
; Occupancy: 16
; WaveLimiterHint : 1
; COMPUTE_PGM_RSRC2:SCRATCH_EN: 0
; COMPUTE_PGM_RSRC2:USER_SGPR: 2
; COMPUTE_PGM_RSRC2:TRAP_HANDLER: 0
; COMPUTE_PGM_RSRC2:TGID_X_EN: 1
; COMPUTE_PGM_RSRC2:TGID_Y_EN: 1
; COMPUTE_PGM_RSRC2:TGID_Z_EN: 1
; COMPUTE_PGM_RSRC2:TIDIG_COMP_CNT: 2
	.section	.text._ZN2at6native18radixSortKVInPlaceILin1ELin1ELi16ELi2EslmEEvNS_4cuda6detail10TensorInfoIT3_T5_EES6_S6_S6_NS4_IT4_S6_EES6_b,"axG",@progbits,_ZN2at6native18radixSortKVInPlaceILin1ELin1ELi16ELi2EslmEEvNS_4cuda6detail10TensorInfoIT3_T5_EES6_S6_S6_NS4_IT4_S6_EES6_b,comdat
	.protected	_ZN2at6native18radixSortKVInPlaceILin1ELin1ELi16ELi2EslmEEvNS_4cuda6detail10TensorInfoIT3_T5_EES6_S6_S6_NS4_IT4_S6_EES6_b ; -- Begin function _ZN2at6native18radixSortKVInPlaceILin1ELin1ELi16ELi2EslmEEvNS_4cuda6detail10TensorInfoIT3_T5_EES6_S6_S6_NS4_IT4_S6_EES6_b
	.globl	_ZN2at6native18radixSortKVInPlaceILin1ELin1ELi16ELi2EslmEEvNS_4cuda6detail10TensorInfoIT3_T5_EES6_S6_S6_NS4_IT4_S6_EES6_b
	.p2align	8
	.type	_ZN2at6native18radixSortKVInPlaceILin1ELin1ELi16ELi2EslmEEvNS_4cuda6detail10TensorInfoIT3_T5_EES6_S6_S6_NS4_IT4_S6_EES6_b,@function
_ZN2at6native18radixSortKVInPlaceILin1ELin1ELi16ELi2EslmEEvNS_4cuda6detail10TensorInfoIT3_T5_EES6_S6_S6_NS4_IT4_S6_EES6_b: ; @_ZN2at6native18radixSortKVInPlaceILin1ELin1ELi16ELi2EslmEEvNS_4cuda6detail10TensorInfoIT3_T5_EES6_S6_S6_NS4_IT4_S6_EES6_b
; %bb.0:
	s_clause 0x1
	s_load_b64 s[2:3], s[0:1], 0x368
	s_load_b128 s[4:7], s[0:1], 0x1a0
	s_wait_kmcnt 0x0
	s_lshr_b32 s7, ttmp7, 16
	s_and_b32 s8, ttmp7, 0xffff
	s_mul_i32 s3, s3, s7
	s_delay_alu instid0(SALU_CYCLE_1) | instskip(NEXT) | instid1(SALU_CYCLE_1)
	s_add_co_i32 s3, s3, s8
	s_mul_i32 s2, s3, s2
	s_mov_b32 s3, 0
	s_add_co_i32 s2, s2, ttmp9
	s_delay_alu instid0(SALU_CYCLE_1)
	v_cmp_le_u64_e64 s4, s[4:5], s[2:3]
	s_and_b32 vcc_lo, exec_lo, s4
	s_cbranch_vccnz .LBB179_126
; %bb.1:
	s_clause 0x1
	s_load_b32 s7, s[0:1], 0x198
	s_load_b64 s[8:9], s[0:1], 0x1b0
	s_mov_b64 s[4:5], 0
	s_mov_b64 s[10:11], s[2:3]
	s_wait_kmcnt 0x0
	s_cmp_lt_i32 s7, 2
	s_cbranch_scc1 .LBB179_9
; %bb.2:
	s_mov_b32 s12, 0
	s_add_co_i32 s4, s7, -1
	s_mov_b32 s5, s12
	s_add_co_i32 s7, s7, 1
	s_wait_alu 0xfffe
	s_lshl_b64 s[4:5], s[4:5], 3
	s_mov_b64 s[16:17], s[2:3]
	s_wait_alu 0xfffe
	s_add_nc_u64 s[10:11], s[0:1], s[4:5]
	s_mov_b64 s[4:5], 0
	s_add_nc_u64 s[14:15], s[10:11], 8
.LBB179_3:                              ; =>This Inner Loop Header: Depth=1
	s_load_b64 s[18:19], s[14:15], 0x0
	s_wait_kmcnt 0x0
	s_or_b64 s[10:11], s[16:17], s[18:19]
	s_wait_alu 0xfffe
	s_mov_b32 s13, s11
                                        ; implicit-def: $sgpr10_sgpr11
	s_delay_alu instid0(SALU_CYCLE_1)
	s_cmp_lg_u64 s[12:13], 0
	s_mov_b32 s13, -1
	s_cbranch_scc0 .LBB179_5
; %bb.4:                                ;   in Loop: Header=BB179_3 Depth=1
	s_cvt_f32_u32 s10, s18
	s_cvt_f32_u32 s11, s19
	s_sub_nc_u64 s[20:21], 0, s[18:19]
	s_mov_b32 s23, s12
	s_mov_b32 s27, s12
	s_wait_alu 0xfffe
	s_fmamk_f32 s10, s11, 0x4f800000, s10
	s_wait_alu 0xfffe
	s_delay_alu instid0(SALU_CYCLE_2) | instskip(NEXT) | instid1(TRANS32_DEP_1)
	v_s_rcp_f32 s10, s10
	s_mul_f32 s10, s10, 0x5f7ffffc
	s_wait_alu 0xfffe
	s_delay_alu instid0(SALU_CYCLE_2) | instskip(SKIP_1) | instid1(SALU_CYCLE_2)
	s_mul_f32 s11, s10, 0x2f800000
	s_wait_alu 0xfffe
	s_trunc_f32 s11, s11
	s_wait_alu 0xfffe
	s_delay_alu instid0(SALU_CYCLE_2) | instskip(SKIP_2) | instid1(SALU_CYCLE_1)
	s_fmamk_f32 s10, s11, 0xcf800000, s10
	s_cvt_u32_f32 s11, s11
	s_wait_alu 0xfffe
	s_cvt_u32_f32 s10, s10
	s_wait_alu 0xfffe
	s_delay_alu instid0(SALU_CYCLE_2) | instskip(NEXT) | instid1(SALU_CYCLE_1)
	s_mul_u64 s[24:25], s[20:21], s[10:11]
	s_mul_hi_u32 s29, s10, s25
	s_mul_i32 s28, s10, s25
	s_mul_hi_u32 s22, s10, s24
	s_mul_i32 s26, s11, s24
	s_add_nc_u64 s[22:23], s[22:23], s[28:29]
	s_mul_hi_u32 s13, s11, s24
	s_mul_hi_u32 s30, s11, s25
	s_add_co_u32 s22, s22, s26
	s_add_co_ci_u32 s26, s23, s13
	s_mul_i32 s24, s11, s25
	s_add_co_ci_u32 s25, s30, 0
	s_delay_alu instid0(SALU_CYCLE_1) | instskip(SKIP_3) | instid1(SALU_CYCLE_1)
	s_add_nc_u64 s[22:23], s[26:27], s[24:25]
	s_mov_b32 s25, s12
	s_add_co_u32 s10, s10, s22
	s_cselect_b32 s13, -1, 0
	s_cmp_lg_u32 s13, 0
	s_add_co_ci_u32 s11, s11, s23
	s_mov_b32 s23, s12
	s_wait_alu 0xfffe
	s_mul_u64 s[20:21], s[20:21], s[10:11]
	s_delay_alu instid0(SALU_CYCLE_1)
	s_mul_hi_u32 s27, s10, s21
	s_mul_i32 s26, s10, s21
	s_mul_hi_u32 s22, s10, s20
	s_mul_i32 s24, s11, s20
	s_add_nc_u64 s[22:23], s[22:23], s[26:27]
	s_mul_hi_u32 s13, s11, s20
	s_mul_hi_u32 s28, s11, s21
	s_mul_i32 s20, s11, s21
	s_add_co_u32 s21, s22, s24
	s_add_co_ci_u32 s24, s23, s13
	s_add_co_ci_u32 s21, s28, 0
	s_mov_b32 s23, s12
	s_add_nc_u64 s[20:21], s[24:25], s[20:21]
	s_delay_alu instid0(SALU_CYCLE_1)
	s_add_co_u32 s10, s10, s20
	s_cselect_b32 s13, -1, 0
	s_wait_alu 0xfffe
	s_mul_hi_u32 s22, s16, s10
	s_cmp_lg_u32 s13, 0
	s_mul_hi_u32 s13, s17, s10
	s_add_co_ci_u32 s20, s11, s21
	s_mul_i32 s21, s17, s10
	s_mul_hi_u32 s11, s16, s20
	s_mul_i32 s10, s16, s20
	s_mul_hi_u32 s26, s17, s20
	s_wait_alu 0xfffe
	s_add_nc_u64 s[10:11], s[22:23], s[10:11]
	s_mul_i32 s20, s17, s20
	s_wait_alu 0xfffe
	s_add_co_u32 s10, s10, s21
	s_add_co_ci_u32 s24, s11, s13
	s_add_co_ci_u32 s21, s26, 0
	s_delay_alu instid0(SALU_CYCLE_1) | instskip(SKIP_2) | instid1(SALU_CYCLE_1)
	s_add_nc_u64 s[10:11], s[24:25], s[20:21]
	s_wait_alu 0xfffe
	s_mul_u64 s[20:21], s[18:19], s[10:11]
	s_sub_co_u32 s13, s16, s20
	s_cselect_b32 s20, -1, 0
	s_sub_co_i32 s22, s17, s21
	s_cmp_lg_u32 s20, 0
	s_sub_co_ci_u32 s22, s22, s19
	s_sub_co_u32 s23, s13, s18
	s_cselect_b32 s24, -1, 0
	s_delay_alu instid0(SALU_CYCLE_1) | instskip(SKIP_1) | instid1(SALU_CYCLE_1)
	s_cmp_lg_u32 s24, 0
	s_sub_co_ci_u32 s22, s22, 0
	s_cmp_ge_u32 s22, s19
	s_cselect_b32 s24, -1, 0
	s_cmp_ge_u32 s23, s18
	s_cselect_b32 s25, -1, 0
	s_cmp_eq_u32 s22, s19
	s_add_nc_u64 s[22:23], s[10:11], 1
	s_cselect_b32 s26, s25, s24
	s_add_nc_u64 s[24:25], s[10:11], 2
	s_cmp_lg_u32 s26, 0
	s_cselect_b32 s22, s24, s22
	s_cselect_b32 s23, s25, s23
	s_cmp_lg_u32 s20, 0
	s_sub_co_ci_u32 s20, s17, s21
	s_delay_alu instid0(SALU_CYCLE_1)
	s_cmp_ge_u32 s20, s19
	s_cselect_b32 s21, -1, 0
	s_cmp_ge_u32 s13, s18
	s_cselect_b32 s13, -1, 0
	s_cmp_eq_u32 s20, s19
	s_cselect_b32 s13, s13, s21
	s_delay_alu instid0(SALU_CYCLE_1)
	s_cmp_lg_u32 s13, 0
	s_mov_b32 s13, 0
	s_cselect_b32 s11, s23, s11
	s_cselect_b32 s10, s22, s10
.LBB179_5:                              ;   in Loop: Header=BB179_3 Depth=1
	s_and_not1_b32 vcc_lo, exec_lo, s13
	s_cbranch_vccnz .LBB179_7
; %bb.6:                                ;   in Loop: Header=BB179_3 Depth=1
	v_cvt_f32_u32_e32 v1, s18
	s_sub_co_i32 s11, 0, s18
	s_delay_alu instid0(VALU_DEP_1) | instskip(NEXT) | instid1(TRANS32_DEP_1)
	v_rcp_iflag_f32_e32 v1, v1
	v_mul_f32_e32 v1, 0x4f7ffffe, v1
	s_delay_alu instid0(VALU_DEP_1) | instskip(NEXT) | instid1(VALU_DEP_1)
	v_cvt_u32_f32_e32 v1, v1
	v_readfirstlane_b32 s10, v1
	s_wait_alu 0xfffe
	s_mul_i32 s11, s11, s10
	s_wait_alu 0xfffe
	s_mul_hi_u32 s11, s10, s11
	s_wait_alu 0xfffe
	s_add_co_i32 s10, s10, s11
	s_wait_alu 0xfffe
	s_mul_hi_u32 s10, s16, s10
	s_wait_alu 0xfffe
	s_mul_i32 s11, s10, s18
	s_add_co_i32 s13, s10, 1
	s_wait_alu 0xfffe
	s_sub_co_i32 s11, s16, s11
	s_wait_alu 0xfffe
	s_sub_co_i32 s20, s11, s18
	s_cmp_ge_u32 s11, s18
	s_cselect_b32 s10, s13, s10
	s_cselect_b32 s11, s20, s11
	s_wait_alu 0xfffe
	s_add_co_i32 s13, s10, 1
	s_cmp_ge_u32 s11, s18
	s_mov_b32 s11, s12
	s_cselect_b32 s10, s13, s10
.LBB179_7:                              ;   in Loop: Header=BB179_3 Depth=1
	s_load_b64 s[20:21], s[14:15], 0xc8
	s_mul_u64 s[18:19], s[10:11], s[18:19]
	s_add_co_i32 s7, s7, -1
	s_wait_alu 0xfffe
	s_sub_nc_u64 s[16:17], s[16:17], s[18:19]
	s_cmp_gt_u32 s7, 2
	s_add_nc_u64 s[14:15], s[14:15], -8
	s_wait_kmcnt 0x0
	s_mul_u64 s[16:17], s[20:21], s[16:17]
	s_delay_alu instid0(SALU_CYCLE_1)
	s_add_nc_u64 s[4:5], s[16:17], s[4:5]
	s_cbranch_scc0 .LBB179_9
; %bb.8:                                ;   in Loop: Header=BB179_3 Depth=1
	s_mov_b64 s[16:17], s[10:11]
	s_branch .LBB179_3
.LBB179_9:
	s_load_b32 s7, s[0:1], 0x350
	s_mov_b64 s[14:15], 0
	s_wait_kmcnt 0x0
	s_cmp_lt_i32 s7, 2
	s_cbranch_scc1 .LBB179_17
; %bb.10:
	s_mov_b32 s12, 0
	s_add_co_i32 s14, s7, -1
	s_mov_b32 s15, s12
	s_add_co_i32 s7, s7, 1
	s_lshl_b64 s[14:15], s[14:15], 3
	s_delay_alu instid0(SALU_CYCLE_1) | instskip(NEXT) | instid1(SALU_CYCLE_1)
	s_add_nc_u64 s[14:15], s[0:1], s[14:15]
	s_add_nc_u64 s[16:17], s[14:15], 0x1c0
	s_mov_b64 s[14:15], 0
.LBB179_11:                             ; =>This Inner Loop Header: Depth=1
	s_load_b64 s[18:19], s[16:17], 0x0
	s_wait_kmcnt 0x0
	s_or_b64 s[20:21], s[2:3], s[18:19]
	s_delay_alu instid0(SALU_CYCLE_1)
	s_mov_b32 s13, s21
                                        ; implicit-def: $sgpr20_sgpr21
	s_wait_alu 0xfffe
	s_cmp_lg_u64 s[12:13], 0
	s_mov_b32 s13, -1
	s_cbranch_scc0 .LBB179_13
; %bb.12:                               ;   in Loop: Header=BB179_11 Depth=1
	s_cvt_f32_u32 s13, s18
	s_cvt_f32_u32 s20, s19
	s_sub_nc_u64 s[22:23], 0, s[18:19]
	s_mov_b32 s25, s12
	s_mov_b32 s29, s12
	s_wait_alu 0xfffe
	s_fmamk_f32 s13, s20, 0x4f800000, s13
	s_wait_alu 0xfffe
	s_delay_alu instid0(SALU_CYCLE_2) | instskip(NEXT) | instid1(TRANS32_DEP_1)
	v_s_rcp_f32 s13, s13
	s_mul_f32 s13, s13, 0x5f7ffffc
	s_wait_alu 0xfffe
	s_delay_alu instid0(SALU_CYCLE_2) | instskip(NEXT) | instid1(SALU_CYCLE_3)
	s_mul_f32 s20, s13, 0x2f800000
	s_trunc_f32 s20, s20
	s_delay_alu instid0(SALU_CYCLE_3) | instskip(SKIP_2) | instid1(SALU_CYCLE_1)
	s_fmamk_f32 s13, s20, 0xcf800000, s13
	s_cvt_u32_f32 s21, s20
	s_wait_alu 0xfffe
	s_cvt_u32_f32 s20, s13
	s_delay_alu instid0(SALU_CYCLE_3) | instskip(NEXT) | instid1(SALU_CYCLE_1)
	s_mul_u64 s[26:27], s[22:23], s[20:21]
	s_mul_hi_u32 s31, s20, s27
	s_mul_i32 s30, s20, s27
	s_mul_hi_u32 s24, s20, s26
	s_mul_i32 s28, s21, s26
	s_add_nc_u64 s[24:25], s[24:25], s[30:31]
	s_mul_hi_u32 s13, s21, s26
	s_mul_hi_u32 s33, s21, s27
	s_add_co_u32 s24, s24, s28
	s_wait_alu 0xfffe
	s_add_co_ci_u32 s28, s25, s13
	s_mul_i32 s26, s21, s27
	s_add_co_ci_u32 s27, s33, 0
	s_delay_alu instid0(SALU_CYCLE_1)
	s_add_nc_u64 s[24:25], s[28:29], s[26:27]
	s_mov_b32 s27, s12
	s_add_co_u32 s20, s20, s24
	s_cselect_b32 s13, -1, 0
	s_wait_alu 0xfffe
	s_cmp_lg_u32 s13, 0
	s_add_co_ci_u32 s21, s21, s25
	s_mov_b32 s25, s12
	s_mul_u64 s[22:23], s[22:23], s[20:21]
	s_delay_alu instid0(SALU_CYCLE_1)
	s_mul_hi_u32 s29, s20, s23
	s_mul_i32 s28, s20, s23
	s_mul_hi_u32 s24, s20, s22
	s_mul_i32 s26, s21, s22
	s_add_nc_u64 s[24:25], s[24:25], s[28:29]
	s_mul_hi_u32 s13, s21, s22
	s_mul_hi_u32 s30, s21, s23
	s_mul_i32 s22, s21, s23
	s_add_co_u32 s23, s24, s26
	s_wait_alu 0xfffe
	s_add_co_ci_u32 s26, s25, s13
	s_add_co_ci_u32 s23, s30, 0
	s_mov_b32 s25, s12
	s_add_nc_u64 s[22:23], s[26:27], s[22:23]
	s_delay_alu instid0(SALU_CYCLE_1)
	s_add_co_u32 s13, s20, s22
	s_cselect_b32 s20, -1, 0
	s_wait_alu 0xfffe
	s_mul_hi_u32 s24, s2, s13
	s_cmp_lg_u32 s20, 0
	s_mul_hi_u32 s26, s3, s13
	s_add_co_ci_u32 s22, s21, s23
	s_mul_i32 s13, s3, s13
	s_mul_hi_u32 s21, s2, s22
	s_mul_i32 s20, s2, s22
	s_mul_hi_u32 s23, s3, s22
	s_add_nc_u64 s[20:21], s[24:25], s[20:21]
	s_mul_i32 s22, s3, s22
	s_wait_alu 0xfffe
	s_add_co_u32 s13, s20, s13
	s_add_co_ci_u32 s26, s21, s26
	s_add_co_ci_u32 s23, s23, 0
	s_delay_alu instid0(SALU_CYCLE_1) | instskip(NEXT) | instid1(SALU_CYCLE_1)
	s_add_nc_u64 s[20:21], s[26:27], s[22:23]
	s_mul_u64 s[22:23], s[18:19], s[20:21]
	s_delay_alu instid0(SALU_CYCLE_1)
	s_sub_co_u32 s13, s2, s22
	s_cselect_b32 s22, -1, 0
	s_sub_co_i32 s24, s3, s23
	s_cmp_lg_u32 s22, 0
	s_sub_co_ci_u32 s24, s24, s19
	s_wait_alu 0xfffe
	s_sub_co_u32 s25, s13, s18
	s_cselect_b32 s26, -1, 0
	s_delay_alu instid0(SALU_CYCLE_1) | instskip(SKIP_1) | instid1(SALU_CYCLE_1)
	s_cmp_lg_u32 s26, 0
	s_sub_co_ci_u32 s24, s24, 0
	s_cmp_ge_u32 s24, s19
	s_cselect_b32 s26, -1, 0
	s_cmp_ge_u32 s25, s18
	s_cselect_b32 s27, -1, 0
	s_cmp_eq_u32 s24, s19
	s_add_nc_u64 s[24:25], s[20:21], 1
	s_cselect_b32 s28, s27, s26
	s_add_nc_u64 s[26:27], s[20:21], 2
	s_cmp_lg_u32 s28, 0
	s_cselect_b32 s24, s26, s24
	s_cselect_b32 s25, s27, s25
	s_cmp_lg_u32 s22, 0
	s_sub_co_ci_u32 s22, s3, s23
	s_delay_alu instid0(SALU_CYCLE_1)
	s_cmp_ge_u32 s22, s19
	s_cselect_b32 s23, -1, 0
	s_cmp_ge_u32 s13, s18
	s_cselect_b32 s13, -1, 0
	s_cmp_eq_u32 s22, s19
	s_wait_alu 0xfffe
	s_cselect_b32 s13, s13, s23
	s_wait_alu 0xfffe
	s_cmp_lg_u32 s13, 0
	s_mov_b32 s13, 0
	s_cselect_b32 s21, s25, s21
	s_cselect_b32 s20, s24, s20
.LBB179_13:                             ;   in Loop: Header=BB179_11 Depth=1
	s_wait_alu 0xfffe
	s_and_not1_b32 vcc_lo, exec_lo, s13
	s_cbranch_vccnz .LBB179_15
; %bb.14:                               ;   in Loop: Header=BB179_11 Depth=1
	v_cvt_f32_u32_e32 v1, s18
	s_sub_co_i32 s20, 0, s18
	s_delay_alu instid0(VALU_DEP_1) | instskip(NEXT) | instid1(TRANS32_DEP_1)
	v_rcp_iflag_f32_e32 v1, v1
	v_mul_f32_e32 v1, 0x4f7ffffe, v1
	s_delay_alu instid0(VALU_DEP_1) | instskip(NEXT) | instid1(VALU_DEP_1)
	v_cvt_u32_f32_e32 v1, v1
	v_readfirstlane_b32 s13, v1
	s_mul_i32 s20, s20, s13
	s_delay_alu instid0(SALU_CYCLE_1) | instskip(NEXT) | instid1(SALU_CYCLE_1)
	s_mul_hi_u32 s20, s13, s20
	s_add_co_i32 s13, s13, s20
	s_wait_alu 0xfffe
	s_mul_hi_u32 s13, s2, s13
	s_wait_alu 0xfffe
	s_mul_i32 s20, s13, s18
	s_add_co_i32 s21, s13, 1
	s_sub_co_i32 s20, s2, s20
	s_delay_alu instid0(SALU_CYCLE_1)
	s_sub_co_i32 s22, s20, s18
	s_cmp_ge_u32 s20, s18
	s_cselect_b32 s13, s21, s13
	s_cselect_b32 s20, s22, s20
	s_wait_alu 0xfffe
	s_add_co_i32 s21, s13, 1
	s_cmp_ge_u32 s20, s18
	s_cselect_b32 s20, s21, s13
	s_mov_b32 s21, s12
.LBB179_15:                             ;   in Loop: Header=BB179_11 Depth=1
	s_load_b64 s[22:23], s[16:17], 0xc8
	s_mul_u64 s[18:19], s[20:21], s[18:19]
	s_add_co_i32 s7, s7, -1
	s_wait_alu 0xfffe
	s_sub_nc_u64 s[2:3], s[2:3], s[18:19]
	s_cmp_gt_u32 s7, 2
	s_add_nc_u64 s[16:17], s[16:17], -8
	s_wait_kmcnt 0x0
	s_wait_alu 0xfffe
	s_mul_u64 s[2:3], s[22:23], s[2:3]
	s_wait_alu 0xfffe
	s_add_nc_u64 s[14:15], s[2:3], s[14:15]
	s_cbranch_scc0 .LBB179_18
; %bb.16:                               ;   in Loop: Header=BB179_11 Depth=1
	s_mov_b64 s[2:3], s[20:21]
	s_branch .LBB179_11
.LBB179_17:
	s_mov_b64 s[20:21], s[2:3]
.LBB179_18:
	s_clause 0x2
	s_load_b64 s[2:3], s[0:1], 0xd0
	s_load_b32 s7, s[0:1], 0x360
	s_load_b64 s[12:13], s[0:1], 0x0
	s_wait_kmcnt 0x0
	s_mul_u64 s[10:11], s[2:3], s[10:11]
	s_bitcmp1_b32 s7, 0
	s_mov_b32 s3, 0x8000
	s_cselect_b32 s7, -1, 0
	v_cmp_gt_u32_e64 s2, s6, v0
	s_and_b32 s16, s7, exec_lo
	s_wait_alu 0xfffe
	s_cselect_b32 s16, s3, 0x7fff
	s_lshl_b64 s[10:11], s[10:11], 1
	s_pack_ll_b32_b16 s3, s16, s16
	s_wait_alu 0xfffe
	s_add_nc_u64 s[10:11], s[12:13], s[10:11]
	v_dual_mov_b32 v1, s3 :: v_dual_mov_b32 v2, s16
	s_lshl_b64 s[4:5], s[4:5], 1
	s_wait_alu 0xfffe
	s_add_nc_u64 s[12:13], s[10:11], s[4:5]
	s_and_saveexec_b32 s4, s2
	s_cbranch_execz .LBB179_20
; %bb.19:
	v_mad_co_u64_u32 v[1:2], null, s8, v0, 0
	s_delay_alu instid0(VALU_DEP_1) | instskip(NEXT) | instid1(VALU_DEP_1)
	v_mad_co_u64_u32 v[2:3], null, s9, v0, v[2:3]
	v_lshlrev_b64_e32 v[1:2], 1, v[1:2]
	s_wait_alu 0xfffe
	s_delay_alu instid0(VALU_DEP_1) | instskip(NEXT) | instid1(VALU_DEP_1)
	v_add_co_u32 v1, vcc_lo, s12, v1
	v_add_co_ci_u32_e64 v2, null, s13, v2, vcc_lo
	global_load_u16 v2, v[1:2], off
	s_wait_loadcnt 0x0
	v_bfi_b32 v1, 0xffff, v2, s3
.LBB179_20:
	s_wait_alu 0xfffe
	s_or_b32 exec_lo, exec_lo, s4
	s_clause 0x1
	s_load_b64 s[16:17], s[0:1], 0x288
	s_load_b64 s[4:5], s[0:1], 0x1b8
	v_or_b32_e32 v5, 16, v0
	s_delay_alu instid0(VALU_DEP_1)
	v_cmp_gt_u32_e64 s3, s6, v5
	s_and_saveexec_b32 s6, s3
	s_cbranch_execz .LBB179_22
; %bb.21:
	v_mad_co_u64_u32 v[3:4], null, s8, v5, 0
	s_delay_alu instid0(VALU_DEP_1) | instskip(NEXT) | instid1(VALU_DEP_1)
	v_mad_co_u64_u32 v[6:7], null, s9, v5, v[4:5]
	v_mov_b32_e32 v4, v6
	s_delay_alu instid0(VALU_DEP_1) | instskip(NEXT) | instid1(VALU_DEP_1)
	v_lshlrev_b64_e32 v[3:4], 1, v[3:4]
	v_add_co_u32 v3, vcc_lo, s12, v3
	s_wait_alu 0xfffd
	s_delay_alu instid0(VALU_DEP_2)
	v_add_co_ci_u32_e64 v4, null, s13, v4, vcc_lo
	global_load_d16_hi_b16 v1, v[3:4], off
.LBB179_22:
	s_wait_alu 0xfffe
	s_or_b32 exec_lo, exec_lo, s6
	v_lshlrev_b32_e32 v17, 1, v0
	v_dual_mov_b32 v3, 0 :: v_dual_lshlrev_b32 v18, 2, v0
	s_load_b64 s[10:11], s[0:1], 0x358
	v_mov_b32_e32 v4, 0
	ds_store_b16 v17, v2
	s_wait_loadcnt 0x0
	ds_store_b16_d16_hi v17, v1 offset:32
	s_wait_dscnt 0x0
	; wave barrier
	global_inv scope:SCOPE_SE
	v_mov_b32_e32 v1, 0
	ds_load_b32 v25, v18
	s_wait_kmcnt 0x0
	s_mul_u64 s[0:1], s[16:17], s[20:21]
	s_wait_loadcnt_dscnt 0x0
	s_lshl_b64 s[0:1], s[0:1], 3
	v_mov_b32_e32 v2, v1
	s_add_nc_u64 s[0:1], s[4:5], s[0:1]
	s_lshl_b64 s[4:5], s[14:15], 3
	; wave barrier
	global_inv scope:SCOPE_SE
	s_wait_alu 0xfffe
	s_add_nc_u64 s[14:15], s[0:1], s[4:5]
	s_and_saveexec_b32 s0, s2
	s_cbranch_execz .LBB179_24
; %bb.23:
	v_mad_co_u64_u32 v[2:3], null, s10, v0, 0
	s_delay_alu instid0(VALU_DEP_1) | instskip(NEXT) | instid1(VALU_DEP_1)
	v_mad_co_u64_u32 v[3:4], null, s11, v0, v[3:4]
	v_lshlrev_b64_e32 v[2:3], 3, v[2:3]
	s_delay_alu instid0(VALU_DEP_1) | instskip(SKIP_1) | instid1(VALU_DEP_2)
	v_add_co_u32 v2, vcc_lo, s14, v2
	s_wait_alu 0xfffd
	v_add_co_ci_u32_e64 v3, null, s15, v3, vcc_lo
	global_load_b64 v[3:4], v[2:3], off
	v_mov_b32_e32 v2, v1
.LBB179_24:
	s_or_b32 exec_lo, exec_lo, s0
	s_xor_b32 s18, s7, -1
	s_and_saveexec_b32 s0, s3
	s_cbranch_execz .LBB179_26
; %bb.25:
	v_mad_co_u64_u32 v[1:2], null, s10, v5, 0
	s_wait_loadcnt 0x0
	s_delay_alu instid0(VALU_DEP_1) | instskip(NEXT) | instid1(VALU_DEP_1)
	v_mad_co_u64_u32 v[5:6], null, s11, v5, v[2:3]
	v_mov_b32_e32 v2, v5
	s_delay_alu instid0(VALU_DEP_1) | instskip(NEXT) | instid1(VALU_DEP_1)
	v_lshlrev_b64_e32 v[1:2], 3, v[1:2]
	v_add_co_u32 v1, vcc_lo, s14, v1
	s_wait_alu 0xfffd
	s_delay_alu instid0(VALU_DEP_2)
	v_add_co_ci_u32_e64 v2, null, s15, v2, vcc_lo
	global_load_b64 v[1:2], v[1:2], off
.LBB179_26:
	s_or_b32 exec_lo, exec_lo, s0
	v_lshlrev_b32_e32 v19, 3, v0
	v_lshlrev_b32_e32 v20, 3, v17
	v_mbcnt_lo_u32_b32 v5, -1, 0
	s_getpc_b64 s[0:1]
	s_sext_i32_i16 s1, s1
	s_add_co_u32 s0, s0, _ZN7rocprim17ROCPRIM_400000_NS16block_radix_sortIsLj16ELj2ElLj1ELj1ELj0ELNS0_26block_radix_rank_algorithmE1ELNS0_18block_padding_hintE2ELNS0_4arch9wavefront6targetE0EE19radix_bits_per_passE@rel32@lo+8
	s_add_co_ci_u32 s1, s1, _ZN7rocprim17ROCPRIM_400000_NS16block_radix_sortIsLj16ELj2ElLj1ELj1ELj0ELNS0_26block_radix_rank_algorithmE1ELNS0_18block_padding_hintE2ELNS0_4arch9wavefront6targetE0EE19radix_bits_per_passE@rel32@hi+16
	v_lshlrev_b32_e32 v23, 5, v0
	s_wait_loadcnt 0x0
	ds_store_2addr_b64 v19, v[3:4], v[1:2] offset1:16
	s_wait_dscnt 0x0
	; wave barrier
	global_inv scope:SCOPE_SE
	ds_load_2addr_b64 v[1:4], v20 offset1:1
	s_load_b32 s17, s[0:1], 0x0
	v_sub_co_u32 v7, s16, v5, 1
	v_and_b32_e32 v8, 16, v5
	v_and_b32_e32 v6, 15, v5
	v_mad_i32_i24 v22, 0xffffffe4, v0, v23
	v_cmp_gt_u32_e64 s7, 0x80, v0
	v_cmp_eq_u32_e64 s0, 15, v0
	v_cmp_lt_i32_e32 vcc_lo, v7, v8
	v_cmp_eq_u32_e64 s5, 0, v6
	v_cmp_lt_u32_e64 s1, 1, v6
	v_cmp_lt_u32_e64 s6, 3, v6
	;; [unrolled: 1-line block ×3, first 2 shown]
	s_wait_alu 0xfffd
	v_cndmask_b32_e32 v5, v7, v5, vcc_lo
	v_mad_u32_u24 v21, v0, 12, v22
	s_and_b32 vcc_lo, exec_lo, s18
	s_mov_b32 s18, -1
	s_wait_loadcnt_dscnt 0x0
	v_lshlrev_b32_e32 v24, 2, v5
	; wave barrier
	global_inv scope:SCOPE_SE
	s_wait_alu 0xfffe
	s_cbranch_vccz .LBB179_72
; %bb.27:
	s_and_saveexec_b32 s18, s7
	s_cbranch_execz .LBB179_36
; %bb.28:
	v_mov_b32_e32 v5, 0
	v_cmp_gt_u32_e32 vcc_lo, 0x70, v0
	ds_store_b32 v18, v5
	s_and_b32 exec_lo, exec_lo, vcc_lo
	s_cbranch_execz .LBB179_36
; %bb.29:
	v_cmp_gt_u32_e32 vcc_lo, 0x60, v0
	ds_store_b32 v18, v5 offset:64
	s_and_b32 exec_lo, exec_lo, vcc_lo
	s_cbranch_execz .LBB179_36
; %bb.30:
	v_mov_b32_e32 v5, 0
	v_cmp_gt_u32_e32 vcc_lo, 0x50, v0
	ds_store_b32 v18, v5 offset:128
	s_and_b32 exec_lo, exec_lo, vcc_lo
	s_cbranch_execz .LBB179_36
; %bb.31:
	v_cmp_gt_u32_e32 vcc_lo, 64, v0
	ds_store_b32 v18, v5 offset:192
	s_and_b32 exec_lo, exec_lo, vcc_lo
	s_cbranch_execz .LBB179_36
; %bb.32:
	v_mov_b32_e32 v5, 0
	v_cmp_gt_u32_e32 vcc_lo, 48, v0
	ds_store_b32 v18, v5 offset:256
	;; [unrolled: 11-line block ×3, first 2 shown]
	s_and_b32 exec_lo, exec_lo, vcc_lo
; %bb.35:
	ds_store_b32 v18, v5 offset:448
.LBB179_36:
	s_wait_alu 0xfffe
	s_or_b32 exec_lo, exec_lo, s18
	s_wait_kmcnt 0x0
	s_min_u32 s18, s17, 16
	v_xor_b32_e32 v13, 0x80008000, v25
	s_wait_alu 0xfffe
	s_lshl_b32 s18, -1, s18
	s_wait_alu 0xfffe
	s_not_b32 s18, s18
	v_lshrrev_b32_e32 v14, 16, v13
	s_wait_alu 0xfffe
	v_and_b32_e32 v5, s18, v13
	s_delay_alu instid0(VALU_DEP_1) | instskip(SKIP_1) | instid1(VALU_DEP_2)
	v_and_b32_e32 v6, 0xffff, v5
	v_lshrrev_b32_e32 v5, 2, v5
	v_lshlrev_b32_e32 v6, 4, v6
	s_delay_alu instid0(VALU_DEP_2) | instskip(NEXT) | instid1(VALU_DEP_2)
	v_and_b32_e32 v5, 0x3ffe, v5
	v_and_or_b32 v6, 0x70, v6, v0
	s_delay_alu instid0(VALU_DEP_1) | instskip(SKIP_4) | instid1(VALU_DEP_2)
	v_lshl_add_u32 v16, v6, 2, v5
	v_and_b32_e32 v5, s18, v14
	ds_load_u16 v15, v16
	v_lshlrev_b32_e32 v6, 4, v5
	v_lshrrev_b32_e32 v5, 2, v5
	v_and_or_b32 v6, 0x70, v6, v0
	s_delay_alu instid0(VALU_DEP_2) | instskip(NEXT) | instid1(VALU_DEP_1)
	v_and_b32_e32 v5, 0x3ffe, v5
	v_lshl_add_u32 v26, v6, 2, v5
	s_wait_dscnt 0x0
	v_add_nc_u16 v7, v15, 1
	ds_store_b16 v16, v7
	ds_load_u16 v28, v26
	s_wait_dscnt 0x0
	v_add_nc_u16 v5, v28, 1
	ds_store_b16 v26, v5
	; wave barrier
	s_wait_loadcnt_dscnt 0x0
	global_inv scope:SCOPE_SE
	ds_load_b128 v[9:12], v23
	ds_load_b128 v[5:8], v23 offset:16
	s_wait_dscnt 0x1
	v_add_nc_u32_e32 v27, v10, v9
	s_delay_alu instid0(VALU_DEP_1) | instskip(SKIP_1) | instid1(VALU_DEP_1)
	v_add3_u32 v27, v27, v11, v12
	s_wait_dscnt 0x0
	v_add3_u32 v27, v27, v5, v6
	s_delay_alu instid0(VALU_DEP_1) | instskip(NEXT) | instid1(VALU_DEP_1)
	v_add3_u32 v8, v27, v7, v8
	v_mov_b32_dpp v27, v8 row_shr:1 row_mask:0xf bank_mask:0xf
	s_delay_alu instid0(VALU_DEP_1) | instskip(NEXT) | instid1(VALU_DEP_1)
	v_cndmask_b32_e64 v27, v27, 0, s5
	v_add_nc_u32_e32 v8, v27, v8
	s_delay_alu instid0(VALU_DEP_1) | instskip(NEXT) | instid1(VALU_DEP_1)
	v_mov_b32_dpp v27, v8 row_shr:2 row_mask:0xf bank_mask:0xf
	v_cndmask_b32_e64 v27, 0, v27, s1
	s_delay_alu instid0(VALU_DEP_1) | instskip(NEXT) | instid1(VALU_DEP_1)
	v_add_nc_u32_e32 v8, v8, v27
	v_mov_b32_dpp v27, v8 row_shr:4 row_mask:0xf bank_mask:0xf
	s_delay_alu instid0(VALU_DEP_1) | instskip(NEXT) | instid1(VALU_DEP_1)
	v_cndmask_b32_e64 v27, 0, v27, s6
	v_add_nc_u32_e32 v8, v8, v27
	s_delay_alu instid0(VALU_DEP_1) | instskip(NEXT) | instid1(VALU_DEP_1)
	v_mov_b32_dpp v27, v8 row_shr:8 row_mask:0xf bank_mask:0xf
	v_cndmask_b32_e64 v27, 0, v27, s4
	s_delay_alu instid0(VALU_DEP_1)
	v_add_nc_u32_e32 v8, v8, v27
	s_and_saveexec_b32 s18, s0
; %bb.37:
	v_mov_b32_e32 v27, 0
	ds_store_b32 v27, v8 offset:512
; %bb.38:
	s_wait_alu 0xfffe
	s_or_b32 exec_lo, exec_lo, s18
	ds_bpermute_b32 v8, v24, v8
	v_mov_b32_e32 v27, 0
	; wave barrier
	s_wait_loadcnt_dscnt 0x0
	global_inv scope:SCOPE_SE
	ds_load_b32 v29, v27 offset:512
	v_cndmask_b32_e64 v8, v8, 0, s16
	s_wait_dscnt 0x0
	s_delay_alu instid0(VALU_DEP_1) | instskip(NEXT) | instid1(VALU_DEP_1)
	v_lshl_add_u32 v8, v29, 16, v8
	v_add_nc_u32_e32 v9, v8, v9
	s_delay_alu instid0(VALU_DEP_1) | instskip(NEXT) | instid1(VALU_DEP_1)
	v_add_nc_u32_e32 v10, v9, v10
	v_add_nc_u32_e32 v11, v10, v11
	s_delay_alu instid0(VALU_DEP_1) | instskip(NEXT) | instid1(VALU_DEP_1)
	v_add_nc_u32_e32 v29, v11, v12
	;; [unrolled: 3-line block ×3, first 2 shown]
	v_add_nc_u32_e32 v32, v31, v7
	v_and_b32_e32 v7, 0xffff, v15
	ds_store_b128 v23, v[8:11]
	ds_store_b128 v23, v[29:32] offset:16
	; wave barrier
	s_wait_loadcnt_dscnt 0x0
	global_inv scope:SCOPE_SE
	ds_load_u16 v5, v16
	ds_load_u16 v6, v26
	v_and_b32_e32 v8, 0xffff, v28
	; wave barrier
	s_wait_loadcnt_dscnt 0x0
	global_inv scope:SCOPE_SE
	v_add_nc_u32_e32 v5, v5, v7
	v_add_nc_u32_e32 v6, v6, v8
	s_delay_alu instid0(VALU_DEP_2) | instskip(NEXT) | instid1(VALU_DEP_2)
	v_lshlrev_b32_e32 v7, 1, v5
	v_lshlrev_b32_e32 v8, 1, v6
	ds_store_b16 v7, v13
	ds_store_b16 v8, v14
	v_mad_u32_u24 v5, v5, 6, v7
	v_mad_u32_u24 v6, v6, 6, v8
	; wave barrier
	s_wait_loadcnt_dscnt 0x0
	global_inv scope:SCOPE_SE
	ds_load_b32 v26, v22
	; wave barrier
	s_wait_loadcnt_dscnt 0x0
	global_inv scope:SCOPE_SE
	ds_store_b64 v5, v[1:2]
	ds_store_b64 v6, v[3:4]
	; wave barrier
	s_wait_loadcnt_dscnt 0x0
	global_inv scope:SCOPE_SE
	ds_load_b128 v[5:8], v21
	; wave barrier
	s_wait_loadcnt_dscnt 0x0
	global_inv scope:SCOPE_SE
	s_and_saveexec_b32 s18, s7
	s_cbranch_execz .LBB179_47
; %bb.39:
	v_cmp_gt_u32_e32 vcc_lo, 0x70, v0
	ds_store_b32 v18, v27
	s_and_b32 exec_lo, exec_lo, vcc_lo
	s_cbranch_execz .LBB179_47
; %bb.40:
	v_mov_b32_e32 v9, 0
	v_cmp_gt_u32_e32 vcc_lo, 0x60, v0
	ds_store_b32 v18, v9 offset:64
	s_and_b32 exec_lo, exec_lo, vcc_lo
	s_cbranch_execz .LBB179_47
; %bb.41:
	v_cmp_gt_u32_e32 vcc_lo, 0x50, v0
	ds_store_b32 v18, v9 offset:128
	s_and_b32 exec_lo, exec_lo, vcc_lo
	s_cbranch_execz .LBB179_47
; %bb.42:
	v_mov_b32_e32 v9, 0
	v_cmp_gt_u32_e32 vcc_lo, 64, v0
	ds_store_b32 v18, v9 offset:192
	s_and_b32 exec_lo, exec_lo, vcc_lo
	s_cbranch_execz .LBB179_47
; %bb.43:
	v_cmp_gt_u32_e32 vcc_lo, 48, v0
	ds_store_b32 v18, v9 offset:256
	;; [unrolled: 11-line block ×3, first 2 shown]
	s_and_b32 exec_lo, exec_lo, vcc_lo
; %bb.46:
	v_mov_b32_e32 v9, 0
	ds_store_b32 v18, v9 offset:448
.LBB179_47:
	s_wait_alu 0xfffe
	s_or_b32 exec_lo, exec_lo, s18
	v_lshrrev_b16 v9, 4, v26
	s_min_u32 s18, s17, 12
	s_wait_alu 0xfffe
	s_lshl_b32 s18, -1, s18
	s_wait_alu 0xfffe
	s_not_b32 s18, s18
	v_and_b32_e32 v9, 0xffff, v9
	s_wait_alu 0xfffe
	s_delay_alu instid0(VALU_DEP_1) | instskip(NEXT) | instid1(VALU_DEP_1)
	v_and_b32_e32 v9, s18, v9
	v_lshlrev_b32_e32 v10, 4, v9
	v_lshrrev_b32_e32 v9, 2, v9
	s_delay_alu instid0(VALU_DEP_2) | instskip(NEXT) | instid1(VALU_DEP_2)
	v_and_or_b32 v10, 0x70, v10, v0
	v_and_b32_e32 v9, 0x3fe, v9
	s_delay_alu instid0(VALU_DEP_1) | instskip(SKIP_3) | instid1(VALU_DEP_1)
	v_lshl_add_u32 v28, v10, 2, v9
	v_lshrrev_b32_e32 v9, 20, v26
	ds_load_u16 v27, v28
	v_and_b32_e32 v9, s18, v9
	v_lshlrev_b32_e32 v10, 4, v9
	v_lshrrev_b32_e32 v9, 2, v9
	s_delay_alu instid0(VALU_DEP_2) | instskip(NEXT) | instid1(VALU_DEP_2)
	v_and_or_b32 v10, 0x70, v10, v0
	v_and_b32_e32 v9, 0x3fe, v9
	s_delay_alu instid0(VALU_DEP_1)
	v_lshl_add_u32 v29, v10, 2, v9
	s_wait_dscnt 0x0
	v_add_nc_u16 v11, v27, 1
	ds_store_b16 v28, v11
	ds_load_u16 v30, v29
	s_wait_dscnt 0x0
	v_add_nc_u16 v9, v30, 1
	ds_store_b16 v29, v9
	; wave barrier
	s_wait_loadcnt_dscnt 0x0
	global_inv scope:SCOPE_SE
	ds_load_b128 v[13:16], v23
	ds_load_b128 v[9:12], v23 offset:16
	s_wait_dscnt 0x1
	v_add_nc_u32_e32 v31, v14, v13
	s_delay_alu instid0(VALU_DEP_1) | instskip(SKIP_1) | instid1(VALU_DEP_1)
	v_add3_u32 v31, v31, v15, v16
	s_wait_dscnt 0x0
	v_add3_u32 v31, v31, v9, v10
	s_delay_alu instid0(VALU_DEP_1) | instskip(NEXT) | instid1(VALU_DEP_1)
	v_add3_u32 v12, v31, v11, v12
	v_mov_b32_dpp v31, v12 row_shr:1 row_mask:0xf bank_mask:0xf
	s_delay_alu instid0(VALU_DEP_1) | instskip(NEXT) | instid1(VALU_DEP_1)
	v_cndmask_b32_e64 v31, v31, 0, s5
	v_add_nc_u32_e32 v12, v31, v12
	s_delay_alu instid0(VALU_DEP_1) | instskip(NEXT) | instid1(VALU_DEP_1)
	v_mov_b32_dpp v31, v12 row_shr:2 row_mask:0xf bank_mask:0xf
	v_cndmask_b32_e64 v31, 0, v31, s1
	s_delay_alu instid0(VALU_DEP_1) | instskip(NEXT) | instid1(VALU_DEP_1)
	v_add_nc_u32_e32 v12, v12, v31
	v_mov_b32_dpp v31, v12 row_shr:4 row_mask:0xf bank_mask:0xf
	s_delay_alu instid0(VALU_DEP_1) | instskip(NEXT) | instid1(VALU_DEP_1)
	v_cndmask_b32_e64 v31, 0, v31, s6
	v_add_nc_u32_e32 v12, v12, v31
	s_delay_alu instid0(VALU_DEP_1) | instskip(NEXT) | instid1(VALU_DEP_1)
	v_mov_b32_dpp v31, v12 row_shr:8 row_mask:0xf bank_mask:0xf
	v_cndmask_b32_e64 v32, 0, v31, s4
	v_lshrrev_b32_e32 v31, 16, v26
	s_delay_alu instid0(VALU_DEP_2)
	v_add_nc_u32_e32 v12, v12, v32
	s_and_saveexec_b32 s18, s0
; %bb.48:
	v_mov_b32_e32 v32, 0
	ds_store_b32 v32, v12 offset:512
; %bb.49:
	s_wait_alu 0xfffe
	s_or_b32 exec_lo, exec_lo, s18
	ds_bpermute_b32 v32, v24, v12
	v_mov_b32_e32 v12, 0
	; wave barrier
	s_wait_loadcnt_dscnt 0x0
	global_inv scope:SCOPE_SE
	ds_load_b32 v33, v12 offset:512
	v_cndmask_b32_e64 v32, v32, 0, s16
	s_wait_dscnt 0x0
	s_delay_alu instid0(VALU_DEP_1) | instskip(NEXT) | instid1(VALU_DEP_1)
	v_lshl_add_u32 v32, v33, 16, v32
	v_add_nc_u32_e32 v33, v32, v13
	s_delay_alu instid0(VALU_DEP_1) | instskip(NEXT) | instid1(VALU_DEP_1)
	v_add_nc_u32_e32 v34, v33, v14
	v_add_nc_u32_e32 v35, v34, v15
	s_delay_alu instid0(VALU_DEP_1) | instskip(NEXT) | instid1(VALU_DEP_1)
	v_add_nc_u32_e32 v13, v35, v16
	;; [unrolled: 3-line block ×3, first 2 shown]
	v_add_nc_u32_e32 v16, v15, v11
	v_and_b32_e32 v11, 0xffff, v27
	ds_store_b128 v23, v[32:35]
	ds_store_b128 v23, v[13:16] offset:16
	; wave barrier
	s_wait_loadcnt_dscnt 0x0
	global_inv scope:SCOPE_SE
	ds_load_u16 v9, v28
	ds_load_u16 v10, v29
	v_and_b32_e32 v13, 0xffff, v30
	; wave barrier
	s_wait_loadcnt_dscnt 0x0
	global_inv scope:SCOPE_SE
	v_add_nc_u32_e32 v9, v9, v11
	v_add_nc_u32_e32 v10, v10, v13
	s_delay_alu instid0(VALU_DEP_2) | instskip(NEXT) | instid1(VALU_DEP_2)
	v_lshlrev_b32_e32 v11, 1, v9
	v_lshlrev_b32_e32 v13, 1, v10
	ds_store_b16 v11, v26
	ds_store_b16 v13, v31
	v_mad_u32_u24 v9, v9, 6, v11
	v_mad_u32_u24 v10, v10, 6, v13
	; wave barrier
	s_wait_loadcnt_dscnt 0x0
	global_inv scope:SCOPE_SE
	ds_load_b32 v26, v22
	; wave barrier
	s_wait_loadcnt_dscnt 0x0
	global_inv scope:SCOPE_SE
	ds_store_b64 v9, v[5:6]
	ds_store_b64 v10, v[7:8]
	; wave barrier
	s_wait_loadcnt_dscnt 0x0
	global_inv scope:SCOPE_SE
	ds_load_b128 v[5:8], v21
	; wave barrier
	s_wait_loadcnt_dscnt 0x0
	global_inv scope:SCOPE_SE
	s_and_saveexec_b32 s18, s7
	s_cbranch_execz .LBB179_58
; %bb.50:
	v_cmp_gt_u32_e32 vcc_lo, 0x70, v0
	ds_store_b32 v18, v12
	s_and_b32 exec_lo, exec_lo, vcc_lo
	s_cbranch_execz .LBB179_58
; %bb.51:
	v_mov_b32_e32 v9, 0
	v_cmp_gt_u32_e32 vcc_lo, 0x60, v0
	ds_store_b32 v18, v9 offset:64
	s_and_b32 exec_lo, exec_lo, vcc_lo
	s_cbranch_execz .LBB179_58
; %bb.52:
	v_cmp_gt_u32_e32 vcc_lo, 0x50, v0
	ds_store_b32 v18, v9 offset:128
	s_and_b32 exec_lo, exec_lo, vcc_lo
	s_cbranch_execz .LBB179_58
; %bb.53:
	v_mov_b32_e32 v9, 0
	v_cmp_gt_u32_e32 vcc_lo, 64, v0
	ds_store_b32 v18, v9 offset:192
	s_and_b32 exec_lo, exec_lo, vcc_lo
	s_cbranch_execz .LBB179_58
; %bb.54:
	v_cmp_gt_u32_e32 vcc_lo, 48, v0
	ds_store_b32 v18, v9 offset:256
	;; [unrolled: 11-line block ×3, first 2 shown]
	s_and_b32 exec_lo, exec_lo, vcc_lo
; %bb.57:
	v_mov_b32_e32 v9, 0
	ds_store_b32 v18, v9 offset:448
.LBB179_58:
	s_wait_alu 0xfffe
	s_or_b32 exec_lo, exec_lo, s18
	v_lshrrev_b16 v9, 8, v26
	s_min_u32 s18, s17, 8
	s_wait_alu 0xfffe
	s_lshl_b32 s18, -1, s18
	s_wait_alu 0xfffe
	s_not_b32 s18, s18
	v_and_b32_e32 v9, 0xffff, v9
	s_wait_alu 0xfffe
	s_delay_alu instid0(VALU_DEP_1) | instskip(NEXT) | instid1(VALU_DEP_1)
	v_and_b32_e32 v9, s18, v9
	v_lshlrev_b32_e32 v10, 4, v9
	v_lshrrev_b32_e32 v9, 2, v9
	s_delay_alu instid0(VALU_DEP_2) | instskip(NEXT) | instid1(VALU_DEP_2)
	v_and_or_b32 v10, 0x70, v10, v0
	v_and_b32_e32 v9, 62, v9
	s_delay_alu instid0(VALU_DEP_1) | instskip(SKIP_3) | instid1(VALU_DEP_1)
	v_lshl_add_u32 v28, v10, 2, v9
	v_lshrrev_b32_e32 v9, 24, v26
	ds_load_u16 v27, v28
	v_and_b32_e32 v9, s18, v9
	v_lshlrev_b32_e32 v10, 4, v9
	v_lshrrev_b32_e32 v9, 2, v9
	s_delay_alu instid0(VALU_DEP_2) | instskip(NEXT) | instid1(VALU_DEP_2)
	v_and_or_b32 v10, 0x70, v10, v0
	v_and_b32_e32 v9, 62, v9
	s_delay_alu instid0(VALU_DEP_1)
	v_lshl_add_u32 v29, v10, 2, v9
	s_wait_dscnt 0x0
	v_add_nc_u16 v11, v27, 1
	ds_store_b16 v28, v11
	ds_load_u16 v30, v29
	s_wait_dscnt 0x0
	v_add_nc_u16 v9, v30, 1
	ds_store_b16 v29, v9
	; wave barrier
	s_wait_loadcnt_dscnt 0x0
	global_inv scope:SCOPE_SE
	ds_load_b128 v[13:16], v23
	ds_load_b128 v[9:12], v23 offset:16
	s_wait_dscnt 0x1
	v_add_nc_u32_e32 v31, v14, v13
	s_delay_alu instid0(VALU_DEP_1) | instskip(SKIP_1) | instid1(VALU_DEP_1)
	v_add3_u32 v31, v31, v15, v16
	s_wait_dscnt 0x0
	v_add3_u32 v31, v31, v9, v10
	s_delay_alu instid0(VALU_DEP_1) | instskip(NEXT) | instid1(VALU_DEP_1)
	v_add3_u32 v12, v31, v11, v12
	v_mov_b32_dpp v31, v12 row_shr:1 row_mask:0xf bank_mask:0xf
	s_delay_alu instid0(VALU_DEP_1) | instskip(NEXT) | instid1(VALU_DEP_1)
	v_cndmask_b32_e64 v31, v31, 0, s5
	v_add_nc_u32_e32 v12, v31, v12
	s_delay_alu instid0(VALU_DEP_1) | instskip(NEXT) | instid1(VALU_DEP_1)
	v_mov_b32_dpp v31, v12 row_shr:2 row_mask:0xf bank_mask:0xf
	v_cndmask_b32_e64 v31, 0, v31, s1
	s_delay_alu instid0(VALU_DEP_1) | instskip(NEXT) | instid1(VALU_DEP_1)
	v_add_nc_u32_e32 v12, v12, v31
	v_mov_b32_dpp v31, v12 row_shr:4 row_mask:0xf bank_mask:0xf
	s_delay_alu instid0(VALU_DEP_1) | instskip(NEXT) | instid1(VALU_DEP_1)
	v_cndmask_b32_e64 v31, 0, v31, s6
	v_add_nc_u32_e32 v12, v12, v31
	s_delay_alu instid0(VALU_DEP_1) | instskip(NEXT) | instid1(VALU_DEP_1)
	v_mov_b32_dpp v31, v12 row_shr:8 row_mask:0xf bank_mask:0xf
	v_cndmask_b32_e64 v32, 0, v31, s4
	v_lshrrev_b32_e32 v31, 16, v26
	s_delay_alu instid0(VALU_DEP_2)
	v_add_nc_u32_e32 v12, v12, v32
	s_and_saveexec_b32 s18, s0
; %bb.59:
	v_mov_b32_e32 v32, 0
	ds_store_b32 v32, v12 offset:512
; %bb.60:
	s_wait_alu 0xfffe
	s_or_b32 exec_lo, exec_lo, s18
	ds_bpermute_b32 v32, v24, v12
	v_mov_b32_e32 v12, 0
	; wave barrier
	s_wait_loadcnt_dscnt 0x0
	global_inv scope:SCOPE_SE
	ds_load_b32 v33, v12 offset:512
	v_cndmask_b32_e64 v32, v32, 0, s16
	s_wait_dscnt 0x0
	s_delay_alu instid0(VALU_DEP_1) | instskip(NEXT) | instid1(VALU_DEP_1)
	v_lshl_add_u32 v32, v33, 16, v32
	v_add_nc_u32_e32 v33, v32, v13
	s_delay_alu instid0(VALU_DEP_1) | instskip(NEXT) | instid1(VALU_DEP_1)
	v_add_nc_u32_e32 v34, v33, v14
	v_add_nc_u32_e32 v35, v34, v15
	s_delay_alu instid0(VALU_DEP_1) | instskip(NEXT) | instid1(VALU_DEP_1)
	v_add_nc_u32_e32 v13, v35, v16
	;; [unrolled: 3-line block ×3, first 2 shown]
	v_add_nc_u32_e32 v16, v15, v11
	v_and_b32_e32 v11, 0xffff, v27
	ds_store_b128 v23, v[32:35]
	ds_store_b128 v23, v[13:16] offset:16
	; wave barrier
	s_wait_loadcnt_dscnt 0x0
	global_inv scope:SCOPE_SE
	ds_load_u16 v9, v28
	ds_load_u16 v10, v29
	v_and_b32_e32 v13, 0xffff, v30
	; wave barrier
	s_wait_loadcnt_dscnt 0x0
	global_inv scope:SCOPE_SE
	v_add_nc_u32_e32 v9, v9, v11
	v_add_nc_u32_e32 v10, v10, v13
	s_delay_alu instid0(VALU_DEP_2) | instskip(NEXT) | instid1(VALU_DEP_2)
	v_lshlrev_b32_e32 v11, 1, v9
	v_lshlrev_b32_e32 v13, 1, v10
	ds_store_b16 v11, v26
	ds_store_b16 v13, v31
	v_mad_u32_u24 v9, v9, 6, v11
	v_mad_u32_u24 v10, v10, 6, v13
	; wave barrier
	s_wait_loadcnt_dscnt 0x0
	global_inv scope:SCOPE_SE
	ds_load_b32 v26, v22
	; wave barrier
	s_wait_loadcnt_dscnt 0x0
	global_inv scope:SCOPE_SE
	ds_store_b64 v9, v[5:6]
	ds_store_b64 v10, v[7:8]
	; wave barrier
	s_wait_loadcnt_dscnt 0x0
	global_inv scope:SCOPE_SE
	ds_load_b128 v[5:8], v21
	; wave barrier
	s_wait_loadcnt_dscnt 0x0
	global_inv scope:SCOPE_SE
	s_and_saveexec_b32 s18, s7
	s_cbranch_execz .LBB179_69
; %bb.61:
	v_cmp_gt_u32_e32 vcc_lo, 0x70, v0
	ds_store_b32 v18, v12
	s_and_b32 exec_lo, exec_lo, vcc_lo
	s_cbranch_execz .LBB179_69
; %bb.62:
	v_mov_b32_e32 v9, 0
	v_cmp_gt_u32_e32 vcc_lo, 0x60, v0
	ds_store_b32 v18, v9 offset:64
	s_and_b32 exec_lo, exec_lo, vcc_lo
	s_cbranch_execz .LBB179_69
; %bb.63:
	v_cmp_gt_u32_e32 vcc_lo, 0x50, v0
	ds_store_b32 v18, v9 offset:128
	s_and_b32 exec_lo, exec_lo, vcc_lo
	s_cbranch_execz .LBB179_69
; %bb.64:
	v_mov_b32_e32 v9, 0
	v_cmp_gt_u32_e32 vcc_lo, 64, v0
	ds_store_b32 v18, v9 offset:192
	s_and_b32 exec_lo, exec_lo, vcc_lo
	s_cbranch_execz .LBB179_69
; %bb.65:
	v_cmp_gt_u32_e32 vcc_lo, 48, v0
	ds_store_b32 v18, v9 offset:256
	;; [unrolled: 11-line block ×3, first 2 shown]
	s_and_b32 exec_lo, exec_lo, vcc_lo
; %bb.68:
	v_mov_b32_e32 v9, 0
	ds_store_b32 v18, v9 offset:448
.LBB179_69:
	s_wait_alu 0xfffe
	s_or_b32 exec_lo, exec_lo, s18
	v_lshrrev_b16 v9, 12, v26
	s_min_u32 s18, s17, 4
	s_wait_alu 0xfffe
	s_lshl_b32 s18, -1, s18
	s_wait_alu 0xfffe
	s_not_b32 s18, s18
	v_and_b32_e32 v9, 0xffff, v9
	s_wait_alu 0xfffe
	s_delay_alu instid0(VALU_DEP_1) | instskip(NEXT) | instid1(VALU_DEP_1)
	v_and_b32_e32 v9, s18, v9
	v_lshlrev_b32_e32 v10, 4, v9
	v_lshrrev_b32_e32 v9, 2, v9
	s_delay_alu instid0(VALU_DEP_2) | instskip(NEXT) | instid1(VALU_DEP_2)
	v_and_or_b32 v10, 0x70, v10, v0
	v_and_b32_e32 v9, 2, v9
	s_delay_alu instid0(VALU_DEP_1) | instskip(SKIP_4) | instid1(VALU_DEP_1)
	v_lshl_or_b32 v28, v10, 2, v9
	v_lshrrev_b32_e32 v9, 28, v26
	ds_load_u16 v27, v28
	v_and_b32_e32 v9, s18, v9
	s_mov_b32 s18, 0
	v_lshlrev_b32_e32 v10, 4, v9
	v_lshrrev_b32_e32 v9, 2, v9
	s_delay_alu instid0(VALU_DEP_2) | instskip(NEXT) | instid1(VALU_DEP_2)
	v_and_or_b32 v10, 0x70, v10, v0
	v_and_b32_e32 v9, 2, v9
	s_delay_alu instid0(VALU_DEP_1)
	v_lshl_or_b32 v29, v10, 2, v9
	s_wait_dscnt 0x0
	v_add_nc_u16 v11, v27, 1
	ds_store_b16 v28, v11
	ds_load_u16 v30, v29
	s_wait_dscnt 0x0
	v_add_nc_u16 v9, v30, 1
	ds_store_b16 v29, v9
	; wave barrier
	s_wait_loadcnt_dscnt 0x0
	global_inv scope:SCOPE_SE
	ds_load_b128 v[13:16], v23
	ds_load_b128 v[9:12], v23 offset:16
	s_wait_dscnt 0x1
	v_add_nc_u32_e32 v31, v14, v13
	s_delay_alu instid0(VALU_DEP_1) | instskip(SKIP_1) | instid1(VALU_DEP_1)
	v_add3_u32 v31, v31, v15, v16
	s_wait_dscnt 0x0
	v_add3_u32 v31, v31, v9, v10
	s_delay_alu instid0(VALU_DEP_1) | instskip(NEXT) | instid1(VALU_DEP_1)
	v_add3_u32 v12, v31, v11, v12
	v_mov_b32_dpp v31, v12 row_shr:1 row_mask:0xf bank_mask:0xf
	s_delay_alu instid0(VALU_DEP_1) | instskip(NEXT) | instid1(VALU_DEP_1)
	v_cndmask_b32_e64 v31, v31, 0, s5
	v_add_nc_u32_e32 v12, v31, v12
	s_delay_alu instid0(VALU_DEP_1) | instskip(NEXT) | instid1(VALU_DEP_1)
	v_mov_b32_dpp v31, v12 row_shr:2 row_mask:0xf bank_mask:0xf
	v_cndmask_b32_e64 v31, 0, v31, s1
	s_delay_alu instid0(VALU_DEP_1) | instskip(NEXT) | instid1(VALU_DEP_1)
	v_add_nc_u32_e32 v12, v12, v31
	v_mov_b32_dpp v31, v12 row_shr:4 row_mask:0xf bank_mask:0xf
	s_delay_alu instid0(VALU_DEP_1) | instskip(NEXT) | instid1(VALU_DEP_1)
	v_cndmask_b32_e64 v31, 0, v31, s6
	v_add_nc_u32_e32 v31, v12, v31
	s_delay_alu instid0(VALU_DEP_1) | instskip(NEXT) | instid1(VALU_DEP_1)
	v_mov_b32_dpp v12, v31 row_shr:8 row_mask:0xf bank_mask:0xf
	v_cndmask_b32_e64 v32, 0, v12, s4
	v_lshrrev_b32_e32 v12, 16, v26
	s_delay_alu instid0(VALU_DEP_2)
	v_add_nc_u32_e32 v31, v31, v32
	s_and_saveexec_b32 s19, s0
; %bb.70:
	v_mov_b32_e32 v32, 0
	ds_store_b32 v32, v31 offset:512
; %bb.71:
	s_wait_alu 0xfffe
	s_or_b32 exec_lo, exec_lo, s19
	ds_bpermute_b32 v31, v24, v31
	v_mov_b32_e32 v32, 0
	; wave barrier
	s_wait_loadcnt_dscnt 0x0
	global_inv scope:SCOPE_SE
	ds_load_b32 v32, v32 offset:512
	v_cndmask_b32_e64 v31, v31, 0, s16
	s_wait_dscnt 0x0
	s_delay_alu instid0(VALU_DEP_1) | instskip(NEXT) | instid1(VALU_DEP_1)
	v_lshl_add_u32 v31, v32, 16, v31
	v_add_nc_u32_e32 v32, v31, v13
	s_delay_alu instid0(VALU_DEP_1) | instskip(NEXT) | instid1(VALU_DEP_1)
	v_add_nc_u32_e32 v33, v32, v14
	v_add_nc_u32_e32 v34, v33, v15
	s_delay_alu instid0(VALU_DEP_1) | instskip(NEXT) | instid1(VALU_DEP_1)
	v_add_nc_u32_e32 v13, v34, v16
	;; [unrolled: 3-line block ×3, first 2 shown]
	v_add_nc_u32_e32 v16, v15, v11
	v_and_b32_e32 v11, 0xffff, v27
	ds_store_b128 v23, v[31:34]
	ds_store_b128 v23, v[13:16] offset:16
	; wave barrier
	s_wait_loadcnt_dscnt 0x0
	global_inv scope:SCOPE_SE
	ds_load_u16 v9, v28
	ds_load_u16 v10, v29
	v_and_b32_e32 v13, 0xffff, v30
	; wave barrier
	s_wait_loadcnt_dscnt 0x0
	global_inv scope:SCOPE_SE
	v_add_nc_u32_e32 v9, v9, v11
	v_add_nc_u32_e32 v10, v10, v13
	s_delay_alu instid0(VALU_DEP_2) | instskip(NEXT) | instid1(VALU_DEP_2)
	v_lshlrev_b32_e32 v11, 1, v9
	v_lshlrev_b32_e32 v13, 1, v10
	ds_store_b16 v11, v26
	ds_store_b16 v13, v12
	; wave barrier
	s_wait_loadcnt_dscnt 0x0
	global_inv scope:SCOPE_SE
	v_mad_u32_u24 v9, v9, 6, v11
	ds_load_b32 v11, v22
	v_mad_u32_u24 v10, v10, 6, v13
	; wave barrier
	s_wait_loadcnt_dscnt 0x0
	global_inv scope:SCOPE_SE
	ds_store_b64 v9, v[5:6]
	ds_store_b64 v10, v[7:8]
	; wave barrier
	s_wait_loadcnt_dscnt 0x0
	global_inv scope:SCOPE_SE
	ds_load_b128 v[5:8], v21
	v_xor_b32_e32 v9, 0x80008000, v11
	s_and_b32 vcc_lo, exec_lo, s18
	s_wait_alu 0xfffe
	s_cbranch_vccnz .LBB179_73
	s_branch .LBB179_118
.LBB179_72:
                                        ; implicit-def: $vgpr7_vgpr8
                                        ; implicit-def: $vgpr9
	s_and_b32 vcc_lo, exec_lo, s18
	s_wait_alu 0xfffe
	s_cbranch_vccz .LBB179_118
.LBB179_73:
	s_and_saveexec_b32 s18, s7
	s_cbranch_execz .LBB179_82
; %bb.74:
	s_wait_dscnt 0x0
	v_mad_i32_i24 v5, v0, -12, v21
	v_mov_b32_e32 v6, 0
	v_cmp_gt_u32_e32 vcc_lo, 0x70, v0
	ds_store_b32 v5, v6
	s_and_b32 exec_lo, exec_lo, vcc_lo
	s_cbranch_execz .LBB179_82
; %bb.75:
	v_mul_i32_i24_e32 v5, -12, v0
	v_cmp_gt_u32_e32 vcc_lo, 0x60, v0
	s_delay_alu instid0(VALU_DEP_2)
	v_add_nc_u32_e32 v5, v21, v5
	ds_store_b32 v5, v6 offset:64
	s_and_b32 exec_lo, exec_lo, vcc_lo
	s_cbranch_execz .LBB179_82
; %bb.76:
	v_mov_b32_e32 v6, 0
	v_cmp_gt_u32_e32 vcc_lo, 0x50, v0
	ds_store_b32 v5, v6 offset:128
	s_and_b32 exec_lo, exec_lo, vcc_lo
	s_cbranch_execz .LBB179_82
; %bb.77:
	v_cmp_gt_u32_e32 vcc_lo, 64, v0
	ds_store_b32 v5, v6 offset:192
	s_and_b32 exec_lo, exec_lo, vcc_lo
	s_cbranch_execz .LBB179_82
; %bb.78:
	v_mov_b32_e32 v6, 0
	v_cmp_gt_u32_e32 vcc_lo, 48, v0
	ds_store_b32 v5, v6 offset:256
	s_and_b32 exec_lo, exec_lo, vcc_lo
	s_cbranch_execz .LBB179_82
; %bb.79:
	v_cmp_gt_u32_e32 vcc_lo, 32, v0
	ds_store_b32 v5, v6 offset:320
	s_and_b32 exec_lo, exec_lo, vcc_lo
	s_cbranch_execz .LBB179_82
; %bb.80:
	v_mov_b32_e32 v6, 0
	v_cmp_gt_u32_e32 vcc_lo, 16, v0
	ds_store_b32 v5, v6 offset:384
	s_and_b32 exec_lo, exec_lo, vcc_lo
; %bb.81:
	ds_store_b32 v5, v6 offset:448
.LBB179_82:
	s_wait_alu 0xfffe
	s_or_b32 exec_lo, exec_lo, s18
	s_wait_kmcnt 0x0
	s_min_u32 s18, s17, 16
	v_xor_b32_e32 v13, 0x7fff7fff, v25
	s_wait_alu 0xfffe
	s_lshl_b32 s18, -1, s18
	s_wait_alu 0xfffe
	s_not_b32 s18, s18
	v_lshrrev_b32_e32 v14, 16, v13
	s_wait_dscnt 0x0
	s_wait_alu 0xfffe
	v_and_b32_e32 v5, s18, v13
	s_delay_alu instid0(VALU_DEP_1) | instskip(SKIP_1) | instid1(VALU_DEP_2)
	v_and_b32_e32 v6, 0xffff, v5
	v_lshrrev_b32_e32 v5, 2, v5
	v_lshlrev_b32_e32 v6, 4, v6
	s_delay_alu instid0(VALU_DEP_2) | instskip(NEXT) | instid1(VALU_DEP_2)
	v_and_b32_e32 v5, 0x3ffe, v5
	v_and_or_b32 v6, 0x70, v6, v0
	s_delay_alu instid0(VALU_DEP_1) | instskip(SKIP_4) | instid1(VALU_DEP_2)
	v_lshl_add_u32 v16, v6, 2, v5
	v_and_b32_e32 v5, s18, v14
	ds_load_u16 v15, v16
	v_lshlrev_b32_e32 v6, 4, v5
	v_lshrrev_b32_e32 v5, 2, v5
	v_and_or_b32 v6, 0x70, v6, v0
	s_delay_alu instid0(VALU_DEP_2) | instskip(NEXT) | instid1(VALU_DEP_1)
	v_and_b32_e32 v5, 0x3ffe, v5
	v_lshl_add_u32 v25, v6, 2, v5
	s_wait_dscnt 0x0
	v_add_nc_u16 v7, v15, 1
	ds_store_b16 v16, v7
	ds_load_u16 v26, v25
	s_wait_dscnt 0x0
	v_add_nc_u16 v5, v26, 1
	ds_store_b16 v25, v5
	; wave barrier
	s_wait_loadcnt_dscnt 0x0
	global_inv scope:SCOPE_SE
	ds_load_b128 v[9:12], v23
	ds_load_b128 v[5:8], v23 offset:16
	s_wait_dscnt 0x1
	v_add_nc_u32_e32 v27, v10, v9
	s_delay_alu instid0(VALU_DEP_1) | instskip(SKIP_1) | instid1(VALU_DEP_1)
	v_add3_u32 v27, v27, v11, v12
	s_wait_dscnt 0x0
	v_add3_u32 v27, v27, v5, v6
	s_delay_alu instid0(VALU_DEP_1) | instskip(NEXT) | instid1(VALU_DEP_1)
	v_add3_u32 v8, v27, v7, v8
	v_mov_b32_dpp v27, v8 row_shr:1 row_mask:0xf bank_mask:0xf
	s_delay_alu instid0(VALU_DEP_1) | instskip(NEXT) | instid1(VALU_DEP_1)
	v_cndmask_b32_e64 v27, v27, 0, s5
	v_add_nc_u32_e32 v8, v27, v8
	s_delay_alu instid0(VALU_DEP_1) | instskip(NEXT) | instid1(VALU_DEP_1)
	v_mov_b32_dpp v27, v8 row_shr:2 row_mask:0xf bank_mask:0xf
	v_cndmask_b32_e64 v27, 0, v27, s1
	s_delay_alu instid0(VALU_DEP_1) | instskip(NEXT) | instid1(VALU_DEP_1)
	v_add_nc_u32_e32 v8, v8, v27
	v_mov_b32_dpp v27, v8 row_shr:4 row_mask:0xf bank_mask:0xf
	s_delay_alu instid0(VALU_DEP_1) | instskip(NEXT) | instid1(VALU_DEP_1)
	v_cndmask_b32_e64 v27, 0, v27, s6
	v_add_nc_u32_e32 v8, v8, v27
	s_delay_alu instid0(VALU_DEP_1) | instskip(NEXT) | instid1(VALU_DEP_1)
	v_mov_b32_dpp v27, v8 row_shr:8 row_mask:0xf bank_mask:0xf
	v_cndmask_b32_e64 v27, 0, v27, s4
	s_delay_alu instid0(VALU_DEP_1)
	v_add_nc_u32_e32 v8, v8, v27
	s_and_saveexec_b32 s18, s0
; %bb.83:
	v_mov_b32_e32 v27, 0
	ds_store_b32 v27, v8 offset:512
; %bb.84:
	s_wait_alu 0xfffe
	s_or_b32 exec_lo, exec_lo, s18
	ds_bpermute_b32 v27, v24, v8
	v_mov_b32_e32 v8, 0
	; wave barrier
	s_wait_loadcnt_dscnt 0x0
	global_inv scope:SCOPE_SE
	ds_load_b32 v28, v8 offset:512
	v_cndmask_b32_e64 v27, v27, 0, s16
	s_wait_dscnt 0x0
	s_delay_alu instid0(VALU_DEP_1) | instskip(NEXT) | instid1(VALU_DEP_1)
	v_lshl_add_u32 v27, v28, 16, v27
	v_add_nc_u32_e32 v28, v27, v9
	s_delay_alu instid0(VALU_DEP_1) | instskip(NEXT) | instid1(VALU_DEP_1)
	v_add_nc_u32_e32 v29, v28, v10
	v_add_nc_u32_e32 v30, v29, v11
	s_delay_alu instid0(VALU_DEP_1) | instskip(NEXT) | instid1(VALU_DEP_1)
	v_add_nc_u32_e32 v9, v30, v12
	v_add_nc_u32_e32 v10, v9, v5
	s_delay_alu instid0(VALU_DEP_1) | instskip(NEXT) | instid1(VALU_DEP_1)
	v_add_nc_u32_e32 v11, v10, v6
	v_add_nc_u32_e32 v12, v11, v7
	v_and_b32_e32 v7, 0xffff, v15
	ds_store_b128 v23, v[27:30]
	ds_store_b128 v23, v[9:12] offset:16
	; wave barrier
	s_wait_loadcnt_dscnt 0x0
	global_inv scope:SCOPE_SE
	ds_load_u16 v5, v16
	ds_load_u16 v6, v25
	v_and_b32_e32 v9, 0xffff, v26
	; wave barrier
	s_wait_loadcnt_dscnt 0x0
	global_inv scope:SCOPE_SE
	v_add_nc_u32_e32 v5, v5, v7
	v_add_nc_u32_e32 v6, v6, v9
	s_delay_alu instid0(VALU_DEP_2) | instskip(NEXT) | instid1(VALU_DEP_2)
	v_lshlrev_b32_e32 v7, 1, v5
	v_lshlrev_b32_e32 v9, 1, v6
	ds_store_b16 v7, v13
	ds_store_b16 v9, v14
	v_mad_u32_u24 v5, v5, 6, v7
	v_mad_u32_u24 v6, v6, 6, v9
	; wave barrier
	s_wait_loadcnt_dscnt 0x0
	global_inv scope:SCOPE_SE
	ds_load_b32 v13, v22
	; wave barrier
	s_wait_loadcnt_dscnt 0x0
	global_inv scope:SCOPE_SE
	ds_store_b64 v5, v[1:2]
	ds_store_b64 v6, v[3:4]
	; wave barrier
	s_wait_loadcnt_dscnt 0x0
	global_inv scope:SCOPE_SE
	ds_load_b128 v[1:4], v21
	; wave barrier
	s_wait_loadcnt_dscnt 0x0
	global_inv scope:SCOPE_SE
	s_and_saveexec_b32 s18, s7
	s_cbranch_execz .LBB179_93
; %bb.85:
	v_cmp_gt_u32_e32 vcc_lo, 0x70, v0
	ds_store_b32 v18, v8
	s_and_b32 exec_lo, exec_lo, vcc_lo
	s_cbranch_execz .LBB179_93
; %bb.86:
	v_mov_b32_e32 v5, 0
	v_cmp_gt_u32_e32 vcc_lo, 0x60, v0
	ds_store_b32 v18, v5 offset:64
	s_and_b32 exec_lo, exec_lo, vcc_lo
	s_cbranch_execz .LBB179_93
; %bb.87:
	v_cmp_gt_u32_e32 vcc_lo, 0x50, v0
	ds_store_b32 v18, v5 offset:128
	s_and_b32 exec_lo, exec_lo, vcc_lo
	s_cbranch_execz .LBB179_93
; %bb.88:
	v_mov_b32_e32 v5, 0
	v_cmp_gt_u32_e32 vcc_lo, 64, v0
	ds_store_b32 v18, v5 offset:192
	s_and_b32 exec_lo, exec_lo, vcc_lo
	s_cbranch_execz .LBB179_93
; %bb.89:
	v_cmp_gt_u32_e32 vcc_lo, 48, v0
	ds_store_b32 v18, v5 offset:256
	s_and_b32 exec_lo, exec_lo, vcc_lo
	s_cbranch_execz .LBB179_93
; %bb.90:
	v_mov_b32_e32 v5, 0
	v_cmp_gt_u32_e32 vcc_lo, 32, v0
	ds_store_b32 v18, v5 offset:320
	s_and_b32 exec_lo, exec_lo, vcc_lo
	s_cbranch_execz .LBB179_93
; %bb.91:
	v_cmp_gt_u32_e32 vcc_lo, 16, v0
	ds_store_b32 v18, v5 offset:384
	s_and_b32 exec_lo, exec_lo, vcc_lo
; %bb.92:
	v_mov_b32_e32 v5, 0
	ds_store_b32 v18, v5 offset:448
.LBB179_93:
	s_wait_alu 0xfffe
	s_or_b32 exec_lo, exec_lo, s18
	v_lshrrev_b16 v5, 4, v13
	s_min_u32 s18, s17, 12
	s_wait_alu 0xfffe
	s_lshl_b32 s18, -1, s18
	s_wait_alu 0xfffe
	s_not_b32 s18, s18
	v_and_b32_e32 v5, 0xffff, v5
	s_wait_alu 0xfffe
	s_delay_alu instid0(VALU_DEP_1) | instskip(NEXT) | instid1(VALU_DEP_1)
	v_and_b32_e32 v5, s18, v5
	v_lshlrev_b32_e32 v6, 4, v5
	v_lshrrev_b32_e32 v5, 2, v5
	s_delay_alu instid0(VALU_DEP_2) | instskip(NEXT) | instid1(VALU_DEP_2)
	v_and_or_b32 v6, 0x70, v6, v0
	v_and_b32_e32 v5, 0x3fe, v5
	s_delay_alu instid0(VALU_DEP_1) | instskip(SKIP_3) | instid1(VALU_DEP_1)
	v_lshl_add_u32 v15, v6, 2, v5
	v_lshrrev_b32_e32 v5, 20, v13
	ds_load_u16 v14, v15
	v_and_b32_e32 v5, s18, v5
	v_lshlrev_b32_e32 v6, 4, v5
	v_lshrrev_b32_e32 v5, 2, v5
	s_delay_alu instid0(VALU_DEP_2) | instskip(NEXT) | instid1(VALU_DEP_2)
	v_and_or_b32 v6, 0x70, v6, v0
	v_and_b32_e32 v5, 0x3fe, v5
	s_delay_alu instid0(VALU_DEP_1)
	v_lshl_add_u32 v16, v6, 2, v5
	s_wait_dscnt 0x0
	v_add_nc_u16 v7, v14, 1
	ds_store_b16 v15, v7
	ds_load_u16 v25, v16
	s_wait_dscnt 0x0
	v_add_nc_u16 v5, v25, 1
	ds_store_b16 v16, v5
	; wave barrier
	s_wait_loadcnt_dscnt 0x0
	global_inv scope:SCOPE_SE
	ds_load_b128 v[9:12], v23
	ds_load_b128 v[5:8], v23 offset:16
	s_wait_dscnt 0x1
	v_add_nc_u32_e32 v26, v10, v9
	s_delay_alu instid0(VALU_DEP_1) | instskip(SKIP_1) | instid1(VALU_DEP_1)
	v_add3_u32 v26, v26, v11, v12
	s_wait_dscnt 0x0
	v_add3_u32 v26, v26, v5, v6
	s_delay_alu instid0(VALU_DEP_1) | instskip(NEXT) | instid1(VALU_DEP_1)
	v_add3_u32 v8, v26, v7, v8
	v_mov_b32_dpp v26, v8 row_shr:1 row_mask:0xf bank_mask:0xf
	s_delay_alu instid0(VALU_DEP_1) | instskip(NEXT) | instid1(VALU_DEP_1)
	v_cndmask_b32_e64 v26, v26, 0, s5
	v_add_nc_u32_e32 v8, v26, v8
	s_delay_alu instid0(VALU_DEP_1) | instskip(NEXT) | instid1(VALU_DEP_1)
	v_mov_b32_dpp v26, v8 row_shr:2 row_mask:0xf bank_mask:0xf
	v_cndmask_b32_e64 v26, 0, v26, s1
	s_delay_alu instid0(VALU_DEP_1) | instskip(NEXT) | instid1(VALU_DEP_1)
	v_add_nc_u32_e32 v8, v8, v26
	v_mov_b32_dpp v26, v8 row_shr:4 row_mask:0xf bank_mask:0xf
	s_delay_alu instid0(VALU_DEP_1) | instskip(NEXT) | instid1(VALU_DEP_1)
	v_cndmask_b32_e64 v26, 0, v26, s6
	v_add_nc_u32_e32 v8, v8, v26
	s_delay_alu instid0(VALU_DEP_1) | instskip(NEXT) | instid1(VALU_DEP_1)
	v_mov_b32_dpp v26, v8 row_shr:8 row_mask:0xf bank_mask:0xf
	v_cndmask_b32_e64 v27, 0, v26, s4
	v_lshrrev_b32_e32 v26, 16, v13
	s_delay_alu instid0(VALU_DEP_2)
	v_add_nc_u32_e32 v8, v8, v27
	s_and_saveexec_b32 s18, s0
; %bb.94:
	v_mov_b32_e32 v27, 0
	ds_store_b32 v27, v8 offset:512
; %bb.95:
	s_wait_alu 0xfffe
	s_or_b32 exec_lo, exec_lo, s18
	ds_bpermute_b32 v27, v24, v8
	v_mov_b32_e32 v8, 0
	; wave barrier
	s_wait_loadcnt_dscnt 0x0
	global_inv scope:SCOPE_SE
	ds_load_b32 v28, v8 offset:512
	v_cndmask_b32_e64 v27, v27, 0, s16
	s_wait_dscnt 0x0
	s_delay_alu instid0(VALU_DEP_1) | instskip(NEXT) | instid1(VALU_DEP_1)
	v_lshl_add_u32 v27, v28, 16, v27
	v_add_nc_u32_e32 v28, v27, v9
	s_delay_alu instid0(VALU_DEP_1) | instskip(NEXT) | instid1(VALU_DEP_1)
	v_add_nc_u32_e32 v29, v28, v10
	v_add_nc_u32_e32 v30, v29, v11
	s_delay_alu instid0(VALU_DEP_1) | instskip(NEXT) | instid1(VALU_DEP_1)
	v_add_nc_u32_e32 v9, v30, v12
	;; [unrolled: 3-line block ×3, first 2 shown]
	v_add_nc_u32_e32 v12, v11, v7
	v_and_b32_e32 v7, 0xffff, v14
	ds_store_b128 v23, v[27:30]
	ds_store_b128 v23, v[9:12] offset:16
	; wave barrier
	s_wait_loadcnt_dscnt 0x0
	global_inv scope:SCOPE_SE
	ds_load_u16 v5, v15
	ds_load_u16 v6, v16
	v_and_b32_e32 v9, 0xffff, v25
	; wave barrier
	s_wait_loadcnt_dscnt 0x0
	global_inv scope:SCOPE_SE
	v_add_nc_u32_e32 v5, v5, v7
	v_add_nc_u32_e32 v6, v6, v9
	s_delay_alu instid0(VALU_DEP_2) | instskip(NEXT) | instid1(VALU_DEP_2)
	v_lshlrev_b32_e32 v7, 1, v5
	v_lshlrev_b32_e32 v9, 1, v6
	ds_store_b16 v7, v13
	ds_store_b16 v9, v26
	v_mad_u32_u24 v5, v5, 6, v7
	v_mad_u32_u24 v6, v6, 6, v9
	; wave barrier
	s_wait_loadcnt_dscnt 0x0
	global_inv scope:SCOPE_SE
	ds_load_b32 v13, v22
	; wave barrier
	s_wait_loadcnt_dscnt 0x0
	global_inv scope:SCOPE_SE
	ds_store_b64 v5, v[1:2]
	ds_store_b64 v6, v[3:4]
	; wave barrier
	s_wait_loadcnt_dscnt 0x0
	global_inv scope:SCOPE_SE
	ds_load_b128 v[1:4], v21
	; wave barrier
	s_wait_loadcnt_dscnt 0x0
	global_inv scope:SCOPE_SE
	s_and_saveexec_b32 s18, s7
	s_cbranch_execz .LBB179_104
; %bb.96:
	v_cmp_gt_u32_e32 vcc_lo, 0x70, v0
	ds_store_b32 v18, v8
	s_and_b32 exec_lo, exec_lo, vcc_lo
	s_cbranch_execz .LBB179_104
; %bb.97:
	v_mov_b32_e32 v5, 0
	v_cmp_gt_u32_e32 vcc_lo, 0x60, v0
	ds_store_b32 v18, v5 offset:64
	s_and_b32 exec_lo, exec_lo, vcc_lo
	s_cbranch_execz .LBB179_104
; %bb.98:
	v_cmp_gt_u32_e32 vcc_lo, 0x50, v0
	ds_store_b32 v18, v5 offset:128
	s_and_b32 exec_lo, exec_lo, vcc_lo
	s_cbranch_execz .LBB179_104
; %bb.99:
	v_mov_b32_e32 v5, 0
	v_cmp_gt_u32_e32 vcc_lo, 64, v0
	ds_store_b32 v18, v5 offset:192
	s_and_b32 exec_lo, exec_lo, vcc_lo
	s_cbranch_execz .LBB179_104
; %bb.100:
	v_cmp_gt_u32_e32 vcc_lo, 48, v0
	ds_store_b32 v18, v5 offset:256
	;; [unrolled: 11-line block ×3, first 2 shown]
	s_and_b32 exec_lo, exec_lo, vcc_lo
; %bb.103:
	v_mov_b32_e32 v5, 0
	ds_store_b32 v18, v5 offset:448
.LBB179_104:
	s_wait_alu 0xfffe
	s_or_b32 exec_lo, exec_lo, s18
	v_lshrrev_b16 v5, 8, v13
	s_min_u32 s18, s17, 8
	s_wait_alu 0xfffe
	s_lshl_b32 s18, -1, s18
	s_wait_alu 0xfffe
	s_not_b32 s18, s18
	v_and_b32_e32 v5, 0xffff, v5
	s_wait_alu 0xfffe
	s_delay_alu instid0(VALU_DEP_1) | instskip(NEXT) | instid1(VALU_DEP_1)
	v_and_b32_e32 v5, s18, v5
	v_lshlrev_b32_e32 v6, 4, v5
	v_lshrrev_b32_e32 v5, 2, v5
	s_delay_alu instid0(VALU_DEP_2) | instskip(NEXT) | instid1(VALU_DEP_2)
	v_and_or_b32 v6, 0x70, v6, v0
	v_and_b32_e32 v5, 62, v5
	s_delay_alu instid0(VALU_DEP_1) | instskip(SKIP_3) | instid1(VALU_DEP_1)
	v_lshl_add_u32 v15, v6, 2, v5
	v_lshrrev_b32_e32 v5, 24, v13
	ds_load_u16 v14, v15
	v_and_b32_e32 v5, s18, v5
	v_lshlrev_b32_e32 v6, 4, v5
	v_lshrrev_b32_e32 v5, 2, v5
	s_delay_alu instid0(VALU_DEP_2) | instskip(NEXT) | instid1(VALU_DEP_2)
	v_and_or_b32 v6, 0x70, v6, v0
	v_and_b32_e32 v5, 62, v5
	s_delay_alu instid0(VALU_DEP_1)
	v_lshl_add_u32 v16, v6, 2, v5
	s_wait_dscnt 0x0
	v_add_nc_u16 v7, v14, 1
	ds_store_b16 v15, v7
	ds_load_u16 v25, v16
	s_wait_dscnt 0x0
	v_add_nc_u16 v5, v25, 1
	ds_store_b16 v16, v5
	; wave barrier
	s_wait_loadcnt_dscnt 0x0
	global_inv scope:SCOPE_SE
	ds_load_b128 v[9:12], v23
	ds_load_b128 v[5:8], v23 offset:16
	s_wait_dscnt 0x1
	v_add_nc_u32_e32 v26, v10, v9
	s_delay_alu instid0(VALU_DEP_1) | instskip(SKIP_1) | instid1(VALU_DEP_1)
	v_add3_u32 v26, v26, v11, v12
	s_wait_dscnt 0x0
	v_add3_u32 v26, v26, v5, v6
	s_delay_alu instid0(VALU_DEP_1) | instskip(NEXT) | instid1(VALU_DEP_1)
	v_add3_u32 v8, v26, v7, v8
	v_mov_b32_dpp v26, v8 row_shr:1 row_mask:0xf bank_mask:0xf
	s_delay_alu instid0(VALU_DEP_1) | instskip(NEXT) | instid1(VALU_DEP_1)
	v_cndmask_b32_e64 v26, v26, 0, s5
	v_add_nc_u32_e32 v8, v26, v8
	s_delay_alu instid0(VALU_DEP_1) | instskip(NEXT) | instid1(VALU_DEP_1)
	v_mov_b32_dpp v26, v8 row_shr:2 row_mask:0xf bank_mask:0xf
	v_cndmask_b32_e64 v26, 0, v26, s1
	s_delay_alu instid0(VALU_DEP_1) | instskip(NEXT) | instid1(VALU_DEP_1)
	v_add_nc_u32_e32 v8, v8, v26
	v_mov_b32_dpp v26, v8 row_shr:4 row_mask:0xf bank_mask:0xf
	s_delay_alu instid0(VALU_DEP_1) | instskip(NEXT) | instid1(VALU_DEP_1)
	v_cndmask_b32_e64 v26, 0, v26, s6
	v_add_nc_u32_e32 v8, v8, v26
	s_delay_alu instid0(VALU_DEP_1) | instskip(NEXT) | instid1(VALU_DEP_1)
	v_mov_b32_dpp v26, v8 row_shr:8 row_mask:0xf bank_mask:0xf
	v_cndmask_b32_e64 v27, 0, v26, s4
	v_lshrrev_b32_e32 v26, 16, v13
	s_delay_alu instid0(VALU_DEP_2)
	v_add_nc_u32_e32 v8, v8, v27
	s_and_saveexec_b32 s18, s0
; %bb.105:
	v_mov_b32_e32 v27, 0
	ds_store_b32 v27, v8 offset:512
; %bb.106:
	s_wait_alu 0xfffe
	s_or_b32 exec_lo, exec_lo, s18
	ds_bpermute_b32 v27, v24, v8
	v_mov_b32_e32 v8, 0
	; wave barrier
	s_wait_loadcnt_dscnt 0x0
	global_inv scope:SCOPE_SE
	ds_load_b32 v28, v8 offset:512
	v_cndmask_b32_e64 v27, v27, 0, s16
	s_wait_dscnt 0x0
	s_delay_alu instid0(VALU_DEP_1) | instskip(NEXT) | instid1(VALU_DEP_1)
	v_lshl_add_u32 v27, v28, 16, v27
	v_add_nc_u32_e32 v28, v27, v9
	s_delay_alu instid0(VALU_DEP_1) | instskip(NEXT) | instid1(VALU_DEP_1)
	v_add_nc_u32_e32 v29, v28, v10
	v_add_nc_u32_e32 v30, v29, v11
	s_delay_alu instid0(VALU_DEP_1) | instskip(NEXT) | instid1(VALU_DEP_1)
	v_add_nc_u32_e32 v9, v30, v12
	;; [unrolled: 3-line block ×3, first 2 shown]
	v_add_nc_u32_e32 v12, v11, v7
	v_and_b32_e32 v7, 0xffff, v14
	ds_store_b128 v23, v[27:30]
	ds_store_b128 v23, v[9:12] offset:16
	; wave barrier
	s_wait_loadcnt_dscnt 0x0
	global_inv scope:SCOPE_SE
	ds_load_u16 v5, v15
	ds_load_u16 v6, v16
	v_and_b32_e32 v9, 0xffff, v25
	; wave barrier
	s_wait_loadcnt_dscnt 0x0
	global_inv scope:SCOPE_SE
	v_add_nc_u32_e32 v5, v5, v7
	v_add_nc_u32_e32 v6, v6, v9
	s_delay_alu instid0(VALU_DEP_2) | instskip(NEXT) | instid1(VALU_DEP_2)
	v_lshlrev_b32_e32 v7, 1, v5
	v_lshlrev_b32_e32 v9, 1, v6
	ds_store_b16 v7, v13
	ds_store_b16 v9, v26
	v_mad_u32_u24 v5, v5, 6, v7
	v_mad_u32_u24 v6, v6, 6, v9
	; wave barrier
	s_wait_loadcnt_dscnt 0x0
	global_inv scope:SCOPE_SE
	ds_load_b32 v13, v22
	; wave barrier
	s_wait_loadcnt_dscnt 0x0
	global_inv scope:SCOPE_SE
	ds_store_b64 v5, v[1:2]
	ds_store_b64 v6, v[3:4]
	; wave barrier
	s_wait_loadcnt_dscnt 0x0
	global_inv scope:SCOPE_SE
	ds_load_b128 v[1:4], v21
	; wave barrier
	s_wait_loadcnt_dscnt 0x0
	global_inv scope:SCOPE_SE
	s_and_saveexec_b32 s18, s7
	s_cbranch_execz .LBB179_115
; %bb.107:
	v_cmp_gt_u32_e32 vcc_lo, 0x70, v0
	ds_store_b32 v18, v8
	s_and_b32 exec_lo, exec_lo, vcc_lo
	s_cbranch_execz .LBB179_115
; %bb.108:
	v_mov_b32_e32 v5, 0
	v_cmp_gt_u32_e32 vcc_lo, 0x60, v0
	ds_store_b32 v18, v5 offset:64
	s_and_b32 exec_lo, exec_lo, vcc_lo
	s_cbranch_execz .LBB179_115
; %bb.109:
	v_cmp_gt_u32_e32 vcc_lo, 0x50, v0
	ds_store_b32 v18, v5 offset:128
	s_and_b32 exec_lo, exec_lo, vcc_lo
	s_cbranch_execz .LBB179_115
; %bb.110:
	v_mov_b32_e32 v5, 0
	v_cmp_gt_u32_e32 vcc_lo, 64, v0
	ds_store_b32 v18, v5 offset:192
	s_and_b32 exec_lo, exec_lo, vcc_lo
	s_cbranch_execz .LBB179_115
; %bb.111:
	v_cmp_gt_u32_e32 vcc_lo, 48, v0
	ds_store_b32 v18, v5 offset:256
	;; [unrolled: 11-line block ×3, first 2 shown]
	s_and_b32 exec_lo, exec_lo, vcc_lo
; %bb.114:
	v_mov_b32_e32 v5, 0
	ds_store_b32 v18, v5 offset:448
.LBB179_115:
	s_wait_alu 0xfffe
	s_or_b32 exec_lo, exec_lo, s18
	v_lshrrev_b16 v5, 12, v13
	s_min_u32 s7, s17, 4
	s_wait_alu 0xfffe
	s_lshl_b32 s7, -1, s7
	s_wait_alu 0xfffe
	s_not_b32 s7, s7
	v_and_b32_e32 v5, 0xffff, v5
	s_wait_alu 0xfffe
	s_delay_alu instid0(VALU_DEP_1) | instskip(NEXT) | instid1(VALU_DEP_1)
	v_and_b32_e32 v5, s7, v5
	v_lshlrev_b32_e32 v6, 4, v5
	v_lshrrev_b32_e32 v5, 2, v5
	s_delay_alu instid0(VALU_DEP_2) | instskip(NEXT) | instid1(VALU_DEP_2)
	v_and_or_b32 v6, 0x70, v6, v0
	v_and_b32_e32 v5, 2, v5
	s_delay_alu instid0(VALU_DEP_1) | instskip(SKIP_3) | instid1(VALU_DEP_1)
	v_lshl_or_b32 v15, v6, 2, v5
	v_lshrrev_b32_e32 v5, 28, v13
	ds_load_u16 v14, v15
	v_and_b32_e32 v5, s7, v5
	v_lshlrev_b32_e32 v6, 4, v5
	v_lshrrev_b32_e32 v5, 2, v5
	s_delay_alu instid0(VALU_DEP_2) | instskip(NEXT) | instid1(VALU_DEP_2)
	v_and_or_b32 v6, 0x70, v6, v0
	v_and_b32_e32 v5, 2, v5
	s_delay_alu instid0(VALU_DEP_1)
	v_lshl_or_b32 v16, v6, 2, v5
	s_wait_dscnt 0x0
	v_add_nc_u16 v7, v14, 1
	ds_store_b16 v15, v7
	ds_load_u16 v25, v16
	s_wait_dscnt 0x0
	v_add_nc_u16 v5, v25, 1
	ds_store_b16 v16, v5
	; wave barrier
	s_wait_loadcnt_dscnt 0x0
	global_inv scope:SCOPE_SE
	ds_load_b128 v[9:12], v23
	ds_load_b128 v[5:8], v23 offset:16
	s_wait_dscnt 0x1
	v_add_nc_u32_e32 v26, v10, v9
	s_delay_alu instid0(VALU_DEP_1) | instskip(SKIP_1) | instid1(VALU_DEP_1)
	v_add3_u32 v26, v26, v11, v12
	s_wait_dscnt 0x0
	v_add3_u32 v26, v26, v5, v6
	s_delay_alu instid0(VALU_DEP_1) | instskip(NEXT) | instid1(VALU_DEP_1)
	v_add3_u32 v8, v26, v7, v8
	v_mov_b32_dpp v26, v8 row_shr:1 row_mask:0xf bank_mask:0xf
	s_delay_alu instid0(VALU_DEP_1) | instskip(NEXT) | instid1(VALU_DEP_1)
	v_cndmask_b32_e64 v26, v26, 0, s5
	v_add_nc_u32_e32 v8, v26, v8
	s_delay_alu instid0(VALU_DEP_1) | instskip(NEXT) | instid1(VALU_DEP_1)
	v_mov_b32_dpp v26, v8 row_shr:2 row_mask:0xf bank_mask:0xf
	v_cndmask_b32_e64 v26, 0, v26, s1
	s_delay_alu instid0(VALU_DEP_1) | instskip(NEXT) | instid1(VALU_DEP_1)
	v_add_nc_u32_e32 v8, v8, v26
	v_mov_b32_dpp v26, v8 row_shr:4 row_mask:0xf bank_mask:0xf
	s_delay_alu instid0(VALU_DEP_1) | instskip(NEXT) | instid1(VALU_DEP_1)
	v_cndmask_b32_e64 v26, 0, v26, s6
	v_add_nc_u32_e32 v26, v8, v26
	s_delay_alu instid0(VALU_DEP_1) | instskip(NEXT) | instid1(VALU_DEP_1)
	v_mov_b32_dpp v8, v26 row_shr:8 row_mask:0xf bank_mask:0xf
	v_cndmask_b32_e64 v27, 0, v8, s4
	v_lshrrev_b32_e32 v8, 16, v13
	s_delay_alu instid0(VALU_DEP_2)
	v_add_nc_u32_e32 v26, v26, v27
	s_and_saveexec_b32 s1, s0
; %bb.116:
	v_mov_b32_e32 v27, 0
	ds_store_b32 v27, v26 offset:512
; %bb.117:
	s_wait_alu 0xfffe
	s_or_b32 exec_lo, exec_lo, s1
	ds_bpermute_b32 v24, v24, v26
	v_mov_b32_e32 v26, 0
	; wave barrier
	s_wait_loadcnt_dscnt 0x0
	global_inv scope:SCOPE_SE
	ds_load_b32 v26, v26 offset:512
	v_cndmask_b32_e64 v24, v24, 0, s16
	s_wait_dscnt 0x0
	s_delay_alu instid0(VALU_DEP_1) | instskip(NEXT) | instid1(VALU_DEP_1)
	v_lshl_add_u32 v26, v26, 16, v24
	v_add_nc_u32_e32 v27, v26, v9
	s_delay_alu instid0(VALU_DEP_1) | instskip(NEXT) | instid1(VALU_DEP_1)
	v_add_nc_u32_e32 v28, v27, v10
	v_add_nc_u32_e32 v29, v28, v11
	s_delay_alu instid0(VALU_DEP_1) | instskip(NEXT) | instid1(VALU_DEP_1)
	v_add_nc_u32_e32 v9, v29, v12
	;; [unrolled: 3-line block ×3, first 2 shown]
	v_add_nc_u32_e32 v12, v11, v7
	v_and_b32_e32 v7, 0xffff, v14
	ds_store_b128 v23, v[26:29]
	ds_store_b128 v23, v[9:12] offset:16
	; wave barrier
	s_wait_loadcnt_dscnt 0x0
	global_inv scope:SCOPE_SE
	ds_load_u16 v5, v15
	ds_load_u16 v6, v16
	v_and_b32_e32 v9, 0xffff, v25
	; wave barrier
	s_wait_loadcnt_dscnt 0x0
	global_inv scope:SCOPE_SE
	v_add_nc_u32_e32 v5, v5, v7
	v_add_nc_u32_e32 v6, v6, v9
	s_delay_alu instid0(VALU_DEP_2) | instskip(NEXT) | instid1(VALU_DEP_2)
	v_lshlrev_b32_e32 v7, 1, v5
	v_lshlrev_b32_e32 v9, 1, v6
	ds_store_b16 v7, v13
	ds_store_b16 v9, v8
	v_mad_u32_u24 v5, v5, 6, v7
	v_mad_u32_u24 v6, v6, 6, v9
	; wave barrier
	s_wait_loadcnt_dscnt 0x0
	global_inv scope:SCOPE_SE
	ds_load_b32 v9, v22
	; wave barrier
	s_wait_loadcnt_dscnt 0x0
	global_inv scope:SCOPE_SE
	ds_store_b64 v5, v[1:2]
	ds_store_b64 v6, v[3:4]
	; wave barrier
	s_wait_loadcnt_dscnt 0x0
	global_inv scope:SCOPE_SE
	ds_load_b128 v[5:8], v21
	v_xor_b32_e32 v9, 0x7fff7fff, v9
.LBB179_118:
	v_mad_co_u64_u32 v[1:2], null, s8, v0, 0
	; wave barrier
	s_wait_loadcnt_dscnt 0x0
	global_inv scope:SCOPE_SE
	ds_store_b32 v18, v9
	; wave barrier
	s_wait_loadcnt_dscnt 0x0
	global_inv scope:SCOPE_SE
	v_mad_co_u64_u32 v[2:3], null, s9, v0, v[2:3]
	ds_load_u16 v3, v17 offset:32
	v_lshlrev_b64_e32 v[1:2], 1, v[1:2]
	s_delay_alu instid0(VALU_DEP_1) | instskip(SKIP_1) | instid1(VALU_DEP_2)
	v_add_co_u32 v1, vcc_lo, s12, v1
	s_wait_alu 0xfffd
	v_add_co_ci_u32_e64 v2, null, s13, v2, vcc_lo
	s_and_saveexec_b32 s0, s2
	s_cbranch_execz .LBB179_120
; %bb.119:
	ds_load_u16 v4, v17
	s_wait_dscnt 0x0
	global_store_b16 v[1:2], v4, off
.LBB179_120:
	s_wait_alu 0xfffe
	s_or_b32 exec_lo, exec_lo, s0
	s_and_saveexec_b32 s0, s3
	s_cbranch_execz .LBB179_122
; %bb.121:
	s_lshl_b64 s[4:5], s[8:9], 5
	s_wait_alu 0xfffe
	v_add_co_u32 v1, vcc_lo, v1, s4
	s_wait_alu 0xfffd
	v_add_co_ci_u32_e64 v2, null, s5, v2, vcc_lo
	s_wait_dscnt 0x0
	global_store_b16 v[1:2], v3, off
.LBB179_122:
	s_wait_alu 0xfffe
	s_or_b32 exec_lo, exec_lo, s0
	s_wait_dscnt 0x0
	v_mad_co_u64_u32 v[2:3], null, s10, v0, 0
	s_wait_loadcnt 0x0
	s_wait_storecnt 0x0
	; wave barrier
	global_inv scope:SCOPE_SE
	ds_store_2addr_b64 v20, v[5:6], v[7:8] offset1:1
	; wave barrier
	s_wait_loadcnt_dscnt 0x0
	global_inv scope:SCOPE_SE
	v_mov_b32_e32 v1, v3
	s_delay_alu instid0(VALU_DEP_1) | instskip(SKIP_2) | instid1(VALU_DEP_1)
	v_mad_co_u64_u32 v[3:4], null, s11, v0, v[1:2]
	ds_load_b64 v[0:1], v19 offset:128
	v_lshlrev_b64_e32 v[2:3], 3, v[2:3]
	v_add_co_u32 v2, vcc_lo, s14, v2
	s_wait_alu 0xfffd
	s_delay_alu instid0(VALU_DEP_2)
	v_add_co_ci_u32_e64 v3, null, s15, v3, vcc_lo
	s_and_saveexec_b32 s0, s2
	s_cbranch_execz .LBB179_124
; %bb.123:
	ds_load_b64 v[4:5], v19
	s_wait_dscnt 0x0
	global_store_b64 v[2:3], v[4:5], off
.LBB179_124:
	s_wait_alu 0xfffe
	s_or_b32 exec_lo, exec_lo, s0
	s_and_saveexec_b32 s0, s3
	s_cbranch_execz .LBB179_126
; %bb.125:
	s_lshl_b64 s[0:1], s[10:11], 7
	s_wait_alu 0xfffe
	v_add_co_u32 v2, vcc_lo, v2, s0
	s_wait_alu 0xfffd
	v_add_co_ci_u32_e64 v3, null, s1, v3, vcc_lo
	s_wait_dscnt 0x0
	global_store_b64 v[2:3], v[0:1], off
.LBB179_126:
	s_endpgm
	.section	.rodata,"a",@progbits
	.p2align	6, 0x0
	.amdhsa_kernel _ZN2at6native18radixSortKVInPlaceILin1ELin1ELi16ELi2EslmEEvNS_4cuda6detail10TensorInfoIT3_T5_EES6_S6_S6_NS4_IT4_S6_EES6_b
		.amdhsa_group_segment_fixed_size 528
		.amdhsa_private_segment_fixed_size 0
		.amdhsa_kernarg_size 1128
		.amdhsa_user_sgpr_count 2
		.amdhsa_user_sgpr_dispatch_ptr 0
		.amdhsa_user_sgpr_queue_ptr 0
		.amdhsa_user_sgpr_kernarg_segment_ptr 1
		.amdhsa_user_sgpr_dispatch_id 0
		.amdhsa_user_sgpr_private_segment_size 0
		.amdhsa_wavefront_size32 1
		.amdhsa_uses_dynamic_stack 0
		.amdhsa_enable_private_segment 0
		.amdhsa_system_sgpr_workgroup_id_x 1
		.amdhsa_system_sgpr_workgroup_id_y 1
		.amdhsa_system_sgpr_workgroup_id_z 1
		.amdhsa_system_sgpr_workgroup_info 0
		.amdhsa_system_vgpr_workitem_id 0
		.amdhsa_next_free_vgpr 36
		.amdhsa_next_free_sgpr 34
		.amdhsa_reserve_vcc 1
		.amdhsa_float_round_mode_32 0
		.amdhsa_float_round_mode_16_64 0
		.amdhsa_float_denorm_mode_32 3
		.amdhsa_float_denorm_mode_16_64 3
		.amdhsa_fp16_overflow 0
		.amdhsa_workgroup_processor_mode 1
		.amdhsa_memory_ordered 1
		.amdhsa_forward_progress 1
		.amdhsa_inst_pref_size 81
		.amdhsa_round_robin_scheduling 0
		.amdhsa_exception_fp_ieee_invalid_op 0
		.amdhsa_exception_fp_denorm_src 0
		.amdhsa_exception_fp_ieee_div_zero 0
		.amdhsa_exception_fp_ieee_overflow 0
		.amdhsa_exception_fp_ieee_underflow 0
		.amdhsa_exception_fp_ieee_inexact 0
		.amdhsa_exception_int_div_zero 0
	.end_amdhsa_kernel
	.section	.text._ZN2at6native18radixSortKVInPlaceILin1ELin1ELi16ELi2EslmEEvNS_4cuda6detail10TensorInfoIT3_T5_EES6_S6_S6_NS4_IT4_S6_EES6_b,"axG",@progbits,_ZN2at6native18radixSortKVInPlaceILin1ELin1ELi16ELi2EslmEEvNS_4cuda6detail10TensorInfoIT3_T5_EES6_S6_S6_NS4_IT4_S6_EES6_b,comdat
.Lfunc_end179:
	.size	_ZN2at6native18radixSortKVInPlaceILin1ELin1ELi16ELi2EslmEEvNS_4cuda6detail10TensorInfoIT3_T5_EES6_S6_S6_NS4_IT4_S6_EES6_b, .Lfunc_end179-_ZN2at6native18radixSortKVInPlaceILin1ELin1ELi16ELi2EslmEEvNS_4cuda6detail10TensorInfoIT3_T5_EES6_S6_S6_NS4_IT4_S6_EES6_b
                                        ; -- End function
	.set _ZN2at6native18radixSortKVInPlaceILin1ELin1ELi16ELi2EslmEEvNS_4cuda6detail10TensorInfoIT3_T5_EES6_S6_S6_NS4_IT4_S6_EES6_b.num_vgpr, 36
	.set _ZN2at6native18radixSortKVInPlaceILin1ELin1ELi16ELi2EslmEEvNS_4cuda6detail10TensorInfoIT3_T5_EES6_S6_S6_NS4_IT4_S6_EES6_b.num_agpr, 0
	.set _ZN2at6native18radixSortKVInPlaceILin1ELin1ELi16ELi2EslmEEvNS_4cuda6detail10TensorInfoIT3_T5_EES6_S6_S6_NS4_IT4_S6_EES6_b.numbered_sgpr, 34
	.set _ZN2at6native18radixSortKVInPlaceILin1ELin1ELi16ELi2EslmEEvNS_4cuda6detail10TensorInfoIT3_T5_EES6_S6_S6_NS4_IT4_S6_EES6_b.num_named_barrier, 0
	.set _ZN2at6native18radixSortKVInPlaceILin1ELin1ELi16ELi2EslmEEvNS_4cuda6detail10TensorInfoIT3_T5_EES6_S6_S6_NS4_IT4_S6_EES6_b.private_seg_size, 0
	.set _ZN2at6native18radixSortKVInPlaceILin1ELin1ELi16ELi2EslmEEvNS_4cuda6detail10TensorInfoIT3_T5_EES6_S6_S6_NS4_IT4_S6_EES6_b.uses_vcc, 1
	.set _ZN2at6native18radixSortKVInPlaceILin1ELin1ELi16ELi2EslmEEvNS_4cuda6detail10TensorInfoIT3_T5_EES6_S6_S6_NS4_IT4_S6_EES6_b.uses_flat_scratch, 0
	.set _ZN2at6native18radixSortKVInPlaceILin1ELin1ELi16ELi2EslmEEvNS_4cuda6detail10TensorInfoIT3_T5_EES6_S6_S6_NS4_IT4_S6_EES6_b.has_dyn_sized_stack, 0
	.set _ZN2at6native18radixSortKVInPlaceILin1ELin1ELi16ELi2EslmEEvNS_4cuda6detail10TensorInfoIT3_T5_EES6_S6_S6_NS4_IT4_S6_EES6_b.has_recursion, 0
	.set _ZN2at6native18radixSortKVInPlaceILin1ELin1ELi16ELi2EslmEEvNS_4cuda6detail10TensorInfoIT3_T5_EES6_S6_S6_NS4_IT4_S6_EES6_b.has_indirect_call, 0
	.section	.AMDGPU.csdata,"",@progbits
; Kernel info:
; codeLenInByte = 10308
; TotalNumSgprs: 36
; NumVgprs: 36
; ScratchSize: 0
; MemoryBound: 0
; FloatMode: 240
; IeeeMode: 1
; LDSByteSize: 528 bytes/workgroup (compile time only)
; SGPRBlocks: 0
; VGPRBlocks: 4
; NumSGPRsForWavesPerEU: 36
; NumVGPRsForWavesPerEU: 36
; Occupancy: 16
; WaveLimiterHint : 1
; COMPUTE_PGM_RSRC2:SCRATCH_EN: 0
; COMPUTE_PGM_RSRC2:USER_SGPR: 2
; COMPUTE_PGM_RSRC2:TRAP_HANDLER: 0
; COMPUTE_PGM_RSRC2:TGID_X_EN: 1
; COMPUTE_PGM_RSRC2:TGID_Y_EN: 1
; COMPUTE_PGM_RSRC2:TGID_Z_EN: 1
; COMPUTE_PGM_RSRC2:TIDIG_COMP_CNT: 0
	.section	.text._ZN2at6native18radixSortKVInPlaceILin2ELin1ELi512ELi8EdljEEvNS_4cuda6detail10TensorInfoIT3_T5_EES6_S6_S6_NS4_IT4_S6_EES6_b,"axG",@progbits,_ZN2at6native18radixSortKVInPlaceILin2ELin1ELi512ELi8EdljEEvNS_4cuda6detail10TensorInfoIT3_T5_EES6_S6_S6_NS4_IT4_S6_EES6_b,comdat
	.protected	_ZN2at6native18radixSortKVInPlaceILin2ELin1ELi512ELi8EdljEEvNS_4cuda6detail10TensorInfoIT3_T5_EES6_S6_S6_NS4_IT4_S6_EES6_b ; -- Begin function _ZN2at6native18radixSortKVInPlaceILin2ELin1ELi512ELi8EdljEEvNS_4cuda6detail10TensorInfoIT3_T5_EES6_S6_S6_NS4_IT4_S6_EES6_b
	.globl	_ZN2at6native18radixSortKVInPlaceILin2ELin1ELi512ELi8EdljEEvNS_4cuda6detail10TensorInfoIT3_T5_EES6_S6_S6_NS4_IT4_S6_EES6_b
	.p2align	8
	.type	_ZN2at6native18radixSortKVInPlaceILin2ELin1ELi512ELi8EdljEEvNS_4cuda6detail10TensorInfoIT3_T5_EES6_S6_S6_NS4_IT4_S6_EES6_b,@function
_ZN2at6native18radixSortKVInPlaceILin2ELin1ELi512ELi8EdljEEvNS_4cuda6detail10TensorInfoIT3_T5_EES6_S6_S6_NS4_IT4_S6_EES6_b: ; @_ZN2at6native18radixSortKVInPlaceILin2ELin1ELi512ELi8EdljEEvNS_4cuda6detail10TensorInfoIT3_T5_EES6_S6_S6_NS4_IT4_S6_EES6_b
; %bb.0:
	s_clause 0x1
	s_load_b64 s[2:3], s[0:1], 0x1c8
	s_load_b96 s[24:26], s[0:1], 0xd8
	s_lshr_b32 s4, ttmp7, 16
	s_wait_kmcnt 0x0
	s_mul_i32 s3, s3, s4
	s_and_b32 s4, ttmp7, 0xffff
	s_delay_alu instid0(SALU_CYCLE_1) | instskip(NEXT) | instid1(SALU_CYCLE_1)
	s_add_co_i32 s3, s3, s4
	s_mul_i32 s4, s3, s2
	s_delay_alu instid0(SALU_CYCLE_1) | instskip(NEXT) | instid1(SALU_CYCLE_1)
	s_add_co_i32 s4, s4, ttmp9
	s_cmp_ge_u32 s4, s24
	s_cbranch_scc1 .LBB180_110
; %bb.1:
	s_load_b32 s2, s[0:1], 0x1b8
	s_add_nc_u64 s[34:35], s[0:1], 0xe8
	s_mov_b32 s23, 0
	s_mov_b32 s24, s4
	s_wait_kmcnt 0x0
	s_cmp_lt_i32 s2, 2
	s_cbranch_scc1 .LBB180_4
; %bb.2:
	s_add_co_i32 s22, s2, -1
	s_add_co_i32 s5, s2, 1
	s_lshl_b64 s[6:7], s[22:23], 2
	s_mov_b32 s24, s4
	s_add_nc_u64 s[6:7], s[34:35], s[6:7]
	s_delay_alu instid0(SALU_CYCLE_1)
	s_add_nc_u64 s[2:3], s[6:7], 8
.LBB180_3:                              ; =>This Inner Loop Header: Depth=1
	s_clause 0x1
	s_load_b32 s6, s[2:3], 0x0
	s_load_b32 s7, s[2:3], 0x64
	s_mov_b32 s10, s24
	s_add_nc_u64 s[2:3], s[2:3], -4
	s_wait_kmcnt 0x0
	s_cvt_f32_u32 s8, s6
	s_sub_co_i32 s9, 0, s6
	s_wait_alu 0xfffe
	s_delay_alu instid0(SALU_CYCLE_1) | instskip(NEXT) | instid1(TRANS32_DEP_1)
	v_rcp_iflag_f32_e32 v1, s8
	v_readfirstlane_b32 s8, v1
	s_mul_f32 s8, s8, 0x4f7ffffe
	s_wait_alu 0xfffe
	s_delay_alu instid0(SALU_CYCLE_2) | instskip(SKIP_1) | instid1(SALU_CYCLE_2)
	s_cvt_u32_f32 s8, s8
	s_wait_alu 0xfffe
	s_mul_i32 s9, s9, s8
	s_wait_alu 0xfffe
	s_mul_hi_u32 s9, s8, s9
	s_wait_alu 0xfffe
	s_add_co_i32 s8, s8, s9
	s_wait_alu 0xfffe
	s_mul_hi_u32 s8, s24, s8
	s_wait_alu 0xfffe
	s_mul_i32 s9, s8, s6
	s_add_co_i32 s11, s8, 1
	s_wait_alu 0xfffe
	s_sub_co_i32 s9, s24, s9
	s_wait_alu 0xfffe
	s_sub_co_i32 s12, s9, s6
	s_cmp_ge_u32 s9, s6
	s_cselect_b32 s8, s11, s8
	s_cselect_b32 s9, s12, s9
	s_wait_alu 0xfffe
	s_add_co_i32 s11, s8, 1
	s_cmp_ge_u32 s9, s6
	s_cselect_b32 s24, s11, s8
	s_add_co_i32 s5, s5, -1
	s_mul_i32 s6, s24, s6
	s_delay_alu instid0(SALU_CYCLE_1) | instskip(NEXT) | instid1(SALU_CYCLE_1)
	s_sub_co_i32 s6, s10, s6
	s_mul_i32 s6, s7, s6
	s_delay_alu instid0(SALU_CYCLE_1)
	s_add_co_i32 s23, s6, s23
	s_cmp_gt_u32 s5, 2
	s_cbranch_scc1 .LBB180_3
.LBB180_4:
	s_clause 0x2
	s_load_b64 s[28:29], s[0:1], 0x1c0
	s_load_b64 s[2:3], s[0:1], 0x0
	s_load_b32 s5, s[0:1], 0x6c
	s_add_nc_u64 s[20:21], s[0:1], 0x1c8
	s_mov_b32 s1, 0
	s_wait_kmcnt 0x0
	s_bitcmp1_b32 s29, 0
	s_mul_i32 s0, s5, s4
	s_cselect_b32 s22, -1, 0
	s_lshl_b64 s[30:31], s[0:1], 3
	s_and_b32 s0, s22, exec_lo
	s_mov_b32 s4, -1
	s_cselect_b32 s5, -1, 0x7fffffff
	s_mov_b32 s6, s4
	s_mov_b32 s8, s4
	;; [unrolled: 1-line block ×14, first 2 shown]
	v_and_b32_e32 v73, 0x3ff, v0
	v_dual_mov_b32 v1, s4 :: v_dual_mov_b32 v4, s7
	v_dual_mov_b32 v2, s5 :: v_dual_mov_b32 v15, s18
	v_mov_b32_e32 v18, s5
	s_delay_alu instid0(VALU_DEP_4)
	v_mul_lo_u32 v71, s26, v73
	v_cmp_gt_u32_e64 s0, s25, v73
	s_wait_alu 0xfffe
	v_dual_mov_b32 v3, s6 :: v_dual_mov_b32 v6, s9
	v_dual_mov_b32 v5, s8 :: v_dual_mov_b32 v8, s11
	;; [unrolled: 1-line block ×6, first 2 shown]
	v_mov_b32_e32 v17, s4
	s_add_nc_u64 s[30:31], s[2:3], s[30:31]
	s_and_saveexec_b32 s1, s0
	s_cbranch_execz .LBB180_6
; %bb.5:
	v_mov_b32_e32 v72, 0
	s_delay_alu instid0(VALU_DEP_1) | instskip(NEXT) | instid1(VALU_DEP_1)
	v_lshlrev_b64_e32 v[1:2], 3, v[71:72]
	v_add_co_u32 v1, vcc_lo, s30, v1
	s_delay_alu instid0(VALU_DEP_1)
	v_add_co_ci_u32_e64 v2, null, s31, v2, vcc_lo
	global_load_b64 v[17:18], v[1:2], off
	v_dual_mov_b32 v1, s4 :: v_dual_mov_b32 v2, s5
	v_dual_mov_b32 v3, s6 :: v_dual_mov_b32 v4, s7
	;; [unrolled: 1-line block ×8, first 2 shown]
.LBB180_6:
	s_or_b32 exec_lo, exec_lo, s1
	v_add_nc_u32_e32 v32, 0x200, v73
	s_delay_alu instid0(VALU_DEP_1)
	v_cmp_gt_u32_e64 s1, s25, v32
	s_and_saveexec_b32 s2, s1
	s_cbranch_execz .LBB180_8
; %bb.7:
	v_mul_lo_u32 v1, s26, v32
	v_mov_b32_e32 v2, 0
	s_delay_alu instid0(VALU_DEP_1) | instskip(NEXT) | instid1(VALU_DEP_1)
	v_lshlrev_b64_e32 v[1:2], 3, v[1:2]
	v_add_co_u32 v1, vcc_lo, s30, v1
	s_wait_alu 0xfffd
	s_delay_alu instid0(VALU_DEP_2)
	v_add_co_ci_u32_e64 v2, null, s31, v2, vcc_lo
	global_load_b64 v[3:4], v[1:2], off
.LBB180_8:
	s_or_b32 exec_lo, exec_lo, s2
	v_or_b32_e32 v33, 0x400, v73
	s_delay_alu instid0(VALU_DEP_1)
	v_cmp_gt_u32_e64 s2, s25, v33
	s_and_saveexec_b32 s3, s2
	s_cbranch_execz .LBB180_10
; %bb.9:
	v_mul_lo_u32 v1, s26, v33
	v_mov_b32_e32 v2, 0
	s_delay_alu instid0(VALU_DEP_1) | instskip(NEXT) | instid1(VALU_DEP_1)
	v_lshlrev_b64_e32 v[1:2], 3, v[1:2]
	v_add_co_u32 v1, vcc_lo, s30, v1
	s_wait_alu 0xfffd
	s_delay_alu instid0(VALU_DEP_2)
	v_add_co_ci_u32_e64 v2, null, s31, v2, vcc_lo
	global_load_b64 v[5:6], v[1:2], off
.LBB180_10:
	s_or_b32 exec_lo, exec_lo, s3
	v_add_nc_u32_e32 v34, 0x600, v73
	s_delay_alu instid0(VALU_DEP_1)
	v_cmp_gt_u32_e64 s3, s25, v34
	s_and_saveexec_b32 s4, s3
	s_cbranch_execz .LBB180_12
; %bb.11:
	v_mul_lo_u32 v1, s26, v34
	v_mov_b32_e32 v2, 0
	s_delay_alu instid0(VALU_DEP_1) | instskip(NEXT) | instid1(VALU_DEP_1)
	v_lshlrev_b64_e32 v[1:2], 3, v[1:2]
	v_add_co_u32 v1, vcc_lo, s30, v1
	s_wait_alu 0xfffd
	s_delay_alu instid0(VALU_DEP_2)
	v_add_co_ci_u32_e64 v2, null, s31, v2, vcc_lo
	global_load_b64 v[7:8], v[1:2], off
.LBB180_12:
	s_wait_alu 0xfffe
	s_or_b32 exec_lo, exec_lo, s4
	v_or_b32_e32 v35, 0x800, v73
	s_delay_alu instid0(VALU_DEP_1)
	v_cmp_gt_u32_e64 s4, s25, v35
	s_and_saveexec_b32 s5, s4
	s_cbranch_execz .LBB180_14
; %bb.13:
	v_mul_lo_u32 v1, s26, v35
	v_mov_b32_e32 v2, 0
	s_delay_alu instid0(VALU_DEP_1) | instskip(NEXT) | instid1(VALU_DEP_1)
	v_lshlrev_b64_e32 v[1:2], 3, v[1:2]
	v_add_co_u32 v1, vcc_lo, s30, v1
	s_wait_alu 0xfffd
	s_delay_alu instid0(VALU_DEP_2)
	v_add_co_ci_u32_e64 v2, null, s31, v2, vcc_lo
	global_load_b64 v[9:10], v[1:2], off
.LBB180_14:
	s_wait_alu 0xfffe
	s_or_b32 exec_lo, exec_lo, s5
	v_add_nc_u32_e32 v36, 0xa00, v73
	s_delay_alu instid0(VALU_DEP_1)
	v_cmp_gt_u32_e64 s5, s25, v36
	s_and_saveexec_b32 s6, s5
	s_cbranch_execz .LBB180_16
; %bb.15:
	v_mul_lo_u32 v1, s26, v36
	v_mov_b32_e32 v2, 0
	s_delay_alu instid0(VALU_DEP_1) | instskip(NEXT) | instid1(VALU_DEP_1)
	v_lshlrev_b64_e32 v[1:2], 3, v[1:2]
	v_add_co_u32 v1, vcc_lo, s30, v1
	s_wait_alu 0xfffd
	s_delay_alu instid0(VALU_DEP_2)
	v_add_co_ci_u32_e64 v2, null, s31, v2, vcc_lo
	global_load_b64 v[11:12], v[1:2], off
.LBB180_16:
	s_wait_alu 0xfffe
	s_or_b32 exec_lo, exec_lo, s6
	v_or_b32_e32 v37, 0xc00, v73
	s_delay_alu instid0(VALU_DEP_1)
	v_cmp_gt_u32_e64 s6, s25, v37
	s_and_saveexec_b32 s7, s6
	s_cbranch_execz .LBB180_18
; %bb.17:
	v_mul_lo_u32 v1, s26, v37
	v_mov_b32_e32 v2, 0
	s_delay_alu instid0(VALU_DEP_1) | instskip(NEXT) | instid1(VALU_DEP_1)
	v_lshlrev_b64_e32 v[1:2], 3, v[1:2]
	v_add_co_u32 v1, vcc_lo, s30, v1
	s_wait_alu 0xfffd
	s_delay_alu instid0(VALU_DEP_2)
	v_add_co_ci_u32_e64 v2, null, s31, v2, vcc_lo
	global_load_b64 v[13:14], v[1:2], off
.LBB180_18:
	s_wait_alu 0xfffe
	s_or_b32 exec_lo, exec_lo, s7
	s_clause 0x1
	s_load_b32 s10, s[34:35], 0x6c
	s_load_b64 s[8:9], s[34:35], 0x0
	v_add_nc_u32_e32 v38, 0xe00, v73
	s_delay_alu instid0(VALU_DEP_1)
	v_cmp_gt_u32_e64 s7, s25, v38
	s_and_saveexec_b32 s11, s7
	s_cbranch_execz .LBB180_20
; %bb.19:
	v_mul_lo_u32 v1, s26, v38
	v_mov_b32_e32 v2, 0
	s_delay_alu instid0(VALU_DEP_1) | instskip(NEXT) | instid1(VALU_DEP_1)
	v_lshlrev_b64_e32 v[1:2], 3, v[1:2]
	v_add_co_u32 v1, vcc_lo, s30, v1
	s_wait_alu 0xfffd
	s_delay_alu instid0(VALU_DEP_2)
	v_add_co_ci_u32_e64 v2, null, s31, v2, vcc_lo
	global_load_b64 v[15:16], v[1:2], off
.LBB180_20:
	s_wait_alu 0xfffe
	s_or_b32 exec_lo, exec_lo, s11
	v_lshrrev_b32_e32 v2, 2, v33
	v_dual_mov_b32 v69, 0 :: v_dual_lshlrev_b32 v72, 3, v73
	v_lshrrev_b32_e32 v1, 2, v32
	v_lshrrev_b32_e32 v19, 2, v34
	s_delay_alu instid0(VALU_DEP_4) | instskip(SKIP_1) | instid1(VALU_DEP_4)
	v_and_b32_e32 v2, 0x1f8, v2
	v_lshrrev_b32_e32 v48, 5, v73
	v_dual_mov_b32 v70, v69 :: v_dual_and_b32 v1, 0x1f8, v1
	s_delay_alu instid0(VALU_DEP_4) | instskip(NEXT) | instid1(VALU_DEP_4)
	v_and_b32_e32 v19, 0x3f8, v19
	v_add_nc_u32_e32 v108, v2, v72
	v_lshrrev_b32_e32 v2, 2, v36
	v_lshl_add_u32 v106, v48, 3, v72
	v_add_nc_u32_e32 v107, v1, v72
	v_lshrrev_b32_e32 v1, 2, v35
	v_lshrrev_b32_e32 v20, 2, v38
	v_and_b32_e32 v2, 0x3f8, v2
	s_wait_kmcnt 0x0
	s_mul_i32 s10, s10, s24
	v_mul_lo_u32 v68, s28, v73
	v_and_b32_e32 v1, 0x3f8, v1
	s_mov_b32 s11, 0
	v_dual_mov_b32 v2, v69 :: v_dual_add_nc_u32 v111, v2, v72
	v_add_nc_u32_e32 v109, v19, v72
	v_lshrrev_b32_e32 v19, 2, v37
	s_wait_loadcnt 0x0
	ds_store_b64 v106, v[17:18]
	ds_store_b64 v107, v[3:4] offset:4096
	ds_store_b64 v108, v[5:6] offset:8192
	;; [unrolled: 1-line block ×3, first 2 shown]
	v_dual_mov_b32 v7, v69 :: v_dual_and_b32 v4, 0x7f8, v20
	v_lshlrev_b32_e32 v5, 1, v73
	v_dual_mov_b32 v8, v69 :: v_dual_and_b32 v3, 0x3f8, v19
	v_mov_b32_e32 v6, v69
	v_add_nc_u32_e32 v110, v1, v72
	v_add_nc_u32_e32 v113, v4, v72
	s_delay_alu instid0(VALU_DEP_4)
	v_add_nc_u32_e32 v112, v3, v72
	ds_store_b64 v110, v[9:10] offset:16384
	ds_store_b64 v111, v[11:12] offset:20480
	;; [unrolled: 1-line block ×4, first 2 shown]
	v_dual_mov_b32 v10, v69 :: v_dual_and_b32 v1, 0x7f8, v5
	s_wait_dscnt 0x0
	s_barrier_signal -1
	s_barrier_wait -1
	global_inv scope:SCOPE_SE
	v_lshl_add_u32 v114, v73, 6, v1
	ds_load_2addr_b64 v[28:31], v114 offset1:1
	ds_load_2addr_b64 v[24:27], v114 offset0:2 offset1:3
	ds_load_2addr_b64 v[20:23], v114 offset0:4 offset1:5
	ds_load_2addr_b64 v[16:19], v114 offset0:6 offset1:7
	s_wait_alu 0xfffe
	s_add_co_i32 s10, s10, s23
	v_mov_b32_e32 v11, 0
	v_mov_b32_e32 v1, v69
	v_dual_mov_b32 v3, v69 :: v_dual_mov_b32 v4, v69
	v_mov_b32_e32 v5, v69
	v_mov_b32_e32 v9, v69
	v_dual_mov_b32 v13, v69 :: v_dual_mov_b32 v12, 0
	v_mov_b32_e32 v14, v69
	s_wait_alu 0xfffe
	s_lshl_b64 s[10:11], s[10:11], 3
	s_wait_loadcnt_dscnt 0x0
	s_wait_alu 0xfffe
	s_add_nc_u64 s[24:25], s[8:9], s[10:11]
	s_barrier_signal -1
	s_barrier_wait -1
	global_inv scope:SCOPE_SE
	s_and_saveexec_b32 s8, s0
	s_cbranch_execnz .LBB180_56
; %bb.21:
	s_wait_alu 0xfffe
	s_or_b32 exec_lo, exec_lo, s8
	s_and_saveexec_b32 s8, s1
	s_cbranch_execnz .LBB180_57
.LBB180_22:
	s_wait_alu 0xfffe
	s_or_b32 exec_lo, exec_lo, s8
	s_and_saveexec_b32 s8, s2
	s_cbranch_execnz .LBB180_58
.LBB180_23:
	s_wait_alu 0xfffe
	s_or_b32 exec_lo, exec_lo, s8
	s_and_saveexec_b32 s8, s3
	s_cbranch_execnz .LBB180_59
.LBB180_24:
	s_wait_alu 0xfffe
	s_or_b32 exec_lo, exec_lo, s8
	s_and_saveexec_b32 s8, s4
	s_cbranch_execnz .LBB180_60
.LBB180_25:
	s_wait_alu 0xfffe
	s_or_b32 exec_lo, exec_lo, s8
	s_and_saveexec_b32 s8, s5
	s_cbranch_execnz .LBB180_61
.LBB180_26:
	s_wait_alu 0xfffe
	s_or_b32 exec_lo, exec_lo, s8
	s_and_saveexec_b32 s8, s6
	s_cbranch_execnz .LBB180_62
.LBB180_27:
	s_wait_alu 0xfffe
	s_or_b32 exec_lo, exec_lo, s8
	s_xor_b32 s8, s22, -1
	s_and_saveexec_b32 s9, s7
	s_cbranch_execz .LBB180_29
.LBB180_28:
	v_mul_lo_u32 v13, s28, v38
	v_mov_b32_e32 v14, 0
	s_delay_alu instid0(VALU_DEP_1) | instskip(NEXT) | instid1(VALU_DEP_1)
	v_lshlrev_b64_e32 v[13:14], 3, v[13:14]
	v_add_co_u32 v13, vcc_lo, s24, v13
	s_wait_alu 0xfffd
	s_delay_alu instid0(VALU_DEP_2)
	v_add_co_ci_u32_e64 v14, null, s25, v14, vcc_lo
	global_load_b64 v[13:14], v[13:14], off
.LBB180_29:
	s_wait_alu 0xfffe
	s_or_b32 exec_lo, exec_lo, s9
	s_wait_loadcnt 0x0
	ds_store_b64 v106, v[11:12]
	ds_store_b64 v107, v[69:70] offset:4096
	ds_store_b64 v108, v[1:2] offset:8192
	;; [unrolled: 1-line block ×7, first 2 shown]
	s_wait_dscnt 0x0
	s_barrier_signal -1
	s_barrier_wait -1
	global_inv scope:SCOPE_SE
	ds_load_2addr_b64 v[44:47], v114 offset1:1
	ds_load_2addr_b64 v[40:43], v114 offset0:2 offset1:3
	ds_load_2addr_b64 v[36:39], v114 offset0:4 offset1:5
	;; [unrolled: 1-line block ×3, first 2 shown]
	s_and_b32 vcc_lo, exec_lo, s8
	v_bfe_u32 v120, v0, 10, 10
	v_bfe_u32 v121, v0, 20, 10
	v_ashrrev_i32_e32 v129, 31, v29
	v_ashrrev_i32_e32 v128, 31, v31
	;; [unrolled: 1-line block ×8, first 2 shown]
	v_mbcnt_lo_u32_b32 v118, -1, 0
	v_and_b32_e32 v119, 0x3e0, v73
	v_lshlrev_b32_e32 v115, 2, v72
	v_cmp_gt_u32_e64 s8, 16, v73
	v_cmp_lt_u32_e64 s9, 31, v73
	v_cmp_eq_u32_e64 s10, 0, v73
	v_lshlrev_b32_e32 v116, 2, v48
	v_mul_i32_i24_e32 v117, 0xffffffe4, v73
	s_wait_loadcnt_dscnt 0x0
	s_barrier_signal -1
	s_barrier_wait -1
	global_inv scope:SCOPE_SE
	s_wait_alu 0xfffe
	s_cbranch_vccz .LBB180_63
; %bb.30:
	v_cmp_lt_i64_e32 vcc_lo, -1, v[28:29]
	v_or_b32_e32 v14, v118, v119
	s_mov_b32 s36, 0
	s_getpc_b64 s[12:13]
	s_wait_alu 0xfffe
	s_sext_i32_i16 s13, s13
	s_add_co_u32 s12, s12, _ZN7rocprim17ROCPRIM_400000_NS16block_radix_sortIdLj512ELj8ElLj1ELj1ELj0ELNS0_26block_radix_rank_algorithmE1ELNS0_18block_padding_hintE2ELNS0_4arch9wavefront6targetE0EE19radix_bits_per_passE@rel32@lo+12
	s_wait_alu 0xfffe
	s_add_co_ci_u32 s13, s13, _ZN7rocprim17ROCPRIM_400000_NS16block_radix_sortIdLj512ELj8ElLj1ELj1ELj0ELNS0_26block_radix_rank_algorithmE1ELNS0_18block_padding_hintE2ELNS0_4arch9wavefront6targetE0EE19radix_bits_per_passE@rel32@hi+24
	s_mov_b32 s37, s36
	s_mov_b32 s38, s36
	s_wait_alu 0xfffd
	v_cndmask_b32_e64 v0, -1, 0x80000000, vcc_lo
	v_cmp_lt_i64_e32 vcc_lo, -1, v[30:31]
	v_lshlrev_b32_e32 v48, 6, v14
	s_mov_b32 s39, s36
	v_and_b32_e32 v69, 16, v118
	v_xor_b32_e32 v1, v0, v29
	v_xor_b32_e32 v0, v129, v28
	s_wait_alu 0xfffd
	v_cndmask_b32_e64 v2, -1, 0x80000000, vcc_lo
	v_cmp_lt_i64_e32 vcc_lo, -1, v[24:25]
	v_and_or_b32 v49, 0x1f00, v72, v118
	s_load_b32 s19, s[12:13], 0x0
	v_cmp_eq_u32_e64 s16, 0, v69
	v_xor_b32_e32 v3, v2, v31
	v_xor_b32_e32 v2, v128, v30
	v_cndmask_b32_e64 v4, -1, 0x80000000, vcc_lo
	v_cmp_lt_i64_e32 vcc_lo, -1, v[26:27]
	v_mov_b32_e32 v69, 0
	v_xor_b32_e32 v14, v122, v18
	v_add_nc_u32_e32 v132, -4, v116
	v_xor_b32_e32 v5, v4, v25
	v_xor_b32_e32 v4, v127, v24
	s_wait_alu 0xfffd
	v_cndmask_b32_e64 v6, -1, 0x80000000, vcc_lo
	v_cmp_lt_i64_e32 vcc_lo, -1, v[20:21]
	v_add_nc_u32_e32 v134, v115, v117
	s_mov_b32 s22, -1
	s_brev_b32 s23, -2
	v_xor_b32_e32 v7, v6, v27
	v_xor_b32_e32 v6, v126, v26
	s_wait_alu 0xfffd
	v_cndmask_b32_e64 v8, -1, 0x80000000, vcc_lo
	v_cmp_lt_i64_e32 vcc_lo, -1, v[22:23]
	ds_store_b128 v48, v[0:3]
	ds_store_b128 v48, v[4:7] offset:16
	v_sub_co_u32 v3, s12, v118, 1
	v_xor_b32_e32 v9, v8, v21
	s_wait_alu 0xfffd
	v_cndmask_b32_e64 v10, -1, 0x80000000, vcc_lo
	v_cmp_lt_i64_e32 vcc_lo, -1, v[16:17]
	v_xor_b32_e32 v8, v125, v20
	v_and_b32_e32 v2, 15, v118
	s_mov_b32 s27, 64
	v_xor_b32_e32 v11, v10, v23
	v_xor_b32_e32 v10, v124, v22
	s_wait_alu 0xfffd
	v_cndmask_b32_e64 v12, -1, 0x80000000, vcc_lo
	v_cmp_lt_i64_e32 vcc_lo, -1, v[18:19]
	v_cmp_lt_u32_e64 s13, 1, v2
	v_cmp_lt_u32_e64 s15, 7, v2
	v_mov_b32_e32 v70, 0
	v_xor_b32_e32 v13, v12, v17
	v_xor_b32_e32 v12, v123, v16
	s_wait_alu 0xfffd
	v_cndmask_b32_e64 v15, -1, 0x80000000, vcc_lo
	v_cmp_gt_i32_e32 vcc_lo, 0, v3
	v_lshlrev_b32_e32 v130, 3, v49
	s_delay_alu instid0(VALU_DEP_3)
	v_xor_b32_e32 v15, v15, v19
	ds_store_b128 v48, v[8:11] offset:32
	ds_store_b128 v48, v[12:15] offset:48
	; wave barrier
	s_wait_alu 0xfffd
	v_cndmask_b32_e32 v3, v3, v118, vcc_lo
	ds_load_2addr_b64 v[4:7], v130 offset1:32
	ds_load_2addr_b64 v[8:11], v130 offset0:64 offset1:96
	ds_load_2addr_b64 v[12:15], v130 offset0:128 offset1:160
	ds_load_2addr_b64 v[64:67], v130 offset0:192 offset1:224
	; wave barrier
	ds_store_b128 v48, v[44:47]
	ds_store_b128 v48, v[40:43] offset:16
	ds_store_b128 v48, v[36:39] offset:32
	;; [unrolled: 1-line block ×3, first 2 shown]
	; wave barrier
	ds_load_2addr_b64 v[48:51], v130 offset1:32
	ds_load_2addr_b64 v[52:55], v130 offset0:64 offset1:96
	ds_load_2addr_b64 v[56:59], v130 offset0:128 offset1:160
	;; [unrolled: 1-line block ×3, first 2 shown]
	s_wait_loadcnt_dscnt 0x0
	s_barrier_signal -1
	s_barrier_wait -1
	global_inv scope:SCOPE_SE
	s_load_b32 s11, s[20:21], 0xc
	v_lshlrev_b32_e32 v131, 2, v3
	s_wait_kmcnt 0x0
	s_lshr_b32 s14, s11, 16
	s_and_b32 s11, s11, 0xffff
	s_wait_alu 0xfffe
	v_mad_u32_u24 v0, v121, s14, v120
	v_cmp_lt_u32_e64 s14, 3, v2
	s_delay_alu instid0(VALU_DEP_2) | instskip(SKIP_2) | instid1(VALU_DEP_2)
	v_mad_co_u64_u32 v[0:1], null, v0, s11, v[73:74]
	v_min_u32_e32 v1, 0x1e0, v119
	v_cmp_eq_u32_e64 s11, 0, v2
	v_or_b32_e32 v1, 31, v1
	s_delay_alu instid0(VALU_DEP_4) | instskip(NEXT) | instid1(VALU_DEP_2)
	v_lshrrev_b32_e32 v0, 3, v0
	v_cmp_eq_u32_e64 s17, v73, v1
	s_delay_alu instid0(VALU_DEP_2)
	v_dual_mov_b32 v0, s36 :: v_dual_and_b32 v133, 0x1ffffffc, v0
	v_dual_mov_b32 v1, s37 :: v_dual_mov_b32 v2, s38
	v_mov_b32_e32 v3, s39
	s_branch .LBB180_32
.LBB180_31:                             ;   in Loop: Header=BB180_32 Depth=1
	s_wait_alu 0xfffe
	s_and_not1_b32 vcc_lo, exec_lo, s18
	s_wait_alu 0xfffe
	s_cbranch_vccz .LBB180_64
.LBB180_32:                             ; =>This Inner Loop Header: Depth=1
	v_dual_mov_b32 v75, v5 :: v_dual_mov_b32 v74, v4
	s_min_u32 s18, s19, s27
	v_mov_b32_e32 v79, v65
	s_wait_alu 0xfffe
	s_lshl_b32 s18, -1, s18
	ds_store_b128 v115, v[0:3] offset:64
	ds_store_b128 v115, v[0:3] offset:80
	v_cmp_ne_u64_e32 vcc_lo, s[22:23], v[74:75]
	s_wait_alu 0xfffe
	s_not_b32 s29, s18
	s_wait_loadcnt_dscnt 0x0
	s_barrier_signal -1
	s_barrier_wait -1
	s_wait_alu 0xfffd
	v_dual_mov_b32 v77, v67 :: v_dual_cndmask_b32 v4, 0, v74
	v_dual_cndmask_b32 v5, 0x80000000, v75 :: v_dual_mov_b32 v76, v66
	global_inv scope:SCOPE_SE
	; wave barrier
	v_lshrrev_b64 v[4:5], v69, v[4:5]
	v_dual_mov_b32 v78, v64 :: v_dual_mov_b32 v99, v13
	v_mov_b32_e32 v101, v11
	v_mov_b32_e32 v103, v9
	;; [unrolled: 1-line block ×3, first 2 shown]
	s_wait_alu 0xfffe
	v_and_b32_e32 v5, s29, v4
	v_dual_mov_b32 v81, v15 :: v_dual_mov_b32 v80, v14
	v_mov_b32_e32 v98, v12
	s_delay_alu instid0(VALU_DEP_3)
	v_dual_mov_b32 v100, v10 :: v_dual_lshlrev_b32 v67, 26, v5
	v_and_b32_e32 v4, 1, v5
	v_lshlrev_b32_e32 v14, 30, v5
	v_lshlrev_b32_e32 v15, 29, v5
	;; [unrolled: 1-line block ×4, first 2 shown]
	v_add_co_u32 v4, s18, v4, -1
	s_wait_alu 0xf1ff
	v_cndmask_b32_e64 v65, 0, 1, s18
	v_not_b32_e32 v83, v14
	v_cmp_gt_i32_e64 s18, 0, v14
	v_not_b32_e32 v14, v15
	v_lshlrev_b32_e32 v82, 25, v5
	v_cmp_ne_u32_e32 vcc_lo, 0, v65
	v_ashrrev_i32_e32 v83, 31, v83
	v_dual_mov_b32 v102, v8 :: v_dual_lshlrev_b32 v65, 24, v5
	v_ashrrev_i32_e32 v14, 31, v14
	s_wait_alu 0xfffd
	v_xor_b32_e32 v4, vcc_lo, v4
	v_cmp_gt_i32_e32 vcc_lo, 0, v15
	v_not_b32_e32 v15, v64
	s_wait_alu 0xf1ff
	v_xor_b32_e32 v83, s18, v83
	v_cmp_gt_i32_e64 s18, 0, v64
	v_and_b32_e32 v4, exec_lo, v4
	v_not_b32_e32 v64, v66
	v_ashrrev_i32_e32 v15, 31, v15
	s_wait_alu 0xfffd
	v_xor_b32_e32 v14, vcc_lo, v14
	v_cmp_gt_i32_e32 vcc_lo, 0, v66
	v_dual_mov_b32 v85, v61 :: v_dual_and_b32 v4, v4, v83
	v_not_b32_e32 v66, v67
	v_ashrrev_i32_e32 v64, 31, v64
	s_wait_alu 0xf1ff
	v_xor_b32_e32 v15, s18, v15
	v_dual_mov_b32 v87, v59 :: v_dual_and_b32 v4, v4, v14
	v_cmp_gt_i32_e64 s18, 0, v67
	v_not_b32_e32 v14, v82
	v_ashrrev_i32_e32 v66, 31, v66
	s_wait_alu 0xfffd
	v_xor_b32_e32 v64, vcc_lo, v64
	v_dual_mov_b32 v89, v57 :: v_dual_and_b32 v4, v4, v15
	v_cmp_gt_i32_e32 vcc_lo, 0, v82
	v_not_b32_e32 v15, v65
	v_ashrrev_i32_e32 v14, 31, v14
	s_wait_alu 0xf1ff
	v_xor_b32_e32 v66, s18, v66
	v_dual_mov_b32 v91, v55 :: v_dual_and_b32 v4, v4, v64
	v_cmp_gt_i32_e64 s18, 0, v65
	v_ashrrev_i32_e32 v12, 31, v15
	s_wait_alu 0xfffd
	v_xor_b32_e32 v13, vcc_lo, v14
	v_dual_mov_b32 v93, v53 :: v_dual_and_b32 v4, v4, v66
	v_dual_mov_b32 v104, v6 :: v_dual_mov_b32 v95, v51
	s_wait_alu 0xf1ff
	v_xor_b32_e32 v6, s18, v12
	s_delay_alu instid0(VALU_DEP_3) | instskip(SKIP_2) | instid1(VALU_DEP_3)
	v_dual_mov_b32 v97, v49 :: v_dual_and_b32 v4, v4, v13
	v_dual_mov_b32 v83, v63 :: v_dual_mov_b32 v82, v62
	v_lshlrev_b32_e32 v5, 6, v5
	v_and_b32_e32 v4, v4, v6
	v_mov_b32_e32 v84, v60
	v_mov_b32_e32 v86, v58
	;; [unrolled: 1-line block ×4, first 2 shown]
	v_mbcnt_lo_u32_b32 v12, v4, 0
	v_cmp_ne_u32_e64 s18, 0, v4
	v_mov_b32_e32 v92, v52
	v_mov_b32_e32 v94, v50
	;; [unrolled: 1-line block ×3, first 2 shown]
	v_cmp_eq_u32_e32 vcc_lo, 0, v12
	v_add_nc_u32_e32 v13, v133, v5
	s_and_b32 s33, s18, vcc_lo
	s_delay_alu instid0(SALU_CYCLE_1)
	s_and_saveexec_b32 s18, s33
; %bb.33:                               ;   in Loop: Header=BB180_32 Depth=1
	v_bcnt_u32_b32 v4, v4, 0
	ds_store_b32 v13, v4 offset:64
; %bb.34:                               ;   in Loop: Header=BB180_32 Depth=1
	s_wait_alu 0xfffe
	s_or_b32 exec_lo, exec_lo, s18
	v_cmp_ne_u64_e32 vcc_lo, s[22:23], v[104:105]
	; wave barrier
	s_wait_alu 0xfffd
	v_cndmask_b32_e32 v5, 0x80000000, v105, vcc_lo
	v_cndmask_b32_e32 v4, 0, v104, vcc_lo
	s_delay_alu instid0(VALU_DEP_1) | instskip(NEXT) | instid1(VALU_DEP_1)
	v_lshrrev_b64 v[4:5], v69, v[4:5]
	v_and_b32_e32 v4, s29, v4
	s_delay_alu instid0(VALU_DEP_1)
	v_and_b32_e32 v5, 1, v4
	v_lshlrev_b32_e32 v6, 30, v4
	v_lshlrev_b32_e32 v7, 29, v4
	;; [unrolled: 1-line block ×4, first 2 shown]
	v_add_co_u32 v5, s18, v5, -1
	s_wait_alu 0xf1ff
	v_cndmask_b32_e64 v9, 0, 1, s18
	v_not_b32_e32 v15, v6
	v_cmp_gt_i32_e64 s18, 0, v6
	v_not_b32_e32 v6, v7
	v_lshlrev_b32_e32 v11, 26, v4
	v_cmp_ne_u32_e32 vcc_lo, 0, v9
	v_ashrrev_i32_e32 v15, 31, v15
	v_lshlrev_b32_e32 v14, 25, v4
	v_ashrrev_i32_e32 v6, 31, v6
	v_lshlrev_b32_e32 v9, 24, v4
	s_wait_alu 0xfffd
	v_xor_b32_e32 v5, vcc_lo, v5
	v_cmp_gt_i32_e32 vcc_lo, 0, v7
	v_not_b32_e32 v7, v8
	s_wait_alu 0xf1ff
	v_xor_b32_e32 v15, s18, v15
	v_cmp_gt_i32_e64 s18, 0, v8
	v_and_b32_e32 v5, exec_lo, v5
	v_not_b32_e32 v8, v10
	v_ashrrev_i32_e32 v7, 31, v7
	s_wait_alu 0xfffd
	v_xor_b32_e32 v6, vcc_lo, v6
	v_cmp_gt_i32_e32 vcc_lo, 0, v10
	v_and_b32_e32 v5, v5, v15
	v_not_b32_e32 v10, v11
	v_ashrrev_i32_e32 v8, 31, v8
	s_wait_alu 0xf1ff
	v_xor_b32_e32 v7, s18, v7
	v_cmp_gt_i32_e64 s18, 0, v11
	v_and_b32_e32 v5, v5, v6
	v_not_b32_e32 v6, v14
	v_ashrrev_i32_e32 v10, 31, v10
	s_wait_alu 0xfffd
	v_xor_b32_e32 v8, vcc_lo, v8
	v_cmp_gt_i32_e32 vcc_lo, 0, v14
	v_and_b32_e32 v5, v5, v7
	v_not_b32_e32 v7, v9
	v_ashrrev_i32_e32 v6, 31, v6
	s_wait_alu 0xf1ff
	v_xor_b32_e32 v10, s18, v10
	v_lshlrev_b32_e32 v4, 6, v4
	v_and_b32_e32 v5, v5, v8
	v_cmp_gt_i32_e64 s18, 0, v9
	v_ashrrev_i32_e32 v7, 31, v7
	s_wait_alu 0xfffd
	v_xor_b32_e32 v6, vcc_lo, v6
	v_add_nc_u32_e32 v48, v133, v4
	v_and_b32_e32 v5, v5, v10
	s_wait_alu 0xf1ff
	v_xor_b32_e32 v4, s18, v7
	ds_load_b32 v14, v48 offset:64
	v_and_b32_e32 v5, v5, v6
	; wave barrier
	s_delay_alu instid0(VALU_DEP_1) | instskip(NEXT) | instid1(VALU_DEP_1)
	v_and_b32_e32 v4, v5, v4
	v_mbcnt_lo_u32_b32 v15, v4, 0
	v_cmp_ne_u32_e64 s18, 0, v4
	s_delay_alu instid0(VALU_DEP_2) | instskip(SKIP_1) | instid1(SALU_CYCLE_1)
	v_cmp_eq_u32_e32 vcc_lo, 0, v15
	s_and_b32 s33, s18, vcc_lo
	s_and_saveexec_b32 s18, s33
	s_cbranch_execz .LBB180_36
; %bb.35:                               ;   in Loop: Header=BB180_32 Depth=1
	s_wait_dscnt 0x0
	v_bcnt_u32_b32 v4, v4, v14
	ds_store_b32 v48, v4 offset:64
.LBB180_36:                             ;   in Loop: Header=BB180_32 Depth=1
	s_wait_alu 0xfffe
	s_or_b32 exec_lo, exec_lo, s18
	v_cmp_ne_u64_e32 vcc_lo, s[22:23], v[102:103]
	; wave barrier
	s_wait_alu 0xfffd
	v_cndmask_b32_e32 v5, 0x80000000, v103, vcc_lo
	v_cndmask_b32_e32 v4, 0, v102, vcc_lo
	s_delay_alu instid0(VALU_DEP_1) | instskip(NEXT) | instid1(VALU_DEP_1)
	v_lshrrev_b64 v[4:5], v69, v[4:5]
	v_and_b32_e32 v4, s29, v4
	s_delay_alu instid0(VALU_DEP_1)
	v_and_b32_e32 v5, 1, v4
	v_lshlrev_b32_e32 v6, 30, v4
	v_lshlrev_b32_e32 v7, 29, v4
	v_lshlrev_b32_e32 v8, 28, v4
	v_lshlrev_b32_e32 v10, 27, v4
	v_add_co_u32 v5, s18, v5, -1
	s_wait_alu 0xf1ff
	v_cndmask_b32_e64 v9, 0, 1, s18
	v_not_b32_e32 v50, v6
	v_cmp_gt_i32_e64 s18, 0, v6
	v_not_b32_e32 v6, v7
	v_lshlrev_b32_e32 v11, 26, v4
	v_cmp_ne_u32_e32 vcc_lo, 0, v9
	v_ashrrev_i32_e32 v50, 31, v50
	v_lshlrev_b32_e32 v49, 25, v4
	v_ashrrev_i32_e32 v6, 31, v6
	v_lshlrev_b32_e32 v9, 24, v4
	s_wait_alu 0xfffd
	v_xor_b32_e32 v5, vcc_lo, v5
	v_cmp_gt_i32_e32 vcc_lo, 0, v7
	v_not_b32_e32 v7, v8
	s_wait_alu 0xf1ff
	v_xor_b32_e32 v50, s18, v50
	v_cmp_gt_i32_e64 s18, 0, v8
	v_and_b32_e32 v5, exec_lo, v5
	v_not_b32_e32 v8, v10
	v_ashrrev_i32_e32 v7, 31, v7
	s_wait_alu 0xfffd
	v_xor_b32_e32 v6, vcc_lo, v6
	v_cmp_gt_i32_e32 vcc_lo, 0, v10
	v_and_b32_e32 v5, v5, v50
	v_not_b32_e32 v10, v11
	v_ashrrev_i32_e32 v8, 31, v8
	s_wait_alu 0xf1ff
	v_xor_b32_e32 v7, s18, v7
	v_cmp_gt_i32_e64 s18, 0, v11
	v_and_b32_e32 v5, v5, v6
	v_not_b32_e32 v6, v49
	v_ashrrev_i32_e32 v10, 31, v10
	s_wait_alu 0xfffd
	v_xor_b32_e32 v8, vcc_lo, v8
	v_cmp_gt_i32_e32 vcc_lo, 0, v49
	v_and_b32_e32 v5, v5, v7
	v_not_b32_e32 v7, v9
	v_ashrrev_i32_e32 v6, 31, v6
	s_wait_alu 0xf1ff
	v_xor_b32_e32 v10, s18, v10
	v_lshlrev_b32_e32 v4, 6, v4
	v_and_b32_e32 v5, v5, v8
	v_cmp_gt_i32_e64 s18, 0, v9
	v_ashrrev_i32_e32 v7, 31, v7
	s_wait_alu 0xfffd
	v_xor_b32_e32 v6, vcc_lo, v6
	v_add_nc_u32_e32 v51, v133, v4
	v_and_b32_e32 v5, v5, v10
	s_wait_alu 0xf1ff
	v_xor_b32_e32 v4, s18, v7
	ds_load_b32 v49, v51 offset:64
	v_and_b32_e32 v5, v5, v6
	; wave barrier
	s_delay_alu instid0(VALU_DEP_1) | instskip(NEXT) | instid1(VALU_DEP_1)
	v_and_b32_e32 v4, v5, v4
	v_mbcnt_lo_u32_b32 v50, v4, 0
	v_cmp_ne_u32_e64 s18, 0, v4
	s_delay_alu instid0(VALU_DEP_2) | instskip(SKIP_1) | instid1(SALU_CYCLE_1)
	v_cmp_eq_u32_e32 vcc_lo, 0, v50
	s_and_b32 s33, s18, vcc_lo
	s_and_saveexec_b32 s18, s33
	s_cbranch_execz .LBB180_38
; %bb.37:                               ;   in Loop: Header=BB180_32 Depth=1
	s_wait_dscnt 0x0
	v_bcnt_u32_b32 v4, v4, v49
	ds_store_b32 v51, v4 offset:64
.LBB180_38:                             ;   in Loop: Header=BB180_32 Depth=1
	s_wait_alu 0xfffe
	s_or_b32 exec_lo, exec_lo, s18
	v_cmp_ne_u64_e32 vcc_lo, s[22:23], v[100:101]
	; wave barrier
	s_wait_alu 0xfffd
	v_cndmask_b32_e32 v5, 0x80000000, v101, vcc_lo
	v_cndmask_b32_e32 v4, 0, v100, vcc_lo
	s_delay_alu instid0(VALU_DEP_1) | instskip(NEXT) | instid1(VALU_DEP_1)
	v_lshrrev_b64 v[4:5], v69, v[4:5]
	v_and_b32_e32 v4, s29, v4
	s_delay_alu instid0(VALU_DEP_1)
	v_and_b32_e32 v5, 1, v4
	v_lshlrev_b32_e32 v6, 30, v4
	v_lshlrev_b32_e32 v7, 29, v4
	;; [unrolled: 1-line block ×4, first 2 shown]
	v_add_co_u32 v5, s18, v5, -1
	s_wait_alu 0xf1ff
	v_cndmask_b32_e64 v9, 0, 1, s18
	v_not_b32_e32 v53, v6
	v_cmp_gt_i32_e64 s18, 0, v6
	v_not_b32_e32 v6, v7
	v_lshlrev_b32_e32 v11, 26, v4
	v_cmp_ne_u32_e32 vcc_lo, 0, v9
	v_ashrrev_i32_e32 v53, 31, v53
	v_lshlrev_b32_e32 v52, 25, v4
	v_ashrrev_i32_e32 v6, 31, v6
	v_lshlrev_b32_e32 v9, 24, v4
	s_wait_alu 0xfffd
	v_xor_b32_e32 v5, vcc_lo, v5
	v_cmp_gt_i32_e32 vcc_lo, 0, v7
	v_not_b32_e32 v7, v8
	s_wait_alu 0xf1ff
	v_xor_b32_e32 v53, s18, v53
	v_cmp_gt_i32_e64 s18, 0, v8
	v_and_b32_e32 v5, exec_lo, v5
	v_not_b32_e32 v8, v10
	v_ashrrev_i32_e32 v7, 31, v7
	s_wait_alu 0xfffd
	v_xor_b32_e32 v6, vcc_lo, v6
	v_cmp_gt_i32_e32 vcc_lo, 0, v10
	v_and_b32_e32 v5, v5, v53
	v_not_b32_e32 v10, v11
	v_ashrrev_i32_e32 v8, 31, v8
	s_wait_alu 0xf1ff
	v_xor_b32_e32 v7, s18, v7
	v_cmp_gt_i32_e64 s18, 0, v11
	v_and_b32_e32 v5, v5, v6
	v_not_b32_e32 v6, v52
	v_ashrrev_i32_e32 v10, 31, v10
	s_wait_alu 0xfffd
	v_xor_b32_e32 v8, vcc_lo, v8
	v_cmp_gt_i32_e32 vcc_lo, 0, v52
	v_and_b32_e32 v5, v5, v7
	v_not_b32_e32 v7, v9
	v_ashrrev_i32_e32 v6, 31, v6
	s_wait_alu 0xf1ff
	v_xor_b32_e32 v10, s18, v10
	v_lshlrev_b32_e32 v4, 6, v4
	v_and_b32_e32 v5, v5, v8
	v_cmp_gt_i32_e64 s18, 0, v9
	v_ashrrev_i32_e32 v7, 31, v7
	s_wait_alu 0xfffd
	v_xor_b32_e32 v6, vcc_lo, v6
	v_add_nc_u32_e32 v54, v133, v4
	v_and_b32_e32 v5, v5, v10
	s_wait_alu 0xf1ff
	v_xor_b32_e32 v4, s18, v7
	ds_load_b32 v52, v54 offset:64
	v_and_b32_e32 v5, v5, v6
	; wave barrier
	s_delay_alu instid0(VALU_DEP_1) | instskip(NEXT) | instid1(VALU_DEP_1)
	v_and_b32_e32 v4, v5, v4
	v_mbcnt_lo_u32_b32 v53, v4, 0
	v_cmp_ne_u32_e64 s18, 0, v4
	s_delay_alu instid0(VALU_DEP_2) | instskip(SKIP_1) | instid1(SALU_CYCLE_1)
	v_cmp_eq_u32_e32 vcc_lo, 0, v53
	s_and_b32 s33, s18, vcc_lo
	s_and_saveexec_b32 s18, s33
	s_cbranch_execz .LBB180_40
; %bb.39:                               ;   in Loop: Header=BB180_32 Depth=1
	s_wait_dscnt 0x0
	v_bcnt_u32_b32 v4, v4, v52
	ds_store_b32 v54, v4 offset:64
.LBB180_40:                             ;   in Loop: Header=BB180_32 Depth=1
	s_wait_alu 0xfffe
	s_or_b32 exec_lo, exec_lo, s18
	v_cmp_ne_u64_e32 vcc_lo, s[22:23], v[98:99]
	; wave barrier
	s_wait_alu 0xfffd
	v_cndmask_b32_e32 v5, 0x80000000, v99, vcc_lo
	v_cndmask_b32_e32 v4, 0, v98, vcc_lo
	s_delay_alu instid0(VALU_DEP_1) | instskip(NEXT) | instid1(VALU_DEP_1)
	v_lshrrev_b64 v[4:5], v69, v[4:5]
	v_and_b32_e32 v4, s29, v4
	s_delay_alu instid0(VALU_DEP_1)
	v_and_b32_e32 v5, 1, v4
	v_lshlrev_b32_e32 v6, 30, v4
	v_lshlrev_b32_e32 v7, 29, v4
	;; [unrolled: 1-line block ×4, first 2 shown]
	v_add_co_u32 v5, s18, v5, -1
	s_wait_alu 0xf1ff
	v_cndmask_b32_e64 v9, 0, 1, s18
	v_not_b32_e32 v56, v6
	v_cmp_gt_i32_e64 s18, 0, v6
	v_not_b32_e32 v6, v7
	v_lshlrev_b32_e32 v11, 26, v4
	v_cmp_ne_u32_e32 vcc_lo, 0, v9
	v_ashrrev_i32_e32 v56, 31, v56
	v_lshlrev_b32_e32 v55, 25, v4
	v_ashrrev_i32_e32 v6, 31, v6
	v_lshlrev_b32_e32 v9, 24, v4
	s_wait_alu 0xfffd
	v_xor_b32_e32 v5, vcc_lo, v5
	v_cmp_gt_i32_e32 vcc_lo, 0, v7
	v_not_b32_e32 v7, v8
	s_wait_alu 0xf1ff
	v_xor_b32_e32 v56, s18, v56
	v_cmp_gt_i32_e64 s18, 0, v8
	v_and_b32_e32 v5, exec_lo, v5
	v_not_b32_e32 v8, v10
	v_ashrrev_i32_e32 v7, 31, v7
	s_wait_alu 0xfffd
	v_xor_b32_e32 v6, vcc_lo, v6
	v_cmp_gt_i32_e32 vcc_lo, 0, v10
	v_and_b32_e32 v5, v5, v56
	v_not_b32_e32 v10, v11
	v_ashrrev_i32_e32 v8, 31, v8
	s_wait_alu 0xf1ff
	v_xor_b32_e32 v7, s18, v7
	v_cmp_gt_i32_e64 s18, 0, v11
	v_and_b32_e32 v5, v5, v6
	v_not_b32_e32 v6, v55
	v_ashrrev_i32_e32 v10, 31, v10
	s_wait_alu 0xfffd
	v_xor_b32_e32 v8, vcc_lo, v8
	v_cmp_gt_i32_e32 vcc_lo, 0, v55
	v_and_b32_e32 v5, v5, v7
	v_not_b32_e32 v7, v9
	v_ashrrev_i32_e32 v6, 31, v6
	s_wait_alu 0xf1ff
	v_xor_b32_e32 v10, s18, v10
	v_lshlrev_b32_e32 v4, 6, v4
	v_and_b32_e32 v5, v5, v8
	v_cmp_gt_i32_e64 s18, 0, v9
	v_ashrrev_i32_e32 v7, 31, v7
	s_wait_alu 0xfffd
	v_xor_b32_e32 v6, vcc_lo, v6
	v_add_nc_u32_e32 v57, v133, v4
	v_and_b32_e32 v5, v5, v10
	s_wait_alu 0xf1ff
	v_xor_b32_e32 v4, s18, v7
	ds_load_b32 v55, v57 offset:64
	v_and_b32_e32 v5, v5, v6
	; wave barrier
	s_delay_alu instid0(VALU_DEP_1) | instskip(NEXT) | instid1(VALU_DEP_1)
	v_and_b32_e32 v4, v5, v4
	v_mbcnt_lo_u32_b32 v56, v4, 0
	v_cmp_ne_u32_e64 s18, 0, v4
	s_delay_alu instid0(VALU_DEP_2) | instskip(SKIP_1) | instid1(SALU_CYCLE_1)
	v_cmp_eq_u32_e32 vcc_lo, 0, v56
	s_and_b32 s33, s18, vcc_lo
	s_and_saveexec_b32 s18, s33
	s_cbranch_execz .LBB180_42
; %bb.41:                               ;   in Loop: Header=BB180_32 Depth=1
	s_wait_dscnt 0x0
	v_bcnt_u32_b32 v4, v4, v55
	ds_store_b32 v57, v4 offset:64
.LBB180_42:                             ;   in Loop: Header=BB180_32 Depth=1
	s_wait_alu 0xfffe
	s_or_b32 exec_lo, exec_lo, s18
	v_cmp_ne_u64_e32 vcc_lo, s[22:23], v[80:81]
	; wave barrier
	s_wait_alu 0xfffd
	v_cndmask_b32_e32 v5, 0x80000000, v81, vcc_lo
	v_cndmask_b32_e32 v4, 0, v80, vcc_lo
	s_delay_alu instid0(VALU_DEP_1) | instskip(NEXT) | instid1(VALU_DEP_1)
	v_lshrrev_b64 v[4:5], v69, v[4:5]
	v_and_b32_e32 v4, s29, v4
	s_delay_alu instid0(VALU_DEP_1)
	v_and_b32_e32 v5, 1, v4
	v_lshlrev_b32_e32 v6, 30, v4
	v_lshlrev_b32_e32 v7, 29, v4
	;; [unrolled: 1-line block ×4, first 2 shown]
	v_add_co_u32 v5, s18, v5, -1
	s_wait_alu 0xf1ff
	v_cndmask_b32_e64 v9, 0, 1, s18
	v_not_b32_e32 v59, v6
	v_cmp_gt_i32_e64 s18, 0, v6
	v_not_b32_e32 v6, v7
	v_lshlrev_b32_e32 v11, 26, v4
	v_cmp_ne_u32_e32 vcc_lo, 0, v9
	v_ashrrev_i32_e32 v59, 31, v59
	v_lshlrev_b32_e32 v58, 25, v4
	v_ashrrev_i32_e32 v6, 31, v6
	v_lshlrev_b32_e32 v9, 24, v4
	s_wait_alu 0xfffd
	v_xor_b32_e32 v5, vcc_lo, v5
	v_cmp_gt_i32_e32 vcc_lo, 0, v7
	v_not_b32_e32 v7, v8
	s_wait_alu 0xf1ff
	v_xor_b32_e32 v59, s18, v59
	v_cmp_gt_i32_e64 s18, 0, v8
	v_and_b32_e32 v5, exec_lo, v5
	v_not_b32_e32 v8, v10
	v_ashrrev_i32_e32 v7, 31, v7
	s_wait_alu 0xfffd
	v_xor_b32_e32 v6, vcc_lo, v6
	v_cmp_gt_i32_e32 vcc_lo, 0, v10
	v_and_b32_e32 v5, v5, v59
	v_not_b32_e32 v10, v11
	v_ashrrev_i32_e32 v8, 31, v8
	s_wait_alu 0xf1ff
	v_xor_b32_e32 v7, s18, v7
	v_cmp_gt_i32_e64 s18, 0, v11
	v_and_b32_e32 v5, v5, v6
	v_not_b32_e32 v6, v58
	v_ashrrev_i32_e32 v10, 31, v10
	s_wait_alu 0xfffd
	v_xor_b32_e32 v8, vcc_lo, v8
	v_cmp_gt_i32_e32 vcc_lo, 0, v58
	v_and_b32_e32 v5, v5, v7
	v_not_b32_e32 v7, v9
	v_ashrrev_i32_e32 v6, 31, v6
	s_wait_alu 0xf1ff
	v_xor_b32_e32 v10, s18, v10
	v_lshlrev_b32_e32 v4, 6, v4
	v_and_b32_e32 v5, v5, v8
	v_cmp_gt_i32_e64 s18, 0, v9
	v_ashrrev_i32_e32 v7, 31, v7
	s_wait_alu 0xfffd
	v_xor_b32_e32 v6, vcc_lo, v6
	v_add_nc_u32_e32 v60, v133, v4
	v_and_b32_e32 v5, v5, v10
	s_wait_alu 0xf1ff
	v_xor_b32_e32 v4, s18, v7
	ds_load_b32 v58, v60 offset:64
	v_and_b32_e32 v5, v5, v6
	; wave barrier
	s_delay_alu instid0(VALU_DEP_1) | instskip(NEXT) | instid1(VALU_DEP_1)
	v_and_b32_e32 v4, v5, v4
	v_mbcnt_lo_u32_b32 v59, v4, 0
	v_cmp_ne_u32_e64 s18, 0, v4
	s_delay_alu instid0(VALU_DEP_2) | instskip(SKIP_1) | instid1(SALU_CYCLE_1)
	v_cmp_eq_u32_e32 vcc_lo, 0, v59
	s_and_b32 s33, s18, vcc_lo
	s_and_saveexec_b32 s18, s33
	s_cbranch_execz .LBB180_44
; %bb.43:                               ;   in Loop: Header=BB180_32 Depth=1
	s_wait_dscnt 0x0
	v_bcnt_u32_b32 v4, v4, v58
	ds_store_b32 v60, v4 offset:64
.LBB180_44:                             ;   in Loop: Header=BB180_32 Depth=1
	s_wait_alu 0xfffe
	s_or_b32 exec_lo, exec_lo, s18
	v_cmp_ne_u64_e32 vcc_lo, s[22:23], v[78:79]
	; wave barrier
	s_wait_alu 0xfffd
	v_cndmask_b32_e32 v5, 0x80000000, v79, vcc_lo
	v_cndmask_b32_e32 v4, 0, v78, vcc_lo
	s_delay_alu instid0(VALU_DEP_1) | instskip(NEXT) | instid1(VALU_DEP_1)
	v_lshrrev_b64 v[4:5], v69, v[4:5]
	v_and_b32_e32 v4, s29, v4
	s_delay_alu instid0(VALU_DEP_1)
	v_and_b32_e32 v5, 1, v4
	v_lshlrev_b32_e32 v6, 30, v4
	v_lshlrev_b32_e32 v7, 29, v4
	;; [unrolled: 1-line block ×4, first 2 shown]
	v_add_co_u32 v5, s18, v5, -1
	s_wait_alu 0xf1ff
	v_cndmask_b32_e64 v9, 0, 1, s18
	v_not_b32_e32 v62, v6
	v_cmp_gt_i32_e64 s18, 0, v6
	v_not_b32_e32 v6, v7
	v_lshlrev_b32_e32 v11, 26, v4
	v_cmp_ne_u32_e32 vcc_lo, 0, v9
	v_ashrrev_i32_e32 v62, 31, v62
	v_lshlrev_b32_e32 v61, 25, v4
	v_ashrrev_i32_e32 v6, 31, v6
	v_lshlrev_b32_e32 v9, 24, v4
	s_wait_alu 0xfffd
	v_xor_b32_e32 v5, vcc_lo, v5
	v_cmp_gt_i32_e32 vcc_lo, 0, v7
	v_not_b32_e32 v7, v8
	s_wait_alu 0xf1ff
	v_xor_b32_e32 v62, s18, v62
	v_cmp_gt_i32_e64 s18, 0, v8
	v_and_b32_e32 v5, exec_lo, v5
	v_not_b32_e32 v8, v10
	v_ashrrev_i32_e32 v7, 31, v7
	s_wait_alu 0xfffd
	v_xor_b32_e32 v6, vcc_lo, v6
	v_cmp_gt_i32_e32 vcc_lo, 0, v10
	v_and_b32_e32 v5, v5, v62
	v_not_b32_e32 v10, v11
	v_ashrrev_i32_e32 v8, 31, v8
	s_wait_alu 0xf1ff
	v_xor_b32_e32 v7, s18, v7
	v_cmp_gt_i32_e64 s18, 0, v11
	v_and_b32_e32 v5, v5, v6
	v_not_b32_e32 v6, v61
	v_ashrrev_i32_e32 v10, 31, v10
	s_wait_alu 0xfffd
	v_xor_b32_e32 v8, vcc_lo, v8
	v_cmp_gt_i32_e32 vcc_lo, 0, v61
	v_and_b32_e32 v5, v5, v7
	v_not_b32_e32 v7, v9
	v_ashrrev_i32_e32 v6, 31, v6
	s_wait_alu 0xf1ff
	v_xor_b32_e32 v10, s18, v10
	v_lshlrev_b32_e32 v4, 6, v4
	v_and_b32_e32 v5, v5, v8
	v_cmp_gt_i32_e64 s18, 0, v9
	v_ashrrev_i32_e32 v7, 31, v7
	s_wait_alu 0xfffd
	v_xor_b32_e32 v6, vcc_lo, v6
	v_add_nc_u32_e32 v63, v133, v4
	v_and_b32_e32 v5, v5, v10
	s_wait_alu 0xf1ff
	v_xor_b32_e32 v4, s18, v7
	ds_load_b32 v61, v63 offset:64
	v_and_b32_e32 v5, v5, v6
	; wave barrier
	s_delay_alu instid0(VALU_DEP_1) | instskip(NEXT) | instid1(VALU_DEP_1)
	v_and_b32_e32 v4, v5, v4
	v_mbcnt_lo_u32_b32 v62, v4, 0
	v_cmp_ne_u32_e64 s18, 0, v4
	s_delay_alu instid0(VALU_DEP_2) | instskip(SKIP_1) | instid1(SALU_CYCLE_1)
	v_cmp_eq_u32_e32 vcc_lo, 0, v62
	s_and_b32 s33, s18, vcc_lo
	s_and_saveexec_b32 s18, s33
	s_cbranch_execz .LBB180_46
; %bb.45:                               ;   in Loop: Header=BB180_32 Depth=1
	s_wait_dscnt 0x0
	v_bcnt_u32_b32 v4, v4, v61
	ds_store_b32 v63, v4 offset:64
.LBB180_46:                             ;   in Loop: Header=BB180_32 Depth=1
	s_wait_alu 0xfffe
	s_or_b32 exec_lo, exec_lo, s18
	v_cmp_ne_u64_e32 vcc_lo, s[22:23], v[76:77]
	; wave barrier
	s_wait_alu 0xfffd
	v_cndmask_b32_e32 v5, 0x80000000, v77, vcc_lo
	v_cndmask_b32_e32 v4, 0, v76, vcc_lo
	s_delay_alu instid0(VALU_DEP_1) | instskip(NEXT) | instid1(VALU_DEP_1)
	v_lshrrev_b64 v[4:5], v69, v[4:5]
	v_and_b32_e32 v4, s29, v4
	s_delay_alu instid0(VALU_DEP_1)
	v_and_b32_e32 v5, 1, v4
	v_lshlrev_b32_e32 v6, 30, v4
	v_lshlrev_b32_e32 v7, 29, v4
	;; [unrolled: 1-line block ×4, first 2 shown]
	v_add_co_u32 v5, s18, v5, -1
	s_wait_alu 0xf1ff
	v_cndmask_b32_e64 v9, 0, 1, s18
	v_not_b32_e32 v65, v6
	v_cmp_gt_i32_e64 s18, 0, v6
	v_not_b32_e32 v6, v7
	v_lshlrev_b32_e32 v11, 26, v4
	v_cmp_ne_u32_e32 vcc_lo, 0, v9
	v_ashrrev_i32_e32 v65, 31, v65
	v_lshlrev_b32_e32 v64, 25, v4
	v_ashrrev_i32_e32 v6, 31, v6
	v_lshlrev_b32_e32 v9, 24, v4
	s_wait_alu 0xfffd
	v_xor_b32_e32 v5, vcc_lo, v5
	v_cmp_gt_i32_e32 vcc_lo, 0, v7
	v_not_b32_e32 v7, v8
	s_wait_alu 0xf1ff
	v_xor_b32_e32 v65, s18, v65
	v_cmp_gt_i32_e64 s18, 0, v8
	v_and_b32_e32 v5, exec_lo, v5
	v_not_b32_e32 v8, v10
	v_ashrrev_i32_e32 v7, 31, v7
	s_wait_alu 0xfffd
	v_xor_b32_e32 v6, vcc_lo, v6
	v_cmp_gt_i32_e32 vcc_lo, 0, v10
	v_and_b32_e32 v5, v5, v65
	v_not_b32_e32 v10, v11
	v_ashrrev_i32_e32 v8, 31, v8
	s_wait_alu 0xf1ff
	v_xor_b32_e32 v7, s18, v7
	v_cmp_gt_i32_e64 s18, 0, v11
	v_and_b32_e32 v5, v5, v6
	v_not_b32_e32 v6, v64
	v_ashrrev_i32_e32 v10, 31, v10
	s_wait_alu 0xfffd
	v_xor_b32_e32 v8, vcc_lo, v8
	v_cmp_gt_i32_e32 vcc_lo, 0, v64
	v_and_b32_e32 v5, v5, v7
	v_not_b32_e32 v7, v9
	v_ashrrev_i32_e32 v6, 31, v6
	s_wait_alu 0xf1ff
	v_xor_b32_e32 v10, s18, v10
	v_lshlrev_b32_e32 v4, 6, v4
	v_and_b32_e32 v5, v5, v8
	v_cmp_gt_i32_e64 s18, 0, v9
	v_ashrrev_i32_e32 v7, 31, v7
	s_wait_alu 0xfffd
	v_xor_b32_e32 v6, vcc_lo, v6
	v_add_nc_u32_e32 v66, v133, v4
	v_and_b32_e32 v5, v5, v10
	s_wait_alu 0xf1ff
	v_xor_b32_e32 v4, s18, v7
	ds_load_b32 v64, v66 offset:64
	v_and_b32_e32 v5, v5, v6
	; wave barrier
	s_delay_alu instid0(VALU_DEP_1) | instskip(NEXT) | instid1(VALU_DEP_1)
	v_and_b32_e32 v4, v5, v4
	v_mbcnt_lo_u32_b32 v65, v4, 0
	v_cmp_ne_u32_e64 s18, 0, v4
	s_delay_alu instid0(VALU_DEP_2)
	v_cmp_eq_u32_e32 vcc_lo, 0, v65
	s_and_b32 s29, s18, vcc_lo
	s_wait_alu 0xfffe
	s_and_saveexec_b32 s18, s29
	s_cbranch_execz .LBB180_48
; %bb.47:                               ;   in Loop: Header=BB180_32 Depth=1
	s_wait_dscnt 0x0
	v_bcnt_u32_b32 v4, v4, v64
	ds_store_b32 v66, v4 offset:64
.LBB180_48:                             ;   in Loop: Header=BB180_32 Depth=1
	s_wait_alu 0xfffe
	s_or_b32 exec_lo, exec_lo, s18
	; wave barrier
	s_wait_loadcnt_dscnt 0x0
	s_barrier_signal -1
	s_barrier_wait -1
	global_inv scope:SCOPE_SE
	ds_load_b128 v[8:11], v115 offset:64
	ds_load_b128 v[4:7], v115 offset:80
	s_wait_dscnt 0x1
	v_add_nc_u32_e32 v67, v9, v8
	s_delay_alu instid0(VALU_DEP_1) | instskip(SKIP_1) | instid1(VALU_DEP_1)
	v_add3_u32 v67, v67, v10, v11
	s_wait_dscnt 0x0
	v_add3_u32 v67, v67, v4, v5
	s_delay_alu instid0(VALU_DEP_1) | instskip(NEXT) | instid1(VALU_DEP_1)
	v_add3_u32 v7, v67, v6, v7
	v_mov_b32_dpp v67, v7 row_shr:1 row_mask:0xf bank_mask:0xf
	s_delay_alu instid0(VALU_DEP_1) | instskip(NEXT) | instid1(VALU_DEP_1)
	v_cndmask_b32_e64 v67, v67, 0, s11
	v_add_nc_u32_e32 v7, v67, v7
	s_delay_alu instid0(VALU_DEP_1) | instskip(NEXT) | instid1(VALU_DEP_1)
	v_mov_b32_dpp v67, v7 row_shr:2 row_mask:0xf bank_mask:0xf
	v_cndmask_b32_e64 v67, 0, v67, s13
	s_delay_alu instid0(VALU_DEP_1) | instskip(NEXT) | instid1(VALU_DEP_1)
	v_add_nc_u32_e32 v7, v7, v67
	v_mov_b32_dpp v67, v7 row_shr:4 row_mask:0xf bank_mask:0xf
	s_delay_alu instid0(VALU_DEP_1) | instskip(NEXT) | instid1(VALU_DEP_1)
	v_cndmask_b32_e64 v67, 0, v67, s14
	v_add_nc_u32_e32 v7, v7, v67
	s_delay_alu instid0(VALU_DEP_1) | instskip(NEXT) | instid1(VALU_DEP_1)
	v_mov_b32_dpp v67, v7 row_shr:8 row_mask:0xf bank_mask:0xf
	v_cndmask_b32_e64 v67, 0, v67, s15
	s_delay_alu instid0(VALU_DEP_1) | instskip(SKIP_3) | instid1(VALU_DEP_1)
	v_add_nc_u32_e32 v7, v7, v67
	ds_swizzle_b32 v67, v7 offset:swizzle(BROADCAST,32,15)
	s_wait_dscnt 0x0
	v_cndmask_b32_e64 v67, v67, 0, s16
	v_add_nc_u32_e32 v7, v7, v67
	s_and_saveexec_b32 s18, s17
; %bb.49:                               ;   in Loop: Header=BB180_32 Depth=1
	ds_store_b32 v116, v7
; %bb.50:                               ;   in Loop: Header=BB180_32 Depth=1
	s_wait_alu 0xfffe
	s_or_b32 exec_lo, exec_lo, s18
	s_wait_loadcnt_dscnt 0x0
	s_barrier_signal -1
	s_barrier_wait -1
	global_inv scope:SCOPE_SE
	s_and_saveexec_b32 s18, s8
	s_cbranch_execz .LBB180_52
; %bb.51:                               ;   in Loop: Header=BB180_32 Depth=1
	ds_load_b32 v67, v134
	s_wait_dscnt 0x0
	v_mov_b32_dpp v135, v67 row_shr:1 row_mask:0xf bank_mask:0xf
	s_delay_alu instid0(VALU_DEP_1) | instskip(NEXT) | instid1(VALU_DEP_1)
	v_cndmask_b32_e64 v135, v135, 0, s11
	v_add_nc_u32_e32 v67, v135, v67
	s_delay_alu instid0(VALU_DEP_1) | instskip(NEXT) | instid1(VALU_DEP_1)
	v_mov_b32_dpp v135, v67 row_shr:2 row_mask:0xf bank_mask:0xf
	v_cndmask_b32_e64 v135, 0, v135, s13
	s_delay_alu instid0(VALU_DEP_1) | instskip(NEXT) | instid1(VALU_DEP_1)
	v_add_nc_u32_e32 v67, v67, v135
	v_mov_b32_dpp v135, v67 row_shr:4 row_mask:0xf bank_mask:0xf
	s_delay_alu instid0(VALU_DEP_1) | instskip(NEXT) | instid1(VALU_DEP_1)
	v_cndmask_b32_e64 v135, 0, v135, s14
	v_add_nc_u32_e32 v67, v67, v135
	s_delay_alu instid0(VALU_DEP_1) | instskip(NEXT) | instid1(VALU_DEP_1)
	v_mov_b32_dpp v135, v67 row_shr:8 row_mask:0xf bank_mask:0xf
	v_cndmask_b32_e64 v135, 0, v135, s15
	s_delay_alu instid0(VALU_DEP_1)
	v_add_nc_u32_e32 v67, v67, v135
	ds_store_b32 v134, v67
.LBB180_52:                             ;   in Loop: Header=BB180_32 Depth=1
	s_wait_alu 0xfffe
	s_or_b32 exec_lo, exec_lo, s18
	v_mov_b32_e32 v67, 0
	s_wait_loadcnt_dscnt 0x0
	s_barrier_signal -1
	s_barrier_wait -1
	global_inv scope:SCOPE_SE
	s_and_saveexec_b32 s18, s9
; %bb.53:                               ;   in Loop: Header=BB180_32 Depth=1
	ds_load_b32 v67, v132
; %bb.54:                               ;   in Loop: Header=BB180_32 Depth=1
	s_wait_alu 0xfffe
	s_or_b32 exec_lo, exec_lo, s18
	s_wait_dscnt 0x0
	v_add_nc_u32_e32 v7, v67, v7
	v_cmp_lt_u32_e32 vcc_lo, 55, v69
	s_mov_b32 s18, -1
	ds_bpermute_b32 v7, v131, v7
	s_and_b32 vcc_lo, exec_lo, vcc_lo
	s_wait_dscnt 0x0
	v_cndmask_b32_e64 v7, v7, v67, s12
	s_delay_alu instid0(VALU_DEP_1) | instskip(NEXT) | instid1(VALU_DEP_1)
	v_cndmask_b32_e64 v7, v7, 0, s10
	v_add_nc_u32_e32 v8, v7, v8
	s_delay_alu instid0(VALU_DEP_1) | instskip(NEXT) | instid1(VALU_DEP_1)
	v_add_nc_u32_e32 v9, v8, v9
	v_add_nc_u32_e32 v10, v9, v10
	s_delay_alu instid0(VALU_DEP_1) | instskip(NEXT) | instid1(VALU_DEP_1)
	v_add_nc_u32_e32 v135, v10, v11
	;; [unrolled: 3-line block ×3, first 2 shown]
	v_add_nc_u32_e32 v138, v137, v6
	ds_store_b128 v115, v[7:10] offset:64
	ds_store_b128 v115, v[135:138] offset:80
	s_wait_loadcnt_dscnt 0x0
	s_barrier_signal -1
	s_barrier_wait -1
	global_inv scope:SCOPE_SE
	ds_load_b32 v4, v13 offset:64
	ds_load_b32 v5, v48 offset:64
	;; [unrolled: 1-line block ×8, first 2 shown]
	s_wait_dscnt 0x7
	v_add_nc_u32_e32 v142, v4, v12
	s_wait_dscnt 0x6
	v_add3_u32 v141, v15, v14, v5
	s_wait_dscnt 0x5
	v_add3_u32 v140, v50, v49, v6
	;; [unrolled: 2-line block ×7, first 2 shown]
                                        ; implicit-def: $vgpr66_vgpr67
                                        ; implicit-def: $vgpr14_vgpr15
                                        ; implicit-def: $vgpr10_vgpr11
                                        ; implicit-def: $vgpr6_vgpr7
                                        ; implicit-def: $vgpr62_vgpr63
                                        ; implicit-def: $vgpr58_vgpr59
                                        ; implicit-def: $vgpr54_vgpr55
                                        ; implicit-def: $vgpr50_vgpr51
	s_wait_alu 0xfffe
	s_cbranch_vccnz .LBB180_31
; %bb.55:                               ;   in Loop: Header=BB180_32 Depth=1
	v_lshlrev_b32_e32 v48, 3, v142
	v_lshlrev_b32_e32 v51, 3, v139
	;; [unrolled: 1-line block ×8, first 2 shown]
	s_wait_loadcnt 0x0
	s_barrier_signal -1
	s_barrier_wait -1
	global_inv scope:SCOPE_SE
	ds_store_b64 v48, v[74:75]
	ds_store_b64 v49, v[104:105]
	;; [unrolled: 1-line block ×8, first 2 shown]
	s_wait_loadcnt_dscnt 0x0
	s_barrier_signal -1
	s_barrier_wait -1
	global_inv scope:SCOPE_SE
	ds_load_2addr_b64 v[4:7], v130 offset1:32
	ds_load_2addr_b64 v[8:11], v130 offset0:64 offset1:96
	ds_load_2addr_b64 v[12:15], v130 offset0:128 offset1:160
	ds_load_2addr_b64 v[64:67], v130 offset0:192 offset1:224
	s_wait_loadcnt_dscnt 0x0
	s_barrier_signal -1
	s_barrier_wait -1
	global_inv scope:SCOPE_SE
	ds_store_b64 v48, v[96:97]
	ds_store_b64 v49, v[94:95]
	;; [unrolled: 1-line block ×8, first 2 shown]
	s_wait_loadcnt_dscnt 0x0
	s_barrier_signal -1
	s_barrier_wait -1
	global_inv scope:SCOPE_SE
	ds_load_2addr_b64 v[48:51], v130 offset1:32
	ds_load_2addr_b64 v[52:55], v130 offset0:64 offset1:96
	ds_load_2addr_b64 v[56:59], v130 offset0:128 offset1:160
	ds_load_2addr_b64 v[60:63], v130 offset0:192 offset1:224
	v_add_co_u32 v69, vcc_lo, v69, 8
	s_wait_alu 0xfffd
	v_add_co_ci_u32_e64 v70, null, 0, v70, vcc_lo
	s_add_co_i32 s27, s27, -8
	s_mov_b32 s18, 0
	s_wait_loadcnt_dscnt 0x0
	s_barrier_signal -1
	s_barrier_wait -1
	global_inv scope:SCOPE_SE
	s_branch .LBB180_31
.LBB180_56:
	v_lshlrev_b64_e32 v[1:2], 3, v[68:69]
	v_mov_b32_e32 v70, v69
	v_dual_mov_b32 v4, v69 :: v_dual_mov_b32 v5, v69
	v_dual_mov_b32 v6, v69 :: v_dual_mov_b32 v7, v69
	s_wait_alu 0xfffe
	s_delay_alu instid0(VALU_DEP_4)
	v_add_co_u32 v1, vcc_lo, s24, v1
	s_wait_alu 0xfffd
	v_add_co_ci_u32_e64 v2, null, s25, v2, vcc_lo
	v_dual_mov_b32 v8, v69 :: v_dual_mov_b32 v9, v69
	v_dual_mov_b32 v10, v69 :: v_dual_mov_b32 v13, v69
	global_load_b64 v[11:12], v[1:2], off
	v_dual_mov_b32 v1, v69 :: v_dual_mov_b32 v2, v69
	v_dual_mov_b32 v3, v69 :: v_dual_mov_b32 v14, v69
	s_or_b32 exec_lo, exec_lo, s8
	s_and_saveexec_b32 s8, s1
	s_cbranch_execz .LBB180_22
.LBB180_57:
	v_mul_lo_u32 v39, s28, v32
	v_mov_b32_e32 v40, 0
	s_delay_alu instid0(VALU_DEP_1) | instskip(NEXT) | instid1(VALU_DEP_1)
	v_lshlrev_b64_e32 v[39:40], 3, v[39:40]
	v_add_co_u32 v39, vcc_lo, s24, v39
	s_wait_alu 0xfffd
	s_delay_alu instid0(VALU_DEP_2)
	v_add_co_ci_u32_e64 v40, null, s25, v40, vcc_lo
	global_load_b64 v[69:70], v[39:40], off
	s_wait_alu 0xfffe
	s_or_b32 exec_lo, exec_lo, s8
	s_and_saveexec_b32 s8, s2
	s_cbranch_execz .LBB180_23
.LBB180_58:
	v_mul_lo_u32 v1, s28, v33
	v_mov_b32_e32 v2, 0
	s_delay_alu instid0(VALU_DEP_1) | instskip(NEXT) | instid1(VALU_DEP_1)
	v_lshlrev_b64_e32 v[1:2], 3, v[1:2]
	v_add_co_u32 v1, vcc_lo, s24, v1
	s_wait_alu 0xfffd
	s_delay_alu instid0(VALU_DEP_2)
	v_add_co_ci_u32_e64 v2, null, s25, v2, vcc_lo
	global_load_b64 v[1:2], v[1:2], off
	s_wait_alu 0xfffe
	s_or_b32 exec_lo, exec_lo, s8
	s_and_saveexec_b32 s8, s3
	s_cbranch_execz .LBB180_24
.LBB180_59:
	v_mul_lo_u32 v3, s28, v34
	v_mov_b32_e32 v4, 0
	s_delay_alu instid0(VALU_DEP_1) | instskip(NEXT) | instid1(VALU_DEP_1)
	v_lshlrev_b64_e32 v[3:4], 3, v[3:4]
	v_add_co_u32 v3, vcc_lo, s24, v3
	s_wait_alu 0xfffd
	s_delay_alu instid0(VALU_DEP_2)
	v_add_co_ci_u32_e64 v4, null, s25, v4, vcc_lo
	global_load_b64 v[3:4], v[3:4], off
	s_wait_alu 0xfffe
	s_or_b32 exec_lo, exec_lo, s8
	s_and_saveexec_b32 s8, s4
	s_cbranch_execz .LBB180_25
.LBB180_60:
	v_mul_lo_u32 v5, s28, v35
	v_mov_b32_e32 v6, 0
	s_delay_alu instid0(VALU_DEP_1) | instskip(NEXT) | instid1(VALU_DEP_1)
	v_lshlrev_b64_e32 v[5:6], 3, v[5:6]
	v_add_co_u32 v5, vcc_lo, s24, v5
	s_wait_alu 0xfffd
	s_delay_alu instid0(VALU_DEP_2)
	v_add_co_ci_u32_e64 v6, null, s25, v6, vcc_lo
	global_load_b64 v[5:6], v[5:6], off
	s_wait_alu 0xfffe
	s_or_b32 exec_lo, exec_lo, s8
	s_and_saveexec_b32 s8, s5
	s_cbranch_execz .LBB180_26
.LBB180_61:
	v_mul_lo_u32 v7, s28, v36
	v_mov_b32_e32 v8, 0
	s_delay_alu instid0(VALU_DEP_1) | instskip(NEXT) | instid1(VALU_DEP_1)
	v_lshlrev_b64_e32 v[7:8], 3, v[7:8]
	v_add_co_u32 v7, vcc_lo, s24, v7
	s_wait_alu 0xfffd
	s_delay_alu instid0(VALU_DEP_2)
	v_add_co_ci_u32_e64 v8, null, s25, v8, vcc_lo
	global_load_b64 v[7:8], v[7:8], off
	s_wait_alu 0xfffe
	s_or_b32 exec_lo, exec_lo, s8
	s_and_saveexec_b32 s8, s6
	s_cbranch_execz .LBB180_27
.LBB180_62:
	v_mul_lo_u32 v9, s28, v37
	v_mov_b32_e32 v10, 0
	s_delay_alu instid0(VALU_DEP_1) | instskip(NEXT) | instid1(VALU_DEP_1)
	v_lshlrev_b64_e32 v[9:10], 3, v[9:10]
	v_add_co_u32 v9, vcc_lo, s24, v9
	s_wait_alu 0xfffd
	s_delay_alu instid0(VALU_DEP_2)
	v_add_co_ci_u32_e64 v10, null, s25, v10, vcc_lo
	global_load_b64 v[9:10], v[9:10], off
	s_wait_alu 0xfffe
	s_or_b32 exec_lo, exec_lo, s8
	s_xor_b32 s8, s22, -1
	s_and_saveexec_b32 s9, s7
	s_cbranch_execnz .LBB180_28
	s_branch .LBB180_29
.LBB180_63:
                                        ; implicit-def: $vgpr58_vgpr59
                                        ; implicit-def: $vgpr62_vgpr63
                                        ; implicit-def: $vgpr50_vgpr51
                                        ; implicit-def: $vgpr54_vgpr55
                                        ; implicit-def: $vgpr0_vgpr1_vgpr2_vgpr3_vgpr4_vgpr5_vgpr6_vgpr7_vgpr8_vgpr9_vgpr10_vgpr11_vgpr12_vgpr13_vgpr14_vgpr15
	s_cbranch_execnz .LBB180_65
	s_branch .LBB180_92
.LBB180_64:
	v_lshlrev_b32_e32 v48, 3, v142
	v_lshlrev_b32_e32 v51, 3, v139
	;; [unrolled: 1-line block ×9, first 2 shown]
	s_wait_loadcnt 0x0
	s_barrier_signal -1
	s_barrier_wait -1
	global_inv scope:SCOPE_SE
	ds_store_b64 v48, v[74:75]
	ds_store_b64 v49, v[104:105]
	ds_store_b64 v50, v[102:103]
	ds_store_b64 v51, v[100:101]
	ds_store_b64 v52, v[98:99]
	ds_store_b64 v53, v[80:81]
	ds_store_b64 v54, v[78:79]
	ds_store_b64 v55, v[76:77]
	s_wait_loadcnt_dscnt 0x0
	s_barrier_signal -1
	s_barrier_wait -1
	global_inv scope:SCOPE_SE
	ds_load_b128 v[0:3], v56
	ds_load_b128 v[4:7], v56 offset:16
	ds_load_b128 v[8:11], v56 offset:32
	;; [unrolled: 1-line block ×3, first 2 shown]
	s_wait_loadcnt_dscnt 0x0
	s_barrier_signal -1
	s_barrier_wait -1
	global_inv scope:SCOPE_SE
	ds_store_b64 v48, v[96:97]
	ds_store_b64 v49, v[94:95]
	;; [unrolled: 1-line block ×8, first 2 shown]
	s_wait_loadcnt_dscnt 0x0
	s_barrier_signal -1
	s_barrier_wait -1
	global_inv scope:SCOPE_SE
	ds_load_b128 v[52:55], v56
	ds_load_b128 v[48:51], v56 offset:16
	v_cmp_lt_i64_e32 vcc_lo, -1, v[0:1]
	v_ashrrev_i32_e32 v66, 31, v3
	v_ashrrev_i32_e32 v57, 31, v1
	s_wait_alu 0xfffd
	v_cndmask_b32_e64 v64, 0x80000000, -1, vcc_lo
	v_cmp_lt_i64_e32 vcc_lo, -1, v[2:3]
	v_not_b32_e32 v66, v66
	v_not_b32_e32 v65, v57
	ds_load_b128 v[60:63], v56 offset:32
	ds_load_b128 v[56:59], v56 offset:48
	v_xor_b32_e32 v1, v64, v1
	v_ashrrev_i32_e32 v64, 31, v5
	s_wait_alu 0xfffd
	v_cndmask_b32_e64 v67, 0x80000000, -1, vcc_lo
	v_cmp_lt_i64_e32 vcc_lo, -1, v[4:5]
	v_xor_b32_e32 v2, v66, v2
	v_xor_b32_e32 v0, v65, v0
	v_ashrrev_i32_e32 v65, 31, v7
	v_xor_b32_e32 v3, v67, v3
	v_not_b32_e32 v64, v64
	s_wait_alu 0xfffd
	v_cndmask_b32_e64 v66, 0x80000000, -1, vcc_lo
	v_cmp_lt_i64_e32 vcc_lo, -1, v[6:7]
	v_not_b32_e32 v65, v65
	v_xor_b32_e32 v4, v64, v4
	v_ashrrev_i32_e32 v64, 31, v9
	v_xor_b32_e32 v5, v66, v5
	s_wait_alu 0xfffd
	v_cndmask_b32_e64 v67, 0x80000000, -1, vcc_lo
	v_cmp_lt_i64_e32 vcc_lo, -1, v[8:9]
	v_xor_b32_e32 v6, v65, v6
	v_not_b32_e32 v64, v64
	v_ashrrev_i32_e32 v66, 31, v11
	v_xor_b32_e32 v7, v67, v7
	s_wait_alu 0xfffd
	v_cndmask_b32_e64 v65, 0x80000000, -1, vcc_lo
	v_cmp_lt_i64_e32 vcc_lo, -1, v[10:11]
	v_xor_b32_e32 v8, v64, v8
	v_not_b32_e32 v64, v66
	v_ashrrev_i32_e32 v66, 31, v15
	v_xor_b32_e32 v9, v65, v9
	v_ashrrev_i32_e32 v65, 31, v13
	s_wait_alu 0xfffd
	v_cndmask_b32_e64 v67, 0x80000000, -1, vcc_lo
	v_cmp_lt_i64_e32 vcc_lo, -1, v[12:13]
	v_not_b32_e32 v66, v66
	v_xor_b32_e32 v10, v64, v10
	v_not_b32_e32 v65, v65
	v_xor_b32_e32 v11, v67, v11
	s_wait_alu 0xfffd
	v_cndmask_b32_e64 v67, 0x80000000, -1, vcc_lo
	v_cmp_lt_i64_e32 vcc_lo, -1, v[14:15]
	v_xor_b32_e32 v12, v65, v12
	v_xor_b32_e32 v14, v66, v14
	s_delay_alu instid0(VALU_DEP_4) | instskip(SKIP_2) | instid1(VALU_DEP_1)
	v_xor_b32_e32 v13, v67, v13
	s_wait_alu 0xfffd
	v_cndmask_b32_e64 v69, 0x80000000, -1, vcc_lo
	v_xor_b32_e32 v15, v69, v15
	s_branch .LBB180_92
.LBB180_65:
	v_cmp_gt_i64_e32 vcc_lo, 0, v[28:29]
	v_not_b32_e32 v12, v124
	v_not_b32_e32 v8, v126
	;; [unrolled: 1-line block ×4, first 2 shown]
	v_or_b32_e32 v14, v118, v119
	s_wait_alu 0xfffd
	v_cndmask_b32_e64 v0, 0x7fffffff, 0, vcc_lo
	v_cmp_gt_i64_e32 vcc_lo, 0, v[30:31]
	s_getpc_b64 s[8:9]
	s_wait_alu 0xfffe
	s_sext_i32_i16 s9, s9
	s_add_co_u32 s8, s8, _ZN7rocprim17ROCPRIM_400000_NS16block_radix_sortIdLj512ELj8ElLj1ELj1ELj0ELNS0_26block_radix_rank_algorithmE1ELNS0_18block_padding_hintE2ELNS0_4arch9wavefront6targetE0EE19radix_bits_per_passE@rel32@lo+12
	s_wait_alu 0xfffe
	s_add_co_ci_u32 s9, s9, _ZN7rocprim17ROCPRIM_400000_NS16block_radix_sortIdLj512ELj8ElLj1ELj1ELj0ELNS0_26block_radix_rank_algorithmE1ELNS0_18block_padding_hintE2ELNS0_4arch9wavefront6targetE0EE19radix_bits_per_passE@rel32@hi+24
	v_cmp_gt_u32_e64 s15, 16, v73
	s_load_b32 s19, s[8:9], 0x0
	v_xor_b32_e32 v1, v0, v29
	v_xor_b32_e32 v0, v2, v28
	v_cndmask_b32_e64 v3, 0x7fffffff, 0, vcc_lo
	v_cmp_gt_i64_e32 vcc_lo, 0, v[24:25]
	v_xor_b32_e32 v2, v4, v30
	v_not_b32_e32 v4, v127
	v_cmp_lt_u32_e64 s16, 31, v73
	v_xor_b32_e32 v3, v3, v31
	v_cmp_eq_u32_e64 s17, 0, v73
	s_wait_alu 0xfffd
	v_cndmask_b32_e64 v5, 0x7fffffff, 0, vcc_lo
	v_cmp_gt_i64_e32 vcc_lo, 0, v[26:27]
	v_xor_b32_e32 v4, v4, v24
	v_add_nc_u32_e32 v77, v115, v117
	s_delay_alu instid0(VALU_DEP_4) | instskip(SKIP_3) | instid1(VALU_DEP_2)
	v_xor_b32_e32 v5, v5, v25
	s_wait_alu 0xfffd
	v_cndmask_b32_e64 v6, 0x7fffffff, 0, vcc_lo
	v_cmp_gt_i64_e32 vcc_lo, 0, v[20:21]
	v_xor_b32_e32 v7, v6, v27
	v_xor_b32_e32 v6, v8, v26
	s_wait_alu 0xfffd
	v_cndmask_b32_e64 v9, 0x7fffffff, 0, vcc_lo
	v_cmp_gt_i64_e32 vcc_lo, 0, v[22:23]
	v_not_b32_e32 v8, v125
	s_delay_alu instid0(VALU_DEP_3)
	v_xor_b32_e32 v9, v9, v21
	s_wait_alu 0xfffd
	v_cndmask_b32_e64 v10, 0x7fffffff, 0, vcc_lo
	v_cmp_gt_i64_e32 vcc_lo, 0, v[16:17]
	v_xor_b32_e32 v8, v8, v20
	v_lshlrev_b32_e32 v20, 6, v14
	ds_store_b128 v20, v[0:3]
	ds_store_b128 v20, v[4:7] offset:16
	s_wait_alu 0xfffd
	v_cndmask_b32_e64 v13, 0x7fffffff, 0, vcc_lo
	v_xor_b32_e32 v11, v10, v23
	v_xor_b32_e32 v10, v12, v22
	v_not_b32_e32 v12, v123
	v_cmp_gt_i64_e32 vcc_lo, 0, v[18:19]
	v_xor_b32_e32 v13, v13, v17
	v_not_b32_e32 v17, v122
	v_and_b32_e32 v3, 16, v118
	v_xor_b32_e32 v12, v12, v16
	v_and_or_b32 v16, 0x1f00, v72, v118
	s_wait_alu 0xfffd
	v_cndmask_b32_e64 v15, 0x7fffffff, 0, vcc_lo
	v_xor_b32_e32 v14, v17, v18
	s_delay_alu instid0(VALU_DEP_3) | instskip(NEXT) | instid1(VALU_DEP_3)
	v_lshlrev_b32_e32 v74, 3, v16
	v_xor_b32_e32 v15, v15, v19
	ds_store_b128 v20, v[8:11] offset:32
	ds_store_b128 v20, v[12:15] offset:48
	; wave barrier
	ds_load_2addr_b64 v[4:7], v74 offset1:32
	ds_load_2addr_b64 v[8:11], v74 offset0:64 offset1:96
	ds_load_2addr_b64 v[12:15], v74 offset0:128 offset1:160
	s_wait_dscnt 0x9
	ds_load_2addr_b64 v[48:51], v74 offset0:192 offset1:224
	; wave barrier
	ds_store_b128 v20, v[44:47]
	ds_store_b128 v20, v[40:43] offset:16
	ds_store_b128 v20, v[36:39] offset:32
	ds_store_b128 v20, v[32:35] offset:48
	; wave barrier
	ds_load_2addr_b64 v[16:19], v74 offset1:32
	ds_load_2addr_b64 v[20:23], v74 offset0:64 offset1:96
	ds_load_2addr_b64 v[24:27], v74 offset0:128 offset1:160
	;; [unrolled: 1-line block ×3, first 2 shown]
	s_wait_loadcnt_dscnt 0x0
	s_barrier_signal -1
	s_barrier_wait -1
	global_inv scope:SCOPE_SE
	s_load_b32 s10, s[20:21], 0xc
	s_mov_b32 s20, 0
	s_delay_alu instid0(SALU_CYCLE_1) | instskip(SKIP_3) | instid1(VALU_DEP_1)
	s_mov_b32 s21, s20
	s_mov_b32 s22, s20
	;; [unrolled: 1-line block ×3, first 2 shown]
	v_and_b32_e32 v2, 15, v118
	v_cmp_lt_u32_e64 s9, 1, v2
	v_cmp_lt_u32_e64 s12, 7, v2
	s_wait_kmcnt 0x0
	s_lshr_b32 s11, s10, 16
	s_and_b32 s8, s10, 0xffff
	s_wait_alu 0xfffe
	v_mad_u32_u24 v0, v121, s11, v120
	v_sub_co_u32 v32, s10, v118, 1
	v_cmp_lt_u32_e64 s11, 3, v2
	s_delay_alu instid0(VALU_DEP_3) | instskip(SKIP_1) | instid1(VALU_DEP_4)
	v_mad_co_u64_u32 v[0:1], null, v0, s8, v[73:74]
	v_min_u32_e32 v1, 0x1e0, v119
	v_cmp_gt_i32_e32 vcc_lo, 0, v32
	v_cmp_eq_u32_e64 s8, 0, v2
	s_delay_alu instid0(VALU_DEP_3)
	v_or_b32_e32 v1, 31, v1
	s_wait_alu 0xfffd
	v_cndmask_b32_e32 v2, v32, v118, vcc_lo
	v_lshrrev_b32_e32 v0, 3, v0
	v_mov_b32_e32 v32, 0
	v_cmp_eq_u32_e64 s13, 0, v3
	v_cmp_eq_u32_e64 s14, v73, v1
	v_add_nc_u32_e32 v73, -4, v116
	v_lshlrev_b32_e32 v75, 2, v2
	v_and_b32_e32 v76, 0x1ffffffc, v0
	v_dual_mov_b32 v0, s20 :: v_dual_mov_b32 v33, 0
	v_dual_mov_b32 v1, s21 :: v_dual_mov_b32 v2, s22
	v_mov_b32_e32 v3, s23
	s_mov_b32 s22, 64
	s_brev_b32 s21, 1
	s_branch .LBB180_67
.LBB180_66:                             ;   in Loop: Header=BB180_67 Depth=1
	s_wait_alu 0xfffe
	s_and_not1_b32 vcc_lo, exec_lo, s18
	s_wait_alu 0xfffe
	s_cbranch_vccz .LBB180_91
.LBB180_67:                             ; =>This Inner Loop Header: Depth=1
	v_dual_mov_b32 v35, v5 :: v_dual_mov_b32 v34, v4
	s_wait_alu 0xfffe
	s_min_u32 s18, s19, s22
	v_dual_mov_b32 v70, v7 :: v_dual_mov_b32 v59, v19
	s_wait_alu 0xfffe
	s_lshl_b32 s18, -1, s18
	v_cmp_ne_u64_e32 vcc_lo, s[20:21], v[34:35]
	s_wait_alu 0xfffe
	s_not_b32 s23, s18
	v_mov_b32_e32 v58, v18
	ds_store_b128 v115, v[0:3] offset:64
	ds_store_b128 v115, v[0:3] offset:80
	s_wait_loadcnt_dscnt 0x0
	s_wait_alu 0xfffd
	v_dual_mov_b32 v36, v50 :: v_dual_cndmask_b32 v5, 0x7fffffff, v35
	v_dual_cndmask_b32 v4, -1, v34 :: v_dual_mov_b32 v37, v51
	s_barrier_signal -1
	s_barrier_wait -1
	global_inv scope:SCOPE_SE
	v_lshrrev_b64 v[4:5], v32, v[4:5]
	; wave barrier
	v_dual_mov_b32 v38, v48 :: v_dual_mov_b32 v39, v49
	v_mov_b32_e32 v63, v13
	s_wait_alu 0xfffe
	s_delay_alu instid0(VALU_DEP_3) | instskip(SKIP_2) | instid1(VALU_DEP_3)
	v_and_b32_e32 v5, s23, v4
	v_dual_mov_b32 v41, v15 :: v_dual_mov_b32 v40, v14
	v_dual_mov_b32 v65, v11 :: v_dual_mov_b32 v62, v12
	v_lshlrev_b32_e32 v15, 29, v5
	v_and_b32_e32 v4, 1, v5
	v_lshlrev_b32_e32 v14, 30, v5
	v_lshlrev_b32_e32 v42, 28, v5
	v_dual_mov_b32 v67, v9 :: v_dual_lshlrev_b32 v44, 27, v5
	s_delay_alu instid0(VALU_DEP_4)
	v_add_co_u32 v4, s18, v4, -1
	s_wait_alu 0xf1ff
	v_cndmask_b32_e64 v43, 0, 1, s18
	v_not_b32_e32 v47, v14
	v_cmp_gt_i32_e64 s18, 0, v14
	v_not_b32_e32 v14, v15
	v_dual_mov_b32 v64, v10 :: v_dual_lshlrev_b32 v45, 26, v5
	v_cmp_ne_u32_e32 vcc_lo, 0, v43
	v_ashrrev_i32_e32 v47, 31, v47
	s_delay_alu instid0(VALU_DEP_4)
	v_ashrrev_i32_e32 v14, 31, v14
	v_dual_mov_b32 v69, v6 :: v_dual_lshlrev_b32 v46, 25, v5
	s_wait_alu 0xfffd
	v_xor_b32_e32 v4, vcc_lo, v4
	v_cmp_gt_i32_e32 vcc_lo, 0, v15
	v_not_b32_e32 v15, v42
	s_wait_alu 0xf1ff
	v_xor_b32_e32 v47, s18, v47
	v_cmp_gt_i32_e64 s18, 0, v42
	v_and_b32_e32 v4, exec_lo, v4
	v_not_b32_e32 v42, v44
	v_ashrrev_i32_e32 v15, 31, v15
	s_wait_alu 0xfffd
	v_xor_b32_e32 v14, vcc_lo, v14
	v_cmp_gt_i32_e32 vcc_lo, 0, v44
	v_and_b32_e32 v4, v4, v47
	v_not_b32_e32 v44, v45
	v_ashrrev_i32_e32 v42, 31, v42
	s_wait_alu 0xf1ff
	v_xor_b32_e32 v15, s18, v15
	v_dual_mov_b32 v66, v8 :: v_dual_lshlrev_b32 v43, 24, v5
	v_and_b32_e32 v4, v4, v14
	v_cmp_gt_i32_e64 s18, 0, v45
	v_not_b32_e32 v14, v46
	v_ashrrev_i32_e32 v44, 31, v44
	s_wait_alu 0xfffd
	v_xor_b32_e32 v42, vcc_lo, v42
	v_cmp_gt_i32_e32 vcc_lo, 0, v46
	v_dual_mov_b32 v47, v27 :: v_dual_and_b32 v4, v4, v15
	v_mov_b32_e32 v53, v25
	v_not_b32_e32 v15, v43
	v_ashrrev_i32_e32 v14, 31, v14
	s_wait_alu 0xf1ff
	v_xor_b32_e32 v44, s18, v44
	v_dual_mov_b32 v55, v23 :: v_dual_and_b32 v4, v4, v42
	v_cmp_gt_i32_e64 s18, 0, v43
	v_ashrrev_i32_e32 v12, 31, v15
	s_wait_alu 0xfffd
	v_xor_b32_e32 v13, vcc_lo, v14
	v_dual_mov_b32 v57, v21 :: v_dual_and_b32 v4, v4, v44
	v_mov_b32_e32 v61, v17
	s_wait_alu 0xf1ff
	v_xor_b32_e32 v6, s18, v12
	s_delay_alu instid0(VALU_DEP_3) | instskip(SKIP_2) | instid1(VALU_DEP_3)
	v_dual_mov_b32 v43, v31 :: v_dual_and_b32 v4, v4, v13
	v_dual_mov_b32 v42, v30 :: v_dual_lshlrev_b32 v5, 6, v5
	v_dual_mov_b32 v45, v29 :: v_dual_mov_b32 v44, v28
	v_and_b32_e32 v4, v4, v6
	s_delay_alu instid0(VALU_DEP_3) | instskip(SKIP_2) | instid1(VALU_DEP_4)
	v_dual_mov_b32 v46, v26 :: v_dual_add_nc_u32 v13, v76, v5
	v_mov_b32_e32 v52, v24
	v_mov_b32_e32 v54, v22
	v_mbcnt_lo_u32_b32 v12, v4, 0
	v_cmp_ne_u32_e64 s18, 0, v4
	v_mov_b32_e32 v56, v20
	v_mov_b32_e32 v60, v16
	s_delay_alu instid0(VALU_DEP_4)
	v_cmp_eq_u32_e32 vcc_lo, 0, v12
	s_and_b32 s27, s18, vcc_lo
	s_wait_alu 0xfffe
	s_and_saveexec_b32 s18, s27
; %bb.68:                               ;   in Loop: Header=BB180_67 Depth=1
	v_bcnt_u32_b32 v4, v4, 0
	ds_store_b32 v13, v4 offset:64
; %bb.69:                               ;   in Loop: Header=BB180_67 Depth=1
	s_wait_alu 0xfffe
	s_or_b32 exec_lo, exec_lo, s18
	v_cmp_ne_u64_e32 vcc_lo, s[20:21], v[69:70]
	; wave barrier
	s_wait_alu 0xfffd
	v_cndmask_b32_e32 v5, 0x7fffffff, v70, vcc_lo
	v_cndmask_b32_e32 v4, -1, v69, vcc_lo
	s_delay_alu instid0(VALU_DEP_1) | instskip(NEXT) | instid1(VALU_DEP_1)
	v_lshrrev_b64 v[4:5], v32, v[4:5]
	v_and_b32_e32 v4, s23, v4
	s_delay_alu instid0(VALU_DEP_1)
	v_and_b32_e32 v5, 1, v4
	v_lshlrev_b32_e32 v6, 30, v4
	v_lshlrev_b32_e32 v7, 29, v4
	;; [unrolled: 1-line block ×4, first 2 shown]
	v_add_co_u32 v5, s18, v5, -1
	s_wait_alu 0xf1ff
	v_cndmask_b32_e64 v9, 0, 1, s18
	v_not_b32_e32 v15, v6
	v_cmp_gt_i32_e64 s18, 0, v6
	v_not_b32_e32 v6, v7
	v_lshlrev_b32_e32 v11, 26, v4
	v_cmp_ne_u32_e32 vcc_lo, 0, v9
	v_ashrrev_i32_e32 v15, 31, v15
	v_lshlrev_b32_e32 v14, 25, v4
	v_ashrrev_i32_e32 v6, 31, v6
	v_lshlrev_b32_e32 v9, 24, v4
	s_wait_alu 0xfffd
	v_xor_b32_e32 v5, vcc_lo, v5
	v_cmp_gt_i32_e32 vcc_lo, 0, v7
	v_not_b32_e32 v7, v8
	s_wait_alu 0xf1ff
	v_xor_b32_e32 v15, s18, v15
	v_cmp_gt_i32_e64 s18, 0, v8
	v_and_b32_e32 v5, exec_lo, v5
	v_not_b32_e32 v8, v10
	v_ashrrev_i32_e32 v7, 31, v7
	s_wait_alu 0xfffd
	v_xor_b32_e32 v6, vcc_lo, v6
	v_cmp_gt_i32_e32 vcc_lo, 0, v10
	v_and_b32_e32 v5, v5, v15
	v_not_b32_e32 v10, v11
	v_ashrrev_i32_e32 v8, 31, v8
	s_wait_alu 0xf1ff
	v_xor_b32_e32 v7, s18, v7
	v_cmp_gt_i32_e64 s18, 0, v11
	v_and_b32_e32 v5, v5, v6
	v_not_b32_e32 v6, v14
	v_ashrrev_i32_e32 v10, 31, v10
	s_wait_alu 0xfffd
	v_xor_b32_e32 v8, vcc_lo, v8
	v_cmp_gt_i32_e32 vcc_lo, 0, v14
	v_and_b32_e32 v5, v5, v7
	v_not_b32_e32 v7, v9
	v_ashrrev_i32_e32 v6, 31, v6
	s_wait_alu 0xf1ff
	v_xor_b32_e32 v10, s18, v10
	v_lshlrev_b32_e32 v4, 6, v4
	v_and_b32_e32 v5, v5, v8
	v_cmp_gt_i32_e64 s18, 0, v9
	v_ashrrev_i32_e32 v7, 31, v7
	s_wait_alu 0xfffd
	v_xor_b32_e32 v6, vcc_lo, v6
	v_add_nc_u32_e32 v16, v76, v4
	v_and_b32_e32 v5, v5, v10
	s_wait_alu 0xf1ff
	v_xor_b32_e32 v4, s18, v7
	ds_load_b32 v14, v16 offset:64
	v_and_b32_e32 v5, v5, v6
	; wave barrier
	s_delay_alu instid0(VALU_DEP_1) | instskip(NEXT) | instid1(VALU_DEP_1)
	v_and_b32_e32 v4, v5, v4
	v_mbcnt_lo_u32_b32 v15, v4, 0
	v_cmp_ne_u32_e64 s18, 0, v4
	s_delay_alu instid0(VALU_DEP_2)
	v_cmp_eq_u32_e32 vcc_lo, 0, v15
	s_and_b32 s27, s18, vcc_lo
	s_wait_alu 0xfffe
	s_and_saveexec_b32 s18, s27
	s_cbranch_execz .LBB180_71
; %bb.70:                               ;   in Loop: Header=BB180_67 Depth=1
	s_wait_dscnt 0x0
	v_bcnt_u32_b32 v4, v4, v14
	ds_store_b32 v16, v4 offset:64
.LBB180_71:                             ;   in Loop: Header=BB180_67 Depth=1
	s_wait_alu 0xfffe
	s_or_b32 exec_lo, exec_lo, s18
	v_cmp_ne_u64_e32 vcc_lo, s[20:21], v[66:67]
	; wave barrier
	s_wait_alu 0xfffd
	v_cndmask_b32_e32 v5, 0x7fffffff, v67, vcc_lo
	v_cndmask_b32_e32 v4, -1, v66, vcc_lo
	s_delay_alu instid0(VALU_DEP_1) | instskip(NEXT) | instid1(VALU_DEP_1)
	v_lshrrev_b64 v[4:5], v32, v[4:5]
	v_and_b32_e32 v4, s23, v4
	s_delay_alu instid0(VALU_DEP_1)
	v_and_b32_e32 v5, 1, v4
	v_lshlrev_b32_e32 v6, 30, v4
	v_lshlrev_b32_e32 v7, 29, v4
	;; [unrolled: 1-line block ×4, first 2 shown]
	v_add_co_u32 v5, s18, v5, -1
	s_wait_alu 0xf1ff
	v_cndmask_b32_e64 v9, 0, 1, s18
	v_not_b32_e32 v18, v6
	v_cmp_gt_i32_e64 s18, 0, v6
	v_not_b32_e32 v6, v7
	v_lshlrev_b32_e32 v11, 26, v4
	v_cmp_ne_u32_e32 vcc_lo, 0, v9
	v_ashrrev_i32_e32 v18, 31, v18
	v_lshlrev_b32_e32 v17, 25, v4
	v_ashrrev_i32_e32 v6, 31, v6
	v_lshlrev_b32_e32 v9, 24, v4
	s_wait_alu 0xfffd
	v_xor_b32_e32 v5, vcc_lo, v5
	v_cmp_gt_i32_e32 vcc_lo, 0, v7
	v_not_b32_e32 v7, v8
	s_wait_alu 0xf1ff
	v_xor_b32_e32 v18, s18, v18
	v_cmp_gt_i32_e64 s18, 0, v8
	v_and_b32_e32 v5, exec_lo, v5
	v_not_b32_e32 v8, v10
	v_ashrrev_i32_e32 v7, 31, v7
	s_wait_alu 0xfffd
	v_xor_b32_e32 v6, vcc_lo, v6
	v_cmp_gt_i32_e32 vcc_lo, 0, v10
	v_and_b32_e32 v5, v5, v18
	v_not_b32_e32 v10, v11
	v_ashrrev_i32_e32 v8, 31, v8
	s_wait_alu 0xf1ff
	v_xor_b32_e32 v7, s18, v7
	v_cmp_gt_i32_e64 s18, 0, v11
	v_and_b32_e32 v5, v5, v6
	v_not_b32_e32 v6, v17
	v_ashrrev_i32_e32 v10, 31, v10
	s_wait_alu 0xfffd
	v_xor_b32_e32 v8, vcc_lo, v8
	v_cmp_gt_i32_e32 vcc_lo, 0, v17
	v_and_b32_e32 v5, v5, v7
	v_not_b32_e32 v7, v9
	v_ashrrev_i32_e32 v6, 31, v6
	s_wait_alu 0xf1ff
	v_xor_b32_e32 v10, s18, v10
	v_lshlrev_b32_e32 v4, 6, v4
	v_and_b32_e32 v5, v5, v8
	v_cmp_gt_i32_e64 s18, 0, v9
	v_ashrrev_i32_e32 v7, 31, v7
	s_wait_alu 0xfffd
	v_xor_b32_e32 v6, vcc_lo, v6
	v_add_nc_u32_e32 v19, v76, v4
	v_and_b32_e32 v5, v5, v10
	s_wait_alu 0xf1ff
	v_xor_b32_e32 v4, s18, v7
	ds_load_b32 v17, v19 offset:64
	v_and_b32_e32 v5, v5, v6
	; wave barrier
	s_delay_alu instid0(VALU_DEP_1) | instskip(NEXT) | instid1(VALU_DEP_1)
	v_and_b32_e32 v4, v5, v4
	v_mbcnt_lo_u32_b32 v18, v4, 0
	v_cmp_ne_u32_e64 s18, 0, v4
	s_delay_alu instid0(VALU_DEP_2)
	v_cmp_eq_u32_e32 vcc_lo, 0, v18
	s_and_b32 s27, s18, vcc_lo
	s_wait_alu 0xfffe
	s_and_saveexec_b32 s18, s27
	s_cbranch_execz .LBB180_73
; %bb.72:                               ;   in Loop: Header=BB180_67 Depth=1
	s_wait_dscnt 0x0
	v_bcnt_u32_b32 v4, v4, v17
	ds_store_b32 v19, v4 offset:64
.LBB180_73:                             ;   in Loop: Header=BB180_67 Depth=1
	s_wait_alu 0xfffe
	s_or_b32 exec_lo, exec_lo, s18
	v_cmp_ne_u64_e32 vcc_lo, s[20:21], v[64:65]
	; wave barrier
	s_wait_alu 0xfffd
	v_cndmask_b32_e32 v5, 0x7fffffff, v65, vcc_lo
	v_cndmask_b32_e32 v4, -1, v64, vcc_lo
	s_delay_alu instid0(VALU_DEP_1) | instskip(NEXT) | instid1(VALU_DEP_1)
	v_lshrrev_b64 v[4:5], v32, v[4:5]
	v_and_b32_e32 v4, s23, v4
	s_delay_alu instid0(VALU_DEP_1)
	v_and_b32_e32 v5, 1, v4
	v_lshlrev_b32_e32 v6, 30, v4
	v_lshlrev_b32_e32 v7, 29, v4
	;; [unrolled: 1-line block ×4, first 2 shown]
	v_add_co_u32 v5, s18, v5, -1
	s_wait_alu 0xf1ff
	v_cndmask_b32_e64 v9, 0, 1, s18
	v_not_b32_e32 v21, v6
	v_cmp_gt_i32_e64 s18, 0, v6
	v_not_b32_e32 v6, v7
	v_lshlrev_b32_e32 v11, 26, v4
	v_cmp_ne_u32_e32 vcc_lo, 0, v9
	v_ashrrev_i32_e32 v21, 31, v21
	v_lshlrev_b32_e32 v20, 25, v4
	v_ashrrev_i32_e32 v6, 31, v6
	v_lshlrev_b32_e32 v9, 24, v4
	s_wait_alu 0xfffd
	v_xor_b32_e32 v5, vcc_lo, v5
	v_cmp_gt_i32_e32 vcc_lo, 0, v7
	v_not_b32_e32 v7, v8
	s_wait_alu 0xf1ff
	v_xor_b32_e32 v21, s18, v21
	v_cmp_gt_i32_e64 s18, 0, v8
	v_and_b32_e32 v5, exec_lo, v5
	v_not_b32_e32 v8, v10
	v_ashrrev_i32_e32 v7, 31, v7
	s_wait_alu 0xfffd
	v_xor_b32_e32 v6, vcc_lo, v6
	v_cmp_gt_i32_e32 vcc_lo, 0, v10
	v_and_b32_e32 v5, v5, v21
	v_not_b32_e32 v10, v11
	v_ashrrev_i32_e32 v8, 31, v8
	s_wait_alu 0xf1ff
	v_xor_b32_e32 v7, s18, v7
	v_cmp_gt_i32_e64 s18, 0, v11
	v_and_b32_e32 v5, v5, v6
	v_not_b32_e32 v6, v20
	v_ashrrev_i32_e32 v10, 31, v10
	s_wait_alu 0xfffd
	v_xor_b32_e32 v8, vcc_lo, v8
	v_cmp_gt_i32_e32 vcc_lo, 0, v20
	v_and_b32_e32 v5, v5, v7
	v_not_b32_e32 v7, v9
	v_ashrrev_i32_e32 v6, 31, v6
	s_wait_alu 0xf1ff
	v_xor_b32_e32 v10, s18, v10
	v_lshlrev_b32_e32 v4, 6, v4
	v_and_b32_e32 v5, v5, v8
	v_cmp_gt_i32_e64 s18, 0, v9
	v_ashrrev_i32_e32 v7, 31, v7
	s_wait_alu 0xfffd
	v_xor_b32_e32 v6, vcc_lo, v6
	v_add_nc_u32_e32 v22, v76, v4
	v_and_b32_e32 v5, v5, v10
	s_wait_alu 0xf1ff
	v_xor_b32_e32 v4, s18, v7
	ds_load_b32 v20, v22 offset:64
	v_and_b32_e32 v5, v5, v6
	; wave barrier
	s_delay_alu instid0(VALU_DEP_1) | instskip(NEXT) | instid1(VALU_DEP_1)
	v_and_b32_e32 v4, v5, v4
	v_mbcnt_lo_u32_b32 v21, v4, 0
	v_cmp_ne_u32_e64 s18, 0, v4
	s_delay_alu instid0(VALU_DEP_2)
	v_cmp_eq_u32_e32 vcc_lo, 0, v21
	s_and_b32 s27, s18, vcc_lo
	s_wait_alu 0xfffe
	s_and_saveexec_b32 s18, s27
	s_cbranch_execz .LBB180_75
; %bb.74:                               ;   in Loop: Header=BB180_67 Depth=1
	s_wait_dscnt 0x0
	v_bcnt_u32_b32 v4, v4, v20
	ds_store_b32 v22, v4 offset:64
.LBB180_75:                             ;   in Loop: Header=BB180_67 Depth=1
	s_wait_alu 0xfffe
	s_or_b32 exec_lo, exec_lo, s18
	v_cmp_ne_u64_e32 vcc_lo, s[20:21], v[62:63]
	; wave barrier
	s_wait_alu 0xfffd
	v_cndmask_b32_e32 v5, 0x7fffffff, v63, vcc_lo
	v_cndmask_b32_e32 v4, -1, v62, vcc_lo
	s_delay_alu instid0(VALU_DEP_1) | instskip(NEXT) | instid1(VALU_DEP_1)
	v_lshrrev_b64 v[4:5], v32, v[4:5]
	v_and_b32_e32 v4, s23, v4
	s_delay_alu instid0(VALU_DEP_1)
	v_and_b32_e32 v5, 1, v4
	v_lshlrev_b32_e32 v6, 30, v4
	v_lshlrev_b32_e32 v7, 29, v4
	;; [unrolled: 1-line block ×4, first 2 shown]
	v_add_co_u32 v5, s18, v5, -1
	s_wait_alu 0xf1ff
	v_cndmask_b32_e64 v9, 0, 1, s18
	v_not_b32_e32 v24, v6
	v_cmp_gt_i32_e64 s18, 0, v6
	v_not_b32_e32 v6, v7
	v_lshlrev_b32_e32 v11, 26, v4
	v_cmp_ne_u32_e32 vcc_lo, 0, v9
	v_ashrrev_i32_e32 v24, 31, v24
	v_lshlrev_b32_e32 v23, 25, v4
	v_ashrrev_i32_e32 v6, 31, v6
	v_lshlrev_b32_e32 v9, 24, v4
	s_wait_alu 0xfffd
	v_xor_b32_e32 v5, vcc_lo, v5
	v_cmp_gt_i32_e32 vcc_lo, 0, v7
	v_not_b32_e32 v7, v8
	s_wait_alu 0xf1ff
	v_xor_b32_e32 v24, s18, v24
	v_cmp_gt_i32_e64 s18, 0, v8
	v_and_b32_e32 v5, exec_lo, v5
	v_not_b32_e32 v8, v10
	v_ashrrev_i32_e32 v7, 31, v7
	s_wait_alu 0xfffd
	v_xor_b32_e32 v6, vcc_lo, v6
	v_cmp_gt_i32_e32 vcc_lo, 0, v10
	v_and_b32_e32 v5, v5, v24
	v_not_b32_e32 v10, v11
	v_ashrrev_i32_e32 v8, 31, v8
	s_wait_alu 0xf1ff
	v_xor_b32_e32 v7, s18, v7
	v_cmp_gt_i32_e64 s18, 0, v11
	v_and_b32_e32 v5, v5, v6
	v_not_b32_e32 v6, v23
	v_ashrrev_i32_e32 v10, 31, v10
	s_wait_alu 0xfffd
	v_xor_b32_e32 v8, vcc_lo, v8
	v_cmp_gt_i32_e32 vcc_lo, 0, v23
	v_and_b32_e32 v5, v5, v7
	v_not_b32_e32 v7, v9
	v_ashrrev_i32_e32 v6, 31, v6
	s_wait_alu 0xf1ff
	v_xor_b32_e32 v10, s18, v10
	v_lshlrev_b32_e32 v4, 6, v4
	v_and_b32_e32 v5, v5, v8
	v_cmp_gt_i32_e64 s18, 0, v9
	v_ashrrev_i32_e32 v7, 31, v7
	s_wait_alu 0xfffd
	v_xor_b32_e32 v6, vcc_lo, v6
	v_add_nc_u32_e32 v25, v76, v4
	v_and_b32_e32 v5, v5, v10
	s_wait_alu 0xf1ff
	v_xor_b32_e32 v4, s18, v7
	ds_load_b32 v23, v25 offset:64
	v_and_b32_e32 v5, v5, v6
	; wave barrier
	s_delay_alu instid0(VALU_DEP_1) | instskip(NEXT) | instid1(VALU_DEP_1)
	v_and_b32_e32 v4, v5, v4
	v_mbcnt_lo_u32_b32 v24, v4, 0
	v_cmp_ne_u32_e64 s18, 0, v4
	s_delay_alu instid0(VALU_DEP_2)
	v_cmp_eq_u32_e32 vcc_lo, 0, v24
	s_and_b32 s27, s18, vcc_lo
	s_wait_alu 0xfffe
	s_and_saveexec_b32 s18, s27
	s_cbranch_execz .LBB180_77
; %bb.76:                               ;   in Loop: Header=BB180_67 Depth=1
	s_wait_dscnt 0x0
	v_bcnt_u32_b32 v4, v4, v23
	ds_store_b32 v25, v4 offset:64
.LBB180_77:                             ;   in Loop: Header=BB180_67 Depth=1
	s_wait_alu 0xfffe
	s_or_b32 exec_lo, exec_lo, s18
	v_cmp_ne_u64_e32 vcc_lo, s[20:21], v[40:41]
	; wave barrier
	s_wait_alu 0xfffd
	v_cndmask_b32_e32 v5, 0x7fffffff, v41, vcc_lo
	v_cndmask_b32_e32 v4, -1, v40, vcc_lo
	s_delay_alu instid0(VALU_DEP_1) | instskip(NEXT) | instid1(VALU_DEP_1)
	v_lshrrev_b64 v[4:5], v32, v[4:5]
	v_and_b32_e32 v4, s23, v4
	s_delay_alu instid0(VALU_DEP_1)
	v_and_b32_e32 v5, 1, v4
	v_lshlrev_b32_e32 v6, 30, v4
	v_lshlrev_b32_e32 v7, 29, v4
	v_lshlrev_b32_e32 v8, 28, v4
	v_lshlrev_b32_e32 v10, 27, v4
	v_add_co_u32 v5, s18, v5, -1
	s_wait_alu 0xf1ff
	v_cndmask_b32_e64 v9, 0, 1, s18
	v_not_b32_e32 v27, v6
	v_cmp_gt_i32_e64 s18, 0, v6
	v_not_b32_e32 v6, v7
	v_lshlrev_b32_e32 v11, 26, v4
	v_cmp_ne_u32_e32 vcc_lo, 0, v9
	v_ashrrev_i32_e32 v27, 31, v27
	v_lshlrev_b32_e32 v26, 25, v4
	v_ashrrev_i32_e32 v6, 31, v6
	v_lshlrev_b32_e32 v9, 24, v4
	s_wait_alu 0xfffd
	v_xor_b32_e32 v5, vcc_lo, v5
	v_cmp_gt_i32_e32 vcc_lo, 0, v7
	v_not_b32_e32 v7, v8
	s_wait_alu 0xf1ff
	v_xor_b32_e32 v27, s18, v27
	v_cmp_gt_i32_e64 s18, 0, v8
	v_and_b32_e32 v5, exec_lo, v5
	v_not_b32_e32 v8, v10
	v_ashrrev_i32_e32 v7, 31, v7
	s_wait_alu 0xfffd
	v_xor_b32_e32 v6, vcc_lo, v6
	v_cmp_gt_i32_e32 vcc_lo, 0, v10
	v_and_b32_e32 v5, v5, v27
	v_not_b32_e32 v10, v11
	v_ashrrev_i32_e32 v8, 31, v8
	s_wait_alu 0xf1ff
	v_xor_b32_e32 v7, s18, v7
	v_cmp_gt_i32_e64 s18, 0, v11
	v_and_b32_e32 v5, v5, v6
	v_not_b32_e32 v6, v26
	v_ashrrev_i32_e32 v10, 31, v10
	s_wait_alu 0xfffd
	v_xor_b32_e32 v8, vcc_lo, v8
	v_cmp_gt_i32_e32 vcc_lo, 0, v26
	v_and_b32_e32 v5, v5, v7
	v_not_b32_e32 v7, v9
	v_ashrrev_i32_e32 v6, 31, v6
	s_wait_alu 0xf1ff
	v_xor_b32_e32 v10, s18, v10
	v_lshlrev_b32_e32 v4, 6, v4
	v_and_b32_e32 v5, v5, v8
	v_cmp_gt_i32_e64 s18, 0, v9
	v_ashrrev_i32_e32 v7, 31, v7
	s_wait_alu 0xfffd
	v_xor_b32_e32 v6, vcc_lo, v6
	v_add_nc_u32_e32 v28, v76, v4
	v_and_b32_e32 v5, v5, v10
	s_wait_alu 0xf1ff
	v_xor_b32_e32 v4, s18, v7
	ds_load_b32 v26, v28 offset:64
	v_and_b32_e32 v5, v5, v6
	; wave barrier
	s_delay_alu instid0(VALU_DEP_1) | instskip(NEXT) | instid1(VALU_DEP_1)
	v_and_b32_e32 v4, v5, v4
	v_mbcnt_lo_u32_b32 v27, v4, 0
	v_cmp_ne_u32_e64 s18, 0, v4
	s_delay_alu instid0(VALU_DEP_2)
	v_cmp_eq_u32_e32 vcc_lo, 0, v27
	s_and_b32 s27, s18, vcc_lo
	s_wait_alu 0xfffe
	s_and_saveexec_b32 s18, s27
	s_cbranch_execz .LBB180_79
; %bb.78:                               ;   in Loop: Header=BB180_67 Depth=1
	s_wait_dscnt 0x0
	v_bcnt_u32_b32 v4, v4, v26
	ds_store_b32 v28, v4 offset:64
.LBB180_79:                             ;   in Loop: Header=BB180_67 Depth=1
	s_wait_alu 0xfffe
	s_or_b32 exec_lo, exec_lo, s18
	v_cmp_ne_u64_e32 vcc_lo, s[20:21], v[38:39]
	; wave barrier
	s_wait_alu 0xfffd
	v_cndmask_b32_e32 v5, 0x7fffffff, v39, vcc_lo
	v_cndmask_b32_e32 v4, -1, v38, vcc_lo
	s_delay_alu instid0(VALU_DEP_1) | instskip(NEXT) | instid1(VALU_DEP_1)
	v_lshrrev_b64 v[4:5], v32, v[4:5]
	v_and_b32_e32 v4, s23, v4
	s_delay_alu instid0(VALU_DEP_1)
	v_and_b32_e32 v5, 1, v4
	v_lshlrev_b32_e32 v6, 30, v4
	v_lshlrev_b32_e32 v7, 29, v4
	v_lshlrev_b32_e32 v8, 28, v4
	v_lshlrev_b32_e32 v10, 27, v4
	v_add_co_u32 v5, s18, v5, -1
	s_wait_alu 0xf1ff
	v_cndmask_b32_e64 v9, 0, 1, s18
	v_not_b32_e32 v30, v6
	v_cmp_gt_i32_e64 s18, 0, v6
	v_not_b32_e32 v6, v7
	v_lshlrev_b32_e32 v11, 26, v4
	v_cmp_ne_u32_e32 vcc_lo, 0, v9
	v_ashrrev_i32_e32 v30, 31, v30
	v_lshlrev_b32_e32 v29, 25, v4
	v_ashrrev_i32_e32 v6, 31, v6
	v_lshlrev_b32_e32 v9, 24, v4
	s_wait_alu 0xfffd
	v_xor_b32_e32 v5, vcc_lo, v5
	v_cmp_gt_i32_e32 vcc_lo, 0, v7
	v_not_b32_e32 v7, v8
	s_wait_alu 0xf1ff
	v_xor_b32_e32 v30, s18, v30
	v_cmp_gt_i32_e64 s18, 0, v8
	v_and_b32_e32 v5, exec_lo, v5
	v_not_b32_e32 v8, v10
	v_ashrrev_i32_e32 v7, 31, v7
	s_wait_alu 0xfffd
	v_xor_b32_e32 v6, vcc_lo, v6
	v_cmp_gt_i32_e32 vcc_lo, 0, v10
	v_and_b32_e32 v5, v5, v30
	v_not_b32_e32 v10, v11
	v_ashrrev_i32_e32 v8, 31, v8
	s_wait_alu 0xf1ff
	v_xor_b32_e32 v7, s18, v7
	v_cmp_gt_i32_e64 s18, 0, v11
	v_and_b32_e32 v5, v5, v6
	v_not_b32_e32 v6, v29
	v_ashrrev_i32_e32 v10, 31, v10
	s_wait_alu 0xfffd
	v_xor_b32_e32 v8, vcc_lo, v8
	v_cmp_gt_i32_e32 vcc_lo, 0, v29
	v_and_b32_e32 v5, v5, v7
	v_not_b32_e32 v7, v9
	v_ashrrev_i32_e32 v6, 31, v6
	s_wait_alu 0xf1ff
	v_xor_b32_e32 v10, s18, v10
	v_lshlrev_b32_e32 v4, 6, v4
	v_and_b32_e32 v5, v5, v8
	v_cmp_gt_i32_e64 s18, 0, v9
	v_ashrrev_i32_e32 v7, 31, v7
	s_wait_alu 0xfffd
	v_xor_b32_e32 v6, vcc_lo, v6
	v_add_nc_u32_e32 v31, v76, v4
	v_and_b32_e32 v5, v5, v10
	s_wait_alu 0xf1ff
	v_xor_b32_e32 v4, s18, v7
	ds_load_b32 v29, v31 offset:64
	v_and_b32_e32 v5, v5, v6
	; wave barrier
	s_delay_alu instid0(VALU_DEP_1) | instskip(NEXT) | instid1(VALU_DEP_1)
	v_and_b32_e32 v4, v5, v4
	v_mbcnt_lo_u32_b32 v30, v4, 0
	v_cmp_ne_u32_e64 s18, 0, v4
	s_delay_alu instid0(VALU_DEP_2)
	v_cmp_eq_u32_e32 vcc_lo, 0, v30
	s_and_b32 s27, s18, vcc_lo
	s_wait_alu 0xfffe
	s_and_saveexec_b32 s18, s27
	s_cbranch_execz .LBB180_81
; %bb.80:                               ;   in Loop: Header=BB180_67 Depth=1
	s_wait_dscnt 0x0
	v_bcnt_u32_b32 v4, v4, v29
	ds_store_b32 v31, v4 offset:64
.LBB180_81:                             ;   in Loop: Header=BB180_67 Depth=1
	s_wait_alu 0xfffe
	s_or_b32 exec_lo, exec_lo, s18
	v_cmp_ne_u64_e32 vcc_lo, s[20:21], v[36:37]
	; wave barrier
	s_wait_alu 0xfffd
	v_cndmask_b32_e32 v5, 0x7fffffff, v37, vcc_lo
	v_cndmask_b32_e32 v4, -1, v36, vcc_lo
	s_delay_alu instid0(VALU_DEP_1) | instskip(NEXT) | instid1(VALU_DEP_1)
	v_lshrrev_b64 v[4:5], v32, v[4:5]
	v_and_b32_e32 v4, s23, v4
	s_delay_alu instid0(VALU_DEP_1)
	v_and_b32_e32 v5, 1, v4
	v_lshlrev_b32_e32 v6, 30, v4
	v_lshlrev_b32_e32 v7, 29, v4
	;; [unrolled: 1-line block ×4, first 2 shown]
	v_add_co_u32 v5, s18, v5, -1
	s_wait_alu 0xf1ff
	v_cndmask_b32_e64 v9, 0, 1, s18
	v_not_b32_e32 v49, v6
	v_cmp_gt_i32_e64 s18, 0, v6
	v_not_b32_e32 v6, v7
	v_lshlrev_b32_e32 v11, 26, v4
	v_cmp_ne_u32_e32 vcc_lo, 0, v9
	v_ashrrev_i32_e32 v49, 31, v49
	v_lshlrev_b32_e32 v48, 25, v4
	v_ashrrev_i32_e32 v6, 31, v6
	v_lshlrev_b32_e32 v9, 24, v4
	s_wait_alu 0xfffd
	v_xor_b32_e32 v5, vcc_lo, v5
	v_cmp_gt_i32_e32 vcc_lo, 0, v7
	v_not_b32_e32 v7, v8
	s_wait_alu 0xf1ff
	v_xor_b32_e32 v49, s18, v49
	v_cmp_gt_i32_e64 s18, 0, v8
	v_and_b32_e32 v5, exec_lo, v5
	v_not_b32_e32 v8, v10
	v_ashrrev_i32_e32 v7, 31, v7
	s_wait_alu 0xfffd
	v_xor_b32_e32 v6, vcc_lo, v6
	v_cmp_gt_i32_e32 vcc_lo, 0, v10
	v_and_b32_e32 v5, v5, v49
	v_not_b32_e32 v10, v11
	v_ashrrev_i32_e32 v8, 31, v8
	s_wait_alu 0xf1ff
	v_xor_b32_e32 v7, s18, v7
	v_cmp_gt_i32_e64 s18, 0, v11
	v_and_b32_e32 v5, v5, v6
	v_not_b32_e32 v6, v48
	v_ashrrev_i32_e32 v10, 31, v10
	s_wait_alu 0xfffd
	v_xor_b32_e32 v8, vcc_lo, v8
	v_cmp_gt_i32_e32 vcc_lo, 0, v48
	v_and_b32_e32 v5, v5, v7
	v_not_b32_e32 v7, v9
	v_ashrrev_i32_e32 v6, 31, v6
	s_wait_alu 0xf1ff
	v_xor_b32_e32 v10, s18, v10
	v_lshlrev_b32_e32 v4, 6, v4
	v_and_b32_e32 v5, v5, v8
	v_cmp_gt_i32_e64 s18, 0, v9
	v_ashrrev_i32_e32 v7, 31, v7
	s_wait_alu 0xfffd
	v_xor_b32_e32 v6, vcc_lo, v6
	v_add_nc_u32_e32 v50, v76, v4
	v_and_b32_e32 v5, v5, v10
	s_wait_alu 0xf1ff
	v_xor_b32_e32 v4, s18, v7
	ds_load_b32 v48, v50 offset:64
	v_and_b32_e32 v5, v5, v6
	; wave barrier
	s_delay_alu instid0(VALU_DEP_1) | instskip(NEXT) | instid1(VALU_DEP_1)
	v_and_b32_e32 v4, v5, v4
	v_mbcnt_lo_u32_b32 v49, v4, 0
	v_cmp_ne_u32_e64 s18, 0, v4
	s_delay_alu instid0(VALU_DEP_2)
	v_cmp_eq_u32_e32 vcc_lo, 0, v49
	s_and_b32 s23, s18, vcc_lo
	s_wait_alu 0xfffe
	s_and_saveexec_b32 s18, s23
	s_cbranch_execz .LBB180_83
; %bb.82:                               ;   in Loop: Header=BB180_67 Depth=1
	s_wait_dscnt 0x0
	v_bcnt_u32_b32 v4, v4, v48
	ds_store_b32 v50, v4 offset:64
.LBB180_83:                             ;   in Loop: Header=BB180_67 Depth=1
	s_wait_alu 0xfffe
	s_or_b32 exec_lo, exec_lo, s18
	; wave barrier
	s_wait_loadcnt_dscnt 0x0
	s_barrier_signal -1
	s_barrier_wait -1
	global_inv scope:SCOPE_SE
	ds_load_b128 v[8:11], v115 offset:64
	ds_load_b128 v[4:7], v115 offset:80
	s_wait_dscnt 0x1
	v_add_nc_u32_e32 v51, v9, v8
	s_delay_alu instid0(VALU_DEP_1) | instskip(SKIP_1) | instid1(VALU_DEP_1)
	v_add3_u32 v51, v51, v10, v11
	s_wait_dscnt 0x0
	v_add3_u32 v51, v51, v4, v5
	s_delay_alu instid0(VALU_DEP_1) | instskip(NEXT) | instid1(VALU_DEP_1)
	v_add3_u32 v7, v51, v6, v7
	v_mov_b32_dpp v51, v7 row_shr:1 row_mask:0xf bank_mask:0xf
	s_delay_alu instid0(VALU_DEP_1) | instskip(NEXT) | instid1(VALU_DEP_1)
	v_cndmask_b32_e64 v51, v51, 0, s8
	v_add_nc_u32_e32 v7, v51, v7
	s_delay_alu instid0(VALU_DEP_1) | instskip(NEXT) | instid1(VALU_DEP_1)
	v_mov_b32_dpp v51, v7 row_shr:2 row_mask:0xf bank_mask:0xf
	v_cndmask_b32_e64 v51, 0, v51, s9
	s_delay_alu instid0(VALU_DEP_1) | instskip(NEXT) | instid1(VALU_DEP_1)
	v_add_nc_u32_e32 v7, v7, v51
	v_mov_b32_dpp v51, v7 row_shr:4 row_mask:0xf bank_mask:0xf
	s_delay_alu instid0(VALU_DEP_1) | instskip(NEXT) | instid1(VALU_DEP_1)
	v_cndmask_b32_e64 v51, 0, v51, s11
	v_add_nc_u32_e32 v7, v7, v51
	s_delay_alu instid0(VALU_DEP_1) | instskip(NEXT) | instid1(VALU_DEP_1)
	v_mov_b32_dpp v51, v7 row_shr:8 row_mask:0xf bank_mask:0xf
	v_cndmask_b32_e64 v51, 0, v51, s12
	s_delay_alu instid0(VALU_DEP_1) | instskip(SKIP_3) | instid1(VALU_DEP_1)
	v_add_nc_u32_e32 v7, v7, v51
	ds_swizzle_b32 v51, v7 offset:swizzle(BROADCAST,32,15)
	s_wait_dscnt 0x0
	v_cndmask_b32_e64 v51, v51, 0, s13
	v_add_nc_u32_e32 v7, v7, v51
	s_and_saveexec_b32 s18, s14
; %bb.84:                               ;   in Loop: Header=BB180_67 Depth=1
	ds_store_b32 v116, v7
; %bb.85:                               ;   in Loop: Header=BB180_67 Depth=1
	s_wait_alu 0xfffe
	s_or_b32 exec_lo, exec_lo, s18
	s_wait_loadcnt_dscnt 0x0
	s_barrier_signal -1
	s_barrier_wait -1
	global_inv scope:SCOPE_SE
	s_and_saveexec_b32 s18, s15
	s_cbranch_execz .LBB180_87
; %bb.86:                               ;   in Loop: Header=BB180_67 Depth=1
	ds_load_b32 v51, v77
	s_wait_dscnt 0x0
	v_mov_b32_dpp v78, v51 row_shr:1 row_mask:0xf bank_mask:0xf
	s_delay_alu instid0(VALU_DEP_1) | instskip(NEXT) | instid1(VALU_DEP_1)
	v_cndmask_b32_e64 v78, v78, 0, s8
	v_add_nc_u32_e32 v51, v78, v51
	s_delay_alu instid0(VALU_DEP_1) | instskip(NEXT) | instid1(VALU_DEP_1)
	v_mov_b32_dpp v78, v51 row_shr:2 row_mask:0xf bank_mask:0xf
	v_cndmask_b32_e64 v78, 0, v78, s9
	s_delay_alu instid0(VALU_DEP_1) | instskip(NEXT) | instid1(VALU_DEP_1)
	v_add_nc_u32_e32 v51, v51, v78
	v_mov_b32_dpp v78, v51 row_shr:4 row_mask:0xf bank_mask:0xf
	s_delay_alu instid0(VALU_DEP_1) | instskip(NEXT) | instid1(VALU_DEP_1)
	v_cndmask_b32_e64 v78, 0, v78, s11
	v_add_nc_u32_e32 v51, v51, v78
	s_delay_alu instid0(VALU_DEP_1) | instskip(NEXT) | instid1(VALU_DEP_1)
	v_mov_b32_dpp v78, v51 row_shr:8 row_mask:0xf bank_mask:0xf
	v_cndmask_b32_e64 v78, 0, v78, s12
	s_delay_alu instid0(VALU_DEP_1)
	v_add_nc_u32_e32 v51, v51, v78
	ds_store_b32 v77, v51
.LBB180_87:                             ;   in Loop: Header=BB180_67 Depth=1
	s_wait_alu 0xfffe
	s_or_b32 exec_lo, exec_lo, s18
	v_mov_b32_e32 v51, 0
	s_wait_loadcnt_dscnt 0x0
	s_barrier_signal -1
	s_barrier_wait -1
	global_inv scope:SCOPE_SE
	s_and_saveexec_b32 s18, s16
; %bb.88:                               ;   in Loop: Header=BB180_67 Depth=1
	ds_load_b32 v51, v73
; %bb.89:                               ;   in Loop: Header=BB180_67 Depth=1
	s_wait_alu 0xfffe
	s_or_b32 exec_lo, exec_lo, s18
	s_wait_dscnt 0x0
	v_add_nc_u32_e32 v7, v51, v7
	v_cmp_lt_u32_e32 vcc_lo, 55, v32
	s_mov_b32 s18, -1
	ds_bpermute_b32 v7, v75, v7
	s_and_b32 vcc_lo, exec_lo, vcc_lo
	s_wait_dscnt 0x0
	v_cndmask_b32_e64 v7, v7, v51, s10
	s_delay_alu instid0(VALU_DEP_1) | instskip(NEXT) | instid1(VALU_DEP_1)
	v_cndmask_b32_e64 v7, v7, 0, s17
	v_add_nc_u32_e32 v8, v7, v8
	s_delay_alu instid0(VALU_DEP_1) | instskip(NEXT) | instid1(VALU_DEP_1)
	v_add_nc_u32_e32 v9, v8, v9
	v_add_nc_u32_e32 v10, v9, v10
	s_delay_alu instid0(VALU_DEP_1) | instskip(NEXT) | instid1(VALU_DEP_1)
	v_add_nc_u32_e32 v78, v10, v11
	;; [unrolled: 3-line block ×3, first 2 shown]
	v_add_nc_u32_e32 v81, v80, v6
	ds_store_b128 v115, v[7:10] offset:64
	ds_store_b128 v115, v[78:81] offset:80
	s_wait_loadcnt_dscnt 0x0
	s_barrier_signal -1
	s_barrier_wait -1
	global_inv scope:SCOPE_SE
	ds_load_b32 v4, v13 offset:64
	ds_load_b32 v5, v16 offset:64
	;; [unrolled: 1-line block ×8, first 2 shown]
	s_wait_dscnt 0x7
	v_add_nc_u32_e32 v85, v4, v12
	s_wait_dscnt 0x6
	v_add3_u32 v84, v15, v14, v5
	s_wait_dscnt 0x5
	v_add3_u32 v83, v18, v17, v6
	s_wait_dscnt 0x4
	v_add3_u32 v82, v21, v20, v7
	s_wait_dscnt 0x3
	v_add3_u32 v81, v24, v23, v8
	s_wait_dscnt 0x2
	v_add3_u32 v80, v27, v26, v9
	s_wait_dscnt 0x1
	v_add3_u32 v79, v30, v29, v10
	s_wait_dscnt 0x0
	v_add3_u32 v78, v49, v48, v11
                                        ; implicit-def: $vgpr50_vgpr51
                                        ; implicit-def: $vgpr14_vgpr15
                                        ; implicit-def: $vgpr10_vgpr11
                                        ; implicit-def: $vgpr6_vgpr7
                                        ; implicit-def: $vgpr30_vgpr31
                                        ; implicit-def: $vgpr26_vgpr27
                                        ; implicit-def: $vgpr22_vgpr23
                                        ; implicit-def: $vgpr18_vgpr19
	s_wait_alu 0xfffe
	s_cbranch_vccnz .LBB180_66
; %bb.90:                               ;   in Loop: Header=BB180_67 Depth=1
	v_lshlrev_b32_e32 v16, 3, v85
	v_lshlrev_b32_e32 v19, 3, v82
	v_lshlrev_b32_e32 v17, 3, v84
	v_lshlrev_b32_e32 v20, 3, v81
	v_lshlrev_b32_e32 v18, 3, v83
	v_lshlrev_b32_e32 v21, 3, v80
	v_lshlrev_b32_e32 v22, 3, v79
	v_lshlrev_b32_e32 v23, 3, v78
	s_wait_loadcnt 0x0
	s_barrier_signal -1
	s_barrier_wait -1
	global_inv scope:SCOPE_SE
	ds_store_b64 v16, v[34:35]
	ds_store_b64 v17, v[69:70]
	;; [unrolled: 1-line block ×8, first 2 shown]
	s_wait_loadcnt_dscnt 0x0
	s_barrier_signal -1
	s_barrier_wait -1
	global_inv scope:SCOPE_SE
	ds_load_2addr_b64 v[4:7], v74 offset1:32
	ds_load_2addr_b64 v[8:11], v74 offset0:64 offset1:96
	ds_load_2addr_b64 v[12:15], v74 offset0:128 offset1:160
	;; [unrolled: 1-line block ×3, first 2 shown]
	s_wait_loadcnt_dscnt 0x0
	s_barrier_signal -1
	s_barrier_wait -1
	global_inv scope:SCOPE_SE
	ds_store_b64 v16, v[60:61]
	ds_store_b64 v17, v[58:59]
	;; [unrolled: 1-line block ×8, first 2 shown]
	s_wait_loadcnt_dscnt 0x0
	s_barrier_signal -1
	s_barrier_wait -1
	global_inv scope:SCOPE_SE
	ds_load_2addr_b64 v[16:19], v74 offset1:32
	ds_load_2addr_b64 v[20:23], v74 offset0:64 offset1:96
	ds_load_2addr_b64 v[24:27], v74 offset0:128 offset1:160
	;; [unrolled: 1-line block ×3, first 2 shown]
	v_add_co_u32 v32, vcc_lo, v32, 8
	s_wait_alu 0xfffd
	v_add_co_ci_u32_e64 v33, null, 0, v33, vcc_lo
	s_add_co_i32 s22, s22, -8
	s_mov_b32 s18, 0
	s_wait_loadcnt_dscnt 0x0
	s_barrier_signal -1
	s_barrier_wait -1
	global_inv scope:SCOPE_SE
	s_branch .LBB180_66
.LBB180_91:
	v_lshlrev_b32_e32 v16, 3, v85
	v_lshlrev_b32_e32 v19, 3, v82
	;; [unrolled: 1-line block ×9, first 2 shown]
	s_wait_loadcnt 0x0
	s_barrier_signal -1
	s_barrier_wait -1
	global_inv scope:SCOPE_SE
	ds_store_b64 v16, v[34:35]
	ds_store_b64 v17, v[69:70]
	;; [unrolled: 1-line block ×8, first 2 shown]
	s_wait_loadcnt_dscnt 0x0
	s_barrier_signal -1
	s_barrier_wait -1
	global_inv scope:SCOPE_SE
	ds_load_b128 v[0:3], v24
	ds_load_b128 v[4:7], v24 offset:16
	ds_load_b128 v[8:11], v24 offset:32
	;; [unrolled: 1-line block ×3, first 2 shown]
	s_wait_loadcnt_dscnt 0x0
	s_barrier_signal -1
	s_barrier_wait -1
	global_inv scope:SCOPE_SE
	ds_store_b64 v16, v[60:61]
	ds_store_b64 v17, v[58:59]
	;; [unrolled: 1-line block ×8, first 2 shown]
	s_wait_loadcnt_dscnt 0x0
	s_barrier_signal -1
	s_barrier_wait -1
	global_inv scope:SCOPE_SE
	ds_load_b128 v[52:55], v24
	ds_load_b128 v[48:51], v24 offset:16
	ds_load_b128 v[60:63], v24 offset:32
	;; [unrolled: 1-line block ×3, first 2 shown]
	v_cmp_gt_i64_e32 vcc_lo, 0, v[0:1]
	v_ashrrev_i32_e32 v18, 31, v3
	v_ashrrev_i32_e32 v16, 31, v1
	s_wait_alu 0xfffd
	v_cndmask_b32_e64 v17, 0x7fffffff, 0, vcc_lo
	v_cmp_gt_i64_e32 vcc_lo, 0, v[2:3]
	v_not_b32_e32 v18, v18
	v_not_b32_e32 v16, v16
	s_delay_alu instid0(VALU_DEP_4)
	v_xor_b32_e32 v1, v17, v1
	v_ashrrev_i32_e32 v17, 31, v7
	s_wait_alu 0xfffd
	v_cndmask_b32_e64 v19, 0x7fffffff, 0, vcc_lo
	v_cmp_gt_i64_e32 vcc_lo, 0, v[4:5]
	v_xor_b32_e32 v2, v18, v2
	v_xor_b32_e32 v0, v16, v0
	v_ashrrev_i32_e32 v16, 31, v5
	v_xor_b32_e32 v3, v19, v3
	v_not_b32_e32 v17, v17
	s_wait_alu 0xfffd
	v_cndmask_b32_e64 v18, 0x7fffffff, 0, vcc_lo
	v_cmp_gt_i64_e32 vcc_lo, 0, v[6:7]
	v_not_b32_e32 v16, v16
	v_xor_b32_e32 v6, v17, v6
	s_delay_alu instid0(VALU_DEP_4)
	v_xor_b32_e32 v5, v18, v5
	v_ashrrev_i32_e32 v18, 31, v11
	s_wait_alu 0xfffd
	v_cndmask_b32_e64 v19, 0x7fffffff, 0, vcc_lo
	v_cmp_gt_i64_e32 vcc_lo, 0, v[8:9]
	v_xor_b32_e32 v4, v16, v4
	v_ashrrev_i32_e32 v16, 31, v9
	s_delay_alu instid0(VALU_DEP_4) | instskip(SKIP_4) | instid1(VALU_DEP_3)
	v_xor_b32_e32 v7, v19, v7
	s_wait_alu 0xfffd
	v_cndmask_b32_e64 v17, 0x7fffffff, 0, vcc_lo
	v_cmp_gt_i64_e32 vcc_lo, 0, v[10:11]
	v_not_b32_e32 v16, v16
	v_xor_b32_e32 v9, v17, v9
	v_ashrrev_i32_e32 v17, 31, v13
	s_wait_alu 0xfffd
	v_cndmask_b32_e64 v19, 0x7fffffff, 0, vcc_lo
	v_cmp_gt_i64_e32 vcc_lo, 0, v[12:13]
	v_xor_b32_e32 v8, v16, v8
	v_not_b32_e32 v16, v18
	v_ashrrev_i32_e32 v18, 31, v15
	v_xor_b32_e32 v11, v19, v11
	v_not_b32_e32 v17, v17
	s_wait_alu 0xfffd
	v_cndmask_b32_e64 v19, 0x7fffffff, 0, vcc_lo
	v_cmp_gt_i64_e32 vcc_lo, 0, v[14:15]
	v_not_b32_e32 v18, v18
	v_xor_b32_e32 v10, v16, v10
	v_xor_b32_e32 v12, v17, v12
	v_xor_b32_e32 v13, v19, v13
	s_wait_alu 0xfffd
	v_cndmask_b32_e64 v20, 0x7fffffff, 0, vcc_lo
	v_xor_b32_e32 v14, v18, v14
	s_delay_alu instid0(VALU_DEP_2)
	v_xor_b32_e32 v15, v20, v15
.LBB180_92:
	s_wait_loadcnt_dscnt 0x0
	s_barrier_signal -1
	s_barrier_wait -1
	global_inv scope:SCOPE_SE
	ds_store_2addr_b64 v114, v[0:1], v[2:3] offset1:1
	ds_store_2addr_b64 v114, v[4:5], v[6:7] offset0:2 offset1:3
	ds_store_2addr_b64 v114, v[8:9], v[10:11] offset0:4 offset1:5
	;; [unrolled: 1-line block ×3, first 2 shown]
	s_wait_loadcnt_dscnt 0x0
	s_barrier_signal -1
	s_barrier_wait -1
	global_inv scope:SCOPE_SE
	ds_load_b64 v[14:15], v107 offset:4096
	ds_load_b64 v[12:13], v108 offset:8192
	;; [unrolled: 1-line block ×7, first 2 shown]
	v_mov_b32_e32 v72, 0
	s_delay_alu instid0(VALU_DEP_1) | instskip(NEXT) | instid1(VALU_DEP_1)
	v_lshlrev_b64_e32 v[2:3], 3, v[71:72]
	v_add_co_u32 v2, vcc_lo, s30, v2
	s_wait_alu 0xfffd
	s_delay_alu instid0(VALU_DEP_2)
	v_add_co_ci_u32_e64 v3, null, s31, v3, vcc_lo
	s_and_saveexec_b32 s8, s0
	s_cbranch_execnz .LBB180_111
; %bb.93:
	s_wait_alu 0xfffe
	s_or_b32 exec_lo, exec_lo, s8
	s_and_saveexec_b32 s8, s1
	s_cbranch_execnz .LBB180_112
.LBB180_94:
	s_wait_alu 0xfffe
	s_or_b32 exec_lo, exec_lo, s8
	s_and_saveexec_b32 s8, s2
	s_cbranch_execnz .LBB180_113
.LBB180_95:
	s_wait_alu 0xfffe
	s_or_b32 exec_lo, exec_lo, s8
	s_and_saveexec_b32 s8, s3
	s_cbranch_execnz .LBB180_114
.LBB180_96:
	s_wait_alu 0xfffe
	s_or_b32 exec_lo, exec_lo, s8
	s_and_saveexec_b32 s8, s4
	s_cbranch_execnz .LBB180_115
.LBB180_97:
	s_wait_alu 0xfffe
	s_or_b32 exec_lo, exec_lo, s8
	s_and_saveexec_b32 s8, s5
	s_cbranch_execnz .LBB180_116
.LBB180_98:
	s_wait_alu 0xfffe
	s_or_b32 exec_lo, exec_lo, s8
	s_and_saveexec_b32 s8, s6
	s_cbranch_execnz .LBB180_117
.LBB180_99:
	s_wait_alu 0xfffe
	s_or_b32 exec_lo, exec_lo, s8
	s_and_saveexec_b32 s8, s7
	s_cbranch_execz .LBB180_101
.LBB180_100:
	s_mul_i32 s10, s26, 0xe00
	s_mov_b32 s11, 0
	s_wait_alu 0xfffe
	s_lshl_b64 s[10:11], s[10:11], 3
	s_wait_alu 0xfffe
	v_add_co_u32 v2, vcc_lo, v2, s10
	s_wait_alu 0xfffd
	v_add_co_ci_u32_e64 v3, null, s11, v3, vcc_lo
	s_wait_dscnt 0x0
	global_store_b64 v[2:3], v[0:1], off
.LBB180_101:
	s_wait_alu 0xfffe
	s_or_b32 exec_lo, exec_lo, s8
	s_wait_storecnt 0x0
	s_wait_loadcnt_dscnt 0x0
	s_barrier_signal -1
	s_barrier_wait -1
	global_inv scope:SCOPE_SE
	ds_store_2addr_b64 v114, v[52:53], v[54:55] offset1:1
	ds_store_2addr_b64 v114, v[48:49], v[50:51] offset0:2 offset1:3
	ds_store_2addr_b64 v114, v[60:61], v[62:63] offset0:4 offset1:5
	;; [unrolled: 1-line block ×3, first 2 shown]
	s_wait_loadcnt_dscnt 0x0
	s_barrier_signal -1
	s_barrier_wait -1
	global_inv scope:SCOPE_SE
	ds_load_b64 v[14:15], v107 offset:4096
	ds_load_b64 v[12:13], v108 offset:8192
	;; [unrolled: 1-line block ×7, first 2 shown]
	v_mov_b32_e32 v69, 0
	s_delay_alu instid0(VALU_DEP_1) | instskip(NEXT) | instid1(VALU_DEP_1)
	v_lshlrev_b64_e32 v[2:3], 3, v[68:69]
	v_add_co_u32 v2, vcc_lo, s24, v2
	s_wait_alu 0xfffd
	s_delay_alu instid0(VALU_DEP_2)
	v_add_co_ci_u32_e64 v3, null, s25, v3, vcc_lo
	s_and_saveexec_b32 s8, s0
	s_cbranch_execnz .LBB180_118
; %bb.102:
	s_wait_alu 0xfffe
	s_or_b32 exec_lo, exec_lo, s8
	s_and_saveexec_b32 s0, s1
	s_cbranch_execnz .LBB180_119
.LBB180_103:
	s_or_b32 exec_lo, exec_lo, s0
	s_and_saveexec_b32 s0, s2
	s_cbranch_execnz .LBB180_120
.LBB180_104:
	s_or_b32 exec_lo, exec_lo, s0
	s_and_saveexec_b32 s0, s3
	s_cbranch_execnz .LBB180_121
.LBB180_105:
	s_or_b32 exec_lo, exec_lo, s0
	s_and_saveexec_b32 s0, s4
	s_cbranch_execnz .LBB180_122
.LBB180_106:
	s_or_b32 exec_lo, exec_lo, s0
	s_and_saveexec_b32 s0, s5
	s_cbranch_execnz .LBB180_123
.LBB180_107:
	s_or_b32 exec_lo, exec_lo, s0
	s_and_saveexec_b32 s0, s6
	s_cbranch_execnz .LBB180_124
.LBB180_108:
	s_or_b32 exec_lo, exec_lo, s0
	s_and_saveexec_b32 s0, s7
	s_cbranch_execz .LBB180_110
.LBB180_109:
	s_mul_i32 s0, s28, 0xe00
	s_mov_b32 s1, 0
	s_delay_alu instid0(SALU_CYCLE_1) | instskip(NEXT) | instid1(SALU_CYCLE_1)
	s_lshl_b64 s[0:1], s[0:1], 3
	v_add_co_u32 v2, vcc_lo, v2, s0
	s_wait_alu 0xfffd
	v_add_co_ci_u32_e64 v3, null, s1, v3, vcc_lo
	s_wait_dscnt 0x0
	global_store_b64 v[2:3], v[0:1], off
.LBB180_110:
	s_nop 0
	s_sendmsg sendmsg(MSG_DEALLOC_VGPRS)
	s_endpgm
.LBB180_111:
	ds_load_b64 v[16:17], v106
	s_wait_dscnt 0x0
	global_store_b64 v[2:3], v[16:17], off
	s_wait_alu 0xfffe
	s_or_b32 exec_lo, exec_lo, s8
	s_and_saveexec_b32 s8, s1
	s_cbranch_execz .LBB180_94
.LBB180_112:
	s_lshl_b32 s10, s26, 9
	s_mov_b32 s11, 0
	s_wait_alu 0xfffe
	s_lshl_b64 s[10:11], s[10:11], 3
	s_wait_alu 0xfffe
	v_add_co_u32 v16, vcc_lo, v2, s10
	s_wait_alu 0xfffd
	v_add_co_ci_u32_e64 v17, null, s11, v3, vcc_lo
	s_wait_dscnt 0x6
	global_store_b64 v[16:17], v[14:15], off
	s_or_b32 exec_lo, exec_lo, s8
	s_and_saveexec_b32 s8, s2
	s_cbranch_execz .LBB180_95
.LBB180_113:
	s_lshl_b32 s10, s26, 10
	s_mov_b32 s11, 0
	s_wait_alu 0xfffe
	s_lshl_b64 s[10:11], s[10:11], 3
	s_wait_dscnt 0x6
	s_wait_alu 0xfffe
	v_add_co_u32 v14, vcc_lo, v2, s10
	s_wait_alu 0xfffd
	v_add_co_ci_u32_e64 v15, null, s11, v3, vcc_lo
	s_wait_dscnt 0x5
	global_store_b64 v[14:15], v[12:13], off
	s_or_b32 exec_lo, exec_lo, s8
	s_and_saveexec_b32 s8, s3
	s_cbranch_execz .LBB180_96
.LBB180_114:
	s_mul_i32 s10, s26, 0x600
	s_mov_b32 s11, 0
	s_wait_alu 0xfffe
	s_lshl_b64 s[10:11], s[10:11], 3
	s_wait_dscnt 0x5
	s_wait_alu 0xfffe
	v_add_co_u32 v12, vcc_lo, v2, s10
	s_wait_alu 0xfffd
	v_add_co_ci_u32_e64 v13, null, s11, v3, vcc_lo
	s_wait_dscnt 0x4
	global_store_b64 v[12:13], v[10:11], off
	s_or_b32 exec_lo, exec_lo, s8
	s_and_saveexec_b32 s8, s4
	s_cbranch_execz .LBB180_97
.LBB180_115:
	s_lshl_b32 s10, s26, 11
	s_mov_b32 s11, 0
	s_wait_alu 0xfffe
	s_lshl_b64 s[10:11], s[10:11], 3
	s_wait_dscnt 0x4
	s_wait_alu 0xfffe
	v_add_co_u32 v10, vcc_lo, v2, s10
	s_wait_alu 0xfffd
	v_add_co_ci_u32_e64 v11, null, s11, v3, vcc_lo
	s_wait_dscnt 0x3
	global_store_b64 v[10:11], v[8:9], off
	s_or_b32 exec_lo, exec_lo, s8
	s_and_saveexec_b32 s8, s5
	s_cbranch_execz .LBB180_98
.LBB180_116:
	s_mul_i32 s10, s26, 0xa00
	s_mov_b32 s11, 0
	s_wait_alu 0xfffe
	s_lshl_b64 s[10:11], s[10:11], 3
	s_wait_dscnt 0x3
	s_wait_alu 0xfffe
	v_add_co_u32 v8, vcc_lo, v2, s10
	s_wait_alu 0xfffd
	v_add_co_ci_u32_e64 v9, null, s11, v3, vcc_lo
	s_wait_dscnt 0x2
	global_store_b64 v[8:9], v[6:7], off
	s_or_b32 exec_lo, exec_lo, s8
	s_and_saveexec_b32 s8, s6
	s_cbranch_execz .LBB180_99
.LBB180_117:
	s_mul_i32 s10, s26, 0xc00
	s_mov_b32 s11, 0
	s_wait_alu 0xfffe
	s_lshl_b64 s[10:11], s[10:11], 3
	s_wait_dscnt 0x2
	s_wait_alu 0xfffe
	v_add_co_u32 v6, vcc_lo, v2, s10
	s_wait_alu 0xfffd
	v_add_co_ci_u32_e64 v7, null, s11, v3, vcc_lo
	s_wait_dscnt 0x1
	global_store_b64 v[6:7], v[4:5], off
	s_or_b32 exec_lo, exec_lo, s8
	s_and_saveexec_b32 s8, s7
	s_cbranch_execnz .LBB180_100
	s_branch .LBB180_101
.LBB180_118:
	ds_load_b64 v[16:17], v106
	s_wait_dscnt 0x0
	global_store_b64 v[2:3], v[16:17], off
	s_wait_alu 0xfffe
	s_or_b32 exec_lo, exec_lo, s8
	s_and_saveexec_b32 s0, s1
	s_cbranch_execz .LBB180_103
.LBB180_119:
	s_lshl_b32 s8, s28, 9
	s_mov_b32 s9, 0
	s_wait_alu 0xfffe
	s_lshl_b64 s[8:9], s[8:9], 3
	s_wait_alu 0xfffe
	v_add_co_u32 v16, vcc_lo, v2, s8
	s_wait_alu 0xfffd
	v_add_co_ci_u32_e64 v17, null, s9, v3, vcc_lo
	s_wait_dscnt 0x6
	global_store_b64 v[16:17], v[14:15], off
	s_or_b32 exec_lo, exec_lo, s0
	s_and_saveexec_b32 s0, s2
	s_cbranch_execz .LBB180_104
.LBB180_120:
	s_lshl_b32 s8, s28, 10
	s_mov_b32 s9, 0
	s_wait_alu 0xfffe
	s_lshl_b64 s[8:9], s[8:9], 3
	s_wait_dscnt 0x6
	s_wait_alu 0xfffe
	v_add_co_u32 v14, vcc_lo, v2, s8
	s_wait_alu 0xfffd
	v_add_co_ci_u32_e64 v15, null, s9, v3, vcc_lo
	s_wait_dscnt 0x5
	global_store_b64 v[14:15], v[12:13], off
	s_or_b32 exec_lo, exec_lo, s0
	s_and_saveexec_b32 s0, s3
	s_cbranch_execz .LBB180_105
.LBB180_121:
	s_mul_i32 s2, s28, 0x600
	s_mov_b32 s3, 0
	s_delay_alu instid0(SALU_CYCLE_1)
	s_lshl_b64 s[2:3], s[2:3], 3
	s_wait_dscnt 0x5
	v_add_co_u32 v12, vcc_lo, v2, s2
	s_wait_alu 0xfffd
	v_add_co_ci_u32_e64 v13, null, s3, v3, vcc_lo
	s_wait_dscnt 0x4
	global_store_b64 v[12:13], v[10:11], off
	s_or_b32 exec_lo, exec_lo, s0
	s_and_saveexec_b32 s0, s4
	s_cbranch_execz .LBB180_106
.LBB180_122:
	s_lshl_b32 s2, s28, 11
	s_mov_b32 s3, 0
	s_wait_alu 0xfffe
	s_lshl_b64 s[2:3], s[2:3], 3
	s_wait_dscnt 0x4
	s_wait_alu 0xfffe
	v_add_co_u32 v10, vcc_lo, v2, s2
	s_wait_alu 0xfffd
	v_add_co_ci_u32_e64 v11, null, s3, v3, vcc_lo
	s_wait_dscnt 0x3
	global_store_b64 v[10:11], v[8:9], off
	s_or_b32 exec_lo, exec_lo, s0
	s_and_saveexec_b32 s0, s5
	s_cbranch_execz .LBB180_107
.LBB180_123:
	s_mul_i32 s2, s28, 0xa00
	s_mov_b32 s3, 0
	s_wait_alu 0xfffe
	s_lshl_b64 s[2:3], s[2:3], 3
	s_wait_dscnt 0x3
	s_wait_alu 0xfffe
	v_add_co_u32 v8, vcc_lo, v2, s2
	s_wait_alu 0xfffd
	v_add_co_ci_u32_e64 v9, null, s3, v3, vcc_lo
	s_wait_dscnt 0x2
	global_store_b64 v[8:9], v[6:7], off
	s_or_b32 exec_lo, exec_lo, s0
	s_and_saveexec_b32 s0, s6
	s_cbranch_execz .LBB180_108
.LBB180_124:
	s_mul_i32 s2, s28, 0xc00
	s_mov_b32 s3, 0
	s_wait_alu 0xfffe
	s_lshl_b64 s[2:3], s[2:3], 3
	s_wait_dscnt 0x2
	s_wait_alu 0xfffe
	v_add_co_u32 v6, vcc_lo, v2, s2
	s_wait_alu 0xfffd
	v_add_co_ci_u32_e64 v7, null, s3, v3, vcc_lo
	s_wait_dscnt 0x1
	global_store_b64 v[6:7], v[4:5], off
	s_or_b32 exec_lo, exec_lo, s0
	s_and_saveexec_b32 s0, s7
	s_cbranch_execnz .LBB180_109
	s_branch .LBB180_110
	.section	.rodata,"a",@progbits
	.p2align	6, 0x0
	.amdhsa_kernel _ZN2at6native18radixSortKVInPlaceILin2ELin1ELi512ELi8EdljEEvNS_4cuda6detail10TensorInfoIT3_T5_EES6_S6_S6_NS4_IT4_S6_EES6_b
		.amdhsa_group_segment_fixed_size 33792
		.amdhsa_private_segment_fixed_size 0
		.amdhsa_kernarg_size 712
		.amdhsa_user_sgpr_count 2
		.amdhsa_user_sgpr_dispatch_ptr 0
		.amdhsa_user_sgpr_queue_ptr 0
		.amdhsa_user_sgpr_kernarg_segment_ptr 1
		.amdhsa_user_sgpr_dispatch_id 0
		.amdhsa_user_sgpr_private_segment_size 0
		.amdhsa_wavefront_size32 1
		.amdhsa_uses_dynamic_stack 0
		.amdhsa_enable_private_segment 0
		.amdhsa_system_sgpr_workgroup_id_x 1
		.amdhsa_system_sgpr_workgroup_id_y 1
		.amdhsa_system_sgpr_workgroup_id_z 1
		.amdhsa_system_sgpr_workgroup_info 0
		.amdhsa_system_vgpr_workitem_id 2
		.amdhsa_next_free_vgpr 143
		.amdhsa_next_free_sgpr 40
		.amdhsa_reserve_vcc 1
		.amdhsa_float_round_mode_32 0
		.amdhsa_float_round_mode_16_64 0
		.amdhsa_float_denorm_mode_32 3
		.amdhsa_float_denorm_mode_16_64 3
		.amdhsa_fp16_overflow 0
		.amdhsa_workgroup_processor_mode 1
		.amdhsa_memory_ordered 1
		.amdhsa_forward_progress 1
		.amdhsa_inst_pref_size 124
		.amdhsa_round_robin_scheduling 0
		.amdhsa_exception_fp_ieee_invalid_op 0
		.amdhsa_exception_fp_denorm_src 0
		.amdhsa_exception_fp_ieee_div_zero 0
		.amdhsa_exception_fp_ieee_overflow 0
		.amdhsa_exception_fp_ieee_underflow 0
		.amdhsa_exception_fp_ieee_inexact 0
		.amdhsa_exception_int_div_zero 0
	.end_amdhsa_kernel
	.section	.text._ZN2at6native18radixSortKVInPlaceILin2ELin1ELi512ELi8EdljEEvNS_4cuda6detail10TensorInfoIT3_T5_EES6_S6_S6_NS4_IT4_S6_EES6_b,"axG",@progbits,_ZN2at6native18radixSortKVInPlaceILin2ELin1ELi512ELi8EdljEEvNS_4cuda6detail10TensorInfoIT3_T5_EES6_S6_S6_NS4_IT4_S6_EES6_b,comdat
.Lfunc_end180:
	.size	_ZN2at6native18radixSortKVInPlaceILin2ELin1ELi512ELi8EdljEEvNS_4cuda6detail10TensorInfoIT3_T5_EES6_S6_S6_NS4_IT4_S6_EES6_b, .Lfunc_end180-_ZN2at6native18radixSortKVInPlaceILin2ELin1ELi512ELi8EdljEEvNS_4cuda6detail10TensorInfoIT3_T5_EES6_S6_S6_NS4_IT4_S6_EES6_b
                                        ; -- End function
	.set _ZN2at6native18radixSortKVInPlaceILin2ELin1ELi512ELi8EdljEEvNS_4cuda6detail10TensorInfoIT3_T5_EES6_S6_S6_NS4_IT4_S6_EES6_b.num_vgpr, 143
	.set _ZN2at6native18radixSortKVInPlaceILin2ELin1ELi512ELi8EdljEEvNS_4cuda6detail10TensorInfoIT3_T5_EES6_S6_S6_NS4_IT4_S6_EES6_b.num_agpr, 0
	.set _ZN2at6native18radixSortKVInPlaceILin2ELin1ELi512ELi8EdljEEvNS_4cuda6detail10TensorInfoIT3_T5_EES6_S6_S6_NS4_IT4_S6_EES6_b.numbered_sgpr, 40
	.set _ZN2at6native18radixSortKVInPlaceILin2ELin1ELi512ELi8EdljEEvNS_4cuda6detail10TensorInfoIT3_T5_EES6_S6_S6_NS4_IT4_S6_EES6_b.num_named_barrier, 0
	.set _ZN2at6native18radixSortKVInPlaceILin2ELin1ELi512ELi8EdljEEvNS_4cuda6detail10TensorInfoIT3_T5_EES6_S6_S6_NS4_IT4_S6_EES6_b.private_seg_size, 0
	.set _ZN2at6native18radixSortKVInPlaceILin2ELin1ELi512ELi8EdljEEvNS_4cuda6detail10TensorInfoIT3_T5_EES6_S6_S6_NS4_IT4_S6_EES6_b.uses_vcc, 1
	.set _ZN2at6native18radixSortKVInPlaceILin2ELin1ELi512ELi8EdljEEvNS_4cuda6detail10TensorInfoIT3_T5_EES6_S6_S6_NS4_IT4_S6_EES6_b.uses_flat_scratch, 0
	.set _ZN2at6native18radixSortKVInPlaceILin2ELin1ELi512ELi8EdljEEvNS_4cuda6detail10TensorInfoIT3_T5_EES6_S6_S6_NS4_IT4_S6_EES6_b.has_dyn_sized_stack, 0
	.set _ZN2at6native18radixSortKVInPlaceILin2ELin1ELi512ELi8EdljEEvNS_4cuda6detail10TensorInfoIT3_T5_EES6_S6_S6_NS4_IT4_S6_EES6_b.has_recursion, 0
	.set _ZN2at6native18radixSortKVInPlaceILin2ELin1ELi512ELi8EdljEEvNS_4cuda6detail10TensorInfoIT3_T5_EES6_S6_S6_NS4_IT4_S6_EES6_b.has_indirect_call, 0
	.section	.AMDGPU.csdata,"",@progbits
; Kernel info:
; codeLenInByte = 15752
; TotalNumSgprs: 42
; NumVgprs: 143
; ScratchSize: 0
; MemoryBound: 0
; FloatMode: 240
; IeeeMode: 1
; LDSByteSize: 33792 bytes/workgroup (compile time only)
; SGPRBlocks: 0
; VGPRBlocks: 17
; NumSGPRsForWavesPerEU: 42
; NumVGPRsForWavesPerEU: 143
; Occupancy: 10
; WaveLimiterHint : 1
; COMPUTE_PGM_RSRC2:SCRATCH_EN: 0
; COMPUTE_PGM_RSRC2:USER_SGPR: 2
; COMPUTE_PGM_RSRC2:TRAP_HANDLER: 0
; COMPUTE_PGM_RSRC2:TGID_X_EN: 1
; COMPUTE_PGM_RSRC2:TGID_Y_EN: 1
; COMPUTE_PGM_RSRC2:TGID_Z_EN: 1
; COMPUTE_PGM_RSRC2:TIDIG_COMP_CNT: 2
	.section	.text._ZN2at6native18radixSortKVInPlaceILin2ELin1ELi256ELi8EdljEEvNS_4cuda6detail10TensorInfoIT3_T5_EES6_S6_S6_NS4_IT4_S6_EES6_b,"axG",@progbits,_ZN2at6native18radixSortKVInPlaceILin2ELin1ELi256ELi8EdljEEvNS_4cuda6detail10TensorInfoIT3_T5_EES6_S6_S6_NS4_IT4_S6_EES6_b,comdat
	.protected	_ZN2at6native18radixSortKVInPlaceILin2ELin1ELi256ELi8EdljEEvNS_4cuda6detail10TensorInfoIT3_T5_EES6_S6_S6_NS4_IT4_S6_EES6_b ; -- Begin function _ZN2at6native18radixSortKVInPlaceILin2ELin1ELi256ELi8EdljEEvNS_4cuda6detail10TensorInfoIT3_T5_EES6_S6_S6_NS4_IT4_S6_EES6_b
	.globl	_ZN2at6native18radixSortKVInPlaceILin2ELin1ELi256ELi8EdljEEvNS_4cuda6detail10TensorInfoIT3_T5_EES6_S6_S6_NS4_IT4_S6_EES6_b
	.p2align	8
	.type	_ZN2at6native18radixSortKVInPlaceILin2ELin1ELi256ELi8EdljEEvNS_4cuda6detail10TensorInfoIT3_T5_EES6_S6_S6_NS4_IT4_S6_EES6_b,@function
_ZN2at6native18radixSortKVInPlaceILin2ELin1ELi256ELi8EdljEEvNS_4cuda6detail10TensorInfoIT3_T5_EES6_S6_S6_NS4_IT4_S6_EES6_b: ; @_ZN2at6native18radixSortKVInPlaceILin2ELin1ELi256ELi8EdljEEvNS_4cuda6detail10TensorInfoIT3_T5_EES6_S6_S6_NS4_IT4_S6_EES6_b
; %bb.0:
	s_clause 0x1
	s_load_b64 s[2:3], s[0:1], 0x1c8
	s_load_b96 s[20:22], s[0:1], 0xd8
	s_lshr_b32 s4, ttmp7, 16
	s_wait_kmcnt 0x0
	s_mul_i32 s3, s3, s4
	s_and_b32 s4, ttmp7, 0xffff
	s_delay_alu instid0(SALU_CYCLE_1) | instskip(NEXT) | instid1(SALU_CYCLE_1)
	s_add_co_i32 s3, s3, s4
	s_mul_i32 s4, s3, s2
	s_delay_alu instid0(SALU_CYCLE_1) | instskip(NEXT) | instid1(SALU_CYCLE_1)
	s_add_co_i32 s4, s4, ttmp9
	s_cmp_ge_u32 s4, s20
	s_cbranch_scc1 .LBB181_110
; %bb.1:
	s_load_b32 s2, s[0:1], 0x1b8
	s_add_nc_u64 s[34:35], s[0:1], 0xe8
	s_mov_b32 s27, 0
	s_mov_b32 s23, s4
	s_wait_kmcnt 0x0
	s_cmp_lt_i32 s2, 2
	s_cbranch_scc1 .LBB181_4
; %bb.2:
	s_add_co_i32 s26, s2, -1
	s_add_co_i32 s5, s2, 1
	s_lshl_b64 s[6:7], s[26:27], 2
	s_mov_b32 s23, s4
	s_add_nc_u64 s[6:7], s[34:35], s[6:7]
	s_delay_alu instid0(SALU_CYCLE_1)
	s_add_nc_u64 s[2:3], s[6:7], 8
.LBB181_3:                              ; =>This Inner Loop Header: Depth=1
	s_clause 0x1
	s_load_b32 s6, s[2:3], 0x0
	s_load_b32 s7, s[2:3], 0x64
	s_mov_b32 s10, s23
	s_add_nc_u64 s[2:3], s[2:3], -4
	s_wait_kmcnt 0x0
	s_cvt_f32_u32 s8, s6
	s_sub_co_i32 s9, 0, s6
	s_wait_alu 0xfffe
	s_delay_alu instid0(SALU_CYCLE_1) | instskip(NEXT) | instid1(TRANS32_DEP_1)
	v_rcp_iflag_f32_e32 v1, s8
	v_readfirstlane_b32 s8, v1
	s_mul_f32 s8, s8, 0x4f7ffffe
	s_wait_alu 0xfffe
	s_delay_alu instid0(SALU_CYCLE_2) | instskip(SKIP_1) | instid1(SALU_CYCLE_2)
	s_cvt_u32_f32 s8, s8
	s_wait_alu 0xfffe
	s_mul_i32 s9, s9, s8
	s_wait_alu 0xfffe
	s_mul_hi_u32 s9, s8, s9
	s_wait_alu 0xfffe
	s_add_co_i32 s8, s8, s9
	s_wait_alu 0xfffe
	s_mul_hi_u32 s8, s23, s8
	s_wait_alu 0xfffe
	s_mul_i32 s9, s8, s6
	s_add_co_i32 s11, s8, 1
	s_wait_alu 0xfffe
	s_sub_co_i32 s9, s23, s9
	s_wait_alu 0xfffe
	s_sub_co_i32 s12, s9, s6
	s_cmp_ge_u32 s9, s6
	s_cselect_b32 s8, s11, s8
	s_cselect_b32 s9, s12, s9
	s_wait_alu 0xfffe
	s_add_co_i32 s11, s8, 1
	s_cmp_ge_u32 s9, s6
	s_cselect_b32 s23, s11, s8
	s_add_co_i32 s5, s5, -1
	s_mul_i32 s6, s23, s6
	s_delay_alu instid0(SALU_CYCLE_1) | instskip(NEXT) | instid1(SALU_CYCLE_1)
	s_sub_co_i32 s6, s10, s6
	s_mul_i32 s6, s7, s6
	s_delay_alu instid0(SALU_CYCLE_1)
	s_add_co_i32 s27, s6, s27
	s_cmp_gt_u32 s5, 2
	s_cbranch_scc1 .LBB181_3
.LBB181_4:
	s_clause 0x2
	s_load_b64 s[28:29], s[0:1], 0x1c0
	s_load_b64 s[2:3], s[0:1], 0x0
	s_load_b32 s5, s[0:1], 0x6c
	s_add_nc_u64 s[24:25], s[0:1], 0x1c8
	s_mov_b32 s1, 0
	s_wait_kmcnt 0x0
	s_bitcmp1_b32 s29, 0
	s_mul_i32 s0, s5, s4
	s_cselect_b32 s20, -1, 0
	s_lshl_b64 s[30:31], s[0:1], 3
	s_and_b32 s0, s20, exec_lo
	s_mov_b32 s4, -1
	s_cselect_b32 s5, -1, 0x7fffffff
	s_mov_b32 s6, s4
	s_mov_b32 s8, s4
	;; [unrolled: 1-line block ×14, first 2 shown]
	v_and_b32_e32 v73, 0x3ff, v0
	v_dual_mov_b32 v1, s4 :: v_dual_mov_b32 v4, s7
	v_dual_mov_b32 v2, s5 :: v_dual_mov_b32 v15, s18
	v_mov_b32_e32 v18, s5
	s_delay_alu instid0(VALU_DEP_4)
	v_mul_lo_u32 v71, s22, v73
	v_cmp_gt_u32_e64 s0, s21, v73
	s_wait_alu 0xfffe
	v_dual_mov_b32 v3, s6 :: v_dual_mov_b32 v6, s9
	v_dual_mov_b32 v5, s8 :: v_dual_mov_b32 v8, s11
	;; [unrolled: 1-line block ×6, first 2 shown]
	v_mov_b32_e32 v17, s4
	s_add_nc_u64 s[30:31], s[2:3], s[30:31]
	s_and_saveexec_b32 s1, s0
	s_cbranch_execz .LBB181_6
; %bb.5:
	v_mov_b32_e32 v72, 0
	s_delay_alu instid0(VALU_DEP_1) | instskip(NEXT) | instid1(VALU_DEP_1)
	v_lshlrev_b64_e32 v[1:2], 3, v[71:72]
	v_add_co_u32 v1, vcc_lo, s30, v1
	s_delay_alu instid0(VALU_DEP_1)
	v_add_co_ci_u32_e64 v2, null, s31, v2, vcc_lo
	global_load_b64 v[17:18], v[1:2], off
	v_dual_mov_b32 v1, s4 :: v_dual_mov_b32 v2, s5
	v_dual_mov_b32 v3, s6 :: v_dual_mov_b32 v4, s7
	;; [unrolled: 1-line block ×8, first 2 shown]
.LBB181_6:
	s_or_b32 exec_lo, exec_lo, s1
	v_add_nc_u32_e32 v32, 0x100, v73
	s_delay_alu instid0(VALU_DEP_1)
	v_cmp_gt_u32_e64 s1, s21, v32
	s_and_saveexec_b32 s2, s1
	s_cbranch_execz .LBB181_8
; %bb.7:
	v_mul_lo_u32 v1, s22, v32
	v_mov_b32_e32 v2, 0
	s_delay_alu instid0(VALU_DEP_1) | instskip(NEXT) | instid1(VALU_DEP_1)
	v_lshlrev_b64_e32 v[1:2], 3, v[1:2]
	v_add_co_u32 v1, vcc_lo, s30, v1
	s_wait_alu 0xfffd
	s_delay_alu instid0(VALU_DEP_2)
	v_add_co_ci_u32_e64 v2, null, s31, v2, vcc_lo
	global_load_b64 v[3:4], v[1:2], off
.LBB181_8:
	s_or_b32 exec_lo, exec_lo, s2
	v_add_nc_u32_e32 v33, 0x200, v73
	s_delay_alu instid0(VALU_DEP_1)
	v_cmp_gt_u32_e64 s2, s21, v33
	s_and_saveexec_b32 s3, s2
	s_cbranch_execz .LBB181_10
; %bb.9:
	v_mul_lo_u32 v1, s22, v33
	v_mov_b32_e32 v2, 0
	s_delay_alu instid0(VALU_DEP_1) | instskip(NEXT) | instid1(VALU_DEP_1)
	v_lshlrev_b64_e32 v[1:2], 3, v[1:2]
	v_add_co_u32 v1, vcc_lo, s30, v1
	s_wait_alu 0xfffd
	s_delay_alu instid0(VALU_DEP_2)
	v_add_co_ci_u32_e64 v2, null, s31, v2, vcc_lo
	global_load_b64 v[5:6], v[1:2], off
.LBB181_10:
	;; [unrolled: 17-line block ×3, first 2 shown]
	s_wait_alu 0xfffe
	s_or_b32 exec_lo, exec_lo, s4
	v_or_b32_e32 v35, 0x400, v73
	s_delay_alu instid0(VALU_DEP_1)
	v_cmp_gt_u32_e64 s4, s21, v35
	s_and_saveexec_b32 s5, s4
	s_cbranch_execz .LBB181_14
; %bb.13:
	v_mul_lo_u32 v1, s22, v35
	v_mov_b32_e32 v2, 0
	s_delay_alu instid0(VALU_DEP_1) | instskip(NEXT) | instid1(VALU_DEP_1)
	v_lshlrev_b64_e32 v[1:2], 3, v[1:2]
	v_add_co_u32 v1, vcc_lo, s30, v1
	s_wait_alu 0xfffd
	s_delay_alu instid0(VALU_DEP_2)
	v_add_co_ci_u32_e64 v2, null, s31, v2, vcc_lo
	global_load_b64 v[9:10], v[1:2], off
.LBB181_14:
	s_wait_alu 0xfffe
	s_or_b32 exec_lo, exec_lo, s5
	v_add_nc_u32_e32 v36, 0x500, v73
	s_delay_alu instid0(VALU_DEP_1)
	v_cmp_gt_u32_e64 s5, s21, v36
	s_and_saveexec_b32 s6, s5
	s_cbranch_execz .LBB181_16
; %bb.15:
	v_mul_lo_u32 v1, s22, v36
	v_mov_b32_e32 v2, 0
	s_delay_alu instid0(VALU_DEP_1) | instskip(NEXT) | instid1(VALU_DEP_1)
	v_lshlrev_b64_e32 v[1:2], 3, v[1:2]
	v_add_co_u32 v1, vcc_lo, s30, v1
	s_wait_alu 0xfffd
	s_delay_alu instid0(VALU_DEP_2)
	v_add_co_ci_u32_e64 v2, null, s31, v2, vcc_lo
	global_load_b64 v[11:12], v[1:2], off
.LBB181_16:
	s_wait_alu 0xfffe
	s_or_b32 exec_lo, exec_lo, s6
	v_add_nc_u32_e32 v37, 0x600, v73
	s_delay_alu instid0(VALU_DEP_1)
	v_cmp_gt_u32_e64 s6, s21, v37
	s_and_saveexec_b32 s7, s6
	s_cbranch_execz .LBB181_18
; %bb.17:
	v_mul_lo_u32 v1, s22, v37
	v_mov_b32_e32 v2, 0
	s_delay_alu instid0(VALU_DEP_1) | instskip(NEXT) | instid1(VALU_DEP_1)
	v_lshlrev_b64_e32 v[1:2], 3, v[1:2]
	v_add_co_u32 v1, vcc_lo, s30, v1
	s_wait_alu 0xfffd
	s_delay_alu instid0(VALU_DEP_2)
	v_add_co_ci_u32_e64 v2, null, s31, v2, vcc_lo
	global_load_b64 v[13:14], v[1:2], off
.LBB181_18:
	s_wait_alu 0xfffe
	s_or_b32 exec_lo, exec_lo, s7
	s_clause 0x1
	s_load_b32 s10, s[34:35], 0x6c
	s_load_b64 s[8:9], s[34:35], 0x0
	v_add_nc_u32_e32 v38, 0x700, v73
	s_delay_alu instid0(VALU_DEP_1)
	v_cmp_gt_u32_e64 s7, s21, v38
	s_and_saveexec_b32 s11, s7
	s_cbranch_execz .LBB181_20
; %bb.19:
	v_mul_lo_u32 v1, s22, v38
	v_mov_b32_e32 v2, 0
	s_delay_alu instid0(VALU_DEP_1) | instskip(NEXT) | instid1(VALU_DEP_1)
	v_lshlrev_b64_e32 v[1:2], 3, v[1:2]
	v_add_co_u32 v1, vcc_lo, s30, v1
	s_wait_alu 0xfffd
	s_delay_alu instid0(VALU_DEP_2)
	v_add_co_ci_u32_e64 v2, null, s31, v2, vcc_lo
	global_load_b64 v[15:16], v[1:2], off
.LBB181_20:
	s_wait_alu 0xfffe
	s_or_b32 exec_lo, exec_lo, s11
	v_lshrrev_b32_e32 v2, 2, v33
	v_dual_mov_b32 v69, 0 :: v_dual_lshlrev_b32 v72, 3, v73
	v_lshrrev_b32_e32 v1, 2, v32
	v_lshrrev_b32_e32 v19, 2, v34
	s_delay_alu instid0(VALU_DEP_4) | instskip(SKIP_1) | instid1(VALU_DEP_4)
	v_and_b32_e32 v2, 0x1f8, v2
	v_lshrrev_b32_e32 v48, 5, v73
	v_dual_mov_b32 v70, v69 :: v_dual_and_b32 v1, 0x1f8, v1
	s_delay_alu instid0(VALU_DEP_4) | instskip(NEXT) | instid1(VALU_DEP_4)
	v_and_b32_e32 v19, 0x1f8, v19
	v_add_nc_u32_e32 v108, v2, v72
	v_lshrrev_b32_e32 v2, 2, v36
	v_lshl_add_u32 v106, v48, 3, v72
	v_add_nc_u32_e32 v107, v1, v72
	v_lshrrev_b32_e32 v1, 2, v35
	v_lshrrev_b32_e32 v20, 2, v38
	v_and_b32_e32 v2, 0x3f8, v2
	s_wait_kmcnt 0x0
	s_mul_i32 s10, s10, s23
	v_mul_lo_u32 v68, s28, v73
	v_and_b32_e32 v1, 0x1f8, v1
	s_mov_b32 s11, 0
	v_dual_mov_b32 v2, v69 :: v_dual_add_nc_u32 v111, v2, v72
	v_add_nc_u32_e32 v109, v19, v72
	v_lshrrev_b32_e32 v19, 2, v37
	s_wait_loadcnt 0x0
	ds_store_b64 v106, v[17:18]
	ds_store_b64 v107, v[3:4] offset:2048
	ds_store_b64 v108, v[5:6] offset:4096
	;; [unrolled: 1-line block ×3, first 2 shown]
	v_dual_mov_b32 v7, v69 :: v_dual_and_b32 v4, 0x3f8, v20
	v_lshlrev_b32_e32 v5, 1, v73
	v_dual_mov_b32 v8, v69 :: v_dual_and_b32 v3, 0x3f8, v19
	v_mov_b32_e32 v6, v69
	v_add_nc_u32_e32 v110, v1, v72
	v_add_nc_u32_e32 v113, v4, v72
	s_delay_alu instid0(VALU_DEP_4)
	v_add_nc_u32_e32 v112, v3, v72
	ds_store_b64 v110, v[9:10] offset:8192
	ds_store_b64 v111, v[11:12] offset:10240
	;; [unrolled: 1-line block ×4, first 2 shown]
	v_dual_mov_b32 v10, v69 :: v_dual_and_b32 v1, 0x7f8, v5
	s_wait_dscnt 0x0
	s_barrier_signal -1
	s_barrier_wait -1
	global_inv scope:SCOPE_SE
	v_lshl_add_u32 v114, v73, 6, v1
	ds_load_2addr_b64 v[28:31], v114 offset1:1
	ds_load_2addr_b64 v[24:27], v114 offset0:2 offset1:3
	ds_load_2addr_b64 v[20:23], v114 offset0:4 offset1:5
	;; [unrolled: 1-line block ×3, first 2 shown]
	s_wait_alu 0xfffe
	s_add_co_i32 s10, s10, s27
	v_mov_b32_e32 v11, 0
	v_mov_b32_e32 v1, v69
	v_dual_mov_b32 v3, v69 :: v_dual_mov_b32 v4, v69
	v_mov_b32_e32 v5, v69
	v_mov_b32_e32 v9, v69
	v_dual_mov_b32 v13, v69 :: v_dual_mov_b32 v12, 0
	v_mov_b32_e32 v14, v69
	s_wait_alu 0xfffe
	s_lshl_b64 s[10:11], s[10:11], 3
	s_wait_loadcnt_dscnt 0x0
	s_wait_alu 0xfffe
	s_add_nc_u64 s[34:35], s[8:9], s[10:11]
	s_barrier_signal -1
	s_barrier_wait -1
	global_inv scope:SCOPE_SE
	s_and_saveexec_b32 s8, s0
	s_cbranch_execnz .LBB181_56
; %bb.21:
	s_wait_alu 0xfffe
	s_or_b32 exec_lo, exec_lo, s8
	s_and_saveexec_b32 s8, s1
	s_cbranch_execnz .LBB181_57
.LBB181_22:
	s_wait_alu 0xfffe
	s_or_b32 exec_lo, exec_lo, s8
	s_and_saveexec_b32 s8, s2
	s_cbranch_execnz .LBB181_58
.LBB181_23:
	s_wait_alu 0xfffe
	s_or_b32 exec_lo, exec_lo, s8
	s_and_saveexec_b32 s8, s3
	s_cbranch_execnz .LBB181_59
.LBB181_24:
	s_wait_alu 0xfffe
	s_or_b32 exec_lo, exec_lo, s8
	s_and_saveexec_b32 s8, s4
	s_cbranch_execnz .LBB181_60
.LBB181_25:
	s_wait_alu 0xfffe
	s_or_b32 exec_lo, exec_lo, s8
	s_and_saveexec_b32 s8, s5
	s_cbranch_execnz .LBB181_61
.LBB181_26:
	s_wait_alu 0xfffe
	s_or_b32 exec_lo, exec_lo, s8
	s_and_saveexec_b32 s8, s6
	s_cbranch_execnz .LBB181_62
.LBB181_27:
	s_wait_alu 0xfffe
	s_or_b32 exec_lo, exec_lo, s8
	s_xor_b32 s8, s20, -1
	s_and_saveexec_b32 s9, s7
	s_cbranch_execz .LBB181_29
.LBB181_28:
	v_mul_lo_u32 v13, s28, v38
	v_mov_b32_e32 v14, 0
	s_delay_alu instid0(VALU_DEP_1) | instskip(NEXT) | instid1(VALU_DEP_1)
	v_lshlrev_b64_e32 v[13:14], 3, v[13:14]
	v_add_co_u32 v13, vcc_lo, s34, v13
	s_wait_alu 0xfffd
	s_delay_alu instid0(VALU_DEP_2)
	v_add_co_ci_u32_e64 v14, null, s35, v14, vcc_lo
	global_load_b64 v[13:14], v[13:14], off
.LBB181_29:
	s_wait_alu 0xfffe
	s_or_b32 exec_lo, exec_lo, s9
	s_wait_loadcnt 0x0
	ds_store_b64 v106, v[11:12]
	ds_store_b64 v107, v[69:70] offset:2048
	ds_store_b64 v108, v[1:2] offset:4096
	;; [unrolled: 1-line block ×7, first 2 shown]
	s_wait_dscnt 0x0
	s_barrier_signal -1
	s_barrier_wait -1
	global_inv scope:SCOPE_SE
	ds_load_2addr_b64 v[44:47], v114 offset1:1
	ds_load_2addr_b64 v[40:43], v114 offset0:2 offset1:3
	ds_load_2addr_b64 v[36:39], v114 offset0:4 offset1:5
	;; [unrolled: 1-line block ×3, first 2 shown]
	s_and_b32 vcc_lo, exec_lo, s8
	v_bfe_u32 v120, v0, 10, 10
	v_bfe_u32 v121, v0, 20, 10
	v_ashrrev_i32_e32 v129, 31, v29
	v_ashrrev_i32_e32 v128, 31, v31
	;; [unrolled: 1-line block ×8, first 2 shown]
	v_mbcnt_lo_u32_b32 v118, -1, 0
	v_and_b32_e32 v119, 0x3e0, v73
	v_lshlrev_b32_e32 v115, 2, v72
	v_cmp_gt_u32_e64 s8, 8, v73
	v_cmp_lt_u32_e64 s9, 31, v73
	v_cmp_eq_u32_e64 s10, 0, v73
	v_lshlrev_b32_e32 v116, 2, v48
	v_mul_i32_i24_e32 v117, 0xffffffe4, v73
	s_wait_loadcnt_dscnt 0x0
	s_barrier_signal -1
	s_barrier_wait -1
	global_inv scope:SCOPE_SE
	s_wait_alu 0xfffe
	s_cbranch_vccz .LBB181_63
; %bb.30:
	v_cmp_lt_i64_e32 vcc_lo, -1, v[28:29]
	v_or_b32_e32 v14, v118, v119
	s_mov_b32 s36, 0
	s_getpc_b64 s[12:13]
	s_wait_alu 0xfffe
	s_sext_i32_i16 s13, s13
	s_add_co_u32 s12, s12, _ZN7rocprim17ROCPRIM_400000_NS16block_radix_sortIdLj256ELj8ElLj1ELj1ELj0ELNS0_26block_radix_rank_algorithmE1ELNS0_18block_padding_hintE2ELNS0_4arch9wavefront6targetE0EE19radix_bits_per_passE@rel32@lo+12
	s_wait_alu 0xfffe
	s_add_co_ci_u32 s13, s13, _ZN7rocprim17ROCPRIM_400000_NS16block_radix_sortIdLj256ELj8ElLj1ELj1ELj0ELNS0_26block_radix_rank_algorithmE1ELNS0_18block_padding_hintE2ELNS0_4arch9wavefront6targetE0EE19radix_bits_per_passE@rel32@hi+24
	s_mov_b32 s37, s36
	s_mov_b32 s38, s36
	s_wait_alu 0xfffd
	v_cndmask_b32_e64 v0, -1, 0x80000000, vcc_lo
	v_cmp_lt_i64_e32 vcc_lo, -1, v[30:31]
	v_lshlrev_b32_e32 v48, 6, v14
	s_mov_b32 s39, s36
	v_and_b32_e32 v69, 16, v118
	v_xor_b32_e32 v1, v0, v29
	v_xor_b32_e32 v0, v129, v28
	s_wait_alu 0xfffd
	v_cndmask_b32_e64 v2, -1, 0x80000000, vcc_lo
	v_cmp_lt_i64_e32 vcc_lo, -1, v[24:25]
	v_and_or_b32 v49, 0x1f00, v72, v118
	s_load_b32 s23, s[12:13], 0x0
	v_cmp_eq_u32_e64 s16, 0, v69
	v_xor_b32_e32 v3, v2, v31
	v_xor_b32_e32 v2, v128, v30
	v_cndmask_b32_e64 v4, -1, 0x80000000, vcc_lo
	v_cmp_lt_i64_e32 vcc_lo, -1, v[26:27]
	v_mov_b32_e32 v69, 0
	v_xor_b32_e32 v14, v122, v18
	v_add_nc_u32_e32 v132, -4, v116
	v_xor_b32_e32 v5, v4, v25
	v_xor_b32_e32 v4, v127, v24
	s_wait_alu 0xfffd
	v_cndmask_b32_e64 v6, -1, 0x80000000, vcc_lo
	v_cmp_lt_i64_e32 vcc_lo, -1, v[20:21]
	v_add_nc_u32_e32 v134, v115, v117
	s_mov_b32 s26, -1
	s_brev_b32 s27, -2
	v_xor_b32_e32 v7, v6, v27
	v_xor_b32_e32 v6, v126, v26
	s_wait_alu 0xfffd
	v_cndmask_b32_e64 v8, -1, 0x80000000, vcc_lo
	v_cmp_lt_i64_e32 vcc_lo, -1, v[22:23]
	ds_store_b128 v48, v[0:3]
	ds_store_b128 v48, v[4:7] offset:16
	v_sub_co_u32 v3, s12, v118, 1
	v_xor_b32_e32 v9, v8, v21
	s_wait_alu 0xfffd
	v_cndmask_b32_e64 v10, -1, 0x80000000, vcc_lo
	v_cmp_lt_i64_e32 vcc_lo, -1, v[16:17]
	v_xor_b32_e32 v8, v125, v20
	v_and_b32_e32 v2, 15, v118
	s_mov_b32 s29, 64
	v_xor_b32_e32 v11, v10, v23
	v_xor_b32_e32 v10, v124, v22
	s_wait_alu 0xfffd
	v_cndmask_b32_e64 v12, -1, 0x80000000, vcc_lo
	v_cmp_lt_i64_e32 vcc_lo, -1, v[18:19]
	v_cmp_lt_u32_e64 s13, 1, v2
	v_cmp_lt_u32_e64 s15, 7, v2
	v_mov_b32_e32 v70, 0
	v_xor_b32_e32 v13, v12, v17
	v_xor_b32_e32 v12, v123, v16
	s_wait_alu 0xfffd
	v_cndmask_b32_e64 v15, -1, 0x80000000, vcc_lo
	v_cmp_gt_i32_e32 vcc_lo, 0, v3
	v_lshlrev_b32_e32 v130, 3, v49
	s_delay_alu instid0(VALU_DEP_3)
	v_xor_b32_e32 v15, v15, v19
	ds_store_b128 v48, v[8:11] offset:32
	ds_store_b128 v48, v[12:15] offset:48
	; wave barrier
	s_wait_alu 0xfffd
	v_cndmask_b32_e32 v3, v3, v118, vcc_lo
	ds_load_2addr_b64 v[4:7], v130 offset1:32
	ds_load_2addr_b64 v[8:11], v130 offset0:64 offset1:96
	ds_load_2addr_b64 v[12:15], v130 offset0:128 offset1:160
	;; [unrolled: 1-line block ×3, first 2 shown]
	; wave barrier
	ds_store_b128 v48, v[44:47]
	ds_store_b128 v48, v[40:43] offset:16
	ds_store_b128 v48, v[36:39] offset:32
	;; [unrolled: 1-line block ×3, first 2 shown]
	; wave barrier
	ds_load_2addr_b64 v[48:51], v130 offset1:32
	ds_load_2addr_b64 v[52:55], v130 offset0:64 offset1:96
	ds_load_2addr_b64 v[56:59], v130 offset0:128 offset1:160
	;; [unrolled: 1-line block ×3, first 2 shown]
	s_wait_loadcnt_dscnt 0x0
	s_barrier_signal -1
	s_barrier_wait -1
	global_inv scope:SCOPE_SE
	s_load_b32 s11, s[24:25], 0xc
	v_lshlrev_b32_e32 v131, 2, v3
	s_wait_kmcnt 0x0
	s_lshr_b32 s14, s11, 16
	s_and_b32 s11, s11, 0xffff
	s_wait_alu 0xfffe
	v_mad_u32_u24 v0, v121, s14, v120
	v_cmp_lt_u32_e64 s14, 3, v2
	s_delay_alu instid0(VALU_DEP_2) | instskip(SKIP_3) | instid1(VALU_DEP_3)
	v_mad_co_u64_u32 v[0:1], null, v0, s11, v[73:74]
	v_min_u32_e32 v1, 0xe0, v119
	v_cmp_eq_u32_e64 s11, 0, v2
	v_and_b32_e32 v2, 7, v118
	v_or_b32_e32 v1, 31, v1
	v_lshrrev_b32_e32 v0, 3, v0
	s_delay_alu instid0(VALU_DEP_3)
	v_cmp_eq_u32_e64 s18, 0, v2
	v_cmp_lt_u32_e64 s19, 1, v2
	v_cmp_lt_u32_e64 s20, 3, v2
	v_cmp_eq_u32_e64 s17, v73, v1
	v_dual_mov_b32 v0, s36 :: v_dual_and_b32 v133, 0x1ffffffc, v0
	v_dual_mov_b32 v1, s37 :: v_dual_mov_b32 v2, s38
	v_mov_b32_e32 v3, s39
	s_branch .LBB181_32
.LBB181_31:                             ;   in Loop: Header=BB181_32 Depth=1
	s_wait_alu 0xfffe
	s_and_not1_b32 vcc_lo, exec_lo, s21
	s_wait_alu 0xfffe
	s_cbranch_vccz .LBB181_64
.LBB181_32:                             ; =>This Inner Loop Header: Depth=1
	v_dual_mov_b32 v75, v5 :: v_dual_mov_b32 v74, v4
	s_min_u32 s21, s23, s29
	v_mov_b32_e32 v79, v65
	s_wait_alu 0xfffe
	s_lshl_b32 s21, -1, s21
	ds_store_b128 v115, v[0:3] offset:32
	ds_store_b128 v115, v[0:3] offset:48
	v_cmp_ne_u64_e32 vcc_lo, s[26:27], v[74:75]
	s_wait_alu 0xfffe
	s_not_b32 s33, s21
	s_wait_loadcnt_dscnt 0x0
	s_barrier_signal -1
	s_barrier_wait -1
	s_wait_alu 0xfffd
	v_dual_mov_b32 v77, v67 :: v_dual_cndmask_b32 v4, 0, v74
	v_dual_cndmask_b32 v5, 0x80000000, v75 :: v_dual_mov_b32 v76, v66
	global_inv scope:SCOPE_SE
	; wave barrier
	v_lshrrev_b64 v[4:5], v69, v[4:5]
	v_dual_mov_b32 v78, v64 :: v_dual_mov_b32 v99, v13
	v_mov_b32_e32 v101, v11
	v_mov_b32_e32 v103, v9
	;; [unrolled: 1-line block ×3, first 2 shown]
	s_wait_alu 0xfffe
	v_and_b32_e32 v5, s33, v4
	v_dual_mov_b32 v81, v15 :: v_dual_mov_b32 v80, v14
	v_mov_b32_e32 v98, v12
	s_delay_alu instid0(VALU_DEP_3)
	v_dual_mov_b32 v100, v10 :: v_dual_lshlrev_b32 v67, 26, v5
	v_and_b32_e32 v4, 1, v5
	v_lshlrev_b32_e32 v14, 30, v5
	v_lshlrev_b32_e32 v15, 29, v5
	;; [unrolled: 1-line block ×4, first 2 shown]
	v_add_co_u32 v4, s21, v4, -1
	s_wait_alu 0xf1ff
	v_cndmask_b32_e64 v65, 0, 1, s21
	v_not_b32_e32 v83, v14
	v_cmp_gt_i32_e64 s21, 0, v14
	v_not_b32_e32 v14, v15
	v_lshlrev_b32_e32 v82, 25, v5
	v_cmp_ne_u32_e32 vcc_lo, 0, v65
	v_ashrrev_i32_e32 v83, 31, v83
	v_dual_mov_b32 v102, v8 :: v_dual_lshlrev_b32 v65, 24, v5
	v_ashrrev_i32_e32 v14, 31, v14
	s_wait_alu 0xfffd
	v_xor_b32_e32 v4, vcc_lo, v4
	v_cmp_gt_i32_e32 vcc_lo, 0, v15
	v_not_b32_e32 v15, v64
	s_wait_alu 0xf1ff
	v_xor_b32_e32 v83, s21, v83
	v_cmp_gt_i32_e64 s21, 0, v64
	v_and_b32_e32 v4, exec_lo, v4
	v_not_b32_e32 v64, v66
	v_ashrrev_i32_e32 v15, 31, v15
	s_wait_alu 0xfffd
	v_xor_b32_e32 v14, vcc_lo, v14
	v_cmp_gt_i32_e32 vcc_lo, 0, v66
	v_dual_mov_b32 v85, v61 :: v_dual_and_b32 v4, v4, v83
	v_not_b32_e32 v66, v67
	v_ashrrev_i32_e32 v64, 31, v64
	s_wait_alu 0xf1ff
	v_xor_b32_e32 v15, s21, v15
	v_dual_mov_b32 v87, v59 :: v_dual_and_b32 v4, v4, v14
	v_cmp_gt_i32_e64 s21, 0, v67
	v_not_b32_e32 v14, v82
	v_ashrrev_i32_e32 v66, 31, v66
	s_wait_alu 0xfffd
	v_xor_b32_e32 v64, vcc_lo, v64
	v_dual_mov_b32 v89, v57 :: v_dual_and_b32 v4, v4, v15
	v_cmp_gt_i32_e32 vcc_lo, 0, v82
	v_not_b32_e32 v15, v65
	v_ashrrev_i32_e32 v14, 31, v14
	s_wait_alu 0xf1ff
	v_xor_b32_e32 v66, s21, v66
	v_dual_mov_b32 v91, v55 :: v_dual_and_b32 v4, v4, v64
	v_cmp_gt_i32_e64 s21, 0, v65
	v_ashrrev_i32_e32 v12, 31, v15
	s_wait_alu 0xfffd
	v_xor_b32_e32 v13, vcc_lo, v14
	v_dual_mov_b32 v93, v53 :: v_dual_and_b32 v4, v4, v66
	v_dual_mov_b32 v104, v6 :: v_dual_mov_b32 v95, v51
	s_wait_alu 0xf1ff
	v_xor_b32_e32 v6, s21, v12
	s_delay_alu instid0(VALU_DEP_3) | instskip(SKIP_2) | instid1(VALU_DEP_3)
	v_dual_mov_b32 v97, v49 :: v_dual_and_b32 v4, v4, v13
	v_dual_mov_b32 v83, v63 :: v_dual_mov_b32 v82, v62
	v_lshlrev_b32_e32 v5, 5, v5
	v_and_b32_e32 v4, v4, v6
	v_mov_b32_e32 v84, v60
	v_mov_b32_e32 v86, v58
	;; [unrolled: 1-line block ×4, first 2 shown]
	v_mbcnt_lo_u32_b32 v12, v4, 0
	v_cmp_ne_u32_e64 s21, 0, v4
	v_mov_b32_e32 v92, v52
	v_mov_b32_e32 v94, v50
	;; [unrolled: 1-line block ×3, first 2 shown]
	v_cmp_eq_u32_e32 vcc_lo, 0, v12
	v_add_nc_u32_e32 v13, v133, v5
	s_and_b32 s36, s21, vcc_lo
	s_wait_alu 0xfffe
	s_and_saveexec_b32 s21, s36
; %bb.33:                               ;   in Loop: Header=BB181_32 Depth=1
	v_bcnt_u32_b32 v4, v4, 0
	ds_store_b32 v13, v4 offset:32
; %bb.34:                               ;   in Loop: Header=BB181_32 Depth=1
	s_wait_alu 0xfffe
	s_or_b32 exec_lo, exec_lo, s21
	v_cmp_ne_u64_e32 vcc_lo, s[26:27], v[104:105]
	; wave barrier
	s_wait_alu 0xfffd
	v_cndmask_b32_e32 v5, 0x80000000, v105, vcc_lo
	v_cndmask_b32_e32 v4, 0, v104, vcc_lo
	s_delay_alu instid0(VALU_DEP_1) | instskip(NEXT) | instid1(VALU_DEP_1)
	v_lshrrev_b64 v[4:5], v69, v[4:5]
	v_and_b32_e32 v4, s33, v4
	s_delay_alu instid0(VALU_DEP_1)
	v_and_b32_e32 v5, 1, v4
	v_lshlrev_b32_e32 v6, 30, v4
	v_lshlrev_b32_e32 v7, 29, v4
	v_lshlrev_b32_e32 v8, 28, v4
	v_lshlrev_b32_e32 v10, 27, v4
	v_add_co_u32 v5, s21, v5, -1
	s_wait_alu 0xf1ff
	v_cndmask_b32_e64 v9, 0, 1, s21
	v_not_b32_e32 v15, v6
	v_cmp_gt_i32_e64 s21, 0, v6
	v_not_b32_e32 v6, v7
	v_lshlrev_b32_e32 v11, 26, v4
	v_cmp_ne_u32_e32 vcc_lo, 0, v9
	v_ashrrev_i32_e32 v15, 31, v15
	v_lshlrev_b32_e32 v14, 25, v4
	v_ashrrev_i32_e32 v6, 31, v6
	v_lshlrev_b32_e32 v9, 24, v4
	s_wait_alu 0xfffd
	v_xor_b32_e32 v5, vcc_lo, v5
	v_cmp_gt_i32_e32 vcc_lo, 0, v7
	v_not_b32_e32 v7, v8
	s_wait_alu 0xf1ff
	v_xor_b32_e32 v15, s21, v15
	v_cmp_gt_i32_e64 s21, 0, v8
	v_and_b32_e32 v5, exec_lo, v5
	v_not_b32_e32 v8, v10
	v_ashrrev_i32_e32 v7, 31, v7
	s_wait_alu 0xfffd
	v_xor_b32_e32 v6, vcc_lo, v6
	v_cmp_gt_i32_e32 vcc_lo, 0, v10
	v_and_b32_e32 v5, v5, v15
	v_not_b32_e32 v10, v11
	v_ashrrev_i32_e32 v8, 31, v8
	s_wait_alu 0xf1ff
	v_xor_b32_e32 v7, s21, v7
	v_cmp_gt_i32_e64 s21, 0, v11
	v_and_b32_e32 v5, v5, v6
	v_not_b32_e32 v6, v14
	v_ashrrev_i32_e32 v10, 31, v10
	s_wait_alu 0xfffd
	v_xor_b32_e32 v8, vcc_lo, v8
	v_cmp_gt_i32_e32 vcc_lo, 0, v14
	v_and_b32_e32 v5, v5, v7
	v_not_b32_e32 v7, v9
	v_ashrrev_i32_e32 v6, 31, v6
	s_wait_alu 0xf1ff
	v_xor_b32_e32 v10, s21, v10
	v_lshlrev_b32_e32 v4, 5, v4
	v_and_b32_e32 v5, v5, v8
	v_cmp_gt_i32_e64 s21, 0, v9
	v_ashrrev_i32_e32 v7, 31, v7
	s_wait_alu 0xfffd
	v_xor_b32_e32 v6, vcc_lo, v6
	v_add_nc_u32_e32 v48, v133, v4
	v_and_b32_e32 v5, v5, v10
	s_wait_alu 0xf1ff
	v_xor_b32_e32 v4, s21, v7
	ds_load_b32 v14, v48 offset:32
	v_and_b32_e32 v5, v5, v6
	; wave barrier
	s_delay_alu instid0(VALU_DEP_1) | instskip(NEXT) | instid1(VALU_DEP_1)
	v_and_b32_e32 v4, v5, v4
	v_mbcnt_lo_u32_b32 v15, v4, 0
	v_cmp_ne_u32_e64 s21, 0, v4
	s_delay_alu instid0(VALU_DEP_2)
	v_cmp_eq_u32_e32 vcc_lo, 0, v15
	s_and_b32 s36, s21, vcc_lo
	s_wait_alu 0xfffe
	s_and_saveexec_b32 s21, s36
	s_cbranch_execz .LBB181_36
; %bb.35:                               ;   in Loop: Header=BB181_32 Depth=1
	s_wait_dscnt 0x0
	v_bcnt_u32_b32 v4, v4, v14
	ds_store_b32 v48, v4 offset:32
.LBB181_36:                             ;   in Loop: Header=BB181_32 Depth=1
	s_wait_alu 0xfffe
	s_or_b32 exec_lo, exec_lo, s21
	v_cmp_ne_u64_e32 vcc_lo, s[26:27], v[102:103]
	; wave barrier
	s_wait_alu 0xfffd
	v_cndmask_b32_e32 v5, 0x80000000, v103, vcc_lo
	v_cndmask_b32_e32 v4, 0, v102, vcc_lo
	s_delay_alu instid0(VALU_DEP_1) | instskip(NEXT) | instid1(VALU_DEP_1)
	v_lshrrev_b64 v[4:5], v69, v[4:5]
	v_and_b32_e32 v4, s33, v4
	s_delay_alu instid0(VALU_DEP_1)
	v_and_b32_e32 v5, 1, v4
	v_lshlrev_b32_e32 v6, 30, v4
	v_lshlrev_b32_e32 v7, 29, v4
	v_lshlrev_b32_e32 v8, 28, v4
	v_lshlrev_b32_e32 v10, 27, v4
	v_add_co_u32 v5, s21, v5, -1
	s_wait_alu 0xf1ff
	v_cndmask_b32_e64 v9, 0, 1, s21
	v_not_b32_e32 v50, v6
	v_cmp_gt_i32_e64 s21, 0, v6
	v_not_b32_e32 v6, v7
	v_lshlrev_b32_e32 v11, 26, v4
	v_cmp_ne_u32_e32 vcc_lo, 0, v9
	v_ashrrev_i32_e32 v50, 31, v50
	v_lshlrev_b32_e32 v49, 25, v4
	v_ashrrev_i32_e32 v6, 31, v6
	v_lshlrev_b32_e32 v9, 24, v4
	s_wait_alu 0xfffd
	v_xor_b32_e32 v5, vcc_lo, v5
	v_cmp_gt_i32_e32 vcc_lo, 0, v7
	v_not_b32_e32 v7, v8
	s_wait_alu 0xf1ff
	v_xor_b32_e32 v50, s21, v50
	v_cmp_gt_i32_e64 s21, 0, v8
	v_and_b32_e32 v5, exec_lo, v5
	v_not_b32_e32 v8, v10
	v_ashrrev_i32_e32 v7, 31, v7
	s_wait_alu 0xfffd
	v_xor_b32_e32 v6, vcc_lo, v6
	v_cmp_gt_i32_e32 vcc_lo, 0, v10
	v_and_b32_e32 v5, v5, v50
	v_not_b32_e32 v10, v11
	v_ashrrev_i32_e32 v8, 31, v8
	s_wait_alu 0xf1ff
	v_xor_b32_e32 v7, s21, v7
	v_cmp_gt_i32_e64 s21, 0, v11
	v_and_b32_e32 v5, v5, v6
	v_not_b32_e32 v6, v49
	v_ashrrev_i32_e32 v10, 31, v10
	s_wait_alu 0xfffd
	v_xor_b32_e32 v8, vcc_lo, v8
	v_cmp_gt_i32_e32 vcc_lo, 0, v49
	v_and_b32_e32 v5, v5, v7
	v_not_b32_e32 v7, v9
	v_ashrrev_i32_e32 v6, 31, v6
	s_wait_alu 0xf1ff
	v_xor_b32_e32 v10, s21, v10
	v_lshlrev_b32_e32 v4, 5, v4
	v_and_b32_e32 v5, v5, v8
	v_cmp_gt_i32_e64 s21, 0, v9
	v_ashrrev_i32_e32 v7, 31, v7
	s_wait_alu 0xfffd
	v_xor_b32_e32 v6, vcc_lo, v6
	v_add_nc_u32_e32 v51, v133, v4
	v_and_b32_e32 v5, v5, v10
	s_wait_alu 0xf1ff
	v_xor_b32_e32 v4, s21, v7
	ds_load_b32 v49, v51 offset:32
	v_and_b32_e32 v5, v5, v6
	; wave barrier
	s_delay_alu instid0(VALU_DEP_1) | instskip(NEXT) | instid1(VALU_DEP_1)
	v_and_b32_e32 v4, v5, v4
	v_mbcnt_lo_u32_b32 v50, v4, 0
	v_cmp_ne_u32_e64 s21, 0, v4
	s_delay_alu instid0(VALU_DEP_2)
	v_cmp_eq_u32_e32 vcc_lo, 0, v50
	s_and_b32 s36, s21, vcc_lo
	s_wait_alu 0xfffe
	s_and_saveexec_b32 s21, s36
	s_cbranch_execz .LBB181_38
; %bb.37:                               ;   in Loop: Header=BB181_32 Depth=1
	s_wait_dscnt 0x0
	v_bcnt_u32_b32 v4, v4, v49
	ds_store_b32 v51, v4 offset:32
.LBB181_38:                             ;   in Loop: Header=BB181_32 Depth=1
	s_wait_alu 0xfffe
	s_or_b32 exec_lo, exec_lo, s21
	v_cmp_ne_u64_e32 vcc_lo, s[26:27], v[100:101]
	; wave barrier
	s_wait_alu 0xfffd
	v_cndmask_b32_e32 v5, 0x80000000, v101, vcc_lo
	v_cndmask_b32_e32 v4, 0, v100, vcc_lo
	s_delay_alu instid0(VALU_DEP_1) | instskip(NEXT) | instid1(VALU_DEP_1)
	v_lshrrev_b64 v[4:5], v69, v[4:5]
	v_and_b32_e32 v4, s33, v4
	s_delay_alu instid0(VALU_DEP_1)
	v_and_b32_e32 v5, 1, v4
	v_lshlrev_b32_e32 v6, 30, v4
	v_lshlrev_b32_e32 v7, 29, v4
	;; [unrolled: 1-line block ×4, first 2 shown]
	v_add_co_u32 v5, s21, v5, -1
	s_wait_alu 0xf1ff
	v_cndmask_b32_e64 v9, 0, 1, s21
	v_not_b32_e32 v53, v6
	v_cmp_gt_i32_e64 s21, 0, v6
	v_not_b32_e32 v6, v7
	v_lshlrev_b32_e32 v11, 26, v4
	v_cmp_ne_u32_e32 vcc_lo, 0, v9
	v_ashrrev_i32_e32 v53, 31, v53
	v_lshlrev_b32_e32 v52, 25, v4
	v_ashrrev_i32_e32 v6, 31, v6
	v_lshlrev_b32_e32 v9, 24, v4
	s_wait_alu 0xfffd
	v_xor_b32_e32 v5, vcc_lo, v5
	v_cmp_gt_i32_e32 vcc_lo, 0, v7
	v_not_b32_e32 v7, v8
	s_wait_alu 0xf1ff
	v_xor_b32_e32 v53, s21, v53
	v_cmp_gt_i32_e64 s21, 0, v8
	v_and_b32_e32 v5, exec_lo, v5
	v_not_b32_e32 v8, v10
	v_ashrrev_i32_e32 v7, 31, v7
	s_wait_alu 0xfffd
	v_xor_b32_e32 v6, vcc_lo, v6
	v_cmp_gt_i32_e32 vcc_lo, 0, v10
	v_and_b32_e32 v5, v5, v53
	v_not_b32_e32 v10, v11
	v_ashrrev_i32_e32 v8, 31, v8
	s_wait_alu 0xf1ff
	v_xor_b32_e32 v7, s21, v7
	v_cmp_gt_i32_e64 s21, 0, v11
	v_and_b32_e32 v5, v5, v6
	v_not_b32_e32 v6, v52
	v_ashrrev_i32_e32 v10, 31, v10
	s_wait_alu 0xfffd
	v_xor_b32_e32 v8, vcc_lo, v8
	v_cmp_gt_i32_e32 vcc_lo, 0, v52
	v_and_b32_e32 v5, v5, v7
	v_not_b32_e32 v7, v9
	v_ashrrev_i32_e32 v6, 31, v6
	s_wait_alu 0xf1ff
	v_xor_b32_e32 v10, s21, v10
	v_lshlrev_b32_e32 v4, 5, v4
	v_and_b32_e32 v5, v5, v8
	v_cmp_gt_i32_e64 s21, 0, v9
	v_ashrrev_i32_e32 v7, 31, v7
	s_wait_alu 0xfffd
	v_xor_b32_e32 v6, vcc_lo, v6
	v_add_nc_u32_e32 v54, v133, v4
	v_and_b32_e32 v5, v5, v10
	s_wait_alu 0xf1ff
	v_xor_b32_e32 v4, s21, v7
	ds_load_b32 v52, v54 offset:32
	v_and_b32_e32 v5, v5, v6
	; wave barrier
	s_delay_alu instid0(VALU_DEP_1) | instskip(NEXT) | instid1(VALU_DEP_1)
	v_and_b32_e32 v4, v5, v4
	v_mbcnt_lo_u32_b32 v53, v4, 0
	v_cmp_ne_u32_e64 s21, 0, v4
	s_delay_alu instid0(VALU_DEP_2)
	v_cmp_eq_u32_e32 vcc_lo, 0, v53
	s_and_b32 s36, s21, vcc_lo
	s_wait_alu 0xfffe
	s_and_saveexec_b32 s21, s36
	s_cbranch_execz .LBB181_40
; %bb.39:                               ;   in Loop: Header=BB181_32 Depth=1
	s_wait_dscnt 0x0
	v_bcnt_u32_b32 v4, v4, v52
	ds_store_b32 v54, v4 offset:32
.LBB181_40:                             ;   in Loop: Header=BB181_32 Depth=1
	s_wait_alu 0xfffe
	s_or_b32 exec_lo, exec_lo, s21
	v_cmp_ne_u64_e32 vcc_lo, s[26:27], v[98:99]
	; wave barrier
	s_wait_alu 0xfffd
	v_cndmask_b32_e32 v5, 0x80000000, v99, vcc_lo
	v_cndmask_b32_e32 v4, 0, v98, vcc_lo
	s_delay_alu instid0(VALU_DEP_1) | instskip(NEXT) | instid1(VALU_DEP_1)
	v_lshrrev_b64 v[4:5], v69, v[4:5]
	v_and_b32_e32 v4, s33, v4
	s_delay_alu instid0(VALU_DEP_1)
	v_and_b32_e32 v5, 1, v4
	v_lshlrev_b32_e32 v6, 30, v4
	v_lshlrev_b32_e32 v7, 29, v4
	;; [unrolled: 1-line block ×4, first 2 shown]
	v_add_co_u32 v5, s21, v5, -1
	s_wait_alu 0xf1ff
	v_cndmask_b32_e64 v9, 0, 1, s21
	v_not_b32_e32 v56, v6
	v_cmp_gt_i32_e64 s21, 0, v6
	v_not_b32_e32 v6, v7
	v_lshlrev_b32_e32 v11, 26, v4
	v_cmp_ne_u32_e32 vcc_lo, 0, v9
	v_ashrrev_i32_e32 v56, 31, v56
	v_lshlrev_b32_e32 v55, 25, v4
	v_ashrrev_i32_e32 v6, 31, v6
	v_lshlrev_b32_e32 v9, 24, v4
	s_wait_alu 0xfffd
	v_xor_b32_e32 v5, vcc_lo, v5
	v_cmp_gt_i32_e32 vcc_lo, 0, v7
	v_not_b32_e32 v7, v8
	s_wait_alu 0xf1ff
	v_xor_b32_e32 v56, s21, v56
	v_cmp_gt_i32_e64 s21, 0, v8
	v_and_b32_e32 v5, exec_lo, v5
	v_not_b32_e32 v8, v10
	v_ashrrev_i32_e32 v7, 31, v7
	s_wait_alu 0xfffd
	v_xor_b32_e32 v6, vcc_lo, v6
	v_cmp_gt_i32_e32 vcc_lo, 0, v10
	v_and_b32_e32 v5, v5, v56
	v_not_b32_e32 v10, v11
	v_ashrrev_i32_e32 v8, 31, v8
	s_wait_alu 0xf1ff
	v_xor_b32_e32 v7, s21, v7
	v_cmp_gt_i32_e64 s21, 0, v11
	v_and_b32_e32 v5, v5, v6
	v_not_b32_e32 v6, v55
	v_ashrrev_i32_e32 v10, 31, v10
	s_wait_alu 0xfffd
	v_xor_b32_e32 v8, vcc_lo, v8
	v_cmp_gt_i32_e32 vcc_lo, 0, v55
	v_and_b32_e32 v5, v5, v7
	v_not_b32_e32 v7, v9
	v_ashrrev_i32_e32 v6, 31, v6
	s_wait_alu 0xf1ff
	v_xor_b32_e32 v10, s21, v10
	v_lshlrev_b32_e32 v4, 5, v4
	v_and_b32_e32 v5, v5, v8
	v_cmp_gt_i32_e64 s21, 0, v9
	v_ashrrev_i32_e32 v7, 31, v7
	s_wait_alu 0xfffd
	v_xor_b32_e32 v6, vcc_lo, v6
	v_add_nc_u32_e32 v57, v133, v4
	v_and_b32_e32 v5, v5, v10
	s_wait_alu 0xf1ff
	v_xor_b32_e32 v4, s21, v7
	ds_load_b32 v55, v57 offset:32
	v_and_b32_e32 v5, v5, v6
	; wave barrier
	s_delay_alu instid0(VALU_DEP_1) | instskip(NEXT) | instid1(VALU_DEP_1)
	v_and_b32_e32 v4, v5, v4
	v_mbcnt_lo_u32_b32 v56, v4, 0
	v_cmp_ne_u32_e64 s21, 0, v4
	s_delay_alu instid0(VALU_DEP_2)
	v_cmp_eq_u32_e32 vcc_lo, 0, v56
	s_and_b32 s36, s21, vcc_lo
	s_wait_alu 0xfffe
	s_and_saveexec_b32 s21, s36
	s_cbranch_execz .LBB181_42
; %bb.41:                               ;   in Loop: Header=BB181_32 Depth=1
	s_wait_dscnt 0x0
	v_bcnt_u32_b32 v4, v4, v55
	ds_store_b32 v57, v4 offset:32
.LBB181_42:                             ;   in Loop: Header=BB181_32 Depth=1
	s_wait_alu 0xfffe
	s_or_b32 exec_lo, exec_lo, s21
	v_cmp_ne_u64_e32 vcc_lo, s[26:27], v[80:81]
	; wave barrier
	s_wait_alu 0xfffd
	v_cndmask_b32_e32 v5, 0x80000000, v81, vcc_lo
	v_cndmask_b32_e32 v4, 0, v80, vcc_lo
	s_delay_alu instid0(VALU_DEP_1) | instskip(NEXT) | instid1(VALU_DEP_1)
	v_lshrrev_b64 v[4:5], v69, v[4:5]
	v_and_b32_e32 v4, s33, v4
	s_delay_alu instid0(VALU_DEP_1)
	v_and_b32_e32 v5, 1, v4
	v_lshlrev_b32_e32 v6, 30, v4
	v_lshlrev_b32_e32 v7, 29, v4
	;; [unrolled: 1-line block ×4, first 2 shown]
	v_add_co_u32 v5, s21, v5, -1
	s_wait_alu 0xf1ff
	v_cndmask_b32_e64 v9, 0, 1, s21
	v_not_b32_e32 v59, v6
	v_cmp_gt_i32_e64 s21, 0, v6
	v_not_b32_e32 v6, v7
	v_lshlrev_b32_e32 v11, 26, v4
	v_cmp_ne_u32_e32 vcc_lo, 0, v9
	v_ashrrev_i32_e32 v59, 31, v59
	v_lshlrev_b32_e32 v58, 25, v4
	v_ashrrev_i32_e32 v6, 31, v6
	v_lshlrev_b32_e32 v9, 24, v4
	s_wait_alu 0xfffd
	v_xor_b32_e32 v5, vcc_lo, v5
	v_cmp_gt_i32_e32 vcc_lo, 0, v7
	v_not_b32_e32 v7, v8
	s_wait_alu 0xf1ff
	v_xor_b32_e32 v59, s21, v59
	v_cmp_gt_i32_e64 s21, 0, v8
	v_and_b32_e32 v5, exec_lo, v5
	v_not_b32_e32 v8, v10
	v_ashrrev_i32_e32 v7, 31, v7
	s_wait_alu 0xfffd
	v_xor_b32_e32 v6, vcc_lo, v6
	v_cmp_gt_i32_e32 vcc_lo, 0, v10
	v_and_b32_e32 v5, v5, v59
	v_not_b32_e32 v10, v11
	v_ashrrev_i32_e32 v8, 31, v8
	s_wait_alu 0xf1ff
	v_xor_b32_e32 v7, s21, v7
	v_cmp_gt_i32_e64 s21, 0, v11
	v_and_b32_e32 v5, v5, v6
	v_not_b32_e32 v6, v58
	v_ashrrev_i32_e32 v10, 31, v10
	s_wait_alu 0xfffd
	v_xor_b32_e32 v8, vcc_lo, v8
	v_cmp_gt_i32_e32 vcc_lo, 0, v58
	v_and_b32_e32 v5, v5, v7
	v_not_b32_e32 v7, v9
	v_ashrrev_i32_e32 v6, 31, v6
	s_wait_alu 0xf1ff
	v_xor_b32_e32 v10, s21, v10
	v_lshlrev_b32_e32 v4, 5, v4
	v_and_b32_e32 v5, v5, v8
	v_cmp_gt_i32_e64 s21, 0, v9
	v_ashrrev_i32_e32 v7, 31, v7
	s_wait_alu 0xfffd
	v_xor_b32_e32 v6, vcc_lo, v6
	v_add_nc_u32_e32 v60, v133, v4
	v_and_b32_e32 v5, v5, v10
	s_wait_alu 0xf1ff
	v_xor_b32_e32 v4, s21, v7
	ds_load_b32 v58, v60 offset:32
	v_and_b32_e32 v5, v5, v6
	; wave barrier
	s_delay_alu instid0(VALU_DEP_1) | instskip(NEXT) | instid1(VALU_DEP_1)
	v_and_b32_e32 v4, v5, v4
	v_mbcnt_lo_u32_b32 v59, v4, 0
	v_cmp_ne_u32_e64 s21, 0, v4
	s_delay_alu instid0(VALU_DEP_2)
	v_cmp_eq_u32_e32 vcc_lo, 0, v59
	s_and_b32 s36, s21, vcc_lo
	s_wait_alu 0xfffe
	s_and_saveexec_b32 s21, s36
	s_cbranch_execz .LBB181_44
; %bb.43:                               ;   in Loop: Header=BB181_32 Depth=1
	s_wait_dscnt 0x0
	v_bcnt_u32_b32 v4, v4, v58
	ds_store_b32 v60, v4 offset:32
.LBB181_44:                             ;   in Loop: Header=BB181_32 Depth=1
	s_wait_alu 0xfffe
	s_or_b32 exec_lo, exec_lo, s21
	v_cmp_ne_u64_e32 vcc_lo, s[26:27], v[78:79]
	; wave barrier
	s_wait_alu 0xfffd
	v_cndmask_b32_e32 v5, 0x80000000, v79, vcc_lo
	v_cndmask_b32_e32 v4, 0, v78, vcc_lo
	s_delay_alu instid0(VALU_DEP_1) | instskip(NEXT) | instid1(VALU_DEP_1)
	v_lshrrev_b64 v[4:5], v69, v[4:5]
	v_and_b32_e32 v4, s33, v4
	s_delay_alu instid0(VALU_DEP_1)
	v_and_b32_e32 v5, 1, v4
	v_lshlrev_b32_e32 v6, 30, v4
	v_lshlrev_b32_e32 v7, 29, v4
	;; [unrolled: 1-line block ×4, first 2 shown]
	v_add_co_u32 v5, s21, v5, -1
	s_wait_alu 0xf1ff
	v_cndmask_b32_e64 v9, 0, 1, s21
	v_not_b32_e32 v62, v6
	v_cmp_gt_i32_e64 s21, 0, v6
	v_not_b32_e32 v6, v7
	v_lshlrev_b32_e32 v11, 26, v4
	v_cmp_ne_u32_e32 vcc_lo, 0, v9
	v_ashrrev_i32_e32 v62, 31, v62
	v_lshlrev_b32_e32 v61, 25, v4
	v_ashrrev_i32_e32 v6, 31, v6
	v_lshlrev_b32_e32 v9, 24, v4
	s_wait_alu 0xfffd
	v_xor_b32_e32 v5, vcc_lo, v5
	v_cmp_gt_i32_e32 vcc_lo, 0, v7
	v_not_b32_e32 v7, v8
	s_wait_alu 0xf1ff
	v_xor_b32_e32 v62, s21, v62
	v_cmp_gt_i32_e64 s21, 0, v8
	v_and_b32_e32 v5, exec_lo, v5
	v_not_b32_e32 v8, v10
	v_ashrrev_i32_e32 v7, 31, v7
	s_wait_alu 0xfffd
	v_xor_b32_e32 v6, vcc_lo, v6
	v_cmp_gt_i32_e32 vcc_lo, 0, v10
	v_and_b32_e32 v5, v5, v62
	v_not_b32_e32 v10, v11
	v_ashrrev_i32_e32 v8, 31, v8
	s_wait_alu 0xf1ff
	v_xor_b32_e32 v7, s21, v7
	v_cmp_gt_i32_e64 s21, 0, v11
	v_and_b32_e32 v5, v5, v6
	v_not_b32_e32 v6, v61
	v_ashrrev_i32_e32 v10, 31, v10
	s_wait_alu 0xfffd
	v_xor_b32_e32 v8, vcc_lo, v8
	v_cmp_gt_i32_e32 vcc_lo, 0, v61
	v_and_b32_e32 v5, v5, v7
	v_not_b32_e32 v7, v9
	v_ashrrev_i32_e32 v6, 31, v6
	s_wait_alu 0xf1ff
	v_xor_b32_e32 v10, s21, v10
	v_lshlrev_b32_e32 v4, 5, v4
	v_and_b32_e32 v5, v5, v8
	v_cmp_gt_i32_e64 s21, 0, v9
	v_ashrrev_i32_e32 v7, 31, v7
	s_wait_alu 0xfffd
	v_xor_b32_e32 v6, vcc_lo, v6
	v_add_nc_u32_e32 v63, v133, v4
	v_and_b32_e32 v5, v5, v10
	s_wait_alu 0xf1ff
	v_xor_b32_e32 v4, s21, v7
	ds_load_b32 v61, v63 offset:32
	v_and_b32_e32 v5, v5, v6
	; wave barrier
	s_delay_alu instid0(VALU_DEP_1) | instskip(NEXT) | instid1(VALU_DEP_1)
	v_and_b32_e32 v4, v5, v4
	v_mbcnt_lo_u32_b32 v62, v4, 0
	v_cmp_ne_u32_e64 s21, 0, v4
	s_delay_alu instid0(VALU_DEP_2)
	v_cmp_eq_u32_e32 vcc_lo, 0, v62
	s_and_b32 s36, s21, vcc_lo
	s_wait_alu 0xfffe
	s_and_saveexec_b32 s21, s36
	s_cbranch_execz .LBB181_46
; %bb.45:                               ;   in Loop: Header=BB181_32 Depth=1
	s_wait_dscnt 0x0
	v_bcnt_u32_b32 v4, v4, v61
	ds_store_b32 v63, v4 offset:32
.LBB181_46:                             ;   in Loop: Header=BB181_32 Depth=1
	s_wait_alu 0xfffe
	s_or_b32 exec_lo, exec_lo, s21
	v_cmp_ne_u64_e32 vcc_lo, s[26:27], v[76:77]
	; wave barrier
	s_wait_alu 0xfffd
	v_cndmask_b32_e32 v5, 0x80000000, v77, vcc_lo
	v_cndmask_b32_e32 v4, 0, v76, vcc_lo
	s_delay_alu instid0(VALU_DEP_1) | instskip(NEXT) | instid1(VALU_DEP_1)
	v_lshrrev_b64 v[4:5], v69, v[4:5]
	v_and_b32_e32 v4, s33, v4
	s_delay_alu instid0(VALU_DEP_1)
	v_and_b32_e32 v5, 1, v4
	v_lshlrev_b32_e32 v6, 30, v4
	v_lshlrev_b32_e32 v7, 29, v4
	;; [unrolled: 1-line block ×4, first 2 shown]
	v_add_co_u32 v5, s21, v5, -1
	s_wait_alu 0xf1ff
	v_cndmask_b32_e64 v9, 0, 1, s21
	v_not_b32_e32 v65, v6
	v_cmp_gt_i32_e64 s21, 0, v6
	v_not_b32_e32 v6, v7
	v_lshlrev_b32_e32 v11, 26, v4
	v_cmp_ne_u32_e32 vcc_lo, 0, v9
	v_ashrrev_i32_e32 v65, 31, v65
	v_lshlrev_b32_e32 v64, 25, v4
	v_ashrrev_i32_e32 v6, 31, v6
	v_lshlrev_b32_e32 v9, 24, v4
	s_wait_alu 0xfffd
	v_xor_b32_e32 v5, vcc_lo, v5
	v_cmp_gt_i32_e32 vcc_lo, 0, v7
	v_not_b32_e32 v7, v8
	s_wait_alu 0xf1ff
	v_xor_b32_e32 v65, s21, v65
	v_cmp_gt_i32_e64 s21, 0, v8
	v_and_b32_e32 v5, exec_lo, v5
	v_not_b32_e32 v8, v10
	v_ashrrev_i32_e32 v7, 31, v7
	s_wait_alu 0xfffd
	v_xor_b32_e32 v6, vcc_lo, v6
	v_cmp_gt_i32_e32 vcc_lo, 0, v10
	v_and_b32_e32 v5, v5, v65
	v_not_b32_e32 v10, v11
	v_ashrrev_i32_e32 v8, 31, v8
	s_wait_alu 0xf1ff
	v_xor_b32_e32 v7, s21, v7
	v_cmp_gt_i32_e64 s21, 0, v11
	v_and_b32_e32 v5, v5, v6
	v_not_b32_e32 v6, v64
	v_ashrrev_i32_e32 v10, 31, v10
	s_wait_alu 0xfffd
	v_xor_b32_e32 v8, vcc_lo, v8
	v_cmp_gt_i32_e32 vcc_lo, 0, v64
	v_and_b32_e32 v5, v5, v7
	v_not_b32_e32 v7, v9
	v_ashrrev_i32_e32 v6, 31, v6
	s_wait_alu 0xf1ff
	v_xor_b32_e32 v10, s21, v10
	v_lshlrev_b32_e32 v4, 5, v4
	v_and_b32_e32 v5, v5, v8
	v_cmp_gt_i32_e64 s21, 0, v9
	v_ashrrev_i32_e32 v7, 31, v7
	s_wait_alu 0xfffd
	v_xor_b32_e32 v6, vcc_lo, v6
	v_add_nc_u32_e32 v66, v133, v4
	v_and_b32_e32 v5, v5, v10
	s_wait_alu 0xf1ff
	v_xor_b32_e32 v4, s21, v7
	ds_load_b32 v64, v66 offset:32
	v_and_b32_e32 v5, v5, v6
	; wave barrier
	s_delay_alu instid0(VALU_DEP_1) | instskip(NEXT) | instid1(VALU_DEP_1)
	v_and_b32_e32 v4, v5, v4
	v_mbcnt_lo_u32_b32 v65, v4, 0
	v_cmp_ne_u32_e64 s21, 0, v4
	s_delay_alu instid0(VALU_DEP_2)
	v_cmp_eq_u32_e32 vcc_lo, 0, v65
	s_and_b32 s33, s21, vcc_lo
	s_wait_alu 0xfffe
	s_and_saveexec_b32 s21, s33
	s_cbranch_execz .LBB181_48
; %bb.47:                               ;   in Loop: Header=BB181_32 Depth=1
	s_wait_dscnt 0x0
	v_bcnt_u32_b32 v4, v4, v64
	ds_store_b32 v66, v4 offset:32
.LBB181_48:                             ;   in Loop: Header=BB181_32 Depth=1
	s_wait_alu 0xfffe
	s_or_b32 exec_lo, exec_lo, s21
	; wave barrier
	s_wait_loadcnt_dscnt 0x0
	s_barrier_signal -1
	s_barrier_wait -1
	global_inv scope:SCOPE_SE
	ds_load_b128 v[8:11], v115 offset:32
	ds_load_b128 v[4:7], v115 offset:48
	s_wait_dscnt 0x1
	v_add_nc_u32_e32 v67, v9, v8
	s_delay_alu instid0(VALU_DEP_1) | instskip(SKIP_1) | instid1(VALU_DEP_1)
	v_add3_u32 v67, v67, v10, v11
	s_wait_dscnt 0x0
	v_add3_u32 v67, v67, v4, v5
	s_delay_alu instid0(VALU_DEP_1) | instskip(NEXT) | instid1(VALU_DEP_1)
	v_add3_u32 v7, v67, v6, v7
	v_mov_b32_dpp v67, v7 row_shr:1 row_mask:0xf bank_mask:0xf
	s_delay_alu instid0(VALU_DEP_1) | instskip(NEXT) | instid1(VALU_DEP_1)
	v_cndmask_b32_e64 v67, v67, 0, s11
	v_add_nc_u32_e32 v7, v67, v7
	s_delay_alu instid0(VALU_DEP_1) | instskip(NEXT) | instid1(VALU_DEP_1)
	v_mov_b32_dpp v67, v7 row_shr:2 row_mask:0xf bank_mask:0xf
	v_cndmask_b32_e64 v67, 0, v67, s13
	s_delay_alu instid0(VALU_DEP_1) | instskip(NEXT) | instid1(VALU_DEP_1)
	v_add_nc_u32_e32 v7, v7, v67
	v_mov_b32_dpp v67, v7 row_shr:4 row_mask:0xf bank_mask:0xf
	s_delay_alu instid0(VALU_DEP_1) | instskip(NEXT) | instid1(VALU_DEP_1)
	v_cndmask_b32_e64 v67, 0, v67, s14
	v_add_nc_u32_e32 v7, v7, v67
	s_delay_alu instid0(VALU_DEP_1) | instskip(NEXT) | instid1(VALU_DEP_1)
	v_mov_b32_dpp v67, v7 row_shr:8 row_mask:0xf bank_mask:0xf
	v_cndmask_b32_e64 v67, 0, v67, s15
	s_delay_alu instid0(VALU_DEP_1) | instskip(SKIP_3) | instid1(VALU_DEP_1)
	v_add_nc_u32_e32 v7, v7, v67
	ds_swizzle_b32 v67, v7 offset:swizzle(BROADCAST,32,15)
	s_wait_dscnt 0x0
	v_cndmask_b32_e64 v67, v67, 0, s16
	v_add_nc_u32_e32 v7, v7, v67
	s_and_saveexec_b32 s21, s17
; %bb.49:                               ;   in Loop: Header=BB181_32 Depth=1
	ds_store_b32 v116, v7
; %bb.50:                               ;   in Loop: Header=BB181_32 Depth=1
	s_wait_alu 0xfffe
	s_or_b32 exec_lo, exec_lo, s21
	s_wait_loadcnt_dscnt 0x0
	s_barrier_signal -1
	s_barrier_wait -1
	global_inv scope:SCOPE_SE
	s_and_saveexec_b32 s21, s8
	s_cbranch_execz .LBB181_52
; %bb.51:                               ;   in Loop: Header=BB181_32 Depth=1
	ds_load_b32 v67, v134
	s_wait_dscnt 0x0
	v_mov_b32_dpp v135, v67 row_shr:1 row_mask:0xf bank_mask:0xf
	s_delay_alu instid0(VALU_DEP_1) | instskip(NEXT) | instid1(VALU_DEP_1)
	v_cndmask_b32_e64 v135, v135, 0, s18
	v_add_nc_u32_e32 v67, v135, v67
	s_delay_alu instid0(VALU_DEP_1) | instskip(NEXT) | instid1(VALU_DEP_1)
	v_mov_b32_dpp v135, v67 row_shr:2 row_mask:0xf bank_mask:0xf
	v_cndmask_b32_e64 v135, 0, v135, s19
	s_delay_alu instid0(VALU_DEP_1) | instskip(NEXT) | instid1(VALU_DEP_1)
	v_add_nc_u32_e32 v67, v67, v135
	v_mov_b32_dpp v135, v67 row_shr:4 row_mask:0xf bank_mask:0xf
	s_delay_alu instid0(VALU_DEP_1) | instskip(NEXT) | instid1(VALU_DEP_1)
	v_cndmask_b32_e64 v135, 0, v135, s20
	v_add_nc_u32_e32 v67, v67, v135
	ds_store_b32 v134, v67
.LBB181_52:                             ;   in Loop: Header=BB181_32 Depth=1
	s_wait_alu 0xfffe
	s_or_b32 exec_lo, exec_lo, s21
	v_mov_b32_e32 v67, 0
	s_wait_loadcnt_dscnt 0x0
	s_barrier_signal -1
	s_barrier_wait -1
	global_inv scope:SCOPE_SE
	s_and_saveexec_b32 s21, s9
; %bb.53:                               ;   in Loop: Header=BB181_32 Depth=1
	ds_load_b32 v67, v132
; %bb.54:                               ;   in Loop: Header=BB181_32 Depth=1
	s_wait_alu 0xfffe
	s_or_b32 exec_lo, exec_lo, s21
	s_wait_dscnt 0x0
	v_add_nc_u32_e32 v7, v67, v7
	v_cmp_lt_u32_e32 vcc_lo, 55, v69
	s_mov_b32 s21, -1
	ds_bpermute_b32 v7, v131, v7
	s_and_b32 vcc_lo, exec_lo, vcc_lo
	s_wait_dscnt 0x0
	v_cndmask_b32_e64 v7, v7, v67, s12
	s_delay_alu instid0(VALU_DEP_1) | instskip(NEXT) | instid1(VALU_DEP_1)
	v_cndmask_b32_e64 v7, v7, 0, s10
	v_add_nc_u32_e32 v8, v7, v8
	s_delay_alu instid0(VALU_DEP_1) | instskip(NEXT) | instid1(VALU_DEP_1)
	v_add_nc_u32_e32 v9, v8, v9
	v_add_nc_u32_e32 v10, v9, v10
	s_delay_alu instid0(VALU_DEP_1) | instskip(NEXT) | instid1(VALU_DEP_1)
	v_add_nc_u32_e32 v135, v10, v11
	;; [unrolled: 3-line block ×3, first 2 shown]
	v_add_nc_u32_e32 v138, v137, v6
	ds_store_b128 v115, v[7:10] offset:32
	ds_store_b128 v115, v[135:138] offset:48
	s_wait_loadcnt_dscnt 0x0
	s_barrier_signal -1
	s_barrier_wait -1
	global_inv scope:SCOPE_SE
	ds_load_b32 v4, v13 offset:32
	ds_load_b32 v5, v48 offset:32
	ds_load_b32 v6, v51 offset:32
	ds_load_b32 v7, v54 offset:32
	ds_load_b32 v8, v57 offset:32
	ds_load_b32 v9, v60 offset:32
	ds_load_b32 v10, v63 offset:32
	ds_load_b32 v11, v66 offset:32
	s_wait_dscnt 0x7
	v_add_nc_u32_e32 v142, v4, v12
	s_wait_dscnt 0x6
	v_add3_u32 v141, v15, v14, v5
	s_wait_dscnt 0x5
	v_add3_u32 v140, v50, v49, v6
	;; [unrolled: 2-line block ×7, first 2 shown]
                                        ; implicit-def: $vgpr66_vgpr67
                                        ; implicit-def: $vgpr14_vgpr15
                                        ; implicit-def: $vgpr10_vgpr11
                                        ; implicit-def: $vgpr6_vgpr7
                                        ; implicit-def: $vgpr62_vgpr63
                                        ; implicit-def: $vgpr58_vgpr59
                                        ; implicit-def: $vgpr54_vgpr55
                                        ; implicit-def: $vgpr50_vgpr51
	s_wait_alu 0xfffe
	s_cbranch_vccnz .LBB181_31
; %bb.55:                               ;   in Loop: Header=BB181_32 Depth=1
	v_lshlrev_b32_e32 v48, 3, v142
	v_lshlrev_b32_e32 v51, 3, v139
	v_lshlrev_b32_e32 v49, 3, v141
	v_lshlrev_b32_e32 v52, 3, v138
	v_lshlrev_b32_e32 v50, 3, v140
	v_lshlrev_b32_e32 v53, 3, v137
	v_lshlrev_b32_e32 v54, 3, v136
	v_lshlrev_b32_e32 v55, 3, v135
	s_wait_loadcnt 0x0
	s_barrier_signal -1
	s_barrier_wait -1
	global_inv scope:SCOPE_SE
	ds_store_b64 v48, v[74:75]
	ds_store_b64 v49, v[104:105]
	;; [unrolled: 1-line block ×8, first 2 shown]
	s_wait_loadcnt_dscnt 0x0
	s_barrier_signal -1
	s_barrier_wait -1
	global_inv scope:SCOPE_SE
	ds_load_2addr_b64 v[4:7], v130 offset1:32
	ds_load_2addr_b64 v[8:11], v130 offset0:64 offset1:96
	ds_load_2addr_b64 v[12:15], v130 offset0:128 offset1:160
	;; [unrolled: 1-line block ×3, first 2 shown]
	s_wait_loadcnt_dscnt 0x0
	s_barrier_signal -1
	s_barrier_wait -1
	global_inv scope:SCOPE_SE
	ds_store_b64 v48, v[96:97]
	ds_store_b64 v49, v[94:95]
	;; [unrolled: 1-line block ×8, first 2 shown]
	s_wait_loadcnt_dscnt 0x0
	s_barrier_signal -1
	s_barrier_wait -1
	global_inv scope:SCOPE_SE
	ds_load_2addr_b64 v[48:51], v130 offset1:32
	ds_load_2addr_b64 v[52:55], v130 offset0:64 offset1:96
	ds_load_2addr_b64 v[56:59], v130 offset0:128 offset1:160
	;; [unrolled: 1-line block ×3, first 2 shown]
	v_add_co_u32 v69, vcc_lo, v69, 8
	s_wait_alu 0xfffd
	v_add_co_ci_u32_e64 v70, null, 0, v70, vcc_lo
	s_add_co_i32 s29, s29, -8
	s_mov_b32 s21, 0
	s_wait_loadcnt_dscnt 0x0
	s_barrier_signal -1
	s_barrier_wait -1
	global_inv scope:SCOPE_SE
	s_branch .LBB181_31
.LBB181_56:
	v_lshlrev_b64_e32 v[1:2], 3, v[68:69]
	v_mov_b32_e32 v70, v69
	v_dual_mov_b32 v4, v69 :: v_dual_mov_b32 v5, v69
	v_dual_mov_b32 v6, v69 :: v_dual_mov_b32 v7, v69
	s_delay_alu instid0(VALU_DEP_4)
	v_add_co_u32 v1, vcc_lo, s34, v1
	s_wait_alu 0xfffd
	v_add_co_ci_u32_e64 v2, null, s35, v2, vcc_lo
	v_dual_mov_b32 v8, v69 :: v_dual_mov_b32 v9, v69
	v_dual_mov_b32 v10, v69 :: v_dual_mov_b32 v13, v69
	global_load_b64 v[11:12], v[1:2], off
	v_dual_mov_b32 v1, v69 :: v_dual_mov_b32 v2, v69
	v_dual_mov_b32 v3, v69 :: v_dual_mov_b32 v14, v69
	s_wait_alu 0xfffe
	s_or_b32 exec_lo, exec_lo, s8
	s_and_saveexec_b32 s8, s1
	s_cbranch_execz .LBB181_22
.LBB181_57:
	v_mul_lo_u32 v39, s28, v32
	v_mov_b32_e32 v40, 0
	s_delay_alu instid0(VALU_DEP_1) | instskip(NEXT) | instid1(VALU_DEP_1)
	v_lshlrev_b64_e32 v[39:40], 3, v[39:40]
	v_add_co_u32 v39, vcc_lo, s34, v39
	s_wait_alu 0xfffd
	s_delay_alu instid0(VALU_DEP_2)
	v_add_co_ci_u32_e64 v40, null, s35, v40, vcc_lo
	global_load_b64 v[69:70], v[39:40], off
	s_wait_alu 0xfffe
	s_or_b32 exec_lo, exec_lo, s8
	s_and_saveexec_b32 s8, s2
	s_cbranch_execz .LBB181_23
.LBB181_58:
	v_mul_lo_u32 v1, s28, v33
	v_mov_b32_e32 v2, 0
	s_delay_alu instid0(VALU_DEP_1) | instskip(NEXT) | instid1(VALU_DEP_1)
	v_lshlrev_b64_e32 v[1:2], 3, v[1:2]
	v_add_co_u32 v1, vcc_lo, s34, v1
	s_wait_alu 0xfffd
	s_delay_alu instid0(VALU_DEP_2)
	v_add_co_ci_u32_e64 v2, null, s35, v2, vcc_lo
	global_load_b64 v[1:2], v[1:2], off
	s_wait_alu 0xfffe
	s_or_b32 exec_lo, exec_lo, s8
	s_and_saveexec_b32 s8, s3
	s_cbranch_execz .LBB181_24
.LBB181_59:
	v_mul_lo_u32 v3, s28, v34
	v_mov_b32_e32 v4, 0
	s_delay_alu instid0(VALU_DEP_1) | instskip(NEXT) | instid1(VALU_DEP_1)
	v_lshlrev_b64_e32 v[3:4], 3, v[3:4]
	v_add_co_u32 v3, vcc_lo, s34, v3
	s_wait_alu 0xfffd
	s_delay_alu instid0(VALU_DEP_2)
	v_add_co_ci_u32_e64 v4, null, s35, v4, vcc_lo
	global_load_b64 v[3:4], v[3:4], off
	s_wait_alu 0xfffe
	s_or_b32 exec_lo, exec_lo, s8
	s_and_saveexec_b32 s8, s4
	s_cbranch_execz .LBB181_25
.LBB181_60:
	v_mul_lo_u32 v5, s28, v35
	v_mov_b32_e32 v6, 0
	s_delay_alu instid0(VALU_DEP_1) | instskip(NEXT) | instid1(VALU_DEP_1)
	v_lshlrev_b64_e32 v[5:6], 3, v[5:6]
	v_add_co_u32 v5, vcc_lo, s34, v5
	s_wait_alu 0xfffd
	s_delay_alu instid0(VALU_DEP_2)
	v_add_co_ci_u32_e64 v6, null, s35, v6, vcc_lo
	global_load_b64 v[5:6], v[5:6], off
	s_wait_alu 0xfffe
	s_or_b32 exec_lo, exec_lo, s8
	s_and_saveexec_b32 s8, s5
	s_cbranch_execz .LBB181_26
.LBB181_61:
	v_mul_lo_u32 v7, s28, v36
	v_mov_b32_e32 v8, 0
	s_delay_alu instid0(VALU_DEP_1) | instskip(NEXT) | instid1(VALU_DEP_1)
	v_lshlrev_b64_e32 v[7:8], 3, v[7:8]
	v_add_co_u32 v7, vcc_lo, s34, v7
	s_wait_alu 0xfffd
	s_delay_alu instid0(VALU_DEP_2)
	v_add_co_ci_u32_e64 v8, null, s35, v8, vcc_lo
	global_load_b64 v[7:8], v[7:8], off
	s_wait_alu 0xfffe
	s_or_b32 exec_lo, exec_lo, s8
	s_and_saveexec_b32 s8, s6
	s_cbranch_execz .LBB181_27
.LBB181_62:
	v_mul_lo_u32 v9, s28, v37
	v_mov_b32_e32 v10, 0
	s_delay_alu instid0(VALU_DEP_1) | instskip(NEXT) | instid1(VALU_DEP_1)
	v_lshlrev_b64_e32 v[9:10], 3, v[9:10]
	v_add_co_u32 v9, vcc_lo, s34, v9
	s_wait_alu 0xfffd
	s_delay_alu instid0(VALU_DEP_2)
	v_add_co_ci_u32_e64 v10, null, s35, v10, vcc_lo
	global_load_b64 v[9:10], v[9:10], off
	s_wait_alu 0xfffe
	s_or_b32 exec_lo, exec_lo, s8
	s_xor_b32 s8, s20, -1
	s_and_saveexec_b32 s9, s7
	s_cbranch_execnz .LBB181_28
	s_branch .LBB181_29
.LBB181_63:
                                        ; implicit-def: $vgpr58_vgpr59
                                        ; implicit-def: $vgpr62_vgpr63
                                        ; implicit-def: $vgpr50_vgpr51
                                        ; implicit-def: $vgpr54_vgpr55
                                        ; implicit-def: $vgpr0_vgpr1_vgpr2_vgpr3_vgpr4_vgpr5_vgpr6_vgpr7_vgpr8_vgpr9_vgpr10_vgpr11_vgpr12_vgpr13_vgpr14_vgpr15
	s_cbranch_execnz .LBB181_65
	s_branch .LBB181_92
.LBB181_64:
	v_lshlrev_b32_e32 v48, 3, v142
	v_lshlrev_b32_e32 v51, 3, v139
	;; [unrolled: 1-line block ×9, first 2 shown]
	s_wait_loadcnt 0x0
	s_barrier_signal -1
	s_barrier_wait -1
	global_inv scope:SCOPE_SE
	ds_store_b64 v48, v[74:75]
	ds_store_b64 v49, v[104:105]
	;; [unrolled: 1-line block ×8, first 2 shown]
	s_wait_loadcnt_dscnt 0x0
	s_barrier_signal -1
	s_barrier_wait -1
	global_inv scope:SCOPE_SE
	ds_load_b128 v[0:3], v56
	ds_load_b128 v[4:7], v56 offset:16
	ds_load_b128 v[8:11], v56 offset:32
	;; [unrolled: 1-line block ×3, first 2 shown]
	s_wait_loadcnt_dscnt 0x0
	s_barrier_signal -1
	s_barrier_wait -1
	global_inv scope:SCOPE_SE
	ds_store_b64 v48, v[96:97]
	ds_store_b64 v49, v[94:95]
	;; [unrolled: 1-line block ×8, first 2 shown]
	s_wait_loadcnt_dscnt 0x0
	s_barrier_signal -1
	s_barrier_wait -1
	global_inv scope:SCOPE_SE
	ds_load_b128 v[52:55], v56
	ds_load_b128 v[48:51], v56 offset:16
	v_cmp_lt_i64_e32 vcc_lo, -1, v[0:1]
	v_ashrrev_i32_e32 v66, 31, v3
	v_ashrrev_i32_e32 v57, 31, v1
	s_wait_alu 0xfffd
	v_cndmask_b32_e64 v64, 0x80000000, -1, vcc_lo
	v_cmp_lt_i64_e32 vcc_lo, -1, v[2:3]
	v_not_b32_e32 v66, v66
	v_not_b32_e32 v65, v57
	ds_load_b128 v[60:63], v56 offset:32
	ds_load_b128 v[56:59], v56 offset:48
	v_xor_b32_e32 v1, v64, v1
	v_ashrrev_i32_e32 v64, 31, v5
	s_wait_alu 0xfffd
	v_cndmask_b32_e64 v67, 0x80000000, -1, vcc_lo
	v_cmp_lt_i64_e32 vcc_lo, -1, v[4:5]
	v_xor_b32_e32 v2, v66, v2
	v_xor_b32_e32 v0, v65, v0
	v_ashrrev_i32_e32 v65, 31, v7
	v_xor_b32_e32 v3, v67, v3
	v_not_b32_e32 v64, v64
	s_wait_alu 0xfffd
	v_cndmask_b32_e64 v66, 0x80000000, -1, vcc_lo
	v_cmp_lt_i64_e32 vcc_lo, -1, v[6:7]
	v_not_b32_e32 v65, v65
	v_xor_b32_e32 v4, v64, v4
	v_ashrrev_i32_e32 v64, 31, v9
	v_xor_b32_e32 v5, v66, v5
	s_wait_alu 0xfffd
	v_cndmask_b32_e64 v67, 0x80000000, -1, vcc_lo
	v_cmp_lt_i64_e32 vcc_lo, -1, v[8:9]
	v_xor_b32_e32 v6, v65, v6
	v_not_b32_e32 v64, v64
	v_ashrrev_i32_e32 v66, 31, v11
	v_xor_b32_e32 v7, v67, v7
	s_wait_alu 0xfffd
	v_cndmask_b32_e64 v65, 0x80000000, -1, vcc_lo
	v_cmp_lt_i64_e32 vcc_lo, -1, v[10:11]
	v_xor_b32_e32 v8, v64, v8
	v_not_b32_e32 v64, v66
	v_ashrrev_i32_e32 v66, 31, v15
	v_xor_b32_e32 v9, v65, v9
	v_ashrrev_i32_e32 v65, 31, v13
	s_wait_alu 0xfffd
	v_cndmask_b32_e64 v67, 0x80000000, -1, vcc_lo
	v_cmp_lt_i64_e32 vcc_lo, -1, v[12:13]
	v_not_b32_e32 v66, v66
	v_xor_b32_e32 v10, v64, v10
	v_not_b32_e32 v65, v65
	v_xor_b32_e32 v11, v67, v11
	s_wait_alu 0xfffd
	v_cndmask_b32_e64 v67, 0x80000000, -1, vcc_lo
	v_cmp_lt_i64_e32 vcc_lo, -1, v[14:15]
	v_xor_b32_e32 v12, v65, v12
	v_xor_b32_e32 v14, v66, v14
	s_delay_alu instid0(VALU_DEP_4) | instskip(SKIP_2) | instid1(VALU_DEP_1)
	v_xor_b32_e32 v13, v67, v13
	s_wait_alu 0xfffd
	v_cndmask_b32_e64 v69, 0x80000000, -1, vcc_lo
	v_xor_b32_e32 v15, v69, v15
	s_branch .LBB181_92
.LBB181_65:
	v_cmp_gt_i64_e32 vcc_lo, 0, v[28:29]
	v_not_b32_e32 v12, v124
	v_not_b32_e32 v8, v126
	;; [unrolled: 1-line block ×4, first 2 shown]
	v_or_b32_e32 v14, v118, v119
	s_wait_alu 0xfffd
	v_cndmask_b32_e64 v0, 0x7fffffff, 0, vcc_lo
	v_cmp_gt_i64_e32 vcc_lo, 0, v[30:31]
	s_getpc_b64 s[8:9]
	s_wait_alu 0xfffe
	s_sext_i32_i16 s9, s9
	s_add_co_u32 s8, s8, _ZN7rocprim17ROCPRIM_400000_NS16block_radix_sortIdLj256ELj8ElLj1ELj1ELj0ELNS0_26block_radix_rank_algorithmE1ELNS0_18block_padding_hintE2ELNS0_4arch9wavefront6targetE0EE19radix_bits_per_passE@rel32@lo+12
	s_wait_alu 0xfffe
	s_add_co_ci_u32 s9, s9, _ZN7rocprim17ROCPRIM_400000_NS16block_radix_sortIdLj256ELj8ElLj1ELj1ELj0ELNS0_26block_radix_rank_algorithmE1ELNS0_18block_padding_hintE2ELNS0_4arch9wavefront6targetE0EE19radix_bits_per_passE@rel32@hi+24
	v_cmp_gt_u32_e64 s15, 8, v73
	s_load_b32 s23, s[8:9], 0x0
	v_xor_b32_e32 v1, v0, v29
	v_xor_b32_e32 v0, v2, v28
	v_cndmask_b32_e64 v3, 0x7fffffff, 0, vcc_lo
	v_cmp_gt_i64_e32 vcc_lo, 0, v[24:25]
	v_xor_b32_e32 v2, v4, v30
	v_not_b32_e32 v4, v127
	v_cmp_lt_u32_e64 s16, 31, v73
	v_xor_b32_e32 v3, v3, v31
	v_cmp_eq_u32_e64 s17, 0, v73
	s_wait_alu 0xfffd
	v_cndmask_b32_e64 v5, 0x7fffffff, 0, vcc_lo
	v_cmp_gt_i64_e32 vcc_lo, 0, v[26:27]
	v_xor_b32_e32 v4, v4, v24
	v_add_nc_u32_e32 v77, v115, v117
	s_delay_alu instid0(VALU_DEP_4) | instskip(SKIP_3) | instid1(VALU_DEP_2)
	v_xor_b32_e32 v5, v5, v25
	s_wait_alu 0xfffd
	v_cndmask_b32_e64 v6, 0x7fffffff, 0, vcc_lo
	v_cmp_gt_i64_e32 vcc_lo, 0, v[20:21]
	v_xor_b32_e32 v7, v6, v27
	v_xor_b32_e32 v6, v8, v26
	s_wait_alu 0xfffd
	v_cndmask_b32_e64 v9, 0x7fffffff, 0, vcc_lo
	v_cmp_gt_i64_e32 vcc_lo, 0, v[22:23]
	v_not_b32_e32 v8, v125
	s_delay_alu instid0(VALU_DEP_3)
	v_xor_b32_e32 v9, v9, v21
	s_wait_alu 0xfffd
	v_cndmask_b32_e64 v10, 0x7fffffff, 0, vcc_lo
	v_cmp_gt_i64_e32 vcc_lo, 0, v[16:17]
	v_xor_b32_e32 v8, v8, v20
	v_lshlrev_b32_e32 v20, 6, v14
	ds_store_b128 v20, v[0:3]
	ds_store_b128 v20, v[4:7] offset:16
	s_wait_alu 0xfffd
	v_cndmask_b32_e64 v13, 0x7fffffff, 0, vcc_lo
	v_xor_b32_e32 v11, v10, v23
	v_xor_b32_e32 v10, v12, v22
	v_not_b32_e32 v12, v123
	v_cmp_gt_i64_e32 vcc_lo, 0, v[18:19]
	v_xor_b32_e32 v13, v13, v17
	v_not_b32_e32 v17, v122
	v_and_b32_e32 v3, 16, v118
	v_xor_b32_e32 v12, v12, v16
	v_and_or_b32 v16, 0x1f00, v72, v118
	s_wait_alu 0xfffd
	v_cndmask_b32_e64 v15, 0x7fffffff, 0, vcc_lo
	v_xor_b32_e32 v14, v17, v18
	s_delay_alu instid0(VALU_DEP_3) | instskip(NEXT) | instid1(VALU_DEP_3)
	v_lshlrev_b32_e32 v74, 3, v16
	v_xor_b32_e32 v15, v15, v19
	ds_store_b128 v20, v[8:11] offset:32
	ds_store_b128 v20, v[12:15] offset:48
	; wave barrier
	ds_load_2addr_b64 v[4:7], v74 offset1:32
	ds_load_2addr_b64 v[8:11], v74 offset0:64 offset1:96
	ds_load_2addr_b64 v[12:15], v74 offset0:128 offset1:160
	s_wait_dscnt 0x9
	ds_load_2addr_b64 v[48:51], v74 offset0:192 offset1:224
	; wave barrier
	ds_store_b128 v20, v[44:47]
	ds_store_b128 v20, v[40:43] offset:16
	ds_store_b128 v20, v[36:39] offset:32
	;; [unrolled: 1-line block ×3, first 2 shown]
	; wave barrier
	ds_load_2addr_b64 v[16:19], v74 offset1:32
	ds_load_2addr_b64 v[20:23], v74 offset0:64 offset1:96
	ds_load_2addr_b64 v[24:27], v74 offset0:128 offset1:160
	;; [unrolled: 1-line block ×3, first 2 shown]
	s_wait_loadcnt_dscnt 0x0
	s_barrier_signal -1
	s_barrier_wait -1
	global_inv scope:SCOPE_SE
	s_load_b32 s10, s[24:25], 0xc
	s_mov_b32 s24, 0
	s_delay_alu instid0(SALU_CYCLE_1) | instskip(SKIP_3) | instid1(VALU_DEP_1)
	s_mov_b32 s25, s24
	s_mov_b32 s26, s24
	;; [unrolled: 1-line block ×3, first 2 shown]
	v_and_b32_e32 v2, 15, v118
	v_cmp_lt_u32_e64 s9, 1, v2
	v_cmp_lt_u32_e64 s12, 7, v2
	s_wait_kmcnt 0x0
	s_lshr_b32 s11, s10, 16
	s_and_b32 s8, s10, 0xffff
	s_wait_alu 0xfffe
	v_mad_u32_u24 v0, v121, s11, v120
	v_sub_co_u32 v32, s10, v118, 1
	v_cmp_lt_u32_e64 s11, 3, v2
	s_delay_alu instid0(VALU_DEP_3) | instskip(SKIP_1) | instid1(VALU_DEP_4)
	v_mad_co_u64_u32 v[0:1], null, v0, s8, v[73:74]
	v_min_u32_e32 v1, 0xe0, v119
	v_cmp_gt_i32_e32 vcc_lo, 0, v32
	v_cmp_eq_u32_e64 s8, 0, v2
	s_delay_alu instid0(VALU_DEP_3)
	v_or_b32_e32 v1, 31, v1
	s_wait_alu 0xfffd
	v_cndmask_b32_e32 v2, v32, v118, vcc_lo
	v_lshrrev_b32_e32 v0, 3, v0
	v_mov_b32_e32 v32, 0
	v_cmp_eq_u32_e64 s13, 0, v3
	v_cmp_eq_u32_e64 s14, v73, v1
	v_and_b32_e32 v1, 7, v118
	v_add_nc_u32_e32 v73, -4, v116
	v_lshlrev_b32_e32 v75, 2, v2
	v_dual_mov_b32 v33, 0 :: v_dual_and_b32 v76, 0x1ffffffc, v0
	s_delay_alu instid0(VALU_DEP_4)
	v_cmp_eq_u32_e64 s18, 0, v1
	v_cmp_lt_u32_e64 s19, 1, v1
	v_cmp_lt_u32_e64 s20, 3, v1
	v_dual_mov_b32 v0, s24 :: v_dual_mov_b32 v1, s25
	v_dual_mov_b32 v2, s26 :: v_dual_mov_b32 v3, s27
	s_mov_b32 s26, 64
	s_brev_b32 s25, 1
	s_branch .LBB181_67
.LBB181_66:                             ;   in Loop: Header=BB181_67 Depth=1
	s_wait_alu 0xfffe
	s_and_not1_b32 vcc_lo, exec_lo, s21
	s_wait_alu 0xfffe
	s_cbranch_vccz .LBB181_91
.LBB181_67:                             ; =>This Inner Loop Header: Depth=1
	v_dual_mov_b32 v35, v5 :: v_dual_mov_b32 v34, v4
	s_wait_alu 0xfffe
	s_min_u32 s21, s23, s26
	v_dual_mov_b32 v70, v7 :: v_dual_mov_b32 v59, v19
	s_wait_alu 0xfffe
	s_lshl_b32 s21, -1, s21
	v_cmp_ne_u64_e32 vcc_lo, s[24:25], v[34:35]
	s_wait_alu 0xfffe
	s_not_b32 s27, s21
	v_mov_b32_e32 v58, v18
	ds_store_b128 v115, v[0:3] offset:32
	ds_store_b128 v115, v[0:3] offset:48
	s_wait_loadcnt_dscnt 0x0
	s_wait_alu 0xfffd
	v_dual_mov_b32 v36, v50 :: v_dual_cndmask_b32 v5, 0x7fffffff, v35
	v_dual_cndmask_b32 v4, -1, v34 :: v_dual_mov_b32 v37, v51
	s_barrier_signal -1
	s_barrier_wait -1
	global_inv scope:SCOPE_SE
	v_lshrrev_b64 v[4:5], v32, v[4:5]
	; wave barrier
	v_dual_mov_b32 v38, v48 :: v_dual_mov_b32 v39, v49
	v_mov_b32_e32 v63, v13
	s_wait_alu 0xfffe
	s_delay_alu instid0(VALU_DEP_3) | instskip(SKIP_2) | instid1(VALU_DEP_3)
	v_and_b32_e32 v5, s27, v4
	v_dual_mov_b32 v41, v15 :: v_dual_mov_b32 v40, v14
	v_dual_mov_b32 v65, v11 :: v_dual_mov_b32 v62, v12
	v_lshlrev_b32_e32 v15, 29, v5
	v_and_b32_e32 v4, 1, v5
	v_lshlrev_b32_e32 v14, 30, v5
	v_lshlrev_b32_e32 v42, 28, v5
	v_dual_mov_b32 v67, v9 :: v_dual_lshlrev_b32 v44, 27, v5
	s_delay_alu instid0(VALU_DEP_4)
	v_add_co_u32 v4, s21, v4, -1
	s_wait_alu 0xf1ff
	v_cndmask_b32_e64 v43, 0, 1, s21
	v_not_b32_e32 v47, v14
	v_cmp_gt_i32_e64 s21, 0, v14
	v_not_b32_e32 v14, v15
	v_dual_mov_b32 v64, v10 :: v_dual_lshlrev_b32 v45, 26, v5
	v_cmp_ne_u32_e32 vcc_lo, 0, v43
	v_ashrrev_i32_e32 v47, 31, v47
	s_delay_alu instid0(VALU_DEP_4)
	v_ashrrev_i32_e32 v14, 31, v14
	v_dual_mov_b32 v69, v6 :: v_dual_lshlrev_b32 v46, 25, v5
	s_wait_alu 0xfffd
	v_xor_b32_e32 v4, vcc_lo, v4
	v_cmp_gt_i32_e32 vcc_lo, 0, v15
	v_not_b32_e32 v15, v42
	s_wait_alu 0xf1ff
	v_xor_b32_e32 v47, s21, v47
	v_cmp_gt_i32_e64 s21, 0, v42
	v_and_b32_e32 v4, exec_lo, v4
	v_not_b32_e32 v42, v44
	v_ashrrev_i32_e32 v15, 31, v15
	s_wait_alu 0xfffd
	v_xor_b32_e32 v14, vcc_lo, v14
	v_cmp_gt_i32_e32 vcc_lo, 0, v44
	v_and_b32_e32 v4, v4, v47
	v_not_b32_e32 v44, v45
	v_ashrrev_i32_e32 v42, 31, v42
	s_wait_alu 0xf1ff
	v_xor_b32_e32 v15, s21, v15
	v_dual_mov_b32 v66, v8 :: v_dual_lshlrev_b32 v43, 24, v5
	v_and_b32_e32 v4, v4, v14
	v_cmp_gt_i32_e64 s21, 0, v45
	v_not_b32_e32 v14, v46
	v_ashrrev_i32_e32 v44, 31, v44
	s_wait_alu 0xfffd
	v_xor_b32_e32 v42, vcc_lo, v42
	v_cmp_gt_i32_e32 vcc_lo, 0, v46
	v_dual_mov_b32 v47, v27 :: v_dual_and_b32 v4, v4, v15
	v_mov_b32_e32 v53, v25
	v_not_b32_e32 v15, v43
	v_ashrrev_i32_e32 v14, 31, v14
	s_wait_alu 0xf1ff
	v_xor_b32_e32 v44, s21, v44
	v_dual_mov_b32 v55, v23 :: v_dual_and_b32 v4, v4, v42
	v_cmp_gt_i32_e64 s21, 0, v43
	v_ashrrev_i32_e32 v12, 31, v15
	s_wait_alu 0xfffd
	v_xor_b32_e32 v13, vcc_lo, v14
	v_dual_mov_b32 v57, v21 :: v_dual_and_b32 v4, v4, v44
	v_mov_b32_e32 v61, v17
	s_wait_alu 0xf1ff
	v_xor_b32_e32 v6, s21, v12
	s_delay_alu instid0(VALU_DEP_3) | instskip(SKIP_2) | instid1(VALU_DEP_3)
	v_dual_mov_b32 v43, v31 :: v_dual_and_b32 v4, v4, v13
	v_dual_mov_b32 v42, v30 :: v_dual_lshlrev_b32 v5, 5, v5
	v_dual_mov_b32 v45, v29 :: v_dual_mov_b32 v44, v28
	v_and_b32_e32 v4, v4, v6
	s_delay_alu instid0(VALU_DEP_3) | instskip(SKIP_2) | instid1(VALU_DEP_4)
	v_dual_mov_b32 v46, v26 :: v_dual_add_nc_u32 v13, v76, v5
	v_mov_b32_e32 v52, v24
	v_mov_b32_e32 v54, v22
	v_mbcnt_lo_u32_b32 v12, v4, 0
	v_cmp_ne_u32_e64 s21, 0, v4
	v_mov_b32_e32 v56, v20
	v_mov_b32_e32 v60, v16
	s_delay_alu instid0(VALU_DEP_4)
	v_cmp_eq_u32_e32 vcc_lo, 0, v12
	s_and_b32 s29, s21, vcc_lo
	s_wait_alu 0xfffe
	s_and_saveexec_b32 s21, s29
; %bb.68:                               ;   in Loop: Header=BB181_67 Depth=1
	v_bcnt_u32_b32 v4, v4, 0
	ds_store_b32 v13, v4 offset:32
; %bb.69:                               ;   in Loop: Header=BB181_67 Depth=1
	s_wait_alu 0xfffe
	s_or_b32 exec_lo, exec_lo, s21
	v_cmp_ne_u64_e32 vcc_lo, s[24:25], v[69:70]
	; wave barrier
	s_wait_alu 0xfffd
	v_cndmask_b32_e32 v5, 0x7fffffff, v70, vcc_lo
	v_cndmask_b32_e32 v4, -1, v69, vcc_lo
	s_delay_alu instid0(VALU_DEP_1) | instskip(NEXT) | instid1(VALU_DEP_1)
	v_lshrrev_b64 v[4:5], v32, v[4:5]
	v_and_b32_e32 v4, s27, v4
	s_delay_alu instid0(VALU_DEP_1)
	v_and_b32_e32 v5, 1, v4
	v_lshlrev_b32_e32 v6, 30, v4
	v_lshlrev_b32_e32 v7, 29, v4
	;; [unrolled: 1-line block ×4, first 2 shown]
	v_add_co_u32 v5, s21, v5, -1
	s_wait_alu 0xf1ff
	v_cndmask_b32_e64 v9, 0, 1, s21
	v_not_b32_e32 v15, v6
	v_cmp_gt_i32_e64 s21, 0, v6
	v_not_b32_e32 v6, v7
	v_lshlrev_b32_e32 v11, 26, v4
	v_cmp_ne_u32_e32 vcc_lo, 0, v9
	v_ashrrev_i32_e32 v15, 31, v15
	v_lshlrev_b32_e32 v14, 25, v4
	v_ashrrev_i32_e32 v6, 31, v6
	v_lshlrev_b32_e32 v9, 24, v4
	s_wait_alu 0xfffd
	v_xor_b32_e32 v5, vcc_lo, v5
	v_cmp_gt_i32_e32 vcc_lo, 0, v7
	v_not_b32_e32 v7, v8
	s_wait_alu 0xf1ff
	v_xor_b32_e32 v15, s21, v15
	v_cmp_gt_i32_e64 s21, 0, v8
	v_and_b32_e32 v5, exec_lo, v5
	v_not_b32_e32 v8, v10
	v_ashrrev_i32_e32 v7, 31, v7
	s_wait_alu 0xfffd
	v_xor_b32_e32 v6, vcc_lo, v6
	v_cmp_gt_i32_e32 vcc_lo, 0, v10
	v_and_b32_e32 v5, v5, v15
	v_not_b32_e32 v10, v11
	v_ashrrev_i32_e32 v8, 31, v8
	s_wait_alu 0xf1ff
	v_xor_b32_e32 v7, s21, v7
	v_cmp_gt_i32_e64 s21, 0, v11
	v_and_b32_e32 v5, v5, v6
	v_not_b32_e32 v6, v14
	v_ashrrev_i32_e32 v10, 31, v10
	s_wait_alu 0xfffd
	v_xor_b32_e32 v8, vcc_lo, v8
	v_cmp_gt_i32_e32 vcc_lo, 0, v14
	v_and_b32_e32 v5, v5, v7
	v_not_b32_e32 v7, v9
	v_ashrrev_i32_e32 v6, 31, v6
	s_wait_alu 0xf1ff
	v_xor_b32_e32 v10, s21, v10
	v_lshlrev_b32_e32 v4, 5, v4
	v_and_b32_e32 v5, v5, v8
	v_cmp_gt_i32_e64 s21, 0, v9
	v_ashrrev_i32_e32 v7, 31, v7
	s_wait_alu 0xfffd
	v_xor_b32_e32 v6, vcc_lo, v6
	v_add_nc_u32_e32 v16, v76, v4
	v_and_b32_e32 v5, v5, v10
	s_wait_alu 0xf1ff
	v_xor_b32_e32 v4, s21, v7
	ds_load_b32 v14, v16 offset:32
	v_and_b32_e32 v5, v5, v6
	; wave barrier
	s_delay_alu instid0(VALU_DEP_1) | instskip(NEXT) | instid1(VALU_DEP_1)
	v_and_b32_e32 v4, v5, v4
	v_mbcnt_lo_u32_b32 v15, v4, 0
	v_cmp_ne_u32_e64 s21, 0, v4
	s_delay_alu instid0(VALU_DEP_2)
	v_cmp_eq_u32_e32 vcc_lo, 0, v15
	s_and_b32 s29, s21, vcc_lo
	s_wait_alu 0xfffe
	s_and_saveexec_b32 s21, s29
	s_cbranch_execz .LBB181_71
; %bb.70:                               ;   in Loop: Header=BB181_67 Depth=1
	s_wait_dscnt 0x0
	v_bcnt_u32_b32 v4, v4, v14
	ds_store_b32 v16, v4 offset:32
.LBB181_71:                             ;   in Loop: Header=BB181_67 Depth=1
	s_wait_alu 0xfffe
	s_or_b32 exec_lo, exec_lo, s21
	v_cmp_ne_u64_e32 vcc_lo, s[24:25], v[66:67]
	; wave barrier
	s_wait_alu 0xfffd
	v_cndmask_b32_e32 v5, 0x7fffffff, v67, vcc_lo
	v_cndmask_b32_e32 v4, -1, v66, vcc_lo
	s_delay_alu instid0(VALU_DEP_1) | instskip(NEXT) | instid1(VALU_DEP_1)
	v_lshrrev_b64 v[4:5], v32, v[4:5]
	v_and_b32_e32 v4, s27, v4
	s_delay_alu instid0(VALU_DEP_1)
	v_and_b32_e32 v5, 1, v4
	v_lshlrev_b32_e32 v6, 30, v4
	v_lshlrev_b32_e32 v7, 29, v4
	;; [unrolled: 1-line block ×4, first 2 shown]
	v_add_co_u32 v5, s21, v5, -1
	s_wait_alu 0xf1ff
	v_cndmask_b32_e64 v9, 0, 1, s21
	v_not_b32_e32 v18, v6
	v_cmp_gt_i32_e64 s21, 0, v6
	v_not_b32_e32 v6, v7
	v_lshlrev_b32_e32 v11, 26, v4
	v_cmp_ne_u32_e32 vcc_lo, 0, v9
	v_ashrrev_i32_e32 v18, 31, v18
	v_lshlrev_b32_e32 v17, 25, v4
	v_ashrrev_i32_e32 v6, 31, v6
	v_lshlrev_b32_e32 v9, 24, v4
	s_wait_alu 0xfffd
	v_xor_b32_e32 v5, vcc_lo, v5
	v_cmp_gt_i32_e32 vcc_lo, 0, v7
	v_not_b32_e32 v7, v8
	s_wait_alu 0xf1ff
	v_xor_b32_e32 v18, s21, v18
	v_cmp_gt_i32_e64 s21, 0, v8
	v_and_b32_e32 v5, exec_lo, v5
	v_not_b32_e32 v8, v10
	v_ashrrev_i32_e32 v7, 31, v7
	s_wait_alu 0xfffd
	v_xor_b32_e32 v6, vcc_lo, v6
	v_cmp_gt_i32_e32 vcc_lo, 0, v10
	v_and_b32_e32 v5, v5, v18
	v_not_b32_e32 v10, v11
	v_ashrrev_i32_e32 v8, 31, v8
	s_wait_alu 0xf1ff
	v_xor_b32_e32 v7, s21, v7
	v_cmp_gt_i32_e64 s21, 0, v11
	v_and_b32_e32 v5, v5, v6
	v_not_b32_e32 v6, v17
	v_ashrrev_i32_e32 v10, 31, v10
	s_wait_alu 0xfffd
	v_xor_b32_e32 v8, vcc_lo, v8
	v_cmp_gt_i32_e32 vcc_lo, 0, v17
	v_and_b32_e32 v5, v5, v7
	v_not_b32_e32 v7, v9
	v_ashrrev_i32_e32 v6, 31, v6
	s_wait_alu 0xf1ff
	v_xor_b32_e32 v10, s21, v10
	v_lshlrev_b32_e32 v4, 5, v4
	v_and_b32_e32 v5, v5, v8
	v_cmp_gt_i32_e64 s21, 0, v9
	v_ashrrev_i32_e32 v7, 31, v7
	s_wait_alu 0xfffd
	v_xor_b32_e32 v6, vcc_lo, v6
	v_add_nc_u32_e32 v19, v76, v4
	v_and_b32_e32 v5, v5, v10
	s_wait_alu 0xf1ff
	v_xor_b32_e32 v4, s21, v7
	ds_load_b32 v17, v19 offset:32
	v_and_b32_e32 v5, v5, v6
	; wave barrier
	s_delay_alu instid0(VALU_DEP_1) | instskip(NEXT) | instid1(VALU_DEP_1)
	v_and_b32_e32 v4, v5, v4
	v_mbcnt_lo_u32_b32 v18, v4, 0
	v_cmp_ne_u32_e64 s21, 0, v4
	s_delay_alu instid0(VALU_DEP_2)
	v_cmp_eq_u32_e32 vcc_lo, 0, v18
	s_and_b32 s29, s21, vcc_lo
	s_wait_alu 0xfffe
	s_and_saveexec_b32 s21, s29
	s_cbranch_execz .LBB181_73
; %bb.72:                               ;   in Loop: Header=BB181_67 Depth=1
	s_wait_dscnt 0x0
	v_bcnt_u32_b32 v4, v4, v17
	ds_store_b32 v19, v4 offset:32
.LBB181_73:                             ;   in Loop: Header=BB181_67 Depth=1
	s_wait_alu 0xfffe
	s_or_b32 exec_lo, exec_lo, s21
	v_cmp_ne_u64_e32 vcc_lo, s[24:25], v[64:65]
	; wave barrier
	s_wait_alu 0xfffd
	v_cndmask_b32_e32 v5, 0x7fffffff, v65, vcc_lo
	v_cndmask_b32_e32 v4, -1, v64, vcc_lo
	s_delay_alu instid0(VALU_DEP_1) | instskip(NEXT) | instid1(VALU_DEP_1)
	v_lshrrev_b64 v[4:5], v32, v[4:5]
	v_and_b32_e32 v4, s27, v4
	s_delay_alu instid0(VALU_DEP_1)
	v_and_b32_e32 v5, 1, v4
	v_lshlrev_b32_e32 v6, 30, v4
	v_lshlrev_b32_e32 v7, 29, v4
	v_lshlrev_b32_e32 v8, 28, v4
	v_lshlrev_b32_e32 v10, 27, v4
	v_add_co_u32 v5, s21, v5, -1
	s_wait_alu 0xf1ff
	v_cndmask_b32_e64 v9, 0, 1, s21
	v_not_b32_e32 v21, v6
	v_cmp_gt_i32_e64 s21, 0, v6
	v_not_b32_e32 v6, v7
	v_lshlrev_b32_e32 v11, 26, v4
	v_cmp_ne_u32_e32 vcc_lo, 0, v9
	v_ashrrev_i32_e32 v21, 31, v21
	v_lshlrev_b32_e32 v20, 25, v4
	v_ashrrev_i32_e32 v6, 31, v6
	v_lshlrev_b32_e32 v9, 24, v4
	s_wait_alu 0xfffd
	v_xor_b32_e32 v5, vcc_lo, v5
	v_cmp_gt_i32_e32 vcc_lo, 0, v7
	v_not_b32_e32 v7, v8
	s_wait_alu 0xf1ff
	v_xor_b32_e32 v21, s21, v21
	v_cmp_gt_i32_e64 s21, 0, v8
	v_and_b32_e32 v5, exec_lo, v5
	v_not_b32_e32 v8, v10
	v_ashrrev_i32_e32 v7, 31, v7
	s_wait_alu 0xfffd
	v_xor_b32_e32 v6, vcc_lo, v6
	v_cmp_gt_i32_e32 vcc_lo, 0, v10
	v_and_b32_e32 v5, v5, v21
	v_not_b32_e32 v10, v11
	v_ashrrev_i32_e32 v8, 31, v8
	s_wait_alu 0xf1ff
	v_xor_b32_e32 v7, s21, v7
	v_cmp_gt_i32_e64 s21, 0, v11
	v_and_b32_e32 v5, v5, v6
	v_not_b32_e32 v6, v20
	v_ashrrev_i32_e32 v10, 31, v10
	s_wait_alu 0xfffd
	v_xor_b32_e32 v8, vcc_lo, v8
	v_cmp_gt_i32_e32 vcc_lo, 0, v20
	v_and_b32_e32 v5, v5, v7
	v_not_b32_e32 v7, v9
	v_ashrrev_i32_e32 v6, 31, v6
	s_wait_alu 0xf1ff
	v_xor_b32_e32 v10, s21, v10
	v_lshlrev_b32_e32 v4, 5, v4
	v_and_b32_e32 v5, v5, v8
	v_cmp_gt_i32_e64 s21, 0, v9
	v_ashrrev_i32_e32 v7, 31, v7
	s_wait_alu 0xfffd
	v_xor_b32_e32 v6, vcc_lo, v6
	v_add_nc_u32_e32 v22, v76, v4
	v_and_b32_e32 v5, v5, v10
	s_wait_alu 0xf1ff
	v_xor_b32_e32 v4, s21, v7
	ds_load_b32 v20, v22 offset:32
	v_and_b32_e32 v5, v5, v6
	; wave barrier
	s_delay_alu instid0(VALU_DEP_1) | instskip(NEXT) | instid1(VALU_DEP_1)
	v_and_b32_e32 v4, v5, v4
	v_mbcnt_lo_u32_b32 v21, v4, 0
	v_cmp_ne_u32_e64 s21, 0, v4
	s_delay_alu instid0(VALU_DEP_2)
	v_cmp_eq_u32_e32 vcc_lo, 0, v21
	s_and_b32 s29, s21, vcc_lo
	s_wait_alu 0xfffe
	s_and_saveexec_b32 s21, s29
	s_cbranch_execz .LBB181_75
; %bb.74:                               ;   in Loop: Header=BB181_67 Depth=1
	s_wait_dscnt 0x0
	v_bcnt_u32_b32 v4, v4, v20
	ds_store_b32 v22, v4 offset:32
.LBB181_75:                             ;   in Loop: Header=BB181_67 Depth=1
	s_wait_alu 0xfffe
	s_or_b32 exec_lo, exec_lo, s21
	v_cmp_ne_u64_e32 vcc_lo, s[24:25], v[62:63]
	; wave barrier
	s_wait_alu 0xfffd
	v_cndmask_b32_e32 v5, 0x7fffffff, v63, vcc_lo
	v_cndmask_b32_e32 v4, -1, v62, vcc_lo
	s_delay_alu instid0(VALU_DEP_1) | instskip(NEXT) | instid1(VALU_DEP_1)
	v_lshrrev_b64 v[4:5], v32, v[4:5]
	v_and_b32_e32 v4, s27, v4
	s_delay_alu instid0(VALU_DEP_1)
	v_and_b32_e32 v5, 1, v4
	v_lshlrev_b32_e32 v6, 30, v4
	v_lshlrev_b32_e32 v7, 29, v4
	;; [unrolled: 1-line block ×4, first 2 shown]
	v_add_co_u32 v5, s21, v5, -1
	s_wait_alu 0xf1ff
	v_cndmask_b32_e64 v9, 0, 1, s21
	v_not_b32_e32 v24, v6
	v_cmp_gt_i32_e64 s21, 0, v6
	v_not_b32_e32 v6, v7
	v_lshlrev_b32_e32 v11, 26, v4
	v_cmp_ne_u32_e32 vcc_lo, 0, v9
	v_ashrrev_i32_e32 v24, 31, v24
	v_lshlrev_b32_e32 v23, 25, v4
	v_ashrrev_i32_e32 v6, 31, v6
	v_lshlrev_b32_e32 v9, 24, v4
	s_wait_alu 0xfffd
	v_xor_b32_e32 v5, vcc_lo, v5
	v_cmp_gt_i32_e32 vcc_lo, 0, v7
	v_not_b32_e32 v7, v8
	s_wait_alu 0xf1ff
	v_xor_b32_e32 v24, s21, v24
	v_cmp_gt_i32_e64 s21, 0, v8
	v_and_b32_e32 v5, exec_lo, v5
	v_not_b32_e32 v8, v10
	v_ashrrev_i32_e32 v7, 31, v7
	s_wait_alu 0xfffd
	v_xor_b32_e32 v6, vcc_lo, v6
	v_cmp_gt_i32_e32 vcc_lo, 0, v10
	v_and_b32_e32 v5, v5, v24
	v_not_b32_e32 v10, v11
	v_ashrrev_i32_e32 v8, 31, v8
	s_wait_alu 0xf1ff
	v_xor_b32_e32 v7, s21, v7
	v_cmp_gt_i32_e64 s21, 0, v11
	v_and_b32_e32 v5, v5, v6
	v_not_b32_e32 v6, v23
	v_ashrrev_i32_e32 v10, 31, v10
	s_wait_alu 0xfffd
	v_xor_b32_e32 v8, vcc_lo, v8
	v_cmp_gt_i32_e32 vcc_lo, 0, v23
	v_and_b32_e32 v5, v5, v7
	v_not_b32_e32 v7, v9
	v_ashrrev_i32_e32 v6, 31, v6
	s_wait_alu 0xf1ff
	v_xor_b32_e32 v10, s21, v10
	v_lshlrev_b32_e32 v4, 5, v4
	v_and_b32_e32 v5, v5, v8
	v_cmp_gt_i32_e64 s21, 0, v9
	v_ashrrev_i32_e32 v7, 31, v7
	s_wait_alu 0xfffd
	v_xor_b32_e32 v6, vcc_lo, v6
	v_add_nc_u32_e32 v25, v76, v4
	v_and_b32_e32 v5, v5, v10
	s_wait_alu 0xf1ff
	v_xor_b32_e32 v4, s21, v7
	ds_load_b32 v23, v25 offset:32
	v_and_b32_e32 v5, v5, v6
	; wave barrier
	s_delay_alu instid0(VALU_DEP_1) | instskip(NEXT) | instid1(VALU_DEP_1)
	v_and_b32_e32 v4, v5, v4
	v_mbcnt_lo_u32_b32 v24, v4, 0
	v_cmp_ne_u32_e64 s21, 0, v4
	s_delay_alu instid0(VALU_DEP_2)
	v_cmp_eq_u32_e32 vcc_lo, 0, v24
	s_and_b32 s29, s21, vcc_lo
	s_wait_alu 0xfffe
	s_and_saveexec_b32 s21, s29
	s_cbranch_execz .LBB181_77
; %bb.76:                               ;   in Loop: Header=BB181_67 Depth=1
	s_wait_dscnt 0x0
	v_bcnt_u32_b32 v4, v4, v23
	ds_store_b32 v25, v4 offset:32
.LBB181_77:                             ;   in Loop: Header=BB181_67 Depth=1
	s_wait_alu 0xfffe
	s_or_b32 exec_lo, exec_lo, s21
	v_cmp_ne_u64_e32 vcc_lo, s[24:25], v[40:41]
	; wave barrier
	s_wait_alu 0xfffd
	v_cndmask_b32_e32 v5, 0x7fffffff, v41, vcc_lo
	v_cndmask_b32_e32 v4, -1, v40, vcc_lo
	s_delay_alu instid0(VALU_DEP_1) | instskip(NEXT) | instid1(VALU_DEP_1)
	v_lshrrev_b64 v[4:5], v32, v[4:5]
	v_and_b32_e32 v4, s27, v4
	s_delay_alu instid0(VALU_DEP_1)
	v_and_b32_e32 v5, 1, v4
	v_lshlrev_b32_e32 v6, 30, v4
	v_lshlrev_b32_e32 v7, 29, v4
	;; [unrolled: 1-line block ×4, first 2 shown]
	v_add_co_u32 v5, s21, v5, -1
	s_wait_alu 0xf1ff
	v_cndmask_b32_e64 v9, 0, 1, s21
	v_not_b32_e32 v27, v6
	v_cmp_gt_i32_e64 s21, 0, v6
	v_not_b32_e32 v6, v7
	v_lshlrev_b32_e32 v11, 26, v4
	v_cmp_ne_u32_e32 vcc_lo, 0, v9
	v_ashrrev_i32_e32 v27, 31, v27
	v_lshlrev_b32_e32 v26, 25, v4
	v_ashrrev_i32_e32 v6, 31, v6
	v_lshlrev_b32_e32 v9, 24, v4
	s_wait_alu 0xfffd
	v_xor_b32_e32 v5, vcc_lo, v5
	v_cmp_gt_i32_e32 vcc_lo, 0, v7
	v_not_b32_e32 v7, v8
	s_wait_alu 0xf1ff
	v_xor_b32_e32 v27, s21, v27
	v_cmp_gt_i32_e64 s21, 0, v8
	v_and_b32_e32 v5, exec_lo, v5
	v_not_b32_e32 v8, v10
	v_ashrrev_i32_e32 v7, 31, v7
	s_wait_alu 0xfffd
	v_xor_b32_e32 v6, vcc_lo, v6
	v_cmp_gt_i32_e32 vcc_lo, 0, v10
	v_and_b32_e32 v5, v5, v27
	v_not_b32_e32 v10, v11
	v_ashrrev_i32_e32 v8, 31, v8
	s_wait_alu 0xf1ff
	v_xor_b32_e32 v7, s21, v7
	v_cmp_gt_i32_e64 s21, 0, v11
	v_and_b32_e32 v5, v5, v6
	v_not_b32_e32 v6, v26
	v_ashrrev_i32_e32 v10, 31, v10
	s_wait_alu 0xfffd
	v_xor_b32_e32 v8, vcc_lo, v8
	v_cmp_gt_i32_e32 vcc_lo, 0, v26
	v_and_b32_e32 v5, v5, v7
	v_not_b32_e32 v7, v9
	v_ashrrev_i32_e32 v6, 31, v6
	s_wait_alu 0xf1ff
	v_xor_b32_e32 v10, s21, v10
	v_lshlrev_b32_e32 v4, 5, v4
	v_and_b32_e32 v5, v5, v8
	v_cmp_gt_i32_e64 s21, 0, v9
	v_ashrrev_i32_e32 v7, 31, v7
	s_wait_alu 0xfffd
	v_xor_b32_e32 v6, vcc_lo, v6
	v_add_nc_u32_e32 v28, v76, v4
	v_and_b32_e32 v5, v5, v10
	s_wait_alu 0xf1ff
	v_xor_b32_e32 v4, s21, v7
	ds_load_b32 v26, v28 offset:32
	v_and_b32_e32 v5, v5, v6
	; wave barrier
	s_delay_alu instid0(VALU_DEP_1) | instskip(NEXT) | instid1(VALU_DEP_1)
	v_and_b32_e32 v4, v5, v4
	v_mbcnt_lo_u32_b32 v27, v4, 0
	v_cmp_ne_u32_e64 s21, 0, v4
	s_delay_alu instid0(VALU_DEP_2)
	v_cmp_eq_u32_e32 vcc_lo, 0, v27
	s_and_b32 s29, s21, vcc_lo
	s_wait_alu 0xfffe
	s_and_saveexec_b32 s21, s29
	s_cbranch_execz .LBB181_79
; %bb.78:                               ;   in Loop: Header=BB181_67 Depth=1
	s_wait_dscnt 0x0
	v_bcnt_u32_b32 v4, v4, v26
	ds_store_b32 v28, v4 offset:32
.LBB181_79:                             ;   in Loop: Header=BB181_67 Depth=1
	s_wait_alu 0xfffe
	s_or_b32 exec_lo, exec_lo, s21
	v_cmp_ne_u64_e32 vcc_lo, s[24:25], v[38:39]
	; wave barrier
	s_wait_alu 0xfffd
	v_cndmask_b32_e32 v5, 0x7fffffff, v39, vcc_lo
	v_cndmask_b32_e32 v4, -1, v38, vcc_lo
	s_delay_alu instid0(VALU_DEP_1) | instskip(NEXT) | instid1(VALU_DEP_1)
	v_lshrrev_b64 v[4:5], v32, v[4:5]
	v_and_b32_e32 v4, s27, v4
	s_delay_alu instid0(VALU_DEP_1)
	v_and_b32_e32 v5, 1, v4
	v_lshlrev_b32_e32 v6, 30, v4
	v_lshlrev_b32_e32 v7, 29, v4
	;; [unrolled: 1-line block ×4, first 2 shown]
	v_add_co_u32 v5, s21, v5, -1
	s_wait_alu 0xf1ff
	v_cndmask_b32_e64 v9, 0, 1, s21
	v_not_b32_e32 v30, v6
	v_cmp_gt_i32_e64 s21, 0, v6
	v_not_b32_e32 v6, v7
	v_lshlrev_b32_e32 v11, 26, v4
	v_cmp_ne_u32_e32 vcc_lo, 0, v9
	v_ashrrev_i32_e32 v30, 31, v30
	v_lshlrev_b32_e32 v29, 25, v4
	v_ashrrev_i32_e32 v6, 31, v6
	v_lshlrev_b32_e32 v9, 24, v4
	s_wait_alu 0xfffd
	v_xor_b32_e32 v5, vcc_lo, v5
	v_cmp_gt_i32_e32 vcc_lo, 0, v7
	v_not_b32_e32 v7, v8
	s_wait_alu 0xf1ff
	v_xor_b32_e32 v30, s21, v30
	v_cmp_gt_i32_e64 s21, 0, v8
	v_and_b32_e32 v5, exec_lo, v5
	v_not_b32_e32 v8, v10
	v_ashrrev_i32_e32 v7, 31, v7
	s_wait_alu 0xfffd
	v_xor_b32_e32 v6, vcc_lo, v6
	v_cmp_gt_i32_e32 vcc_lo, 0, v10
	v_and_b32_e32 v5, v5, v30
	v_not_b32_e32 v10, v11
	v_ashrrev_i32_e32 v8, 31, v8
	s_wait_alu 0xf1ff
	v_xor_b32_e32 v7, s21, v7
	v_cmp_gt_i32_e64 s21, 0, v11
	v_and_b32_e32 v5, v5, v6
	v_not_b32_e32 v6, v29
	v_ashrrev_i32_e32 v10, 31, v10
	s_wait_alu 0xfffd
	v_xor_b32_e32 v8, vcc_lo, v8
	v_cmp_gt_i32_e32 vcc_lo, 0, v29
	v_and_b32_e32 v5, v5, v7
	v_not_b32_e32 v7, v9
	v_ashrrev_i32_e32 v6, 31, v6
	s_wait_alu 0xf1ff
	v_xor_b32_e32 v10, s21, v10
	v_lshlrev_b32_e32 v4, 5, v4
	v_and_b32_e32 v5, v5, v8
	v_cmp_gt_i32_e64 s21, 0, v9
	v_ashrrev_i32_e32 v7, 31, v7
	s_wait_alu 0xfffd
	v_xor_b32_e32 v6, vcc_lo, v6
	v_add_nc_u32_e32 v31, v76, v4
	v_and_b32_e32 v5, v5, v10
	s_wait_alu 0xf1ff
	v_xor_b32_e32 v4, s21, v7
	ds_load_b32 v29, v31 offset:32
	v_and_b32_e32 v5, v5, v6
	; wave barrier
	s_delay_alu instid0(VALU_DEP_1) | instskip(NEXT) | instid1(VALU_DEP_1)
	v_and_b32_e32 v4, v5, v4
	v_mbcnt_lo_u32_b32 v30, v4, 0
	v_cmp_ne_u32_e64 s21, 0, v4
	s_delay_alu instid0(VALU_DEP_2)
	v_cmp_eq_u32_e32 vcc_lo, 0, v30
	s_and_b32 s29, s21, vcc_lo
	s_wait_alu 0xfffe
	s_and_saveexec_b32 s21, s29
	s_cbranch_execz .LBB181_81
; %bb.80:                               ;   in Loop: Header=BB181_67 Depth=1
	s_wait_dscnt 0x0
	v_bcnt_u32_b32 v4, v4, v29
	ds_store_b32 v31, v4 offset:32
.LBB181_81:                             ;   in Loop: Header=BB181_67 Depth=1
	s_wait_alu 0xfffe
	s_or_b32 exec_lo, exec_lo, s21
	v_cmp_ne_u64_e32 vcc_lo, s[24:25], v[36:37]
	; wave barrier
	s_wait_alu 0xfffd
	v_cndmask_b32_e32 v5, 0x7fffffff, v37, vcc_lo
	v_cndmask_b32_e32 v4, -1, v36, vcc_lo
	s_delay_alu instid0(VALU_DEP_1) | instskip(NEXT) | instid1(VALU_DEP_1)
	v_lshrrev_b64 v[4:5], v32, v[4:5]
	v_and_b32_e32 v4, s27, v4
	s_delay_alu instid0(VALU_DEP_1)
	v_and_b32_e32 v5, 1, v4
	v_lshlrev_b32_e32 v6, 30, v4
	v_lshlrev_b32_e32 v7, 29, v4
	;; [unrolled: 1-line block ×4, first 2 shown]
	v_add_co_u32 v5, s21, v5, -1
	s_wait_alu 0xf1ff
	v_cndmask_b32_e64 v9, 0, 1, s21
	v_not_b32_e32 v49, v6
	v_cmp_gt_i32_e64 s21, 0, v6
	v_not_b32_e32 v6, v7
	v_lshlrev_b32_e32 v11, 26, v4
	v_cmp_ne_u32_e32 vcc_lo, 0, v9
	v_ashrrev_i32_e32 v49, 31, v49
	v_lshlrev_b32_e32 v48, 25, v4
	v_ashrrev_i32_e32 v6, 31, v6
	v_lshlrev_b32_e32 v9, 24, v4
	s_wait_alu 0xfffd
	v_xor_b32_e32 v5, vcc_lo, v5
	v_cmp_gt_i32_e32 vcc_lo, 0, v7
	v_not_b32_e32 v7, v8
	s_wait_alu 0xf1ff
	v_xor_b32_e32 v49, s21, v49
	v_cmp_gt_i32_e64 s21, 0, v8
	v_and_b32_e32 v5, exec_lo, v5
	v_not_b32_e32 v8, v10
	v_ashrrev_i32_e32 v7, 31, v7
	s_wait_alu 0xfffd
	v_xor_b32_e32 v6, vcc_lo, v6
	v_cmp_gt_i32_e32 vcc_lo, 0, v10
	v_and_b32_e32 v5, v5, v49
	v_not_b32_e32 v10, v11
	v_ashrrev_i32_e32 v8, 31, v8
	s_wait_alu 0xf1ff
	v_xor_b32_e32 v7, s21, v7
	v_cmp_gt_i32_e64 s21, 0, v11
	v_and_b32_e32 v5, v5, v6
	v_not_b32_e32 v6, v48
	v_ashrrev_i32_e32 v10, 31, v10
	s_wait_alu 0xfffd
	v_xor_b32_e32 v8, vcc_lo, v8
	v_cmp_gt_i32_e32 vcc_lo, 0, v48
	v_and_b32_e32 v5, v5, v7
	v_not_b32_e32 v7, v9
	v_ashrrev_i32_e32 v6, 31, v6
	s_wait_alu 0xf1ff
	v_xor_b32_e32 v10, s21, v10
	v_lshlrev_b32_e32 v4, 5, v4
	v_and_b32_e32 v5, v5, v8
	v_cmp_gt_i32_e64 s21, 0, v9
	v_ashrrev_i32_e32 v7, 31, v7
	s_wait_alu 0xfffd
	v_xor_b32_e32 v6, vcc_lo, v6
	v_add_nc_u32_e32 v50, v76, v4
	v_and_b32_e32 v5, v5, v10
	s_wait_alu 0xf1ff
	v_xor_b32_e32 v4, s21, v7
	ds_load_b32 v48, v50 offset:32
	v_and_b32_e32 v5, v5, v6
	; wave barrier
	s_delay_alu instid0(VALU_DEP_1) | instskip(NEXT) | instid1(VALU_DEP_1)
	v_and_b32_e32 v4, v5, v4
	v_mbcnt_lo_u32_b32 v49, v4, 0
	v_cmp_ne_u32_e64 s21, 0, v4
	s_delay_alu instid0(VALU_DEP_2)
	v_cmp_eq_u32_e32 vcc_lo, 0, v49
	s_and_b32 s27, s21, vcc_lo
	s_wait_alu 0xfffe
	s_and_saveexec_b32 s21, s27
	s_cbranch_execz .LBB181_83
; %bb.82:                               ;   in Loop: Header=BB181_67 Depth=1
	s_wait_dscnt 0x0
	v_bcnt_u32_b32 v4, v4, v48
	ds_store_b32 v50, v4 offset:32
.LBB181_83:                             ;   in Loop: Header=BB181_67 Depth=1
	s_wait_alu 0xfffe
	s_or_b32 exec_lo, exec_lo, s21
	; wave barrier
	s_wait_loadcnt_dscnt 0x0
	s_barrier_signal -1
	s_barrier_wait -1
	global_inv scope:SCOPE_SE
	ds_load_b128 v[8:11], v115 offset:32
	ds_load_b128 v[4:7], v115 offset:48
	s_wait_dscnt 0x1
	v_add_nc_u32_e32 v51, v9, v8
	s_delay_alu instid0(VALU_DEP_1) | instskip(SKIP_1) | instid1(VALU_DEP_1)
	v_add3_u32 v51, v51, v10, v11
	s_wait_dscnt 0x0
	v_add3_u32 v51, v51, v4, v5
	s_delay_alu instid0(VALU_DEP_1) | instskip(NEXT) | instid1(VALU_DEP_1)
	v_add3_u32 v7, v51, v6, v7
	v_mov_b32_dpp v51, v7 row_shr:1 row_mask:0xf bank_mask:0xf
	s_delay_alu instid0(VALU_DEP_1) | instskip(NEXT) | instid1(VALU_DEP_1)
	v_cndmask_b32_e64 v51, v51, 0, s8
	v_add_nc_u32_e32 v7, v51, v7
	s_delay_alu instid0(VALU_DEP_1) | instskip(NEXT) | instid1(VALU_DEP_1)
	v_mov_b32_dpp v51, v7 row_shr:2 row_mask:0xf bank_mask:0xf
	v_cndmask_b32_e64 v51, 0, v51, s9
	s_delay_alu instid0(VALU_DEP_1) | instskip(NEXT) | instid1(VALU_DEP_1)
	v_add_nc_u32_e32 v7, v7, v51
	v_mov_b32_dpp v51, v7 row_shr:4 row_mask:0xf bank_mask:0xf
	s_delay_alu instid0(VALU_DEP_1) | instskip(NEXT) | instid1(VALU_DEP_1)
	v_cndmask_b32_e64 v51, 0, v51, s11
	v_add_nc_u32_e32 v7, v7, v51
	s_delay_alu instid0(VALU_DEP_1) | instskip(NEXT) | instid1(VALU_DEP_1)
	v_mov_b32_dpp v51, v7 row_shr:8 row_mask:0xf bank_mask:0xf
	v_cndmask_b32_e64 v51, 0, v51, s12
	s_delay_alu instid0(VALU_DEP_1) | instskip(SKIP_3) | instid1(VALU_DEP_1)
	v_add_nc_u32_e32 v7, v7, v51
	ds_swizzle_b32 v51, v7 offset:swizzle(BROADCAST,32,15)
	s_wait_dscnt 0x0
	v_cndmask_b32_e64 v51, v51, 0, s13
	v_add_nc_u32_e32 v7, v7, v51
	s_and_saveexec_b32 s21, s14
; %bb.84:                               ;   in Loop: Header=BB181_67 Depth=1
	ds_store_b32 v116, v7
; %bb.85:                               ;   in Loop: Header=BB181_67 Depth=1
	s_wait_alu 0xfffe
	s_or_b32 exec_lo, exec_lo, s21
	s_wait_loadcnt_dscnt 0x0
	s_barrier_signal -1
	s_barrier_wait -1
	global_inv scope:SCOPE_SE
	s_and_saveexec_b32 s21, s15
	s_cbranch_execz .LBB181_87
; %bb.86:                               ;   in Loop: Header=BB181_67 Depth=1
	ds_load_b32 v51, v77
	s_wait_dscnt 0x0
	v_mov_b32_dpp v78, v51 row_shr:1 row_mask:0xf bank_mask:0xf
	s_delay_alu instid0(VALU_DEP_1) | instskip(NEXT) | instid1(VALU_DEP_1)
	v_cndmask_b32_e64 v78, v78, 0, s18
	v_add_nc_u32_e32 v51, v78, v51
	s_delay_alu instid0(VALU_DEP_1) | instskip(NEXT) | instid1(VALU_DEP_1)
	v_mov_b32_dpp v78, v51 row_shr:2 row_mask:0xf bank_mask:0xf
	v_cndmask_b32_e64 v78, 0, v78, s19
	s_delay_alu instid0(VALU_DEP_1) | instskip(NEXT) | instid1(VALU_DEP_1)
	v_add_nc_u32_e32 v51, v51, v78
	v_mov_b32_dpp v78, v51 row_shr:4 row_mask:0xf bank_mask:0xf
	s_delay_alu instid0(VALU_DEP_1) | instskip(NEXT) | instid1(VALU_DEP_1)
	v_cndmask_b32_e64 v78, 0, v78, s20
	v_add_nc_u32_e32 v51, v51, v78
	ds_store_b32 v77, v51
.LBB181_87:                             ;   in Loop: Header=BB181_67 Depth=1
	s_wait_alu 0xfffe
	s_or_b32 exec_lo, exec_lo, s21
	v_mov_b32_e32 v51, 0
	s_wait_loadcnt_dscnt 0x0
	s_barrier_signal -1
	s_barrier_wait -1
	global_inv scope:SCOPE_SE
	s_and_saveexec_b32 s21, s16
; %bb.88:                               ;   in Loop: Header=BB181_67 Depth=1
	ds_load_b32 v51, v73
; %bb.89:                               ;   in Loop: Header=BB181_67 Depth=1
	s_wait_alu 0xfffe
	s_or_b32 exec_lo, exec_lo, s21
	s_wait_dscnt 0x0
	v_add_nc_u32_e32 v7, v51, v7
	v_cmp_lt_u32_e32 vcc_lo, 55, v32
	s_mov_b32 s21, -1
	ds_bpermute_b32 v7, v75, v7
	s_and_b32 vcc_lo, exec_lo, vcc_lo
	s_wait_dscnt 0x0
	v_cndmask_b32_e64 v7, v7, v51, s10
	s_delay_alu instid0(VALU_DEP_1) | instskip(NEXT) | instid1(VALU_DEP_1)
	v_cndmask_b32_e64 v7, v7, 0, s17
	v_add_nc_u32_e32 v8, v7, v8
	s_delay_alu instid0(VALU_DEP_1) | instskip(NEXT) | instid1(VALU_DEP_1)
	v_add_nc_u32_e32 v9, v8, v9
	v_add_nc_u32_e32 v10, v9, v10
	s_delay_alu instid0(VALU_DEP_1) | instskip(NEXT) | instid1(VALU_DEP_1)
	v_add_nc_u32_e32 v78, v10, v11
	;; [unrolled: 3-line block ×3, first 2 shown]
	v_add_nc_u32_e32 v81, v80, v6
	ds_store_b128 v115, v[7:10] offset:32
	ds_store_b128 v115, v[78:81] offset:48
	s_wait_loadcnt_dscnt 0x0
	s_barrier_signal -1
	s_barrier_wait -1
	global_inv scope:SCOPE_SE
	ds_load_b32 v4, v13 offset:32
	ds_load_b32 v5, v16 offset:32
	;; [unrolled: 1-line block ×8, first 2 shown]
	s_wait_dscnt 0x7
	v_add_nc_u32_e32 v85, v4, v12
	s_wait_dscnt 0x6
	v_add3_u32 v84, v15, v14, v5
	s_wait_dscnt 0x5
	v_add3_u32 v83, v18, v17, v6
	;; [unrolled: 2-line block ×7, first 2 shown]
                                        ; implicit-def: $vgpr50_vgpr51
                                        ; implicit-def: $vgpr14_vgpr15
                                        ; implicit-def: $vgpr10_vgpr11
                                        ; implicit-def: $vgpr6_vgpr7
                                        ; implicit-def: $vgpr30_vgpr31
                                        ; implicit-def: $vgpr26_vgpr27
                                        ; implicit-def: $vgpr22_vgpr23
                                        ; implicit-def: $vgpr18_vgpr19
	s_wait_alu 0xfffe
	s_cbranch_vccnz .LBB181_66
; %bb.90:                               ;   in Loop: Header=BB181_67 Depth=1
	v_lshlrev_b32_e32 v16, 3, v85
	v_lshlrev_b32_e32 v19, 3, v82
	;; [unrolled: 1-line block ×8, first 2 shown]
	s_wait_loadcnt 0x0
	s_barrier_signal -1
	s_barrier_wait -1
	global_inv scope:SCOPE_SE
	ds_store_b64 v16, v[34:35]
	ds_store_b64 v17, v[69:70]
	;; [unrolled: 1-line block ×8, first 2 shown]
	s_wait_loadcnt_dscnt 0x0
	s_barrier_signal -1
	s_barrier_wait -1
	global_inv scope:SCOPE_SE
	ds_load_2addr_b64 v[4:7], v74 offset1:32
	ds_load_2addr_b64 v[8:11], v74 offset0:64 offset1:96
	ds_load_2addr_b64 v[12:15], v74 offset0:128 offset1:160
	ds_load_2addr_b64 v[48:51], v74 offset0:192 offset1:224
	s_wait_loadcnt_dscnt 0x0
	s_barrier_signal -1
	s_barrier_wait -1
	global_inv scope:SCOPE_SE
	ds_store_b64 v16, v[60:61]
	ds_store_b64 v17, v[58:59]
	;; [unrolled: 1-line block ×8, first 2 shown]
	s_wait_loadcnt_dscnt 0x0
	s_barrier_signal -1
	s_barrier_wait -1
	global_inv scope:SCOPE_SE
	ds_load_2addr_b64 v[16:19], v74 offset1:32
	ds_load_2addr_b64 v[20:23], v74 offset0:64 offset1:96
	ds_load_2addr_b64 v[24:27], v74 offset0:128 offset1:160
	;; [unrolled: 1-line block ×3, first 2 shown]
	v_add_co_u32 v32, vcc_lo, v32, 8
	s_wait_alu 0xfffd
	v_add_co_ci_u32_e64 v33, null, 0, v33, vcc_lo
	s_add_co_i32 s26, s26, -8
	s_mov_b32 s21, 0
	s_wait_loadcnt_dscnt 0x0
	s_barrier_signal -1
	s_barrier_wait -1
	global_inv scope:SCOPE_SE
	s_branch .LBB181_66
.LBB181_91:
	v_lshlrev_b32_e32 v16, 3, v85
	v_lshlrev_b32_e32 v19, 3, v82
	v_lshlrev_b32_e32 v24, 3, v72
	v_lshlrev_b32_e32 v17, 3, v84
	v_lshlrev_b32_e32 v20, 3, v81
	v_lshlrev_b32_e32 v18, 3, v83
	v_lshlrev_b32_e32 v21, 3, v80
	v_lshlrev_b32_e32 v22, 3, v79
	v_lshlrev_b32_e32 v23, 3, v78
	s_wait_loadcnt 0x0
	s_barrier_signal -1
	s_barrier_wait -1
	global_inv scope:SCOPE_SE
	ds_store_b64 v16, v[34:35]
	ds_store_b64 v17, v[69:70]
	;; [unrolled: 1-line block ×8, first 2 shown]
	s_wait_loadcnt_dscnt 0x0
	s_barrier_signal -1
	s_barrier_wait -1
	global_inv scope:SCOPE_SE
	ds_load_b128 v[0:3], v24
	ds_load_b128 v[4:7], v24 offset:16
	ds_load_b128 v[8:11], v24 offset:32
	;; [unrolled: 1-line block ×3, first 2 shown]
	s_wait_loadcnt_dscnt 0x0
	s_barrier_signal -1
	s_barrier_wait -1
	global_inv scope:SCOPE_SE
	ds_store_b64 v16, v[60:61]
	ds_store_b64 v17, v[58:59]
	;; [unrolled: 1-line block ×8, first 2 shown]
	s_wait_loadcnt_dscnt 0x0
	s_barrier_signal -1
	s_barrier_wait -1
	global_inv scope:SCOPE_SE
	ds_load_b128 v[52:55], v24
	ds_load_b128 v[48:51], v24 offset:16
	ds_load_b128 v[60:63], v24 offset:32
	;; [unrolled: 1-line block ×3, first 2 shown]
	v_cmp_gt_i64_e32 vcc_lo, 0, v[0:1]
	v_ashrrev_i32_e32 v18, 31, v3
	v_ashrrev_i32_e32 v16, 31, v1
	s_wait_alu 0xfffd
	v_cndmask_b32_e64 v17, 0x7fffffff, 0, vcc_lo
	v_cmp_gt_i64_e32 vcc_lo, 0, v[2:3]
	v_not_b32_e32 v18, v18
	v_not_b32_e32 v16, v16
	s_delay_alu instid0(VALU_DEP_4)
	v_xor_b32_e32 v1, v17, v1
	v_ashrrev_i32_e32 v17, 31, v7
	s_wait_alu 0xfffd
	v_cndmask_b32_e64 v19, 0x7fffffff, 0, vcc_lo
	v_cmp_gt_i64_e32 vcc_lo, 0, v[4:5]
	v_xor_b32_e32 v2, v18, v2
	v_xor_b32_e32 v0, v16, v0
	v_ashrrev_i32_e32 v16, 31, v5
	v_xor_b32_e32 v3, v19, v3
	v_not_b32_e32 v17, v17
	s_wait_alu 0xfffd
	v_cndmask_b32_e64 v18, 0x7fffffff, 0, vcc_lo
	v_cmp_gt_i64_e32 vcc_lo, 0, v[6:7]
	v_not_b32_e32 v16, v16
	v_xor_b32_e32 v6, v17, v6
	s_delay_alu instid0(VALU_DEP_4)
	v_xor_b32_e32 v5, v18, v5
	v_ashrrev_i32_e32 v18, 31, v11
	s_wait_alu 0xfffd
	v_cndmask_b32_e64 v19, 0x7fffffff, 0, vcc_lo
	v_cmp_gt_i64_e32 vcc_lo, 0, v[8:9]
	v_xor_b32_e32 v4, v16, v4
	v_ashrrev_i32_e32 v16, 31, v9
	s_delay_alu instid0(VALU_DEP_4) | instskip(SKIP_4) | instid1(VALU_DEP_3)
	v_xor_b32_e32 v7, v19, v7
	s_wait_alu 0xfffd
	v_cndmask_b32_e64 v17, 0x7fffffff, 0, vcc_lo
	v_cmp_gt_i64_e32 vcc_lo, 0, v[10:11]
	v_not_b32_e32 v16, v16
	v_xor_b32_e32 v9, v17, v9
	v_ashrrev_i32_e32 v17, 31, v13
	s_wait_alu 0xfffd
	v_cndmask_b32_e64 v19, 0x7fffffff, 0, vcc_lo
	v_cmp_gt_i64_e32 vcc_lo, 0, v[12:13]
	v_xor_b32_e32 v8, v16, v8
	v_not_b32_e32 v16, v18
	v_ashrrev_i32_e32 v18, 31, v15
	v_xor_b32_e32 v11, v19, v11
	v_not_b32_e32 v17, v17
	s_wait_alu 0xfffd
	v_cndmask_b32_e64 v19, 0x7fffffff, 0, vcc_lo
	v_cmp_gt_i64_e32 vcc_lo, 0, v[14:15]
	v_not_b32_e32 v18, v18
	v_xor_b32_e32 v10, v16, v10
	v_xor_b32_e32 v12, v17, v12
	;; [unrolled: 1-line block ×3, first 2 shown]
	s_wait_alu 0xfffd
	v_cndmask_b32_e64 v20, 0x7fffffff, 0, vcc_lo
	v_xor_b32_e32 v14, v18, v14
	s_delay_alu instid0(VALU_DEP_2)
	v_xor_b32_e32 v15, v20, v15
.LBB181_92:
	s_wait_loadcnt_dscnt 0x0
	s_barrier_signal -1
	s_barrier_wait -1
	global_inv scope:SCOPE_SE
	ds_store_2addr_b64 v114, v[0:1], v[2:3] offset1:1
	ds_store_2addr_b64 v114, v[4:5], v[6:7] offset0:2 offset1:3
	ds_store_2addr_b64 v114, v[8:9], v[10:11] offset0:4 offset1:5
	;; [unrolled: 1-line block ×3, first 2 shown]
	s_wait_loadcnt_dscnt 0x0
	s_barrier_signal -1
	s_barrier_wait -1
	global_inv scope:SCOPE_SE
	ds_load_b64 v[14:15], v107 offset:2048
	ds_load_b64 v[12:13], v108 offset:4096
	;; [unrolled: 1-line block ×7, first 2 shown]
	v_mov_b32_e32 v72, 0
	s_delay_alu instid0(VALU_DEP_1) | instskip(NEXT) | instid1(VALU_DEP_1)
	v_lshlrev_b64_e32 v[2:3], 3, v[71:72]
	v_add_co_u32 v2, vcc_lo, s30, v2
	s_wait_alu 0xfffd
	s_delay_alu instid0(VALU_DEP_2)
	v_add_co_ci_u32_e64 v3, null, s31, v3, vcc_lo
	s_and_saveexec_b32 s8, s0
	s_cbranch_execnz .LBB181_111
; %bb.93:
	s_wait_alu 0xfffe
	s_or_b32 exec_lo, exec_lo, s8
	s_and_saveexec_b32 s8, s1
	s_cbranch_execnz .LBB181_112
.LBB181_94:
	s_wait_alu 0xfffe
	s_or_b32 exec_lo, exec_lo, s8
	s_and_saveexec_b32 s8, s2
	s_cbranch_execnz .LBB181_113
.LBB181_95:
	s_wait_alu 0xfffe
	s_or_b32 exec_lo, exec_lo, s8
	s_and_saveexec_b32 s8, s3
	s_cbranch_execnz .LBB181_114
.LBB181_96:
	s_wait_alu 0xfffe
	s_or_b32 exec_lo, exec_lo, s8
	s_and_saveexec_b32 s8, s4
	s_cbranch_execnz .LBB181_115
.LBB181_97:
	s_wait_alu 0xfffe
	s_or_b32 exec_lo, exec_lo, s8
	s_and_saveexec_b32 s8, s5
	s_cbranch_execnz .LBB181_116
.LBB181_98:
	s_wait_alu 0xfffe
	s_or_b32 exec_lo, exec_lo, s8
	s_and_saveexec_b32 s8, s6
	s_cbranch_execnz .LBB181_117
.LBB181_99:
	s_wait_alu 0xfffe
	s_or_b32 exec_lo, exec_lo, s8
	s_and_saveexec_b32 s8, s7
	s_cbranch_execz .LBB181_101
.LBB181_100:
	s_mul_i32 s10, s22, 0x700
	s_mov_b32 s11, 0
	s_wait_alu 0xfffe
	s_lshl_b64 s[10:11], s[10:11], 3
	s_wait_alu 0xfffe
	v_add_co_u32 v2, vcc_lo, v2, s10
	s_wait_alu 0xfffd
	v_add_co_ci_u32_e64 v3, null, s11, v3, vcc_lo
	s_wait_dscnt 0x0
	global_store_b64 v[2:3], v[0:1], off
.LBB181_101:
	s_wait_alu 0xfffe
	s_or_b32 exec_lo, exec_lo, s8
	s_wait_storecnt 0x0
	s_wait_loadcnt_dscnt 0x0
	s_barrier_signal -1
	s_barrier_wait -1
	global_inv scope:SCOPE_SE
	ds_store_2addr_b64 v114, v[52:53], v[54:55] offset1:1
	ds_store_2addr_b64 v114, v[48:49], v[50:51] offset0:2 offset1:3
	ds_store_2addr_b64 v114, v[60:61], v[62:63] offset0:4 offset1:5
	;; [unrolled: 1-line block ×3, first 2 shown]
	s_wait_loadcnt_dscnt 0x0
	s_barrier_signal -1
	s_barrier_wait -1
	global_inv scope:SCOPE_SE
	ds_load_b64 v[14:15], v107 offset:2048
	ds_load_b64 v[12:13], v108 offset:4096
	;; [unrolled: 1-line block ×7, first 2 shown]
	v_mov_b32_e32 v69, 0
	s_delay_alu instid0(VALU_DEP_1) | instskip(NEXT) | instid1(VALU_DEP_1)
	v_lshlrev_b64_e32 v[2:3], 3, v[68:69]
	v_add_co_u32 v2, vcc_lo, s34, v2
	s_wait_alu 0xfffd
	s_delay_alu instid0(VALU_DEP_2)
	v_add_co_ci_u32_e64 v3, null, s35, v3, vcc_lo
	s_and_saveexec_b32 s8, s0
	s_cbranch_execnz .LBB181_118
; %bb.102:
	s_wait_alu 0xfffe
	s_or_b32 exec_lo, exec_lo, s8
	s_and_saveexec_b32 s0, s1
	s_cbranch_execnz .LBB181_119
.LBB181_103:
	s_or_b32 exec_lo, exec_lo, s0
	s_and_saveexec_b32 s0, s2
	s_cbranch_execnz .LBB181_120
.LBB181_104:
	s_or_b32 exec_lo, exec_lo, s0
	s_and_saveexec_b32 s0, s3
	s_cbranch_execnz .LBB181_121
.LBB181_105:
	s_or_b32 exec_lo, exec_lo, s0
	s_and_saveexec_b32 s0, s4
	s_cbranch_execnz .LBB181_122
.LBB181_106:
	s_or_b32 exec_lo, exec_lo, s0
	s_and_saveexec_b32 s0, s5
	s_cbranch_execnz .LBB181_123
.LBB181_107:
	s_or_b32 exec_lo, exec_lo, s0
	s_and_saveexec_b32 s0, s6
	s_cbranch_execnz .LBB181_124
.LBB181_108:
	s_or_b32 exec_lo, exec_lo, s0
	s_and_saveexec_b32 s0, s7
	s_cbranch_execz .LBB181_110
.LBB181_109:
	s_mul_i32 s0, s28, 0x700
	s_mov_b32 s1, 0
	s_delay_alu instid0(SALU_CYCLE_1) | instskip(NEXT) | instid1(SALU_CYCLE_1)
	s_lshl_b64 s[0:1], s[0:1], 3
	v_add_co_u32 v2, vcc_lo, v2, s0
	s_wait_alu 0xfffd
	v_add_co_ci_u32_e64 v3, null, s1, v3, vcc_lo
	s_wait_dscnt 0x0
	global_store_b64 v[2:3], v[0:1], off
.LBB181_110:
	s_nop 0
	s_sendmsg sendmsg(MSG_DEALLOC_VGPRS)
	s_endpgm
.LBB181_111:
	ds_load_b64 v[16:17], v106
	s_wait_dscnt 0x0
	global_store_b64 v[2:3], v[16:17], off
	s_wait_alu 0xfffe
	s_or_b32 exec_lo, exec_lo, s8
	s_and_saveexec_b32 s8, s1
	s_cbranch_execz .LBB181_94
.LBB181_112:
	s_lshl_b32 s10, s22, 8
	s_mov_b32 s11, 0
	s_wait_alu 0xfffe
	s_lshl_b64 s[10:11], s[10:11], 3
	s_wait_alu 0xfffe
	v_add_co_u32 v16, vcc_lo, v2, s10
	s_wait_alu 0xfffd
	v_add_co_ci_u32_e64 v17, null, s11, v3, vcc_lo
	s_wait_dscnt 0x6
	global_store_b64 v[16:17], v[14:15], off
	s_or_b32 exec_lo, exec_lo, s8
	s_and_saveexec_b32 s8, s2
	s_cbranch_execz .LBB181_95
.LBB181_113:
	s_lshl_b32 s10, s22, 9
	s_mov_b32 s11, 0
	s_wait_alu 0xfffe
	s_lshl_b64 s[10:11], s[10:11], 3
	s_wait_dscnt 0x6
	s_wait_alu 0xfffe
	v_add_co_u32 v14, vcc_lo, v2, s10
	s_wait_alu 0xfffd
	v_add_co_ci_u32_e64 v15, null, s11, v3, vcc_lo
	s_wait_dscnt 0x5
	global_store_b64 v[14:15], v[12:13], off
	s_or_b32 exec_lo, exec_lo, s8
	s_and_saveexec_b32 s8, s3
	s_cbranch_execz .LBB181_96
.LBB181_114:
	s_mul_i32 s10, s22, 0x300
	s_mov_b32 s11, 0
	s_wait_alu 0xfffe
	s_lshl_b64 s[10:11], s[10:11], 3
	s_wait_dscnt 0x5
	s_wait_alu 0xfffe
	v_add_co_u32 v12, vcc_lo, v2, s10
	s_wait_alu 0xfffd
	v_add_co_ci_u32_e64 v13, null, s11, v3, vcc_lo
	s_wait_dscnt 0x4
	global_store_b64 v[12:13], v[10:11], off
	s_or_b32 exec_lo, exec_lo, s8
	s_and_saveexec_b32 s8, s4
	s_cbranch_execz .LBB181_97
.LBB181_115:
	s_lshl_b32 s10, s22, 10
	s_mov_b32 s11, 0
	s_wait_alu 0xfffe
	s_lshl_b64 s[10:11], s[10:11], 3
	s_wait_dscnt 0x4
	s_wait_alu 0xfffe
	v_add_co_u32 v10, vcc_lo, v2, s10
	s_wait_alu 0xfffd
	v_add_co_ci_u32_e64 v11, null, s11, v3, vcc_lo
	s_wait_dscnt 0x3
	global_store_b64 v[10:11], v[8:9], off
	s_or_b32 exec_lo, exec_lo, s8
	s_and_saveexec_b32 s8, s5
	s_cbranch_execz .LBB181_98
.LBB181_116:
	s_mul_i32 s10, s22, 0x500
	s_mov_b32 s11, 0
	s_wait_alu 0xfffe
	s_lshl_b64 s[10:11], s[10:11], 3
	s_wait_dscnt 0x3
	s_wait_alu 0xfffe
	v_add_co_u32 v8, vcc_lo, v2, s10
	s_wait_alu 0xfffd
	v_add_co_ci_u32_e64 v9, null, s11, v3, vcc_lo
	s_wait_dscnt 0x2
	global_store_b64 v[8:9], v[6:7], off
	s_or_b32 exec_lo, exec_lo, s8
	s_and_saveexec_b32 s8, s6
	s_cbranch_execz .LBB181_99
.LBB181_117:
	s_mul_i32 s10, s22, 0x600
	s_mov_b32 s11, 0
	s_wait_alu 0xfffe
	s_lshl_b64 s[10:11], s[10:11], 3
	s_wait_dscnt 0x2
	s_wait_alu 0xfffe
	v_add_co_u32 v6, vcc_lo, v2, s10
	s_wait_alu 0xfffd
	v_add_co_ci_u32_e64 v7, null, s11, v3, vcc_lo
	s_wait_dscnt 0x1
	global_store_b64 v[6:7], v[4:5], off
	s_or_b32 exec_lo, exec_lo, s8
	s_and_saveexec_b32 s8, s7
	s_cbranch_execnz .LBB181_100
	s_branch .LBB181_101
.LBB181_118:
	ds_load_b64 v[16:17], v106
	s_wait_dscnt 0x0
	global_store_b64 v[2:3], v[16:17], off
	s_wait_alu 0xfffe
	s_or_b32 exec_lo, exec_lo, s8
	s_and_saveexec_b32 s0, s1
	s_cbranch_execz .LBB181_103
.LBB181_119:
	s_lshl_b32 s8, s28, 8
	s_mov_b32 s9, 0
	s_wait_alu 0xfffe
	s_lshl_b64 s[8:9], s[8:9], 3
	s_wait_alu 0xfffe
	v_add_co_u32 v16, vcc_lo, v2, s8
	s_wait_alu 0xfffd
	v_add_co_ci_u32_e64 v17, null, s9, v3, vcc_lo
	s_wait_dscnt 0x6
	global_store_b64 v[16:17], v[14:15], off
	s_or_b32 exec_lo, exec_lo, s0
	s_and_saveexec_b32 s0, s2
	s_cbranch_execz .LBB181_104
.LBB181_120:
	s_lshl_b32 s8, s28, 9
	s_mov_b32 s9, 0
	s_wait_alu 0xfffe
	s_lshl_b64 s[8:9], s[8:9], 3
	s_wait_dscnt 0x6
	s_wait_alu 0xfffe
	v_add_co_u32 v14, vcc_lo, v2, s8
	s_wait_alu 0xfffd
	v_add_co_ci_u32_e64 v15, null, s9, v3, vcc_lo
	s_wait_dscnt 0x5
	global_store_b64 v[14:15], v[12:13], off
	s_or_b32 exec_lo, exec_lo, s0
	s_and_saveexec_b32 s0, s3
	s_cbranch_execz .LBB181_105
.LBB181_121:
	s_mul_i32 s2, s28, 0x300
	s_mov_b32 s3, 0
	s_delay_alu instid0(SALU_CYCLE_1)
	s_lshl_b64 s[2:3], s[2:3], 3
	s_wait_dscnt 0x5
	v_add_co_u32 v12, vcc_lo, v2, s2
	s_wait_alu 0xfffd
	v_add_co_ci_u32_e64 v13, null, s3, v3, vcc_lo
	s_wait_dscnt 0x4
	global_store_b64 v[12:13], v[10:11], off
	s_or_b32 exec_lo, exec_lo, s0
	s_and_saveexec_b32 s0, s4
	s_cbranch_execz .LBB181_106
.LBB181_122:
	s_lshl_b32 s2, s28, 10
	s_mov_b32 s3, 0
	s_wait_alu 0xfffe
	s_lshl_b64 s[2:3], s[2:3], 3
	s_wait_dscnt 0x4
	s_wait_alu 0xfffe
	v_add_co_u32 v10, vcc_lo, v2, s2
	s_wait_alu 0xfffd
	v_add_co_ci_u32_e64 v11, null, s3, v3, vcc_lo
	s_wait_dscnt 0x3
	global_store_b64 v[10:11], v[8:9], off
	s_or_b32 exec_lo, exec_lo, s0
	s_and_saveexec_b32 s0, s5
	s_cbranch_execz .LBB181_107
.LBB181_123:
	s_mul_i32 s2, s28, 0x500
	s_mov_b32 s3, 0
	s_wait_alu 0xfffe
	s_lshl_b64 s[2:3], s[2:3], 3
	s_wait_dscnt 0x3
	s_wait_alu 0xfffe
	v_add_co_u32 v8, vcc_lo, v2, s2
	s_wait_alu 0xfffd
	v_add_co_ci_u32_e64 v9, null, s3, v3, vcc_lo
	s_wait_dscnt 0x2
	global_store_b64 v[8:9], v[6:7], off
	s_or_b32 exec_lo, exec_lo, s0
	s_and_saveexec_b32 s0, s6
	s_cbranch_execz .LBB181_108
.LBB181_124:
	s_mul_i32 s2, s28, 0x600
	s_mov_b32 s3, 0
	s_wait_alu 0xfffe
	s_lshl_b64 s[2:3], s[2:3], 3
	s_wait_dscnt 0x2
	s_wait_alu 0xfffe
	v_add_co_u32 v6, vcc_lo, v2, s2
	s_wait_alu 0xfffd
	v_add_co_ci_u32_e64 v7, null, s3, v3, vcc_lo
	s_wait_dscnt 0x1
	global_store_b64 v[6:7], v[4:5], off
	s_or_b32 exec_lo, exec_lo, s0
	s_and_saveexec_b32 s0, s7
	s_cbranch_execnz .LBB181_109
	s_branch .LBB181_110
	.section	.rodata,"a",@progbits
	.p2align	6, 0x0
	.amdhsa_kernel _ZN2at6native18radixSortKVInPlaceILin2ELin1ELi256ELi8EdljEEvNS_4cuda6detail10TensorInfoIT3_T5_EES6_S6_S6_NS4_IT4_S6_EES6_b
		.amdhsa_group_segment_fixed_size 16896
		.amdhsa_private_segment_fixed_size 0
		.amdhsa_kernarg_size 712
		.amdhsa_user_sgpr_count 2
		.amdhsa_user_sgpr_dispatch_ptr 0
		.amdhsa_user_sgpr_queue_ptr 0
		.amdhsa_user_sgpr_kernarg_segment_ptr 1
		.amdhsa_user_sgpr_dispatch_id 0
		.amdhsa_user_sgpr_private_segment_size 0
		.amdhsa_wavefront_size32 1
		.amdhsa_uses_dynamic_stack 0
		.amdhsa_enable_private_segment 0
		.amdhsa_system_sgpr_workgroup_id_x 1
		.amdhsa_system_sgpr_workgroup_id_y 1
		.amdhsa_system_sgpr_workgroup_id_z 1
		.amdhsa_system_sgpr_workgroup_info 0
		.amdhsa_system_vgpr_workitem_id 2
		.amdhsa_next_free_vgpr 143
		.amdhsa_next_free_sgpr 40
		.amdhsa_reserve_vcc 1
		.amdhsa_float_round_mode_32 0
		.amdhsa_float_round_mode_16_64 0
		.amdhsa_float_denorm_mode_32 3
		.amdhsa_float_denorm_mode_16_64 3
		.amdhsa_fp16_overflow 0
		.amdhsa_workgroup_processor_mode 1
		.amdhsa_memory_ordered 1
		.amdhsa_forward_progress 1
		.amdhsa_inst_pref_size 124
		.amdhsa_round_robin_scheduling 0
		.amdhsa_exception_fp_ieee_invalid_op 0
		.amdhsa_exception_fp_denorm_src 0
		.amdhsa_exception_fp_ieee_div_zero 0
		.amdhsa_exception_fp_ieee_overflow 0
		.amdhsa_exception_fp_ieee_underflow 0
		.amdhsa_exception_fp_ieee_inexact 0
		.amdhsa_exception_int_div_zero 0
	.end_amdhsa_kernel
	.section	.text._ZN2at6native18radixSortKVInPlaceILin2ELin1ELi256ELi8EdljEEvNS_4cuda6detail10TensorInfoIT3_T5_EES6_S6_S6_NS4_IT4_S6_EES6_b,"axG",@progbits,_ZN2at6native18radixSortKVInPlaceILin2ELin1ELi256ELi8EdljEEvNS_4cuda6detail10TensorInfoIT3_T5_EES6_S6_S6_NS4_IT4_S6_EES6_b,comdat
.Lfunc_end181:
	.size	_ZN2at6native18radixSortKVInPlaceILin2ELin1ELi256ELi8EdljEEvNS_4cuda6detail10TensorInfoIT3_T5_EES6_S6_S6_NS4_IT4_S6_EES6_b, .Lfunc_end181-_ZN2at6native18radixSortKVInPlaceILin2ELin1ELi256ELi8EdljEEvNS_4cuda6detail10TensorInfoIT3_T5_EES6_S6_S6_NS4_IT4_S6_EES6_b
                                        ; -- End function
	.set _ZN2at6native18radixSortKVInPlaceILin2ELin1ELi256ELi8EdljEEvNS_4cuda6detail10TensorInfoIT3_T5_EES6_S6_S6_NS4_IT4_S6_EES6_b.num_vgpr, 143
	.set _ZN2at6native18radixSortKVInPlaceILin2ELin1ELi256ELi8EdljEEvNS_4cuda6detail10TensorInfoIT3_T5_EES6_S6_S6_NS4_IT4_S6_EES6_b.num_agpr, 0
	.set _ZN2at6native18radixSortKVInPlaceILin2ELin1ELi256ELi8EdljEEvNS_4cuda6detail10TensorInfoIT3_T5_EES6_S6_S6_NS4_IT4_S6_EES6_b.numbered_sgpr, 40
	.set _ZN2at6native18radixSortKVInPlaceILin2ELin1ELi256ELi8EdljEEvNS_4cuda6detail10TensorInfoIT3_T5_EES6_S6_S6_NS4_IT4_S6_EES6_b.num_named_barrier, 0
	.set _ZN2at6native18radixSortKVInPlaceILin2ELin1ELi256ELi8EdljEEvNS_4cuda6detail10TensorInfoIT3_T5_EES6_S6_S6_NS4_IT4_S6_EES6_b.private_seg_size, 0
	.set _ZN2at6native18radixSortKVInPlaceILin2ELin1ELi256ELi8EdljEEvNS_4cuda6detail10TensorInfoIT3_T5_EES6_S6_S6_NS4_IT4_S6_EES6_b.uses_vcc, 1
	.set _ZN2at6native18radixSortKVInPlaceILin2ELin1ELi256ELi8EdljEEvNS_4cuda6detail10TensorInfoIT3_T5_EES6_S6_S6_NS4_IT4_S6_EES6_b.uses_flat_scratch, 0
	.set _ZN2at6native18radixSortKVInPlaceILin2ELin1ELi256ELi8EdljEEvNS_4cuda6detail10TensorInfoIT3_T5_EES6_S6_S6_NS4_IT4_S6_EES6_b.has_dyn_sized_stack, 0
	.set _ZN2at6native18radixSortKVInPlaceILin2ELin1ELi256ELi8EdljEEvNS_4cuda6detail10TensorInfoIT3_T5_EES6_S6_S6_NS4_IT4_S6_EES6_b.has_recursion, 0
	.set _ZN2at6native18radixSortKVInPlaceILin2ELin1ELi256ELi8EdljEEvNS_4cuda6detail10TensorInfoIT3_T5_EES6_S6_S6_NS4_IT4_S6_EES6_b.has_indirect_call, 0
	.section	.AMDGPU.csdata,"",@progbits
; Kernel info:
; codeLenInByte = 15776
; TotalNumSgprs: 42
; NumVgprs: 143
; ScratchSize: 0
; MemoryBound: 0
; FloatMode: 240
; IeeeMode: 1
; LDSByteSize: 16896 bytes/workgroup (compile time only)
; SGPRBlocks: 0
; VGPRBlocks: 17
; NumSGPRsForWavesPerEU: 42
; NumVGPRsForWavesPerEU: 143
; Occupancy: 10
; WaveLimiterHint : 1
; COMPUTE_PGM_RSRC2:SCRATCH_EN: 0
; COMPUTE_PGM_RSRC2:USER_SGPR: 2
; COMPUTE_PGM_RSRC2:TRAP_HANDLER: 0
; COMPUTE_PGM_RSRC2:TGID_X_EN: 1
; COMPUTE_PGM_RSRC2:TGID_Y_EN: 1
; COMPUTE_PGM_RSRC2:TGID_Z_EN: 1
; COMPUTE_PGM_RSRC2:TIDIG_COMP_CNT: 2
	.section	.text._ZN2at6native18radixSortKVInPlaceILin2ELin1ELi128ELi8EdljEEvNS_4cuda6detail10TensorInfoIT3_T5_EES6_S6_S6_NS4_IT4_S6_EES6_b,"axG",@progbits,_ZN2at6native18radixSortKVInPlaceILin2ELin1ELi128ELi8EdljEEvNS_4cuda6detail10TensorInfoIT3_T5_EES6_S6_S6_NS4_IT4_S6_EES6_b,comdat
	.protected	_ZN2at6native18radixSortKVInPlaceILin2ELin1ELi128ELi8EdljEEvNS_4cuda6detail10TensorInfoIT3_T5_EES6_S6_S6_NS4_IT4_S6_EES6_b ; -- Begin function _ZN2at6native18radixSortKVInPlaceILin2ELin1ELi128ELi8EdljEEvNS_4cuda6detail10TensorInfoIT3_T5_EES6_S6_S6_NS4_IT4_S6_EES6_b
	.globl	_ZN2at6native18radixSortKVInPlaceILin2ELin1ELi128ELi8EdljEEvNS_4cuda6detail10TensorInfoIT3_T5_EES6_S6_S6_NS4_IT4_S6_EES6_b
	.p2align	8
	.type	_ZN2at6native18radixSortKVInPlaceILin2ELin1ELi128ELi8EdljEEvNS_4cuda6detail10TensorInfoIT3_T5_EES6_S6_S6_NS4_IT4_S6_EES6_b,@function
_ZN2at6native18radixSortKVInPlaceILin2ELin1ELi128ELi8EdljEEvNS_4cuda6detail10TensorInfoIT3_T5_EES6_S6_S6_NS4_IT4_S6_EES6_b: ; @_ZN2at6native18radixSortKVInPlaceILin2ELin1ELi128ELi8EdljEEvNS_4cuda6detail10TensorInfoIT3_T5_EES6_S6_S6_NS4_IT4_S6_EES6_b
; %bb.0:
	s_clause 0x1
	s_load_b64 s[2:3], s[0:1], 0x1c8
	s_load_b96 s[20:22], s[0:1], 0xd8
	s_lshr_b32 s4, ttmp7, 16
	s_wait_kmcnt 0x0
	s_mul_i32 s3, s3, s4
	s_and_b32 s4, ttmp7, 0xffff
	s_delay_alu instid0(SALU_CYCLE_1) | instskip(NEXT) | instid1(SALU_CYCLE_1)
	s_add_co_i32 s3, s3, s4
	s_mul_i32 s4, s3, s2
	s_delay_alu instid0(SALU_CYCLE_1) | instskip(NEXT) | instid1(SALU_CYCLE_1)
	s_add_co_i32 s4, s4, ttmp9
	s_cmp_ge_u32 s4, s20
	s_cbranch_scc1 .LBB182_110
; %bb.1:
	s_load_b32 s2, s[0:1], 0x1b8
	s_add_nc_u64 s[34:35], s[0:1], 0xe8
	s_mov_b32 s27, 0
	s_mov_b32 s23, s4
	s_wait_kmcnt 0x0
	s_cmp_lt_i32 s2, 2
	s_cbranch_scc1 .LBB182_4
; %bb.2:
	s_add_co_i32 s26, s2, -1
	s_add_co_i32 s5, s2, 1
	s_lshl_b64 s[6:7], s[26:27], 2
	s_mov_b32 s23, s4
	s_add_nc_u64 s[6:7], s[34:35], s[6:7]
	s_delay_alu instid0(SALU_CYCLE_1)
	s_add_nc_u64 s[2:3], s[6:7], 8
.LBB182_3:                              ; =>This Inner Loop Header: Depth=1
	s_clause 0x1
	s_load_b32 s6, s[2:3], 0x0
	s_load_b32 s7, s[2:3], 0x64
	s_mov_b32 s10, s23
	s_add_nc_u64 s[2:3], s[2:3], -4
	s_wait_kmcnt 0x0
	s_cvt_f32_u32 s8, s6
	s_sub_co_i32 s9, 0, s6
	s_wait_alu 0xfffe
	s_delay_alu instid0(SALU_CYCLE_1) | instskip(NEXT) | instid1(TRANS32_DEP_1)
	v_rcp_iflag_f32_e32 v1, s8
	v_readfirstlane_b32 s8, v1
	s_mul_f32 s8, s8, 0x4f7ffffe
	s_wait_alu 0xfffe
	s_delay_alu instid0(SALU_CYCLE_2) | instskip(SKIP_1) | instid1(SALU_CYCLE_2)
	s_cvt_u32_f32 s8, s8
	s_wait_alu 0xfffe
	s_mul_i32 s9, s9, s8
	s_wait_alu 0xfffe
	s_mul_hi_u32 s9, s8, s9
	s_wait_alu 0xfffe
	s_add_co_i32 s8, s8, s9
	s_wait_alu 0xfffe
	s_mul_hi_u32 s8, s23, s8
	s_wait_alu 0xfffe
	s_mul_i32 s9, s8, s6
	s_add_co_i32 s11, s8, 1
	s_wait_alu 0xfffe
	s_sub_co_i32 s9, s23, s9
	s_wait_alu 0xfffe
	s_sub_co_i32 s12, s9, s6
	s_cmp_ge_u32 s9, s6
	s_cselect_b32 s8, s11, s8
	s_cselect_b32 s9, s12, s9
	s_wait_alu 0xfffe
	s_add_co_i32 s11, s8, 1
	s_cmp_ge_u32 s9, s6
	s_cselect_b32 s23, s11, s8
	s_add_co_i32 s5, s5, -1
	s_mul_i32 s6, s23, s6
	s_delay_alu instid0(SALU_CYCLE_1) | instskip(NEXT) | instid1(SALU_CYCLE_1)
	s_sub_co_i32 s6, s10, s6
	s_mul_i32 s6, s7, s6
	s_delay_alu instid0(SALU_CYCLE_1)
	s_add_co_i32 s27, s6, s27
	s_cmp_gt_u32 s5, 2
	s_cbranch_scc1 .LBB182_3
.LBB182_4:
	s_clause 0x2
	s_load_b64 s[28:29], s[0:1], 0x1c0
	s_load_b64 s[2:3], s[0:1], 0x0
	s_load_b32 s5, s[0:1], 0x6c
	s_add_nc_u64 s[24:25], s[0:1], 0x1c8
	s_mov_b32 s1, 0
	s_wait_kmcnt 0x0
	s_bitcmp1_b32 s29, 0
	s_mul_i32 s0, s5, s4
	s_cselect_b32 s20, -1, 0
	s_lshl_b64 s[30:31], s[0:1], 3
	s_and_b32 s0, s20, exec_lo
	s_mov_b32 s4, -1
	s_cselect_b32 s5, -1, 0x7fffffff
	s_mov_b32 s6, s4
	s_mov_b32 s8, s4
	;; [unrolled: 1-line block ×14, first 2 shown]
	v_and_b32_e32 v73, 0x3ff, v0
	v_dual_mov_b32 v1, s4 :: v_dual_mov_b32 v4, s7
	v_dual_mov_b32 v2, s5 :: v_dual_mov_b32 v15, s18
	v_mov_b32_e32 v18, s5
	s_delay_alu instid0(VALU_DEP_4)
	v_mul_lo_u32 v71, s22, v73
	v_cmp_gt_u32_e64 s0, s21, v73
	s_wait_alu 0xfffe
	v_dual_mov_b32 v3, s6 :: v_dual_mov_b32 v6, s9
	v_dual_mov_b32 v5, s8 :: v_dual_mov_b32 v8, s11
	;; [unrolled: 1-line block ×6, first 2 shown]
	v_mov_b32_e32 v17, s4
	s_add_nc_u64 s[30:31], s[2:3], s[30:31]
	s_and_saveexec_b32 s1, s0
	s_cbranch_execz .LBB182_6
; %bb.5:
	v_mov_b32_e32 v72, 0
	s_delay_alu instid0(VALU_DEP_1) | instskip(NEXT) | instid1(VALU_DEP_1)
	v_lshlrev_b64_e32 v[1:2], 3, v[71:72]
	v_add_co_u32 v1, vcc_lo, s30, v1
	s_delay_alu instid0(VALU_DEP_1)
	v_add_co_ci_u32_e64 v2, null, s31, v2, vcc_lo
	global_load_b64 v[17:18], v[1:2], off
	v_dual_mov_b32 v1, s4 :: v_dual_mov_b32 v2, s5
	v_dual_mov_b32 v3, s6 :: v_dual_mov_b32 v4, s7
	;; [unrolled: 1-line block ×8, first 2 shown]
.LBB182_6:
	s_or_b32 exec_lo, exec_lo, s1
	v_add_nc_u32_e32 v32, 0x80, v73
	s_delay_alu instid0(VALU_DEP_1)
	v_cmp_gt_u32_e64 s1, s21, v32
	s_and_saveexec_b32 s2, s1
	s_cbranch_execz .LBB182_8
; %bb.7:
	v_mul_lo_u32 v1, s22, v32
	v_mov_b32_e32 v2, 0
	s_delay_alu instid0(VALU_DEP_1) | instskip(NEXT) | instid1(VALU_DEP_1)
	v_lshlrev_b64_e32 v[1:2], 3, v[1:2]
	v_add_co_u32 v1, vcc_lo, s30, v1
	s_wait_alu 0xfffd
	s_delay_alu instid0(VALU_DEP_2)
	v_add_co_ci_u32_e64 v2, null, s31, v2, vcc_lo
	global_load_b64 v[3:4], v[1:2], off
.LBB182_8:
	s_or_b32 exec_lo, exec_lo, s2
	v_add_nc_u32_e32 v33, 0x100, v73
	s_delay_alu instid0(VALU_DEP_1)
	v_cmp_gt_u32_e64 s2, s21, v33
	s_and_saveexec_b32 s3, s2
	s_cbranch_execz .LBB182_10
; %bb.9:
	v_mul_lo_u32 v1, s22, v33
	v_mov_b32_e32 v2, 0
	s_delay_alu instid0(VALU_DEP_1) | instskip(NEXT) | instid1(VALU_DEP_1)
	v_lshlrev_b64_e32 v[1:2], 3, v[1:2]
	v_add_co_u32 v1, vcc_lo, s30, v1
	s_wait_alu 0xfffd
	s_delay_alu instid0(VALU_DEP_2)
	v_add_co_ci_u32_e64 v2, null, s31, v2, vcc_lo
	global_load_b64 v[5:6], v[1:2], off
.LBB182_10:
	;; [unrolled: 17-line block ×3, first 2 shown]
	s_wait_alu 0xfffe
	s_or_b32 exec_lo, exec_lo, s4
	v_add_nc_u32_e32 v35, 0x200, v73
	s_delay_alu instid0(VALU_DEP_1)
	v_cmp_gt_u32_e64 s4, s21, v35
	s_and_saveexec_b32 s5, s4
	s_cbranch_execz .LBB182_14
; %bb.13:
	v_mul_lo_u32 v1, s22, v35
	v_mov_b32_e32 v2, 0
	s_delay_alu instid0(VALU_DEP_1) | instskip(NEXT) | instid1(VALU_DEP_1)
	v_lshlrev_b64_e32 v[1:2], 3, v[1:2]
	v_add_co_u32 v1, vcc_lo, s30, v1
	s_wait_alu 0xfffd
	s_delay_alu instid0(VALU_DEP_2)
	v_add_co_ci_u32_e64 v2, null, s31, v2, vcc_lo
	global_load_b64 v[9:10], v[1:2], off
.LBB182_14:
	s_wait_alu 0xfffe
	s_or_b32 exec_lo, exec_lo, s5
	v_add_nc_u32_e32 v36, 0x280, v73
	s_delay_alu instid0(VALU_DEP_1)
	v_cmp_gt_u32_e64 s5, s21, v36
	s_and_saveexec_b32 s6, s5
	s_cbranch_execz .LBB182_16
; %bb.15:
	v_mul_lo_u32 v1, s22, v36
	v_mov_b32_e32 v2, 0
	s_delay_alu instid0(VALU_DEP_1) | instskip(NEXT) | instid1(VALU_DEP_1)
	v_lshlrev_b64_e32 v[1:2], 3, v[1:2]
	v_add_co_u32 v1, vcc_lo, s30, v1
	s_wait_alu 0xfffd
	s_delay_alu instid0(VALU_DEP_2)
	v_add_co_ci_u32_e64 v2, null, s31, v2, vcc_lo
	global_load_b64 v[11:12], v[1:2], off
.LBB182_16:
	;; [unrolled: 18-line block ×3, first 2 shown]
	s_wait_alu 0xfffe
	s_or_b32 exec_lo, exec_lo, s7
	s_clause 0x1
	s_load_b32 s10, s[34:35], 0x6c
	s_load_b64 s[8:9], s[34:35], 0x0
	v_add_nc_u32_e32 v38, 0x380, v73
	s_delay_alu instid0(VALU_DEP_1)
	v_cmp_gt_u32_e64 s7, s21, v38
	s_and_saveexec_b32 s11, s7
	s_cbranch_execz .LBB182_20
; %bb.19:
	v_mul_lo_u32 v1, s22, v38
	v_mov_b32_e32 v2, 0
	s_delay_alu instid0(VALU_DEP_1) | instskip(NEXT) | instid1(VALU_DEP_1)
	v_lshlrev_b64_e32 v[1:2], 3, v[1:2]
	v_add_co_u32 v1, vcc_lo, s30, v1
	s_wait_alu 0xfffd
	s_delay_alu instid0(VALU_DEP_2)
	v_add_co_ci_u32_e64 v2, null, s31, v2, vcc_lo
	global_load_b64 v[15:16], v[1:2], off
.LBB182_20:
	s_wait_alu 0xfffe
	s_or_b32 exec_lo, exec_lo, s11
	v_lshrrev_b32_e32 v2, 2, v33
	v_dual_mov_b32 v69, 0 :: v_dual_lshlrev_b32 v72, 3, v73
	v_lshrrev_b32_e32 v1, 2, v32
	v_lshrrev_b32_e32 v19, 2, v34
	s_delay_alu instid0(VALU_DEP_4) | instskip(SKIP_1) | instid1(VALU_DEP_4)
	v_and_b32_e32 v2, 0x1f8, v2
	v_lshrrev_b32_e32 v48, 5, v73
	v_dual_mov_b32 v70, v69 :: v_dual_and_b32 v1, 0x1f8, v1
	s_delay_alu instid0(VALU_DEP_4) | instskip(NEXT) | instid1(VALU_DEP_4)
	v_and_b32_e32 v19, 0x1f8, v19
	v_add_nc_u32_e32 v108, v2, v72
	v_lshrrev_b32_e32 v2, 2, v36
	v_lshl_add_u32 v106, v48, 3, v72
	v_add_nc_u32_e32 v107, v1, v72
	v_lshrrev_b32_e32 v1, 2, v35
	v_lshrrev_b32_e32 v20, 2, v38
	v_and_b32_e32 v2, 0x1f8, v2
	s_wait_kmcnt 0x0
	s_mul_i32 s10, s10, s23
	v_mul_lo_u32 v68, s28, v73
	v_and_b32_e32 v1, 0x1f8, v1
	s_mov_b32 s11, 0
	v_dual_mov_b32 v2, v69 :: v_dual_add_nc_u32 v111, v2, v72
	v_add_nc_u32_e32 v109, v19, v72
	v_lshrrev_b32_e32 v19, 2, v37
	s_wait_loadcnt 0x0
	ds_store_b64 v106, v[17:18]
	ds_store_b64 v107, v[3:4] offset:1024
	ds_store_b64 v108, v[5:6] offset:2048
	;; [unrolled: 1-line block ×3, first 2 shown]
	v_dual_mov_b32 v7, v69 :: v_dual_and_b32 v4, 0x1f8, v20
	v_lshlrev_b32_e32 v5, 1, v73
	v_dual_mov_b32 v8, v69 :: v_dual_and_b32 v3, 0x1f8, v19
	v_mov_b32_e32 v6, v69
	v_add_nc_u32_e32 v110, v1, v72
	v_add_nc_u32_e32 v113, v4, v72
	s_delay_alu instid0(VALU_DEP_4)
	v_add_nc_u32_e32 v112, v3, v72
	ds_store_b64 v110, v[9:10] offset:4096
	ds_store_b64 v111, v[11:12] offset:5120
	;; [unrolled: 1-line block ×4, first 2 shown]
	v_dual_mov_b32 v10, v69 :: v_dual_and_b32 v1, 0x7f8, v5
	s_wait_dscnt 0x0
	s_barrier_signal -1
	s_barrier_wait -1
	global_inv scope:SCOPE_SE
	v_lshl_add_u32 v114, v73, 6, v1
	ds_load_2addr_b64 v[28:31], v114 offset1:1
	ds_load_2addr_b64 v[24:27], v114 offset0:2 offset1:3
	ds_load_2addr_b64 v[20:23], v114 offset0:4 offset1:5
	;; [unrolled: 1-line block ×3, first 2 shown]
	s_wait_alu 0xfffe
	s_add_co_i32 s10, s10, s27
	v_mov_b32_e32 v11, 0
	v_mov_b32_e32 v1, v69
	v_dual_mov_b32 v3, v69 :: v_dual_mov_b32 v4, v69
	v_mov_b32_e32 v5, v69
	v_mov_b32_e32 v9, v69
	v_dual_mov_b32 v13, v69 :: v_dual_mov_b32 v12, 0
	v_mov_b32_e32 v14, v69
	s_wait_alu 0xfffe
	s_lshl_b64 s[10:11], s[10:11], 3
	s_wait_loadcnt_dscnt 0x0
	s_wait_alu 0xfffe
	s_add_nc_u64 s[34:35], s[8:9], s[10:11]
	s_barrier_signal -1
	s_barrier_wait -1
	global_inv scope:SCOPE_SE
	s_and_saveexec_b32 s8, s0
	s_cbranch_execnz .LBB182_56
; %bb.21:
	s_wait_alu 0xfffe
	s_or_b32 exec_lo, exec_lo, s8
	s_and_saveexec_b32 s8, s1
	s_cbranch_execnz .LBB182_57
.LBB182_22:
	s_wait_alu 0xfffe
	s_or_b32 exec_lo, exec_lo, s8
	s_and_saveexec_b32 s8, s2
	s_cbranch_execnz .LBB182_58
.LBB182_23:
	s_wait_alu 0xfffe
	s_or_b32 exec_lo, exec_lo, s8
	s_and_saveexec_b32 s8, s3
	s_cbranch_execnz .LBB182_59
.LBB182_24:
	s_wait_alu 0xfffe
	s_or_b32 exec_lo, exec_lo, s8
	s_and_saveexec_b32 s8, s4
	s_cbranch_execnz .LBB182_60
.LBB182_25:
	s_wait_alu 0xfffe
	s_or_b32 exec_lo, exec_lo, s8
	s_and_saveexec_b32 s8, s5
	s_cbranch_execnz .LBB182_61
.LBB182_26:
	s_wait_alu 0xfffe
	s_or_b32 exec_lo, exec_lo, s8
	s_and_saveexec_b32 s8, s6
	s_cbranch_execnz .LBB182_62
.LBB182_27:
	s_wait_alu 0xfffe
	s_or_b32 exec_lo, exec_lo, s8
	s_xor_b32 s8, s20, -1
	s_and_saveexec_b32 s9, s7
	s_cbranch_execz .LBB182_29
.LBB182_28:
	v_mul_lo_u32 v13, s28, v38
	v_mov_b32_e32 v14, 0
	s_delay_alu instid0(VALU_DEP_1) | instskip(NEXT) | instid1(VALU_DEP_1)
	v_lshlrev_b64_e32 v[13:14], 3, v[13:14]
	v_add_co_u32 v13, vcc_lo, s34, v13
	s_wait_alu 0xfffd
	s_delay_alu instid0(VALU_DEP_2)
	v_add_co_ci_u32_e64 v14, null, s35, v14, vcc_lo
	global_load_b64 v[13:14], v[13:14], off
.LBB182_29:
	s_wait_alu 0xfffe
	s_or_b32 exec_lo, exec_lo, s9
	s_wait_loadcnt 0x0
	ds_store_b64 v106, v[11:12]
	ds_store_b64 v107, v[69:70] offset:1024
	ds_store_b64 v108, v[1:2] offset:2048
	;; [unrolled: 1-line block ×7, first 2 shown]
	s_wait_dscnt 0x0
	s_barrier_signal -1
	s_barrier_wait -1
	global_inv scope:SCOPE_SE
	ds_load_2addr_b64 v[44:47], v114 offset1:1
	ds_load_2addr_b64 v[40:43], v114 offset0:2 offset1:3
	ds_load_2addr_b64 v[36:39], v114 offset0:4 offset1:5
	;; [unrolled: 1-line block ×3, first 2 shown]
	s_and_b32 vcc_lo, exec_lo, s8
	v_bfe_u32 v120, v0, 10, 10
	v_bfe_u32 v121, v0, 20, 10
	v_ashrrev_i32_e32 v129, 31, v29
	v_ashrrev_i32_e32 v128, 31, v31
	v_ashrrev_i32_e32 v127, 31, v25
	v_ashrrev_i32_e32 v126, 31, v27
	v_ashrrev_i32_e32 v125, 31, v21
	v_ashrrev_i32_e32 v124, 31, v23
	v_ashrrev_i32_e32 v123, 31, v17
	v_ashrrev_i32_e32 v122, 31, v19
	v_mbcnt_lo_u32_b32 v118, -1, 0
	v_and_b32_e32 v119, 0x3e0, v73
	v_lshlrev_b32_e32 v115, 2, v72
	v_cmp_gt_u32_e64 s8, 4, v73
	v_cmp_lt_u32_e64 s9, 31, v73
	v_cmp_eq_u32_e64 s10, 0, v73
	v_lshlrev_b32_e32 v116, 2, v48
	v_mul_i32_i24_e32 v117, 0xffffffe4, v73
	s_wait_loadcnt_dscnt 0x0
	s_barrier_signal -1
	s_barrier_wait -1
	global_inv scope:SCOPE_SE
	s_wait_alu 0xfffe
	s_cbranch_vccz .LBB182_63
; %bb.30:
	v_cmp_lt_i64_e32 vcc_lo, -1, v[28:29]
	v_or_b32_e32 v14, v118, v119
	s_mov_b32 s36, 0
	s_getpc_b64 s[12:13]
	s_wait_alu 0xfffe
	s_sext_i32_i16 s13, s13
	s_add_co_u32 s12, s12, _ZN7rocprim17ROCPRIM_400000_NS16block_radix_sortIdLj128ELj8ElLj1ELj1ELj0ELNS0_26block_radix_rank_algorithmE1ELNS0_18block_padding_hintE2ELNS0_4arch9wavefront6targetE0EE19radix_bits_per_passE@rel32@lo+12
	s_wait_alu 0xfffe
	s_add_co_ci_u32 s13, s13, _ZN7rocprim17ROCPRIM_400000_NS16block_radix_sortIdLj128ELj8ElLj1ELj1ELj0ELNS0_26block_radix_rank_algorithmE1ELNS0_18block_padding_hintE2ELNS0_4arch9wavefront6targetE0EE19radix_bits_per_passE@rel32@hi+24
	s_mov_b32 s37, s36
	s_mov_b32 s38, s36
	s_wait_alu 0xfffd
	v_cndmask_b32_e64 v0, -1, 0x80000000, vcc_lo
	v_cmp_lt_i64_e32 vcc_lo, -1, v[30:31]
	v_lshlrev_b32_e32 v48, 6, v14
	s_mov_b32 s39, s36
	v_and_b32_e32 v69, 3, v118
	v_xor_b32_e32 v1, v0, v29
	v_xor_b32_e32 v0, v129, v28
	s_wait_alu 0xfffd
	v_cndmask_b32_e64 v2, -1, 0x80000000, vcc_lo
	v_cmp_lt_i64_e32 vcc_lo, -1, v[24:25]
	v_and_or_b32 v49, 0x1f00, v72, v118
	s_load_b32 s21, s[12:13], 0x0
	v_cmp_eq_u32_e64 s18, 0, v69
	v_xor_b32_e32 v3, v2, v31
	v_xor_b32_e32 v2, v128, v30
	v_cndmask_b32_e64 v4, -1, 0x80000000, vcc_lo
	v_cmp_lt_i64_e32 vcc_lo, -1, v[26:27]
	v_cmp_lt_u32_e64 s19, 1, v69
	v_mov_b32_e32 v69, 0
	v_xor_b32_e32 v14, v122, v18
	v_xor_b32_e32 v5, v4, v25
	;; [unrolled: 1-line block ×3, first 2 shown]
	s_wait_alu 0xfffd
	v_cndmask_b32_e64 v6, -1, 0x80000000, vcc_lo
	v_cmp_lt_i64_e32 vcc_lo, -1, v[20:21]
	v_add_nc_u32_e32 v132, -4, v116
	v_add_nc_u32_e32 v134, v115, v117
	s_mov_b32 s26, -1
	v_xor_b32_e32 v7, v6, v27
	v_xor_b32_e32 v6, v126, v26
	s_wait_alu 0xfffd
	v_cndmask_b32_e64 v8, -1, 0x80000000, vcc_lo
	v_cmp_lt_i64_e32 vcc_lo, -1, v[22:23]
	ds_store_b128 v48, v[0:3]
	ds_store_b128 v48, v[4:7] offset:16
	v_sub_co_u32 v3, s13, v118, 1
	v_xor_b32_e32 v9, v8, v21
	s_wait_alu 0xfffd
	v_cndmask_b32_e64 v10, -1, 0x80000000, vcc_lo
	v_cmp_lt_i64_e32 vcc_lo, -1, v[16:17]
	v_xor_b32_e32 v8, v125, v20
	v_and_b32_e32 v2, 15, v118
	s_brev_b32 s27, -2
	v_xor_b32_e32 v11, v10, v23
	v_xor_b32_e32 v10, v124, v22
	s_wait_alu 0xfffd
	v_cndmask_b32_e64 v12, -1, 0x80000000, vcc_lo
	v_cmp_lt_i64_e32 vcc_lo, -1, v[18:19]
	v_cmp_lt_u32_e64 s12, 1, v2
	v_cmp_lt_u32_e64 s15, 7, v2
	s_mov_b32 s23, 64
	v_xor_b32_e32 v13, v12, v17
	v_xor_b32_e32 v12, v123, v16
	s_wait_alu 0xfffd
	v_cndmask_b32_e64 v15, -1, 0x80000000, vcc_lo
	v_cmp_gt_i32_e32 vcc_lo, 0, v3
	v_lshlrev_b32_e32 v130, 3, v49
	v_mov_b32_e32 v70, 0
	s_delay_alu instid0(VALU_DEP_4)
	v_xor_b32_e32 v15, v15, v19
	ds_store_b128 v48, v[8:11] offset:32
	ds_store_b128 v48, v[12:15] offset:48
	; wave barrier
	s_wait_alu 0xfffd
	v_cndmask_b32_e32 v3, v3, v118, vcc_lo
	ds_load_2addr_b64 v[4:7], v130 offset1:32
	ds_load_2addr_b64 v[8:11], v130 offset0:64 offset1:96
	ds_load_2addr_b64 v[12:15], v130 offset0:128 offset1:160
	;; [unrolled: 1-line block ×3, first 2 shown]
	; wave barrier
	ds_store_b128 v48, v[44:47]
	ds_store_b128 v48, v[40:43] offset:16
	ds_store_b128 v48, v[36:39] offset:32
	;; [unrolled: 1-line block ×3, first 2 shown]
	; wave barrier
	ds_load_2addr_b64 v[48:51], v130 offset1:32
	ds_load_2addr_b64 v[52:55], v130 offset0:64 offset1:96
	ds_load_2addr_b64 v[56:59], v130 offset0:128 offset1:160
	;; [unrolled: 1-line block ×3, first 2 shown]
	s_wait_loadcnt_dscnt 0x0
	s_barrier_signal -1
	s_barrier_wait -1
	global_inv scope:SCOPE_SE
	s_load_b32 s11, s[24:25], 0xc
	v_lshlrev_b32_e32 v131, 2, v3
	s_wait_kmcnt 0x0
	s_lshr_b32 s14, s11, 16
	s_and_b32 s11, s11, 0xffff
	s_wait_alu 0xfffe
	v_mad_u32_u24 v0, v121, s14, v120
	v_cmp_lt_u32_e64 s14, 3, v2
	s_delay_alu instid0(VALU_DEP_2) | instskip(SKIP_3) | instid1(VALU_DEP_3)
	v_mad_co_u64_u32 v[0:1], null, v0, s11, v[73:74]
	v_min_u32_e32 v1, 0x60, v119
	v_cmp_eq_u32_e64 s11, 0, v2
	v_and_b32_e32 v2, 16, v118
	v_or_b32_e32 v1, 31, v1
	v_lshrrev_b32_e32 v0, 3, v0
	s_delay_alu instid0(VALU_DEP_3) | instskip(NEXT) | instid1(VALU_DEP_3)
	v_cmp_eq_u32_e64 s16, 0, v2
	v_cmp_eq_u32_e64 s17, v73, v1
	s_delay_alu instid0(VALU_DEP_3)
	v_dual_mov_b32 v0, s36 :: v_dual_and_b32 v133, 0x1ffffffc, v0
	v_dual_mov_b32 v1, s37 :: v_dual_mov_b32 v2, s38
	v_mov_b32_e32 v3, s39
	s_branch .LBB182_32
.LBB182_31:                             ;   in Loop: Header=BB182_32 Depth=1
	s_wait_alu 0xfffe
	s_and_not1_b32 vcc_lo, exec_lo, s20
	s_wait_alu 0xfffe
	s_cbranch_vccz .LBB182_64
.LBB182_32:                             ; =>This Inner Loop Header: Depth=1
	v_dual_mov_b32 v75, v5 :: v_dual_mov_b32 v74, v4
	s_min_u32 s20, s21, s23
	v_mov_b32_e32 v79, v65
	s_wait_alu 0xfffe
	s_lshl_b32 s20, -1, s20
	ds_store_b128 v115, v[0:3] offset:16
	ds_store_b128 v115, v[0:3] offset:32
	v_cmp_ne_u64_e32 vcc_lo, s[26:27], v[74:75]
	s_wait_alu 0xfffe
	s_not_b32 s29, s20
	s_wait_loadcnt_dscnt 0x0
	s_barrier_signal -1
	s_barrier_wait -1
	s_wait_alu 0xfffd
	v_dual_mov_b32 v77, v67 :: v_dual_cndmask_b32 v4, 0, v74
	v_dual_cndmask_b32 v5, 0x80000000, v75 :: v_dual_mov_b32 v76, v66
	global_inv scope:SCOPE_SE
	; wave barrier
	v_lshrrev_b64 v[4:5], v69, v[4:5]
	v_dual_mov_b32 v78, v64 :: v_dual_mov_b32 v99, v13
	v_mov_b32_e32 v101, v11
	v_mov_b32_e32 v103, v9
	;; [unrolled: 1-line block ×3, first 2 shown]
	s_wait_alu 0xfffe
	v_and_b32_e32 v5, s29, v4
	v_dual_mov_b32 v81, v15 :: v_dual_mov_b32 v80, v14
	v_mov_b32_e32 v98, v12
	s_delay_alu instid0(VALU_DEP_3)
	v_dual_mov_b32 v100, v10 :: v_dual_lshlrev_b32 v67, 26, v5
	v_and_b32_e32 v4, 1, v5
	v_lshlrev_b32_e32 v14, 30, v5
	v_lshlrev_b32_e32 v15, 29, v5
	;; [unrolled: 1-line block ×4, first 2 shown]
	v_add_co_u32 v4, s20, v4, -1
	s_wait_alu 0xf1ff
	v_cndmask_b32_e64 v65, 0, 1, s20
	v_not_b32_e32 v83, v14
	v_cmp_gt_i32_e64 s20, 0, v14
	v_not_b32_e32 v14, v15
	v_lshlrev_b32_e32 v82, 25, v5
	v_cmp_ne_u32_e32 vcc_lo, 0, v65
	v_ashrrev_i32_e32 v83, 31, v83
	v_dual_mov_b32 v102, v8 :: v_dual_lshlrev_b32 v65, 24, v5
	v_ashrrev_i32_e32 v14, 31, v14
	s_wait_alu 0xfffd
	v_xor_b32_e32 v4, vcc_lo, v4
	v_cmp_gt_i32_e32 vcc_lo, 0, v15
	v_not_b32_e32 v15, v64
	s_wait_alu 0xf1ff
	v_xor_b32_e32 v83, s20, v83
	v_cmp_gt_i32_e64 s20, 0, v64
	v_and_b32_e32 v4, exec_lo, v4
	v_not_b32_e32 v64, v66
	v_ashrrev_i32_e32 v15, 31, v15
	s_wait_alu 0xfffd
	v_xor_b32_e32 v14, vcc_lo, v14
	v_cmp_gt_i32_e32 vcc_lo, 0, v66
	v_dual_mov_b32 v85, v61 :: v_dual_and_b32 v4, v4, v83
	v_not_b32_e32 v66, v67
	v_ashrrev_i32_e32 v64, 31, v64
	s_wait_alu 0xf1ff
	v_xor_b32_e32 v15, s20, v15
	v_dual_mov_b32 v87, v59 :: v_dual_and_b32 v4, v4, v14
	v_cmp_gt_i32_e64 s20, 0, v67
	v_not_b32_e32 v14, v82
	v_ashrrev_i32_e32 v66, 31, v66
	s_wait_alu 0xfffd
	v_xor_b32_e32 v64, vcc_lo, v64
	v_dual_mov_b32 v89, v57 :: v_dual_and_b32 v4, v4, v15
	v_cmp_gt_i32_e32 vcc_lo, 0, v82
	v_not_b32_e32 v15, v65
	v_ashrrev_i32_e32 v14, 31, v14
	s_wait_alu 0xf1ff
	v_xor_b32_e32 v66, s20, v66
	v_dual_mov_b32 v91, v55 :: v_dual_and_b32 v4, v4, v64
	v_cmp_gt_i32_e64 s20, 0, v65
	v_ashrrev_i32_e32 v12, 31, v15
	s_wait_alu 0xfffd
	v_xor_b32_e32 v13, vcc_lo, v14
	v_dual_mov_b32 v93, v53 :: v_dual_and_b32 v4, v4, v66
	v_dual_mov_b32 v104, v6 :: v_dual_mov_b32 v95, v51
	s_wait_alu 0xf1ff
	v_xor_b32_e32 v6, s20, v12
	s_delay_alu instid0(VALU_DEP_3) | instskip(SKIP_2) | instid1(VALU_DEP_3)
	v_dual_mov_b32 v97, v49 :: v_dual_and_b32 v4, v4, v13
	v_dual_mov_b32 v83, v63 :: v_dual_mov_b32 v82, v62
	v_lshlrev_b32_e32 v5, 4, v5
	v_and_b32_e32 v4, v4, v6
	v_mov_b32_e32 v84, v60
	v_mov_b32_e32 v86, v58
	v_mov_b32_e32 v88, v56
	v_mov_b32_e32 v90, v54
	v_mbcnt_lo_u32_b32 v12, v4, 0
	v_cmp_ne_u32_e64 s20, 0, v4
	v_mov_b32_e32 v92, v52
	v_mov_b32_e32 v94, v50
	;; [unrolled: 1-line block ×3, first 2 shown]
	v_cmp_eq_u32_e32 vcc_lo, 0, v12
	v_add_nc_u32_e32 v13, v133, v5
	s_and_b32 s33, s20, vcc_lo
	s_delay_alu instid0(SALU_CYCLE_1)
	s_and_saveexec_b32 s20, s33
; %bb.33:                               ;   in Loop: Header=BB182_32 Depth=1
	v_bcnt_u32_b32 v4, v4, 0
	ds_store_b32 v13, v4 offset:16
; %bb.34:                               ;   in Loop: Header=BB182_32 Depth=1
	s_wait_alu 0xfffe
	s_or_b32 exec_lo, exec_lo, s20
	v_cmp_ne_u64_e32 vcc_lo, s[26:27], v[104:105]
	; wave barrier
	s_wait_alu 0xfffd
	v_cndmask_b32_e32 v5, 0x80000000, v105, vcc_lo
	v_cndmask_b32_e32 v4, 0, v104, vcc_lo
	s_delay_alu instid0(VALU_DEP_1) | instskip(NEXT) | instid1(VALU_DEP_1)
	v_lshrrev_b64 v[4:5], v69, v[4:5]
	v_and_b32_e32 v4, s29, v4
	s_delay_alu instid0(VALU_DEP_1)
	v_and_b32_e32 v5, 1, v4
	v_lshlrev_b32_e32 v6, 30, v4
	v_lshlrev_b32_e32 v7, 29, v4
	;; [unrolled: 1-line block ×4, first 2 shown]
	v_add_co_u32 v5, s20, v5, -1
	s_wait_alu 0xf1ff
	v_cndmask_b32_e64 v9, 0, 1, s20
	v_not_b32_e32 v15, v6
	v_cmp_gt_i32_e64 s20, 0, v6
	v_not_b32_e32 v6, v7
	v_lshlrev_b32_e32 v11, 26, v4
	v_cmp_ne_u32_e32 vcc_lo, 0, v9
	v_ashrrev_i32_e32 v15, 31, v15
	v_lshlrev_b32_e32 v14, 25, v4
	v_ashrrev_i32_e32 v6, 31, v6
	v_lshlrev_b32_e32 v9, 24, v4
	s_wait_alu 0xfffd
	v_xor_b32_e32 v5, vcc_lo, v5
	v_cmp_gt_i32_e32 vcc_lo, 0, v7
	v_not_b32_e32 v7, v8
	s_wait_alu 0xf1ff
	v_xor_b32_e32 v15, s20, v15
	v_cmp_gt_i32_e64 s20, 0, v8
	v_and_b32_e32 v5, exec_lo, v5
	v_not_b32_e32 v8, v10
	v_ashrrev_i32_e32 v7, 31, v7
	s_wait_alu 0xfffd
	v_xor_b32_e32 v6, vcc_lo, v6
	v_cmp_gt_i32_e32 vcc_lo, 0, v10
	v_and_b32_e32 v5, v5, v15
	v_not_b32_e32 v10, v11
	v_ashrrev_i32_e32 v8, 31, v8
	s_wait_alu 0xf1ff
	v_xor_b32_e32 v7, s20, v7
	v_cmp_gt_i32_e64 s20, 0, v11
	v_and_b32_e32 v5, v5, v6
	v_not_b32_e32 v6, v14
	v_ashrrev_i32_e32 v10, 31, v10
	s_wait_alu 0xfffd
	v_xor_b32_e32 v8, vcc_lo, v8
	v_cmp_gt_i32_e32 vcc_lo, 0, v14
	v_and_b32_e32 v5, v5, v7
	v_not_b32_e32 v7, v9
	v_ashrrev_i32_e32 v6, 31, v6
	s_wait_alu 0xf1ff
	v_xor_b32_e32 v10, s20, v10
	v_lshlrev_b32_e32 v4, 4, v4
	v_and_b32_e32 v5, v5, v8
	v_cmp_gt_i32_e64 s20, 0, v9
	v_ashrrev_i32_e32 v7, 31, v7
	s_wait_alu 0xfffd
	v_xor_b32_e32 v6, vcc_lo, v6
	v_add_nc_u32_e32 v48, v133, v4
	v_and_b32_e32 v5, v5, v10
	s_wait_alu 0xf1ff
	v_xor_b32_e32 v4, s20, v7
	ds_load_b32 v14, v48 offset:16
	v_and_b32_e32 v5, v5, v6
	; wave barrier
	s_delay_alu instid0(VALU_DEP_1) | instskip(NEXT) | instid1(VALU_DEP_1)
	v_and_b32_e32 v4, v5, v4
	v_mbcnt_lo_u32_b32 v15, v4, 0
	v_cmp_ne_u32_e64 s20, 0, v4
	s_delay_alu instid0(VALU_DEP_2) | instskip(SKIP_1) | instid1(SALU_CYCLE_1)
	v_cmp_eq_u32_e32 vcc_lo, 0, v15
	s_and_b32 s33, s20, vcc_lo
	s_and_saveexec_b32 s20, s33
	s_cbranch_execz .LBB182_36
; %bb.35:                               ;   in Loop: Header=BB182_32 Depth=1
	s_wait_dscnt 0x0
	v_bcnt_u32_b32 v4, v4, v14
	ds_store_b32 v48, v4 offset:16
.LBB182_36:                             ;   in Loop: Header=BB182_32 Depth=1
	s_wait_alu 0xfffe
	s_or_b32 exec_lo, exec_lo, s20
	v_cmp_ne_u64_e32 vcc_lo, s[26:27], v[102:103]
	; wave barrier
	s_wait_alu 0xfffd
	v_cndmask_b32_e32 v5, 0x80000000, v103, vcc_lo
	v_cndmask_b32_e32 v4, 0, v102, vcc_lo
	s_delay_alu instid0(VALU_DEP_1) | instskip(NEXT) | instid1(VALU_DEP_1)
	v_lshrrev_b64 v[4:5], v69, v[4:5]
	v_and_b32_e32 v4, s29, v4
	s_delay_alu instid0(VALU_DEP_1)
	v_and_b32_e32 v5, 1, v4
	v_lshlrev_b32_e32 v6, 30, v4
	v_lshlrev_b32_e32 v7, 29, v4
	;; [unrolled: 1-line block ×4, first 2 shown]
	v_add_co_u32 v5, s20, v5, -1
	s_wait_alu 0xf1ff
	v_cndmask_b32_e64 v9, 0, 1, s20
	v_not_b32_e32 v50, v6
	v_cmp_gt_i32_e64 s20, 0, v6
	v_not_b32_e32 v6, v7
	v_lshlrev_b32_e32 v11, 26, v4
	v_cmp_ne_u32_e32 vcc_lo, 0, v9
	v_ashrrev_i32_e32 v50, 31, v50
	v_lshlrev_b32_e32 v49, 25, v4
	v_ashrrev_i32_e32 v6, 31, v6
	v_lshlrev_b32_e32 v9, 24, v4
	s_wait_alu 0xfffd
	v_xor_b32_e32 v5, vcc_lo, v5
	v_cmp_gt_i32_e32 vcc_lo, 0, v7
	v_not_b32_e32 v7, v8
	s_wait_alu 0xf1ff
	v_xor_b32_e32 v50, s20, v50
	v_cmp_gt_i32_e64 s20, 0, v8
	v_and_b32_e32 v5, exec_lo, v5
	v_not_b32_e32 v8, v10
	v_ashrrev_i32_e32 v7, 31, v7
	s_wait_alu 0xfffd
	v_xor_b32_e32 v6, vcc_lo, v6
	v_cmp_gt_i32_e32 vcc_lo, 0, v10
	v_and_b32_e32 v5, v5, v50
	v_not_b32_e32 v10, v11
	v_ashrrev_i32_e32 v8, 31, v8
	s_wait_alu 0xf1ff
	v_xor_b32_e32 v7, s20, v7
	v_cmp_gt_i32_e64 s20, 0, v11
	v_and_b32_e32 v5, v5, v6
	v_not_b32_e32 v6, v49
	v_ashrrev_i32_e32 v10, 31, v10
	s_wait_alu 0xfffd
	v_xor_b32_e32 v8, vcc_lo, v8
	v_cmp_gt_i32_e32 vcc_lo, 0, v49
	v_and_b32_e32 v5, v5, v7
	v_not_b32_e32 v7, v9
	v_ashrrev_i32_e32 v6, 31, v6
	s_wait_alu 0xf1ff
	v_xor_b32_e32 v10, s20, v10
	v_lshlrev_b32_e32 v4, 4, v4
	v_and_b32_e32 v5, v5, v8
	v_cmp_gt_i32_e64 s20, 0, v9
	v_ashrrev_i32_e32 v7, 31, v7
	s_wait_alu 0xfffd
	v_xor_b32_e32 v6, vcc_lo, v6
	v_add_nc_u32_e32 v51, v133, v4
	v_and_b32_e32 v5, v5, v10
	s_wait_alu 0xf1ff
	v_xor_b32_e32 v4, s20, v7
	ds_load_b32 v49, v51 offset:16
	v_and_b32_e32 v5, v5, v6
	; wave barrier
	s_delay_alu instid0(VALU_DEP_1) | instskip(NEXT) | instid1(VALU_DEP_1)
	v_and_b32_e32 v4, v5, v4
	v_mbcnt_lo_u32_b32 v50, v4, 0
	v_cmp_ne_u32_e64 s20, 0, v4
	s_delay_alu instid0(VALU_DEP_2) | instskip(SKIP_1) | instid1(SALU_CYCLE_1)
	v_cmp_eq_u32_e32 vcc_lo, 0, v50
	s_and_b32 s33, s20, vcc_lo
	s_and_saveexec_b32 s20, s33
	s_cbranch_execz .LBB182_38
; %bb.37:                               ;   in Loop: Header=BB182_32 Depth=1
	s_wait_dscnt 0x0
	v_bcnt_u32_b32 v4, v4, v49
	ds_store_b32 v51, v4 offset:16
.LBB182_38:                             ;   in Loop: Header=BB182_32 Depth=1
	s_wait_alu 0xfffe
	s_or_b32 exec_lo, exec_lo, s20
	v_cmp_ne_u64_e32 vcc_lo, s[26:27], v[100:101]
	; wave barrier
	s_wait_alu 0xfffd
	v_cndmask_b32_e32 v5, 0x80000000, v101, vcc_lo
	v_cndmask_b32_e32 v4, 0, v100, vcc_lo
	s_delay_alu instid0(VALU_DEP_1) | instskip(NEXT) | instid1(VALU_DEP_1)
	v_lshrrev_b64 v[4:5], v69, v[4:5]
	v_and_b32_e32 v4, s29, v4
	s_delay_alu instid0(VALU_DEP_1)
	v_and_b32_e32 v5, 1, v4
	v_lshlrev_b32_e32 v6, 30, v4
	v_lshlrev_b32_e32 v7, 29, v4
	;; [unrolled: 1-line block ×4, first 2 shown]
	v_add_co_u32 v5, s20, v5, -1
	s_wait_alu 0xf1ff
	v_cndmask_b32_e64 v9, 0, 1, s20
	v_not_b32_e32 v53, v6
	v_cmp_gt_i32_e64 s20, 0, v6
	v_not_b32_e32 v6, v7
	v_lshlrev_b32_e32 v11, 26, v4
	v_cmp_ne_u32_e32 vcc_lo, 0, v9
	v_ashrrev_i32_e32 v53, 31, v53
	v_lshlrev_b32_e32 v52, 25, v4
	v_ashrrev_i32_e32 v6, 31, v6
	v_lshlrev_b32_e32 v9, 24, v4
	s_wait_alu 0xfffd
	v_xor_b32_e32 v5, vcc_lo, v5
	v_cmp_gt_i32_e32 vcc_lo, 0, v7
	v_not_b32_e32 v7, v8
	s_wait_alu 0xf1ff
	v_xor_b32_e32 v53, s20, v53
	v_cmp_gt_i32_e64 s20, 0, v8
	v_and_b32_e32 v5, exec_lo, v5
	v_not_b32_e32 v8, v10
	v_ashrrev_i32_e32 v7, 31, v7
	s_wait_alu 0xfffd
	v_xor_b32_e32 v6, vcc_lo, v6
	v_cmp_gt_i32_e32 vcc_lo, 0, v10
	v_and_b32_e32 v5, v5, v53
	v_not_b32_e32 v10, v11
	v_ashrrev_i32_e32 v8, 31, v8
	s_wait_alu 0xf1ff
	v_xor_b32_e32 v7, s20, v7
	v_cmp_gt_i32_e64 s20, 0, v11
	v_and_b32_e32 v5, v5, v6
	v_not_b32_e32 v6, v52
	v_ashrrev_i32_e32 v10, 31, v10
	s_wait_alu 0xfffd
	v_xor_b32_e32 v8, vcc_lo, v8
	v_cmp_gt_i32_e32 vcc_lo, 0, v52
	v_and_b32_e32 v5, v5, v7
	v_not_b32_e32 v7, v9
	v_ashrrev_i32_e32 v6, 31, v6
	s_wait_alu 0xf1ff
	v_xor_b32_e32 v10, s20, v10
	v_lshlrev_b32_e32 v4, 4, v4
	v_and_b32_e32 v5, v5, v8
	v_cmp_gt_i32_e64 s20, 0, v9
	v_ashrrev_i32_e32 v7, 31, v7
	s_wait_alu 0xfffd
	v_xor_b32_e32 v6, vcc_lo, v6
	v_add_nc_u32_e32 v54, v133, v4
	v_and_b32_e32 v5, v5, v10
	s_wait_alu 0xf1ff
	v_xor_b32_e32 v4, s20, v7
	ds_load_b32 v52, v54 offset:16
	v_and_b32_e32 v5, v5, v6
	; wave barrier
	s_delay_alu instid0(VALU_DEP_1) | instskip(NEXT) | instid1(VALU_DEP_1)
	v_and_b32_e32 v4, v5, v4
	v_mbcnt_lo_u32_b32 v53, v4, 0
	v_cmp_ne_u32_e64 s20, 0, v4
	s_delay_alu instid0(VALU_DEP_2) | instskip(SKIP_1) | instid1(SALU_CYCLE_1)
	v_cmp_eq_u32_e32 vcc_lo, 0, v53
	s_and_b32 s33, s20, vcc_lo
	s_and_saveexec_b32 s20, s33
	s_cbranch_execz .LBB182_40
; %bb.39:                               ;   in Loop: Header=BB182_32 Depth=1
	s_wait_dscnt 0x0
	v_bcnt_u32_b32 v4, v4, v52
	ds_store_b32 v54, v4 offset:16
.LBB182_40:                             ;   in Loop: Header=BB182_32 Depth=1
	s_wait_alu 0xfffe
	s_or_b32 exec_lo, exec_lo, s20
	v_cmp_ne_u64_e32 vcc_lo, s[26:27], v[98:99]
	; wave barrier
	s_wait_alu 0xfffd
	v_cndmask_b32_e32 v5, 0x80000000, v99, vcc_lo
	v_cndmask_b32_e32 v4, 0, v98, vcc_lo
	s_delay_alu instid0(VALU_DEP_1) | instskip(NEXT) | instid1(VALU_DEP_1)
	v_lshrrev_b64 v[4:5], v69, v[4:5]
	v_and_b32_e32 v4, s29, v4
	s_delay_alu instid0(VALU_DEP_1)
	v_and_b32_e32 v5, 1, v4
	v_lshlrev_b32_e32 v6, 30, v4
	v_lshlrev_b32_e32 v7, 29, v4
	;; [unrolled: 1-line block ×4, first 2 shown]
	v_add_co_u32 v5, s20, v5, -1
	s_wait_alu 0xf1ff
	v_cndmask_b32_e64 v9, 0, 1, s20
	v_not_b32_e32 v56, v6
	v_cmp_gt_i32_e64 s20, 0, v6
	v_not_b32_e32 v6, v7
	v_lshlrev_b32_e32 v11, 26, v4
	v_cmp_ne_u32_e32 vcc_lo, 0, v9
	v_ashrrev_i32_e32 v56, 31, v56
	v_lshlrev_b32_e32 v55, 25, v4
	v_ashrrev_i32_e32 v6, 31, v6
	v_lshlrev_b32_e32 v9, 24, v4
	s_wait_alu 0xfffd
	v_xor_b32_e32 v5, vcc_lo, v5
	v_cmp_gt_i32_e32 vcc_lo, 0, v7
	v_not_b32_e32 v7, v8
	s_wait_alu 0xf1ff
	v_xor_b32_e32 v56, s20, v56
	v_cmp_gt_i32_e64 s20, 0, v8
	v_and_b32_e32 v5, exec_lo, v5
	v_not_b32_e32 v8, v10
	v_ashrrev_i32_e32 v7, 31, v7
	s_wait_alu 0xfffd
	v_xor_b32_e32 v6, vcc_lo, v6
	v_cmp_gt_i32_e32 vcc_lo, 0, v10
	v_and_b32_e32 v5, v5, v56
	v_not_b32_e32 v10, v11
	v_ashrrev_i32_e32 v8, 31, v8
	s_wait_alu 0xf1ff
	v_xor_b32_e32 v7, s20, v7
	v_cmp_gt_i32_e64 s20, 0, v11
	v_and_b32_e32 v5, v5, v6
	v_not_b32_e32 v6, v55
	v_ashrrev_i32_e32 v10, 31, v10
	s_wait_alu 0xfffd
	v_xor_b32_e32 v8, vcc_lo, v8
	v_cmp_gt_i32_e32 vcc_lo, 0, v55
	v_and_b32_e32 v5, v5, v7
	v_not_b32_e32 v7, v9
	v_ashrrev_i32_e32 v6, 31, v6
	s_wait_alu 0xf1ff
	v_xor_b32_e32 v10, s20, v10
	v_lshlrev_b32_e32 v4, 4, v4
	v_and_b32_e32 v5, v5, v8
	v_cmp_gt_i32_e64 s20, 0, v9
	v_ashrrev_i32_e32 v7, 31, v7
	s_wait_alu 0xfffd
	v_xor_b32_e32 v6, vcc_lo, v6
	v_add_nc_u32_e32 v57, v133, v4
	v_and_b32_e32 v5, v5, v10
	s_wait_alu 0xf1ff
	v_xor_b32_e32 v4, s20, v7
	ds_load_b32 v55, v57 offset:16
	v_and_b32_e32 v5, v5, v6
	; wave barrier
	s_delay_alu instid0(VALU_DEP_1) | instskip(NEXT) | instid1(VALU_DEP_1)
	v_and_b32_e32 v4, v5, v4
	v_mbcnt_lo_u32_b32 v56, v4, 0
	v_cmp_ne_u32_e64 s20, 0, v4
	s_delay_alu instid0(VALU_DEP_2) | instskip(SKIP_1) | instid1(SALU_CYCLE_1)
	v_cmp_eq_u32_e32 vcc_lo, 0, v56
	s_and_b32 s33, s20, vcc_lo
	s_and_saveexec_b32 s20, s33
	s_cbranch_execz .LBB182_42
; %bb.41:                               ;   in Loop: Header=BB182_32 Depth=1
	s_wait_dscnt 0x0
	v_bcnt_u32_b32 v4, v4, v55
	ds_store_b32 v57, v4 offset:16
.LBB182_42:                             ;   in Loop: Header=BB182_32 Depth=1
	s_wait_alu 0xfffe
	s_or_b32 exec_lo, exec_lo, s20
	v_cmp_ne_u64_e32 vcc_lo, s[26:27], v[80:81]
	; wave barrier
	s_wait_alu 0xfffd
	v_cndmask_b32_e32 v5, 0x80000000, v81, vcc_lo
	v_cndmask_b32_e32 v4, 0, v80, vcc_lo
	s_delay_alu instid0(VALU_DEP_1) | instskip(NEXT) | instid1(VALU_DEP_1)
	v_lshrrev_b64 v[4:5], v69, v[4:5]
	v_and_b32_e32 v4, s29, v4
	s_delay_alu instid0(VALU_DEP_1)
	v_and_b32_e32 v5, 1, v4
	v_lshlrev_b32_e32 v6, 30, v4
	v_lshlrev_b32_e32 v7, 29, v4
	;; [unrolled: 1-line block ×4, first 2 shown]
	v_add_co_u32 v5, s20, v5, -1
	s_wait_alu 0xf1ff
	v_cndmask_b32_e64 v9, 0, 1, s20
	v_not_b32_e32 v59, v6
	v_cmp_gt_i32_e64 s20, 0, v6
	v_not_b32_e32 v6, v7
	v_lshlrev_b32_e32 v11, 26, v4
	v_cmp_ne_u32_e32 vcc_lo, 0, v9
	v_ashrrev_i32_e32 v59, 31, v59
	v_lshlrev_b32_e32 v58, 25, v4
	v_ashrrev_i32_e32 v6, 31, v6
	v_lshlrev_b32_e32 v9, 24, v4
	s_wait_alu 0xfffd
	v_xor_b32_e32 v5, vcc_lo, v5
	v_cmp_gt_i32_e32 vcc_lo, 0, v7
	v_not_b32_e32 v7, v8
	s_wait_alu 0xf1ff
	v_xor_b32_e32 v59, s20, v59
	v_cmp_gt_i32_e64 s20, 0, v8
	v_and_b32_e32 v5, exec_lo, v5
	v_not_b32_e32 v8, v10
	v_ashrrev_i32_e32 v7, 31, v7
	s_wait_alu 0xfffd
	v_xor_b32_e32 v6, vcc_lo, v6
	v_cmp_gt_i32_e32 vcc_lo, 0, v10
	v_and_b32_e32 v5, v5, v59
	v_not_b32_e32 v10, v11
	v_ashrrev_i32_e32 v8, 31, v8
	s_wait_alu 0xf1ff
	v_xor_b32_e32 v7, s20, v7
	v_cmp_gt_i32_e64 s20, 0, v11
	v_and_b32_e32 v5, v5, v6
	v_not_b32_e32 v6, v58
	v_ashrrev_i32_e32 v10, 31, v10
	s_wait_alu 0xfffd
	v_xor_b32_e32 v8, vcc_lo, v8
	v_cmp_gt_i32_e32 vcc_lo, 0, v58
	v_and_b32_e32 v5, v5, v7
	v_not_b32_e32 v7, v9
	v_ashrrev_i32_e32 v6, 31, v6
	s_wait_alu 0xf1ff
	v_xor_b32_e32 v10, s20, v10
	v_lshlrev_b32_e32 v4, 4, v4
	v_and_b32_e32 v5, v5, v8
	v_cmp_gt_i32_e64 s20, 0, v9
	v_ashrrev_i32_e32 v7, 31, v7
	s_wait_alu 0xfffd
	v_xor_b32_e32 v6, vcc_lo, v6
	v_add_nc_u32_e32 v60, v133, v4
	v_and_b32_e32 v5, v5, v10
	s_wait_alu 0xf1ff
	v_xor_b32_e32 v4, s20, v7
	ds_load_b32 v58, v60 offset:16
	v_and_b32_e32 v5, v5, v6
	; wave barrier
	s_delay_alu instid0(VALU_DEP_1) | instskip(NEXT) | instid1(VALU_DEP_1)
	v_and_b32_e32 v4, v5, v4
	v_mbcnt_lo_u32_b32 v59, v4, 0
	v_cmp_ne_u32_e64 s20, 0, v4
	s_delay_alu instid0(VALU_DEP_2) | instskip(SKIP_1) | instid1(SALU_CYCLE_1)
	v_cmp_eq_u32_e32 vcc_lo, 0, v59
	s_and_b32 s33, s20, vcc_lo
	s_and_saveexec_b32 s20, s33
	s_cbranch_execz .LBB182_44
; %bb.43:                               ;   in Loop: Header=BB182_32 Depth=1
	s_wait_dscnt 0x0
	v_bcnt_u32_b32 v4, v4, v58
	ds_store_b32 v60, v4 offset:16
.LBB182_44:                             ;   in Loop: Header=BB182_32 Depth=1
	s_wait_alu 0xfffe
	s_or_b32 exec_lo, exec_lo, s20
	v_cmp_ne_u64_e32 vcc_lo, s[26:27], v[78:79]
	; wave barrier
	s_wait_alu 0xfffd
	v_cndmask_b32_e32 v5, 0x80000000, v79, vcc_lo
	v_cndmask_b32_e32 v4, 0, v78, vcc_lo
	s_delay_alu instid0(VALU_DEP_1) | instskip(NEXT) | instid1(VALU_DEP_1)
	v_lshrrev_b64 v[4:5], v69, v[4:5]
	v_and_b32_e32 v4, s29, v4
	s_delay_alu instid0(VALU_DEP_1)
	v_and_b32_e32 v5, 1, v4
	v_lshlrev_b32_e32 v6, 30, v4
	v_lshlrev_b32_e32 v7, 29, v4
	v_lshlrev_b32_e32 v8, 28, v4
	v_lshlrev_b32_e32 v10, 27, v4
	v_add_co_u32 v5, s20, v5, -1
	s_wait_alu 0xf1ff
	v_cndmask_b32_e64 v9, 0, 1, s20
	v_not_b32_e32 v62, v6
	v_cmp_gt_i32_e64 s20, 0, v6
	v_not_b32_e32 v6, v7
	v_lshlrev_b32_e32 v11, 26, v4
	v_cmp_ne_u32_e32 vcc_lo, 0, v9
	v_ashrrev_i32_e32 v62, 31, v62
	v_lshlrev_b32_e32 v61, 25, v4
	v_ashrrev_i32_e32 v6, 31, v6
	v_lshlrev_b32_e32 v9, 24, v4
	s_wait_alu 0xfffd
	v_xor_b32_e32 v5, vcc_lo, v5
	v_cmp_gt_i32_e32 vcc_lo, 0, v7
	v_not_b32_e32 v7, v8
	s_wait_alu 0xf1ff
	v_xor_b32_e32 v62, s20, v62
	v_cmp_gt_i32_e64 s20, 0, v8
	v_and_b32_e32 v5, exec_lo, v5
	v_not_b32_e32 v8, v10
	v_ashrrev_i32_e32 v7, 31, v7
	s_wait_alu 0xfffd
	v_xor_b32_e32 v6, vcc_lo, v6
	v_cmp_gt_i32_e32 vcc_lo, 0, v10
	v_and_b32_e32 v5, v5, v62
	v_not_b32_e32 v10, v11
	v_ashrrev_i32_e32 v8, 31, v8
	s_wait_alu 0xf1ff
	v_xor_b32_e32 v7, s20, v7
	v_cmp_gt_i32_e64 s20, 0, v11
	v_and_b32_e32 v5, v5, v6
	v_not_b32_e32 v6, v61
	v_ashrrev_i32_e32 v10, 31, v10
	s_wait_alu 0xfffd
	v_xor_b32_e32 v8, vcc_lo, v8
	v_cmp_gt_i32_e32 vcc_lo, 0, v61
	v_and_b32_e32 v5, v5, v7
	v_not_b32_e32 v7, v9
	v_ashrrev_i32_e32 v6, 31, v6
	s_wait_alu 0xf1ff
	v_xor_b32_e32 v10, s20, v10
	v_lshlrev_b32_e32 v4, 4, v4
	v_and_b32_e32 v5, v5, v8
	v_cmp_gt_i32_e64 s20, 0, v9
	v_ashrrev_i32_e32 v7, 31, v7
	s_wait_alu 0xfffd
	v_xor_b32_e32 v6, vcc_lo, v6
	v_add_nc_u32_e32 v63, v133, v4
	v_and_b32_e32 v5, v5, v10
	s_wait_alu 0xf1ff
	v_xor_b32_e32 v4, s20, v7
	ds_load_b32 v61, v63 offset:16
	v_and_b32_e32 v5, v5, v6
	; wave barrier
	s_delay_alu instid0(VALU_DEP_1) | instskip(NEXT) | instid1(VALU_DEP_1)
	v_and_b32_e32 v4, v5, v4
	v_mbcnt_lo_u32_b32 v62, v4, 0
	v_cmp_ne_u32_e64 s20, 0, v4
	s_delay_alu instid0(VALU_DEP_2) | instskip(SKIP_1) | instid1(SALU_CYCLE_1)
	v_cmp_eq_u32_e32 vcc_lo, 0, v62
	s_and_b32 s33, s20, vcc_lo
	s_and_saveexec_b32 s20, s33
	s_cbranch_execz .LBB182_46
; %bb.45:                               ;   in Loop: Header=BB182_32 Depth=1
	s_wait_dscnt 0x0
	v_bcnt_u32_b32 v4, v4, v61
	ds_store_b32 v63, v4 offset:16
.LBB182_46:                             ;   in Loop: Header=BB182_32 Depth=1
	s_wait_alu 0xfffe
	s_or_b32 exec_lo, exec_lo, s20
	v_cmp_ne_u64_e32 vcc_lo, s[26:27], v[76:77]
	; wave barrier
	s_wait_alu 0xfffd
	v_cndmask_b32_e32 v5, 0x80000000, v77, vcc_lo
	v_cndmask_b32_e32 v4, 0, v76, vcc_lo
	s_delay_alu instid0(VALU_DEP_1) | instskip(NEXT) | instid1(VALU_DEP_1)
	v_lshrrev_b64 v[4:5], v69, v[4:5]
	v_and_b32_e32 v4, s29, v4
	s_delay_alu instid0(VALU_DEP_1)
	v_and_b32_e32 v5, 1, v4
	v_lshlrev_b32_e32 v6, 30, v4
	v_lshlrev_b32_e32 v7, 29, v4
	;; [unrolled: 1-line block ×4, first 2 shown]
	v_add_co_u32 v5, s20, v5, -1
	s_wait_alu 0xf1ff
	v_cndmask_b32_e64 v9, 0, 1, s20
	v_not_b32_e32 v65, v6
	v_cmp_gt_i32_e64 s20, 0, v6
	v_not_b32_e32 v6, v7
	v_lshlrev_b32_e32 v11, 26, v4
	v_cmp_ne_u32_e32 vcc_lo, 0, v9
	v_ashrrev_i32_e32 v65, 31, v65
	v_lshlrev_b32_e32 v64, 25, v4
	v_ashrrev_i32_e32 v6, 31, v6
	v_lshlrev_b32_e32 v9, 24, v4
	s_wait_alu 0xfffd
	v_xor_b32_e32 v5, vcc_lo, v5
	v_cmp_gt_i32_e32 vcc_lo, 0, v7
	v_not_b32_e32 v7, v8
	s_wait_alu 0xf1ff
	v_xor_b32_e32 v65, s20, v65
	v_cmp_gt_i32_e64 s20, 0, v8
	v_and_b32_e32 v5, exec_lo, v5
	v_not_b32_e32 v8, v10
	v_ashrrev_i32_e32 v7, 31, v7
	s_wait_alu 0xfffd
	v_xor_b32_e32 v6, vcc_lo, v6
	v_cmp_gt_i32_e32 vcc_lo, 0, v10
	v_and_b32_e32 v5, v5, v65
	v_not_b32_e32 v10, v11
	v_ashrrev_i32_e32 v8, 31, v8
	s_wait_alu 0xf1ff
	v_xor_b32_e32 v7, s20, v7
	v_cmp_gt_i32_e64 s20, 0, v11
	v_and_b32_e32 v5, v5, v6
	v_not_b32_e32 v6, v64
	v_ashrrev_i32_e32 v10, 31, v10
	s_wait_alu 0xfffd
	v_xor_b32_e32 v8, vcc_lo, v8
	v_cmp_gt_i32_e32 vcc_lo, 0, v64
	v_and_b32_e32 v5, v5, v7
	v_not_b32_e32 v7, v9
	v_ashrrev_i32_e32 v6, 31, v6
	s_wait_alu 0xf1ff
	v_xor_b32_e32 v10, s20, v10
	v_lshlrev_b32_e32 v4, 4, v4
	v_and_b32_e32 v5, v5, v8
	v_cmp_gt_i32_e64 s20, 0, v9
	v_ashrrev_i32_e32 v7, 31, v7
	s_wait_alu 0xfffd
	v_xor_b32_e32 v6, vcc_lo, v6
	v_add_nc_u32_e32 v66, v133, v4
	v_and_b32_e32 v5, v5, v10
	s_wait_alu 0xf1ff
	v_xor_b32_e32 v4, s20, v7
	ds_load_b32 v64, v66 offset:16
	v_and_b32_e32 v5, v5, v6
	; wave barrier
	s_delay_alu instid0(VALU_DEP_1) | instskip(NEXT) | instid1(VALU_DEP_1)
	v_and_b32_e32 v4, v5, v4
	v_mbcnt_lo_u32_b32 v65, v4, 0
	v_cmp_ne_u32_e64 s20, 0, v4
	s_delay_alu instid0(VALU_DEP_2)
	v_cmp_eq_u32_e32 vcc_lo, 0, v65
	s_and_b32 s29, s20, vcc_lo
	s_wait_alu 0xfffe
	s_and_saveexec_b32 s20, s29
	s_cbranch_execz .LBB182_48
; %bb.47:                               ;   in Loop: Header=BB182_32 Depth=1
	s_wait_dscnt 0x0
	v_bcnt_u32_b32 v4, v4, v64
	ds_store_b32 v66, v4 offset:16
.LBB182_48:                             ;   in Loop: Header=BB182_32 Depth=1
	s_wait_alu 0xfffe
	s_or_b32 exec_lo, exec_lo, s20
	; wave barrier
	s_wait_loadcnt_dscnt 0x0
	s_barrier_signal -1
	s_barrier_wait -1
	global_inv scope:SCOPE_SE
	ds_load_b128 v[8:11], v115 offset:16
	ds_load_b128 v[4:7], v115 offset:32
	s_wait_dscnt 0x1
	v_add_nc_u32_e32 v67, v9, v8
	s_delay_alu instid0(VALU_DEP_1) | instskip(SKIP_1) | instid1(VALU_DEP_1)
	v_add3_u32 v67, v67, v10, v11
	s_wait_dscnt 0x0
	v_add3_u32 v67, v67, v4, v5
	s_delay_alu instid0(VALU_DEP_1) | instskip(NEXT) | instid1(VALU_DEP_1)
	v_add3_u32 v7, v67, v6, v7
	v_mov_b32_dpp v67, v7 row_shr:1 row_mask:0xf bank_mask:0xf
	s_delay_alu instid0(VALU_DEP_1) | instskip(NEXT) | instid1(VALU_DEP_1)
	v_cndmask_b32_e64 v67, v67, 0, s11
	v_add_nc_u32_e32 v7, v67, v7
	s_delay_alu instid0(VALU_DEP_1) | instskip(NEXT) | instid1(VALU_DEP_1)
	v_mov_b32_dpp v67, v7 row_shr:2 row_mask:0xf bank_mask:0xf
	v_cndmask_b32_e64 v67, 0, v67, s12
	s_delay_alu instid0(VALU_DEP_1) | instskip(NEXT) | instid1(VALU_DEP_1)
	v_add_nc_u32_e32 v7, v7, v67
	v_mov_b32_dpp v67, v7 row_shr:4 row_mask:0xf bank_mask:0xf
	s_delay_alu instid0(VALU_DEP_1) | instskip(NEXT) | instid1(VALU_DEP_1)
	v_cndmask_b32_e64 v67, 0, v67, s14
	v_add_nc_u32_e32 v7, v7, v67
	s_delay_alu instid0(VALU_DEP_1) | instskip(NEXT) | instid1(VALU_DEP_1)
	v_mov_b32_dpp v67, v7 row_shr:8 row_mask:0xf bank_mask:0xf
	v_cndmask_b32_e64 v67, 0, v67, s15
	s_delay_alu instid0(VALU_DEP_1) | instskip(SKIP_3) | instid1(VALU_DEP_1)
	v_add_nc_u32_e32 v7, v7, v67
	ds_swizzle_b32 v67, v7 offset:swizzle(BROADCAST,32,15)
	s_wait_dscnt 0x0
	v_cndmask_b32_e64 v67, v67, 0, s16
	v_add_nc_u32_e32 v7, v7, v67
	s_and_saveexec_b32 s20, s17
; %bb.49:                               ;   in Loop: Header=BB182_32 Depth=1
	ds_store_b32 v116, v7
; %bb.50:                               ;   in Loop: Header=BB182_32 Depth=1
	s_wait_alu 0xfffe
	s_or_b32 exec_lo, exec_lo, s20
	s_wait_loadcnt_dscnt 0x0
	s_barrier_signal -1
	s_barrier_wait -1
	global_inv scope:SCOPE_SE
	s_and_saveexec_b32 s20, s8
	s_cbranch_execz .LBB182_52
; %bb.51:                               ;   in Loop: Header=BB182_32 Depth=1
	ds_load_b32 v67, v134
	s_wait_dscnt 0x0
	v_mov_b32_dpp v135, v67 row_shr:1 row_mask:0xf bank_mask:0xf
	s_delay_alu instid0(VALU_DEP_1) | instskip(NEXT) | instid1(VALU_DEP_1)
	v_cndmask_b32_e64 v135, v135, 0, s18
	v_add_nc_u32_e32 v67, v135, v67
	s_delay_alu instid0(VALU_DEP_1) | instskip(NEXT) | instid1(VALU_DEP_1)
	v_mov_b32_dpp v135, v67 row_shr:2 row_mask:0xf bank_mask:0xf
	v_cndmask_b32_e64 v135, 0, v135, s19
	s_delay_alu instid0(VALU_DEP_1)
	v_add_nc_u32_e32 v67, v67, v135
	ds_store_b32 v134, v67
.LBB182_52:                             ;   in Loop: Header=BB182_32 Depth=1
	s_wait_alu 0xfffe
	s_or_b32 exec_lo, exec_lo, s20
	v_mov_b32_e32 v67, 0
	s_wait_loadcnt_dscnt 0x0
	s_barrier_signal -1
	s_barrier_wait -1
	global_inv scope:SCOPE_SE
	s_and_saveexec_b32 s20, s9
; %bb.53:                               ;   in Loop: Header=BB182_32 Depth=1
	ds_load_b32 v67, v132
; %bb.54:                               ;   in Loop: Header=BB182_32 Depth=1
	s_wait_alu 0xfffe
	s_or_b32 exec_lo, exec_lo, s20
	s_wait_dscnt 0x0
	v_add_nc_u32_e32 v7, v67, v7
	v_cmp_lt_u32_e32 vcc_lo, 55, v69
	s_mov_b32 s20, -1
	ds_bpermute_b32 v7, v131, v7
	s_and_b32 vcc_lo, exec_lo, vcc_lo
	s_wait_dscnt 0x0
	v_cndmask_b32_e64 v7, v7, v67, s13
	s_delay_alu instid0(VALU_DEP_1) | instskip(NEXT) | instid1(VALU_DEP_1)
	v_cndmask_b32_e64 v7, v7, 0, s10
	v_add_nc_u32_e32 v8, v7, v8
	s_delay_alu instid0(VALU_DEP_1) | instskip(NEXT) | instid1(VALU_DEP_1)
	v_add_nc_u32_e32 v9, v8, v9
	v_add_nc_u32_e32 v10, v9, v10
	s_delay_alu instid0(VALU_DEP_1) | instskip(NEXT) | instid1(VALU_DEP_1)
	v_add_nc_u32_e32 v135, v10, v11
	;; [unrolled: 3-line block ×3, first 2 shown]
	v_add_nc_u32_e32 v138, v137, v6
	ds_store_b128 v115, v[7:10] offset:16
	ds_store_b128 v115, v[135:138] offset:32
	s_wait_loadcnt_dscnt 0x0
	s_barrier_signal -1
	s_barrier_wait -1
	global_inv scope:SCOPE_SE
	ds_load_b32 v4, v13 offset:16
	ds_load_b32 v5, v48 offset:16
	;; [unrolled: 1-line block ×8, first 2 shown]
	s_wait_dscnt 0x7
	v_add_nc_u32_e32 v142, v4, v12
	s_wait_dscnt 0x6
	v_add3_u32 v141, v15, v14, v5
	s_wait_dscnt 0x5
	v_add3_u32 v140, v50, v49, v6
	;; [unrolled: 2-line block ×7, first 2 shown]
                                        ; implicit-def: $vgpr66_vgpr67
                                        ; implicit-def: $vgpr14_vgpr15
                                        ; implicit-def: $vgpr10_vgpr11
                                        ; implicit-def: $vgpr6_vgpr7
                                        ; implicit-def: $vgpr62_vgpr63
                                        ; implicit-def: $vgpr58_vgpr59
                                        ; implicit-def: $vgpr54_vgpr55
                                        ; implicit-def: $vgpr50_vgpr51
	s_wait_alu 0xfffe
	s_cbranch_vccnz .LBB182_31
; %bb.55:                               ;   in Loop: Header=BB182_32 Depth=1
	v_lshlrev_b32_e32 v48, 3, v142
	v_lshlrev_b32_e32 v51, 3, v139
	;; [unrolled: 1-line block ×8, first 2 shown]
	s_wait_loadcnt 0x0
	s_barrier_signal -1
	s_barrier_wait -1
	global_inv scope:SCOPE_SE
	ds_store_b64 v48, v[74:75]
	ds_store_b64 v49, v[104:105]
	;; [unrolled: 1-line block ×8, first 2 shown]
	s_wait_loadcnt_dscnt 0x0
	s_barrier_signal -1
	s_barrier_wait -1
	global_inv scope:SCOPE_SE
	ds_load_2addr_b64 v[4:7], v130 offset1:32
	ds_load_2addr_b64 v[8:11], v130 offset0:64 offset1:96
	ds_load_2addr_b64 v[12:15], v130 offset0:128 offset1:160
	;; [unrolled: 1-line block ×3, first 2 shown]
	s_wait_loadcnt_dscnt 0x0
	s_barrier_signal -1
	s_barrier_wait -1
	global_inv scope:SCOPE_SE
	ds_store_b64 v48, v[96:97]
	ds_store_b64 v49, v[94:95]
	;; [unrolled: 1-line block ×8, first 2 shown]
	s_wait_loadcnt_dscnt 0x0
	s_barrier_signal -1
	s_barrier_wait -1
	global_inv scope:SCOPE_SE
	ds_load_2addr_b64 v[48:51], v130 offset1:32
	ds_load_2addr_b64 v[52:55], v130 offset0:64 offset1:96
	ds_load_2addr_b64 v[56:59], v130 offset0:128 offset1:160
	;; [unrolled: 1-line block ×3, first 2 shown]
	v_add_co_u32 v69, vcc_lo, v69, 8
	s_wait_alu 0xfffd
	v_add_co_ci_u32_e64 v70, null, 0, v70, vcc_lo
	s_add_co_i32 s23, s23, -8
	s_mov_b32 s20, 0
	s_wait_loadcnt_dscnt 0x0
	s_barrier_signal -1
	s_barrier_wait -1
	global_inv scope:SCOPE_SE
	s_branch .LBB182_31
.LBB182_56:
	v_lshlrev_b64_e32 v[1:2], 3, v[68:69]
	v_mov_b32_e32 v70, v69
	v_dual_mov_b32 v4, v69 :: v_dual_mov_b32 v5, v69
	v_dual_mov_b32 v6, v69 :: v_dual_mov_b32 v7, v69
	s_delay_alu instid0(VALU_DEP_4)
	v_add_co_u32 v1, vcc_lo, s34, v1
	s_wait_alu 0xfffd
	v_add_co_ci_u32_e64 v2, null, s35, v2, vcc_lo
	v_dual_mov_b32 v8, v69 :: v_dual_mov_b32 v9, v69
	v_dual_mov_b32 v10, v69 :: v_dual_mov_b32 v13, v69
	global_load_b64 v[11:12], v[1:2], off
	v_dual_mov_b32 v1, v69 :: v_dual_mov_b32 v2, v69
	v_dual_mov_b32 v3, v69 :: v_dual_mov_b32 v14, v69
	s_wait_alu 0xfffe
	s_or_b32 exec_lo, exec_lo, s8
	s_and_saveexec_b32 s8, s1
	s_cbranch_execz .LBB182_22
.LBB182_57:
	v_mul_lo_u32 v39, s28, v32
	v_mov_b32_e32 v40, 0
	s_delay_alu instid0(VALU_DEP_1) | instskip(NEXT) | instid1(VALU_DEP_1)
	v_lshlrev_b64_e32 v[39:40], 3, v[39:40]
	v_add_co_u32 v39, vcc_lo, s34, v39
	s_wait_alu 0xfffd
	s_delay_alu instid0(VALU_DEP_2)
	v_add_co_ci_u32_e64 v40, null, s35, v40, vcc_lo
	global_load_b64 v[69:70], v[39:40], off
	s_wait_alu 0xfffe
	s_or_b32 exec_lo, exec_lo, s8
	s_and_saveexec_b32 s8, s2
	s_cbranch_execz .LBB182_23
.LBB182_58:
	v_mul_lo_u32 v1, s28, v33
	v_mov_b32_e32 v2, 0
	s_delay_alu instid0(VALU_DEP_1) | instskip(NEXT) | instid1(VALU_DEP_1)
	v_lshlrev_b64_e32 v[1:2], 3, v[1:2]
	v_add_co_u32 v1, vcc_lo, s34, v1
	s_wait_alu 0xfffd
	s_delay_alu instid0(VALU_DEP_2)
	v_add_co_ci_u32_e64 v2, null, s35, v2, vcc_lo
	global_load_b64 v[1:2], v[1:2], off
	s_wait_alu 0xfffe
	s_or_b32 exec_lo, exec_lo, s8
	s_and_saveexec_b32 s8, s3
	s_cbranch_execz .LBB182_24
.LBB182_59:
	v_mul_lo_u32 v3, s28, v34
	v_mov_b32_e32 v4, 0
	s_delay_alu instid0(VALU_DEP_1) | instskip(NEXT) | instid1(VALU_DEP_1)
	v_lshlrev_b64_e32 v[3:4], 3, v[3:4]
	v_add_co_u32 v3, vcc_lo, s34, v3
	s_wait_alu 0xfffd
	s_delay_alu instid0(VALU_DEP_2)
	v_add_co_ci_u32_e64 v4, null, s35, v4, vcc_lo
	global_load_b64 v[3:4], v[3:4], off
	s_wait_alu 0xfffe
	s_or_b32 exec_lo, exec_lo, s8
	s_and_saveexec_b32 s8, s4
	s_cbranch_execz .LBB182_25
.LBB182_60:
	v_mul_lo_u32 v5, s28, v35
	v_mov_b32_e32 v6, 0
	s_delay_alu instid0(VALU_DEP_1) | instskip(NEXT) | instid1(VALU_DEP_1)
	v_lshlrev_b64_e32 v[5:6], 3, v[5:6]
	v_add_co_u32 v5, vcc_lo, s34, v5
	s_wait_alu 0xfffd
	s_delay_alu instid0(VALU_DEP_2)
	v_add_co_ci_u32_e64 v6, null, s35, v6, vcc_lo
	global_load_b64 v[5:6], v[5:6], off
	s_wait_alu 0xfffe
	s_or_b32 exec_lo, exec_lo, s8
	s_and_saveexec_b32 s8, s5
	s_cbranch_execz .LBB182_26
.LBB182_61:
	v_mul_lo_u32 v7, s28, v36
	v_mov_b32_e32 v8, 0
	s_delay_alu instid0(VALU_DEP_1) | instskip(NEXT) | instid1(VALU_DEP_1)
	v_lshlrev_b64_e32 v[7:8], 3, v[7:8]
	v_add_co_u32 v7, vcc_lo, s34, v7
	s_wait_alu 0xfffd
	s_delay_alu instid0(VALU_DEP_2)
	v_add_co_ci_u32_e64 v8, null, s35, v8, vcc_lo
	global_load_b64 v[7:8], v[7:8], off
	s_wait_alu 0xfffe
	s_or_b32 exec_lo, exec_lo, s8
	s_and_saveexec_b32 s8, s6
	s_cbranch_execz .LBB182_27
.LBB182_62:
	v_mul_lo_u32 v9, s28, v37
	v_mov_b32_e32 v10, 0
	s_delay_alu instid0(VALU_DEP_1) | instskip(NEXT) | instid1(VALU_DEP_1)
	v_lshlrev_b64_e32 v[9:10], 3, v[9:10]
	v_add_co_u32 v9, vcc_lo, s34, v9
	s_wait_alu 0xfffd
	s_delay_alu instid0(VALU_DEP_2)
	v_add_co_ci_u32_e64 v10, null, s35, v10, vcc_lo
	global_load_b64 v[9:10], v[9:10], off
	s_wait_alu 0xfffe
	s_or_b32 exec_lo, exec_lo, s8
	s_xor_b32 s8, s20, -1
	s_and_saveexec_b32 s9, s7
	s_cbranch_execnz .LBB182_28
	s_branch .LBB182_29
.LBB182_63:
                                        ; implicit-def: $vgpr58_vgpr59
                                        ; implicit-def: $vgpr62_vgpr63
                                        ; implicit-def: $vgpr50_vgpr51
                                        ; implicit-def: $vgpr54_vgpr55
                                        ; implicit-def: $vgpr0_vgpr1_vgpr2_vgpr3_vgpr4_vgpr5_vgpr6_vgpr7_vgpr8_vgpr9_vgpr10_vgpr11_vgpr12_vgpr13_vgpr14_vgpr15
	s_cbranch_execnz .LBB182_65
	s_branch .LBB182_92
.LBB182_64:
	v_lshlrev_b32_e32 v48, 3, v142
	v_lshlrev_b32_e32 v51, 3, v139
	;; [unrolled: 1-line block ×9, first 2 shown]
	s_wait_loadcnt 0x0
	s_barrier_signal -1
	s_barrier_wait -1
	global_inv scope:SCOPE_SE
	ds_store_b64 v48, v[74:75]
	ds_store_b64 v49, v[104:105]
	;; [unrolled: 1-line block ×8, first 2 shown]
	s_wait_loadcnt_dscnt 0x0
	s_barrier_signal -1
	s_barrier_wait -1
	global_inv scope:SCOPE_SE
	ds_load_b128 v[0:3], v56
	ds_load_b128 v[4:7], v56 offset:16
	ds_load_b128 v[8:11], v56 offset:32
	;; [unrolled: 1-line block ×3, first 2 shown]
	s_wait_loadcnt_dscnt 0x0
	s_barrier_signal -1
	s_barrier_wait -1
	global_inv scope:SCOPE_SE
	ds_store_b64 v48, v[96:97]
	ds_store_b64 v49, v[94:95]
	;; [unrolled: 1-line block ×8, first 2 shown]
	s_wait_loadcnt_dscnt 0x0
	s_barrier_signal -1
	s_barrier_wait -1
	global_inv scope:SCOPE_SE
	ds_load_b128 v[52:55], v56
	ds_load_b128 v[48:51], v56 offset:16
	v_cmp_lt_i64_e32 vcc_lo, -1, v[0:1]
	v_ashrrev_i32_e32 v66, 31, v3
	v_ashrrev_i32_e32 v57, 31, v1
	s_wait_alu 0xfffd
	v_cndmask_b32_e64 v64, 0x80000000, -1, vcc_lo
	v_cmp_lt_i64_e32 vcc_lo, -1, v[2:3]
	v_not_b32_e32 v66, v66
	v_not_b32_e32 v65, v57
	ds_load_b128 v[60:63], v56 offset:32
	ds_load_b128 v[56:59], v56 offset:48
	v_xor_b32_e32 v1, v64, v1
	v_ashrrev_i32_e32 v64, 31, v5
	s_wait_alu 0xfffd
	v_cndmask_b32_e64 v67, 0x80000000, -1, vcc_lo
	v_cmp_lt_i64_e32 vcc_lo, -1, v[4:5]
	v_xor_b32_e32 v2, v66, v2
	v_xor_b32_e32 v0, v65, v0
	v_ashrrev_i32_e32 v65, 31, v7
	v_xor_b32_e32 v3, v67, v3
	v_not_b32_e32 v64, v64
	s_wait_alu 0xfffd
	v_cndmask_b32_e64 v66, 0x80000000, -1, vcc_lo
	v_cmp_lt_i64_e32 vcc_lo, -1, v[6:7]
	v_not_b32_e32 v65, v65
	v_xor_b32_e32 v4, v64, v4
	v_ashrrev_i32_e32 v64, 31, v9
	v_xor_b32_e32 v5, v66, v5
	s_wait_alu 0xfffd
	v_cndmask_b32_e64 v67, 0x80000000, -1, vcc_lo
	v_cmp_lt_i64_e32 vcc_lo, -1, v[8:9]
	v_xor_b32_e32 v6, v65, v6
	v_not_b32_e32 v64, v64
	v_ashrrev_i32_e32 v66, 31, v11
	v_xor_b32_e32 v7, v67, v7
	s_wait_alu 0xfffd
	v_cndmask_b32_e64 v65, 0x80000000, -1, vcc_lo
	v_cmp_lt_i64_e32 vcc_lo, -1, v[10:11]
	v_xor_b32_e32 v8, v64, v8
	v_not_b32_e32 v64, v66
	v_ashrrev_i32_e32 v66, 31, v15
	v_xor_b32_e32 v9, v65, v9
	v_ashrrev_i32_e32 v65, 31, v13
	s_wait_alu 0xfffd
	v_cndmask_b32_e64 v67, 0x80000000, -1, vcc_lo
	v_cmp_lt_i64_e32 vcc_lo, -1, v[12:13]
	v_not_b32_e32 v66, v66
	v_xor_b32_e32 v10, v64, v10
	v_not_b32_e32 v65, v65
	v_xor_b32_e32 v11, v67, v11
	s_wait_alu 0xfffd
	v_cndmask_b32_e64 v67, 0x80000000, -1, vcc_lo
	v_cmp_lt_i64_e32 vcc_lo, -1, v[14:15]
	v_xor_b32_e32 v12, v65, v12
	v_xor_b32_e32 v14, v66, v14
	s_delay_alu instid0(VALU_DEP_4) | instskip(SKIP_2) | instid1(VALU_DEP_1)
	v_xor_b32_e32 v13, v67, v13
	s_wait_alu 0xfffd
	v_cndmask_b32_e64 v69, 0x80000000, -1, vcc_lo
	v_xor_b32_e32 v15, v69, v15
	s_branch .LBB182_92
.LBB182_65:
	v_cmp_gt_i64_e32 vcc_lo, 0, v[28:29]
	v_not_b32_e32 v12, v124
	v_not_b32_e32 v8, v126
	;; [unrolled: 1-line block ×4, first 2 shown]
	v_or_b32_e32 v14, v118, v119
	s_wait_alu 0xfffd
	v_cndmask_b32_e64 v0, 0x7fffffff, 0, vcc_lo
	v_cmp_gt_i64_e32 vcc_lo, 0, v[30:31]
	s_getpc_b64 s[8:9]
	s_wait_alu 0xfffe
	s_sext_i32_i16 s9, s9
	s_add_co_u32 s8, s8, _ZN7rocprim17ROCPRIM_400000_NS16block_radix_sortIdLj128ELj8ElLj1ELj1ELj0ELNS0_26block_radix_rank_algorithmE1ELNS0_18block_padding_hintE2ELNS0_4arch9wavefront6targetE0EE19radix_bits_per_passE@rel32@lo+12
	s_wait_alu 0xfffe
	s_add_co_ci_u32 s9, s9, _ZN7rocprim17ROCPRIM_400000_NS16block_radix_sortIdLj128ELj8ElLj1ELj1ELj0ELNS0_26block_radix_rank_algorithmE1ELNS0_18block_padding_hintE2ELNS0_4arch9wavefront6targetE0EE19radix_bits_per_passE@rel32@hi+24
	v_cmp_gt_u32_e64 s15, 4, v73
	s_load_b32 s21, s[8:9], 0x0
	v_xor_b32_e32 v1, v0, v29
	v_xor_b32_e32 v0, v2, v28
	v_cndmask_b32_e64 v3, 0x7fffffff, 0, vcc_lo
	v_cmp_gt_i64_e32 vcc_lo, 0, v[24:25]
	v_xor_b32_e32 v2, v4, v30
	v_not_b32_e32 v4, v127
	v_cmp_lt_u32_e64 s16, 31, v73
	v_xor_b32_e32 v3, v3, v31
	v_cmp_eq_u32_e64 s17, 0, v73
	s_wait_alu 0xfffd
	v_cndmask_b32_e64 v5, 0x7fffffff, 0, vcc_lo
	v_cmp_gt_i64_e32 vcc_lo, 0, v[26:27]
	v_xor_b32_e32 v4, v4, v24
	v_add_nc_u32_e32 v77, v115, v117
	s_mov_b32 s23, 64
	v_xor_b32_e32 v5, v5, v25
	s_wait_alu 0xfffd
	v_cndmask_b32_e64 v6, 0x7fffffff, 0, vcc_lo
	v_cmp_gt_i64_e32 vcc_lo, 0, v[20:21]
	s_delay_alu instid0(VALU_DEP_2)
	v_xor_b32_e32 v7, v6, v27
	v_xor_b32_e32 v6, v8, v26
	s_wait_alu 0xfffd
	v_cndmask_b32_e64 v9, 0x7fffffff, 0, vcc_lo
	v_cmp_gt_i64_e32 vcc_lo, 0, v[22:23]
	v_not_b32_e32 v8, v125
	s_delay_alu instid0(VALU_DEP_3)
	v_xor_b32_e32 v9, v9, v21
	s_wait_alu 0xfffd
	v_cndmask_b32_e64 v10, 0x7fffffff, 0, vcc_lo
	v_cmp_gt_i64_e32 vcc_lo, 0, v[16:17]
	v_xor_b32_e32 v8, v8, v20
	v_lshlrev_b32_e32 v20, 6, v14
	ds_store_b128 v20, v[0:3]
	ds_store_b128 v20, v[4:7] offset:16
	s_wait_alu 0xfffd
	v_cndmask_b32_e64 v13, 0x7fffffff, 0, vcc_lo
	v_xor_b32_e32 v11, v10, v23
	v_xor_b32_e32 v10, v12, v22
	v_not_b32_e32 v12, v123
	v_cmp_gt_i64_e32 vcc_lo, 0, v[18:19]
	v_xor_b32_e32 v13, v13, v17
	v_not_b32_e32 v17, v122
	v_and_b32_e32 v3, 16, v118
	v_xor_b32_e32 v12, v12, v16
	v_and_or_b32 v16, 0x1f00, v72, v118
	s_wait_alu 0xfffd
	v_cndmask_b32_e64 v15, 0x7fffffff, 0, vcc_lo
	v_xor_b32_e32 v14, v17, v18
	s_delay_alu instid0(VALU_DEP_3) | instskip(NEXT) | instid1(VALU_DEP_3)
	v_lshlrev_b32_e32 v74, 3, v16
	v_xor_b32_e32 v15, v15, v19
	ds_store_b128 v20, v[8:11] offset:32
	ds_store_b128 v20, v[12:15] offset:48
	; wave barrier
	ds_load_2addr_b64 v[4:7], v74 offset1:32
	ds_load_2addr_b64 v[8:11], v74 offset0:64 offset1:96
	ds_load_2addr_b64 v[12:15], v74 offset0:128 offset1:160
	s_wait_dscnt 0x9
	ds_load_2addr_b64 v[48:51], v74 offset0:192 offset1:224
	; wave barrier
	ds_store_b128 v20, v[44:47]
	ds_store_b128 v20, v[40:43] offset:16
	ds_store_b128 v20, v[36:39] offset:32
	;; [unrolled: 1-line block ×3, first 2 shown]
	; wave barrier
	ds_load_2addr_b64 v[16:19], v74 offset1:32
	ds_load_2addr_b64 v[20:23], v74 offset0:64 offset1:96
	ds_load_2addr_b64 v[24:27], v74 offset0:128 offset1:160
	;; [unrolled: 1-line block ×3, first 2 shown]
	s_wait_loadcnt_dscnt 0x0
	s_barrier_signal -1
	s_barrier_wait -1
	global_inv scope:SCOPE_SE
	s_load_b32 s10, s[24:25], 0xc
	s_mov_b32 s24, 0
	s_delay_alu instid0(SALU_CYCLE_1) | instskip(SKIP_3) | instid1(VALU_DEP_1)
	s_mov_b32 s25, s24
	s_mov_b32 s26, s24
	;; [unrolled: 1-line block ×3, first 2 shown]
	v_and_b32_e32 v2, 15, v118
	v_cmp_lt_u32_e64 s9, 1, v2
	v_cmp_lt_u32_e64 s12, 7, v2
	s_wait_kmcnt 0x0
	s_lshr_b32 s11, s10, 16
	s_and_b32 s8, s10, 0xffff
	s_wait_alu 0xfffe
	v_mad_u32_u24 v0, v121, s11, v120
	v_sub_co_u32 v32, s10, v118, 1
	v_cmp_lt_u32_e64 s11, 3, v2
	s_delay_alu instid0(VALU_DEP_3) | instskip(SKIP_1) | instid1(VALU_DEP_4)
	v_mad_co_u64_u32 v[0:1], null, v0, s8, v[73:74]
	v_min_u32_e32 v1, 0x60, v119
	v_cmp_gt_i32_e32 vcc_lo, 0, v32
	v_cmp_eq_u32_e64 s8, 0, v2
	s_delay_alu instid0(VALU_DEP_3)
	v_or_b32_e32 v1, 31, v1
	s_wait_alu 0xfffd
	v_cndmask_b32_e32 v2, v32, v118, vcc_lo
	v_lshrrev_b32_e32 v0, 3, v0
	v_mov_b32_e32 v32, 0
	v_cmp_eq_u32_e64 s13, 0, v3
	v_cmp_eq_u32_e64 s14, v73, v1
	v_and_b32_e32 v1, 3, v118
	v_add_nc_u32_e32 v73, -4, v116
	v_lshlrev_b32_e32 v75, 2, v2
	v_dual_mov_b32 v33, 0 :: v_dual_and_b32 v76, 0x1ffffffc, v0
	s_delay_alu instid0(VALU_DEP_4)
	v_cmp_eq_u32_e64 s18, 0, v1
	v_cmp_lt_u32_e64 s19, 1, v1
	v_dual_mov_b32 v0, s24 :: v_dual_mov_b32 v1, s25
	v_dual_mov_b32 v2, s26 :: v_dual_mov_b32 v3, s27
	s_brev_b32 s25, 1
	s_branch .LBB182_67
.LBB182_66:                             ;   in Loop: Header=BB182_67 Depth=1
	s_wait_alu 0xfffe
	s_and_not1_b32 vcc_lo, exec_lo, s20
	s_wait_alu 0xfffe
	s_cbranch_vccz .LBB182_91
.LBB182_67:                             ; =>This Inner Loop Header: Depth=1
	v_dual_mov_b32 v35, v5 :: v_dual_mov_b32 v34, v4
	s_min_u32 s20, s21, s23
	v_dual_mov_b32 v70, v7 :: v_dual_mov_b32 v59, v19
	s_wait_alu 0xfffe
	s_lshl_b32 s20, -1, s20
	v_cmp_ne_u64_e32 vcc_lo, s[24:25], v[34:35]
	s_wait_alu 0xfffe
	s_not_b32 s26, s20
	v_mov_b32_e32 v58, v18
	ds_store_b128 v115, v[0:3] offset:16
	ds_store_b128 v115, v[0:3] offset:32
	s_wait_loadcnt_dscnt 0x0
	s_wait_alu 0xfffd
	v_dual_mov_b32 v36, v50 :: v_dual_cndmask_b32 v5, 0x7fffffff, v35
	v_dual_cndmask_b32 v4, -1, v34 :: v_dual_mov_b32 v37, v51
	s_barrier_signal -1
	s_barrier_wait -1
	global_inv scope:SCOPE_SE
	v_lshrrev_b64 v[4:5], v32, v[4:5]
	; wave barrier
	v_dual_mov_b32 v38, v48 :: v_dual_mov_b32 v39, v49
	v_mov_b32_e32 v63, v13
	s_wait_alu 0xfffe
	s_delay_alu instid0(VALU_DEP_3) | instskip(SKIP_2) | instid1(VALU_DEP_3)
	v_and_b32_e32 v5, s26, v4
	v_dual_mov_b32 v41, v15 :: v_dual_mov_b32 v40, v14
	v_dual_mov_b32 v65, v11 :: v_dual_mov_b32 v62, v12
	v_lshlrev_b32_e32 v15, 29, v5
	v_and_b32_e32 v4, 1, v5
	v_lshlrev_b32_e32 v14, 30, v5
	v_lshlrev_b32_e32 v42, 28, v5
	v_dual_mov_b32 v67, v9 :: v_dual_lshlrev_b32 v44, 27, v5
	s_delay_alu instid0(VALU_DEP_4)
	v_add_co_u32 v4, s20, v4, -1
	s_wait_alu 0xf1ff
	v_cndmask_b32_e64 v43, 0, 1, s20
	v_not_b32_e32 v47, v14
	v_cmp_gt_i32_e64 s20, 0, v14
	v_not_b32_e32 v14, v15
	v_dual_mov_b32 v64, v10 :: v_dual_lshlrev_b32 v45, 26, v5
	v_cmp_ne_u32_e32 vcc_lo, 0, v43
	v_ashrrev_i32_e32 v47, 31, v47
	s_delay_alu instid0(VALU_DEP_4)
	v_ashrrev_i32_e32 v14, 31, v14
	v_dual_mov_b32 v69, v6 :: v_dual_lshlrev_b32 v46, 25, v5
	s_wait_alu 0xfffd
	v_xor_b32_e32 v4, vcc_lo, v4
	v_cmp_gt_i32_e32 vcc_lo, 0, v15
	v_not_b32_e32 v15, v42
	s_wait_alu 0xf1ff
	v_xor_b32_e32 v47, s20, v47
	v_cmp_gt_i32_e64 s20, 0, v42
	v_and_b32_e32 v4, exec_lo, v4
	v_not_b32_e32 v42, v44
	v_ashrrev_i32_e32 v15, 31, v15
	s_wait_alu 0xfffd
	v_xor_b32_e32 v14, vcc_lo, v14
	v_cmp_gt_i32_e32 vcc_lo, 0, v44
	v_and_b32_e32 v4, v4, v47
	v_not_b32_e32 v44, v45
	v_ashrrev_i32_e32 v42, 31, v42
	s_wait_alu 0xf1ff
	v_xor_b32_e32 v15, s20, v15
	v_dual_mov_b32 v66, v8 :: v_dual_lshlrev_b32 v43, 24, v5
	v_and_b32_e32 v4, v4, v14
	v_cmp_gt_i32_e64 s20, 0, v45
	v_not_b32_e32 v14, v46
	v_ashrrev_i32_e32 v44, 31, v44
	s_wait_alu 0xfffd
	v_xor_b32_e32 v42, vcc_lo, v42
	v_cmp_gt_i32_e32 vcc_lo, 0, v46
	v_dual_mov_b32 v47, v27 :: v_dual_and_b32 v4, v4, v15
	v_mov_b32_e32 v53, v25
	v_not_b32_e32 v15, v43
	v_ashrrev_i32_e32 v14, 31, v14
	s_wait_alu 0xf1ff
	v_xor_b32_e32 v44, s20, v44
	v_dual_mov_b32 v55, v23 :: v_dual_and_b32 v4, v4, v42
	v_cmp_gt_i32_e64 s20, 0, v43
	v_ashrrev_i32_e32 v12, 31, v15
	s_wait_alu 0xfffd
	v_xor_b32_e32 v13, vcc_lo, v14
	v_dual_mov_b32 v57, v21 :: v_dual_and_b32 v4, v4, v44
	v_mov_b32_e32 v61, v17
	s_wait_alu 0xf1ff
	v_xor_b32_e32 v6, s20, v12
	s_delay_alu instid0(VALU_DEP_3) | instskip(SKIP_2) | instid1(VALU_DEP_3)
	v_dual_mov_b32 v43, v31 :: v_dual_and_b32 v4, v4, v13
	v_dual_mov_b32 v42, v30 :: v_dual_lshlrev_b32 v5, 4, v5
	v_dual_mov_b32 v45, v29 :: v_dual_mov_b32 v44, v28
	v_and_b32_e32 v4, v4, v6
	s_delay_alu instid0(VALU_DEP_3) | instskip(SKIP_2) | instid1(VALU_DEP_4)
	v_dual_mov_b32 v46, v26 :: v_dual_add_nc_u32 v13, v76, v5
	v_mov_b32_e32 v52, v24
	v_mov_b32_e32 v54, v22
	v_mbcnt_lo_u32_b32 v12, v4, 0
	v_cmp_ne_u32_e64 s20, 0, v4
	v_mov_b32_e32 v56, v20
	v_mov_b32_e32 v60, v16
	s_delay_alu instid0(VALU_DEP_4)
	v_cmp_eq_u32_e32 vcc_lo, 0, v12
	s_and_b32 s27, s20, vcc_lo
	s_wait_alu 0xfffe
	s_and_saveexec_b32 s20, s27
; %bb.68:                               ;   in Loop: Header=BB182_67 Depth=1
	v_bcnt_u32_b32 v4, v4, 0
	ds_store_b32 v13, v4 offset:16
; %bb.69:                               ;   in Loop: Header=BB182_67 Depth=1
	s_wait_alu 0xfffe
	s_or_b32 exec_lo, exec_lo, s20
	v_cmp_ne_u64_e32 vcc_lo, s[24:25], v[69:70]
	; wave barrier
	s_wait_alu 0xfffd
	v_cndmask_b32_e32 v5, 0x7fffffff, v70, vcc_lo
	v_cndmask_b32_e32 v4, -1, v69, vcc_lo
	s_delay_alu instid0(VALU_DEP_1) | instskip(NEXT) | instid1(VALU_DEP_1)
	v_lshrrev_b64 v[4:5], v32, v[4:5]
	v_and_b32_e32 v4, s26, v4
	s_delay_alu instid0(VALU_DEP_1)
	v_and_b32_e32 v5, 1, v4
	v_lshlrev_b32_e32 v6, 30, v4
	v_lshlrev_b32_e32 v7, 29, v4
	;; [unrolled: 1-line block ×4, first 2 shown]
	v_add_co_u32 v5, s20, v5, -1
	s_wait_alu 0xf1ff
	v_cndmask_b32_e64 v9, 0, 1, s20
	v_not_b32_e32 v15, v6
	v_cmp_gt_i32_e64 s20, 0, v6
	v_not_b32_e32 v6, v7
	v_lshlrev_b32_e32 v11, 26, v4
	v_cmp_ne_u32_e32 vcc_lo, 0, v9
	v_ashrrev_i32_e32 v15, 31, v15
	v_lshlrev_b32_e32 v14, 25, v4
	v_ashrrev_i32_e32 v6, 31, v6
	v_lshlrev_b32_e32 v9, 24, v4
	s_wait_alu 0xfffd
	v_xor_b32_e32 v5, vcc_lo, v5
	v_cmp_gt_i32_e32 vcc_lo, 0, v7
	v_not_b32_e32 v7, v8
	s_wait_alu 0xf1ff
	v_xor_b32_e32 v15, s20, v15
	v_cmp_gt_i32_e64 s20, 0, v8
	v_and_b32_e32 v5, exec_lo, v5
	v_not_b32_e32 v8, v10
	v_ashrrev_i32_e32 v7, 31, v7
	s_wait_alu 0xfffd
	v_xor_b32_e32 v6, vcc_lo, v6
	v_cmp_gt_i32_e32 vcc_lo, 0, v10
	v_and_b32_e32 v5, v5, v15
	v_not_b32_e32 v10, v11
	v_ashrrev_i32_e32 v8, 31, v8
	s_wait_alu 0xf1ff
	v_xor_b32_e32 v7, s20, v7
	v_cmp_gt_i32_e64 s20, 0, v11
	v_and_b32_e32 v5, v5, v6
	v_not_b32_e32 v6, v14
	v_ashrrev_i32_e32 v10, 31, v10
	s_wait_alu 0xfffd
	v_xor_b32_e32 v8, vcc_lo, v8
	v_cmp_gt_i32_e32 vcc_lo, 0, v14
	v_and_b32_e32 v5, v5, v7
	v_not_b32_e32 v7, v9
	v_ashrrev_i32_e32 v6, 31, v6
	s_wait_alu 0xf1ff
	v_xor_b32_e32 v10, s20, v10
	v_lshlrev_b32_e32 v4, 4, v4
	v_and_b32_e32 v5, v5, v8
	v_cmp_gt_i32_e64 s20, 0, v9
	v_ashrrev_i32_e32 v7, 31, v7
	s_wait_alu 0xfffd
	v_xor_b32_e32 v6, vcc_lo, v6
	v_add_nc_u32_e32 v16, v76, v4
	v_and_b32_e32 v5, v5, v10
	s_wait_alu 0xf1ff
	v_xor_b32_e32 v4, s20, v7
	ds_load_b32 v14, v16 offset:16
	v_and_b32_e32 v5, v5, v6
	; wave barrier
	s_delay_alu instid0(VALU_DEP_1) | instskip(NEXT) | instid1(VALU_DEP_1)
	v_and_b32_e32 v4, v5, v4
	v_mbcnt_lo_u32_b32 v15, v4, 0
	v_cmp_ne_u32_e64 s20, 0, v4
	s_delay_alu instid0(VALU_DEP_2)
	v_cmp_eq_u32_e32 vcc_lo, 0, v15
	s_and_b32 s27, s20, vcc_lo
	s_wait_alu 0xfffe
	s_and_saveexec_b32 s20, s27
	s_cbranch_execz .LBB182_71
; %bb.70:                               ;   in Loop: Header=BB182_67 Depth=1
	s_wait_dscnt 0x0
	v_bcnt_u32_b32 v4, v4, v14
	ds_store_b32 v16, v4 offset:16
.LBB182_71:                             ;   in Loop: Header=BB182_67 Depth=1
	s_wait_alu 0xfffe
	s_or_b32 exec_lo, exec_lo, s20
	v_cmp_ne_u64_e32 vcc_lo, s[24:25], v[66:67]
	; wave barrier
	s_wait_alu 0xfffd
	v_cndmask_b32_e32 v5, 0x7fffffff, v67, vcc_lo
	v_cndmask_b32_e32 v4, -1, v66, vcc_lo
	s_delay_alu instid0(VALU_DEP_1) | instskip(NEXT) | instid1(VALU_DEP_1)
	v_lshrrev_b64 v[4:5], v32, v[4:5]
	v_and_b32_e32 v4, s26, v4
	s_delay_alu instid0(VALU_DEP_1)
	v_and_b32_e32 v5, 1, v4
	v_lshlrev_b32_e32 v6, 30, v4
	v_lshlrev_b32_e32 v7, 29, v4
	;; [unrolled: 1-line block ×4, first 2 shown]
	v_add_co_u32 v5, s20, v5, -1
	s_wait_alu 0xf1ff
	v_cndmask_b32_e64 v9, 0, 1, s20
	v_not_b32_e32 v18, v6
	v_cmp_gt_i32_e64 s20, 0, v6
	v_not_b32_e32 v6, v7
	v_lshlrev_b32_e32 v11, 26, v4
	v_cmp_ne_u32_e32 vcc_lo, 0, v9
	v_ashrrev_i32_e32 v18, 31, v18
	v_lshlrev_b32_e32 v17, 25, v4
	v_ashrrev_i32_e32 v6, 31, v6
	v_lshlrev_b32_e32 v9, 24, v4
	s_wait_alu 0xfffd
	v_xor_b32_e32 v5, vcc_lo, v5
	v_cmp_gt_i32_e32 vcc_lo, 0, v7
	v_not_b32_e32 v7, v8
	s_wait_alu 0xf1ff
	v_xor_b32_e32 v18, s20, v18
	v_cmp_gt_i32_e64 s20, 0, v8
	v_and_b32_e32 v5, exec_lo, v5
	v_not_b32_e32 v8, v10
	v_ashrrev_i32_e32 v7, 31, v7
	s_wait_alu 0xfffd
	v_xor_b32_e32 v6, vcc_lo, v6
	v_cmp_gt_i32_e32 vcc_lo, 0, v10
	v_and_b32_e32 v5, v5, v18
	v_not_b32_e32 v10, v11
	v_ashrrev_i32_e32 v8, 31, v8
	s_wait_alu 0xf1ff
	v_xor_b32_e32 v7, s20, v7
	v_cmp_gt_i32_e64 s20, 0, v11
	v_and_b32_e32 v5, v5, v6
	v_not_b32_e32 v6, v17
	v_ashrrev_i32_e32 v10, 31, v10
	s_wait_alu 0xfffd
	v_xor_b32_e32 v8, vcc_lo, v8
	v_cmp_gt_i32_e32 vcc_lo, 0, v17
	v_and_b32_e32 v5, v5, v7
	v_not_b32_e32 v7, v9
	v_ashrrev_i32_e32 v6, 31, v6
	s_wait_alu 0xf1ff
	v_xor_b32_e32 v10, s20, v10
	v_lshlrev_b32_e32 v4, 4, v4
	v_and_b32_e32 v5, v5, v8
	v_cmp_gt_i32_e64 s20, 0, v9
	v_ashrrev_i32_e32 v7, 31, v7
	s_wait_alu 0xfffd
	v_xor_b32_e32 v6, vcc_lo, v6
	v_add_nc_u32_e32 v19, v76, v4
	v_and_b32_e32 v5, v5, v10
	s_wait_alu 0xf1ff
	v_xor_b32_e32 v4, s20, v7
	ds_load_b32 v17, v19 offset:16
	v_and_b32_e32 v5, v5, v6
	; wave barrier
	s_delay_alu instid0(VALU_DEP_1) | instskip(NEXT) | instid1(VALU_DEP_1)
	v_and_b32_e32 v4, v5, v4
	v_mbcnt_lo_u32_b32 v18, v4, 0
	v_cmp_ne_u32_e64 s20, 0, v4
	s_delay_alu instid0(VALU_DEP_2)
	v_cmp_eq_u32_e32 vcc_lo, 0, v18
	s_and_b32 s27, s20, vcc_lo
	s_wait_alu 0xfffe
	s_and_saveexec_b32 s20, s27
	s_cbranch_execz .LBB182_73
; %bb.72:                               ;   in Loop: Header=BB182_67 Depth=1
	s_wait_dscnt 0x0
	v_bcnt_u32_b32 v4, v4, v17
	ds_store_b32 v19, v4 offset:16
.LBB182_73:                             ;   in Loop: Header=BB182_67 Depth=1
	s_wait_alu 0xfffe
	s_or_b32 exec_lo, exec_lo, s20
	v_cmp_ne_u64_e32 vcc_lo, s[24:25], v[64:65]
	; wave barrier
	s_wait_alu 0xfffd
	v_cndmask_b32_e32 v5, 0x7fffffff, v65, vcc_lo
	v_cndmask_b32_e32 v4, -1, v64, vcc_lo
	s_delay_alu instid0(VALU_DEP_1) | instskip(NEXT) | instid1(VALU_DEP_1)
	v_lshrrev_b64 v[4:5], v32, v[4:5]
	v_and_b32_e32 v4, s26, v4
	s_delay_alu instid0(VALU_DEP_1)
	v_and_b32_e32 v5, 1, v4
	v_lshlrev_b32_e32 v6, 30, v4
	v_lshlrev_b32_e32 v7, 29, v4
	;; [unrolled: 1-line block ×4, first 2 shown]
	v_add_co_u32 v5, s20, v5, -1
	s_wait_alu 0xf1ff
	v_cndmask_b32_e64 v9, 0, 1, s20
	v_not_b32_e32 v21, v6
	v_cmp_gt_i32_e64 s20, 0, v6
	v_not_b32_e32 v6, v7
	v_lshlrev_b32_e32 v11, 26, v4
	v_cmp_ne_u32_e32 vcc_lo, 0, v9
	v_ashrrev_i32_e32 v21, 31, v21
	v_lshlrev_b32_e32 v20, 25, v4
	v_ashrrev_i32_e32 v6, 31, v6
	v_lshlrev_b32_e32 v9, 24, v4
	s_wait_alu 0xfffd
	v_xor_b32_e32 v5, vcc_lo, v5
	v_cmp_gt_i32_e32 vcc_lo, 0, v7
	v_not_b32_e32 v7, v8
	s_wait_alu 0xf1ff
	v_xor_b32_e32 v21, s20, v21
	v_cmp_gt_i32_e64 s20, 0, v8
	v_and_b32_e32 v5, exec_lo, v5
	v_not_b32_e32 v8, v10
	v_ashrrev_i32_e32 v7, 31, v7
	s_wait_alu 0xfffd
	v_xor_b32_e32 v6, vcc_lo, v6
	v_cmp_gt_i32_e32 vcc_lo, 0, v10
	v_and_b32_e32 v5, v5, v21
	v_not_b32_e32 v10, v11
	v_ashrrev_i32_e32 v8, 31, v8
	s_wait_alu 0xf1ff
	v_xor_b32_e32 v7, s20, v7
	v_cmp_gt_i32_e64 s20, 0, v11
	v_and_b32_e32 v5, v5, v6
	v_not_b32_e32 v6, v20
	v_ashrrev_i32_e32 v10, 31, v10
	s_wait_alu 0xfffd
	v_xor_b32_e32 v8, vcc_lo, v8
	v_cmp_gt_i32_e32 vcc_lo, 0, v20
	v_and_b32_e32 v5, v5, v7
	v_not_b32_e32 v7, v9
	v_ashrrev_i32_e32 v6, 31, v6
	s_wait_alu 0xf1ff
	v_xor_b32_e32 v10, s20, v10
	v_lshlrev_b32_e32 v4, 4, v4
	v_and_b32_e32 v5, v5, v8
	v_cmp_gt_i32_e64 s20, 0, v9
	v_ashrrev_i32_e32 v7, 31, v7
	s_wait_alu 0xfffd
	v_xor_b32_e32 v6, vcc_lo, v6
	v_add_nc_u32_e32 v22, v76, v4
	v_and_b32_e32 v5, v5, v10
	s_wait_alu 0xf1ff
	v_xor_b32_e32 v4, s20, v7
	ds_load_b32 v20, v22 offset:16
	v_and_b32_e32 v5, v5, v6
	; wave barrier
	s_delay_alu instid0(VALU_DEP_1) | instskip(NEXT) | instid1(VALU_DEP_1)
	v_and_b32_e32 v4, v5, v4
	v_mbcnt_lo_u32_b32 v21, v4, 0
	v_cmp_ne_u32_e64 s20, 0, v4
	s_delay_alu instid0(VALU_DEP_2)
	v_cmp_eq_u32_e32 vcc_lo, 0, v21
	s_and_b32 s27, s20, vcc_lo
	s_wait_alu 0xfffe
	s_and_saveexec_b32 s20, s27
	s_cbranch_execz .LBB182_75
; %bb.74:                               ;   in Loop: Header=BB182_67 Depth=1
	s_wait_dscnt 0x0
	v_bcnt_u32_b32 v4, v4, v20
	ds_store_b32 v22, v4 offset:16
.LBB182_75:                             ;   in Loop: Header=BB182_67 Depth=1
	s_wait_alu 0xfffe
	s_or_b32 exec_lo, exec_lo, s20
	v_cmp_ne_u64_e32 vcc_lo, s[24:25], v[62:63]
	; wave barrier
	s_wait_alu 0xfffd
	v_cndmask_b32_e32 v5, 0x7fffffff, v63, vcc_lo
	v_cndmask_b32_e32 v4, -1, v62, vcc_lo
	s_delay_alu instid0(VALU_DEP_1) | instskip(NEXT) | instid1(VALU_DEP_1)
	v_lshrrev_b64 v[4:5], v32, v[4:5]
	v_and_b32_e32 v4, s26, v4
	s_delay_alu instid0(VALU_DEP_1)
	v_and_b32_e32 v5, 1, v4
	v_lshlrev_b32_e32 v6, 30, v4
	v_lshlrev_b32_e32 v7, 29, v4
	;; [unrolled: 1-line block ×4, first 2 shown]
	v_add_co_u32 v5, s20, v5, -1
	s_wait_alu 0xf1ff
	v_cndmask_b32_e64 v9, 0, 1, s20
	v_not_b32_e32 v24, v6
	v_cmp_gt_i32_e64 s20, 0, v6
	v_not_b32_e32 v6, v7
	v_lshlrev_b32_e32 v11, 26, v4
	v_cmp_ne_u32_e32 vcc_lo, 0, v9
	v_ashrrev_i32_e32 v24, 31, v24
	v_lshlrev_b32_e32 v23, 25, v4
	v_ashrrev_i32_e32 v6, 31, v6
	v_lshlrev_b32_e32 v9, 24, v4
	s_wait_alu 0xfffd
	v_xor_b32_e32 v5, vcc_lo, v5
	v_cmp_gt_i32_e32 vcc_lo, 0, v7
	v_not_b32_e32 v7, v8
	s_wait_alu 0xf1ff
	v_xor_b32_e32 v24, s20, v24
	v_cmp_gt_i32_e64 s20, 0, v8
	v_and_b32_e32 v5, exec_lo, v5
	v_not_b32_e32 v8, v10
	v_ashrrev_i32_e32 v7, 31, v7
	s_wait_alu 0xfffd
	v_xor_b32_e32 v6, vcc_lo, v6
	v_cmp_gt_i32_e32 vcc_lo, 0, v10
	v_and_b32_e32 v5, v5, v24
	v_not_b32_e32 v10, v11
	v_ashrrev_i32_e32 v8, 31, v8
	s_wait_alu 0xf1ff
	v_xor_b32_e32 v7, s20, v7
	v_cmp_gt_i32_e64 s20, 0, v11
	v_and_b32_e32 v5, v5, v6
	v_not_b32_e32 v6, v23
	v_ashrrev_i32_e32 v10, 31, v10
	s_wait_alu 0xfffd
	v_xor_b32_e32 v8, vcc_lo, v8
	v_cmp_gt_i32_e32 vcc_lo, 0, v23
	v_and_b32_e32 v5, v5, v7
	v_not_b32_e32 v7, v9
	v_ashrrev_i32_e32 v6, 31, v6
	s_wait_alu 0xf1ff
	v_xor_b32_e32 v10, s20, v10
	v_lshlrev_b32_e32 v4, 4, v4
	v_and_b32_e32 v5, v5, v8
	v_cmp_gt_i32_e64 s20, 0, v9
	v_ashrrev_i32_e32 v7, 31, v7
	s_wait_alu 0xfffd
	v_xor_b32_e32 v6, vcc_lo, v6
	v_add_nc_u32_e32 v25, v76, v4
	v_and_b32_e32 v5, v5, v10
	s_wait_alu 0xf1ff
	v_xor_b32_e32 v4, s20, v7
	ds_load_b32 v23, v25 offset:16
	v_and_b32_e32 v5, v5, v6
	; wave barrier
	s_delay_alu instid0(VALU_DEP_1) | instskip(NEXT) | instid1(VALU_DEP_1)
	v_and_b32_e32 v4, v5, v4
	v_mbcnt_lo_u32_b32 v24, v4, 0
	v_cmp_ne_u32_e64 s20, 0, v4
	s_delay_alu instid0(VALU_DEP_2)
	v_cmp_eq_u32_e32 vcc_lo, 0, v24
	s_and_b32 s27, s20, vcc_lo
	s_wait_alu 0xfffe
	s_and_saveexec_b32 s20, s27
	s_cbranch_execz .LBB182_77
; %bb.76:                               ;   in Loop: Header=BB182_67 Depth=1
	s_wait_dscnt 0x0
	v_bcnt_u32_b32 v4, v4, v23
	ds_store_b32 v25, v4 offset:16
.LBB182_77:                             ;   in Loop: Header=BB182_67 Depth=1
	s_wait_alu 0xfffe
	s_or_b32 exec_lo, exec_lo, s20
	v_cmp_ne_u64_e32 vcc_lo, s[24:25], v[40:41]
	; wave barrier
	s_wait_alu 0xfffd
	v_cndmask_b32_e32 v5, 0x7fffffff, v41, vcc_lo
	v_cndmask_b32_e32 v4, -1, v40, vcc_lo
	s_delay_alu instid0(VALU_DEP_1) | instskip(NEXT) | instid1(VALU_DEP_1)
	v_lshrrev_b64 v[4:5], v32, v[4:5]
	v_and_b32_e32 v4, s26, v4
	s_delay_alu instid0(VALU_DEP_1)
	v_and_b32_e32 v5, 1, v4
	v_lshlrev_b32_e32 v6, 30, v4
	v_lshlrev_b32_e32 v7, 29, v4
	;; [unrolled: 1-line block ×4, first 2 shown]
	v_add_co_u32 v5, s20, v5, -1
	s_wait_alu 0xf1ff
	v_cndmask_b32_e64 v9, 0, 1, s20
	v_not_b32_e32 v27, v6
	v_cmp_gt_i32_e64 s20, 0, v6
	v_not_b32_e32 v6, v7
	v_lshlrev_b32_e32 v11, 26, v4
	v_cmp_ne_u32_e32 vcc_lo, 0, v9
	v_ashrrev_i32_e32 v27, 31, v27
	v_lshlrev_b32_e32 v26, 25, v4
	v_ashrrev_i32_e32 v6, 31, v6
	v_lshlrev_b32_e32 v9, 24, v4
	s_wait_alu 0xfffd
	v_xor_b32_e32 v5, vcc_lo, v5
	v_cmp_gt_i32_e32 vcc_lo, 0, v7
	v_not_b32_e32 v7, v8
	s_wait_alu 0xf1ff
	v_xor_b32_e32 v27, s20, v27
	v_cmp_gt_i32_e64 s20, 0, v8
	v_and_b32_e32 v5, exec_lo, v5
	v_not_b32_e32 v8, v10
	v_ashrrev_i32_e32 v7, 31, v7
	s_wait_alu 0xfffd
	v_xor_b32_e32 v6, vcc_lo, v6
	v_cmp_gt_i32_e32 vcc_lo, 0, v10
	v_and_b32_e32 v5, v5, v27
	v_not_b32_e32 v10, v11
	v_ashrrev_i32_e32 v8, 31, v8
	s_wait_alu 0xf1ff
	v_xor_b32_e32 v7, s20, v7
	v_cmp_gt_i32_e64 s20, 0, v11
	v_and_b32_e32 v5, v5, v6
	v_not_b32_e32 v6, v26
	v_ashrrev_i32_e32 v10, 31, v10
	s_wait_alu 0xfffd
	v_xor_b32_e32 v8, vcc_lo, v8
	v_cmp_gt_i32_e32 vcc_lo, 0, v26
	v_and_b32_e32 v5, v5, v7
	v_not_b32_e32 v7, v9
	v_ashrrev_i32_e32 v6, 31, v6
	s_wait_alu 0xf1ff
	v_xor_b32_e32 v10, s20, v10
	v_lshlrev_b32_e32 v4, 4, v4
	v_and_b32_e32 v5, v5, v8
	v_cmp_gt_i32_e64 s20, 0, v9
	v_ashrrev_i32_e32 v7, 31, v7
	s_wait_alu 0xfffd
	v_xor_b32_e32 v6, vcc_lo, v6
	v_add_nc_u32_e32 v28, v76, v4
	v_and_b32_e32 v5, v5, v10
	s_wait_alu 0xf1ff
	v_xor_b32_e32 v4, s20, v7
	ds_load_b32 v26, v28 offset:16
	v_and_b32_e32 v5, v5, v6
	; wave barrier
	s_delay_alu instid0(VALU_DEP_1) | instskip(NEXT) | instid1(VALU_DEP_1)
	v_and_b32_e32 v4, v5, v4
	v_mbcnt_lo_u32_b32 v27, v4, 0
	v_cmp_ne_u32_e64 s20, 0, v4
	s_delay_alu instid0(VALU_DEP_2)
	v_cmp_eq_u32_e32 vcc_lo, 0, v27
	s_and_b32 s27, s20, vcc_lo
	s_wait_alu 0xfffe
	s_and_saveexec_b32 s20, s27
	s_cbranch_execz .LBB182_79
; %bb.78:                               ;   in Loop: Header=BB182_67 Depth=1
	s_wait_dscnt 0x0
	v_bcnt_u32_b32 v4, v4, v26
	ds_store_b32 v28, v4 offset:16
.LBB182_79:                             ;   in Loop: Header=BB182_67 Depth=1
	s_wait_alu 0xfffe
	s_or_b32 exec_lo, exec_lo, s20
	v_cmp_ne_u64_e32 vcc_lo, s[24:25], v[38:39]
	; wave barrier
	s_wait_alu 0xfffd
	v_cndmask_b32_e32 v5, 0x7fffffff, v39, vcc_lo
	v_cndmask_b32_e32 v4, -1, v38, vcc_lo
	s_delay_alu instid0(VALU_DEP_1) | instskip(NEXT) | instid1(VALU_DEP_1)
	v_lshrrev_b64 v[4:5], v32, v[4:5]
	v_and_b32_e32 v4, s26, v4
	s_delay_alu instid0(VALU_DEP_1)
	v_and_b32_e32 v5, 1, v4
	v_lshlrev_b32_e32 v6, 30, v4
	v_lshlrev_b32_e32 v7, 29, v4
	;; [unrolled: 1-line block ×4, first 2 shown]
	v_add_co_u32 v5, s20, v5, -1
	s_wait_alu 0xf1ff
	v_cndmask_b32_e64 v9, 0, 1, s20
	v_not_b32_e32 v30, v6
	v_cmp_gt_i32_e64 s20, 0, v6
	v_not_b32_e32 v6, v7
	v_lshlrev_b32_e32 v11, 26, v4
	v_cmp_ne_u32_e32 vcc_lo, 0, v9
	v_ashrrev_i32_e32 v30, 31, v30
	v_lshlrev_b32_e32 v29, 25, v4
	v_ashrrev_i32_e32 v6, 31, v6
	v_lshlrev_b32_e32 v9, 24, v4
	s_wait_alu 0xfffd
	v_xor_b32_e32 v5, vcc_lo, v5
	v_cmp_gt_i32_e32 vcc_lo, 0, v7
	v_not_b32_e32 v7, v8
	s_wait_alu 0xf1ff
	v_xor_b32_e32 v30, s20, v30
	v_cmp_gt_i32_e64 s20, 0, v8
	v_and_b32_e32 v5, exec_lo, v5
	v_not_b32_e32 v8, v10
	v_ashrrev_i32_e32 v7, 31, v7
	s_wait_alu 0xfffd
	v_xor_b32_e32 v6, vcc_lo, v6
	v_cmp_gt_i32_e32 vcc_lo, 0, v10
	v_and_b32_e32 v5, v5, v30
	v_not_b32_e32 v10, v11
	v_ashrrev_i32_e32 v8, 31, v8
	s_wait_alu 0xf1ff
	v_xor_b32_e32 v7, s20, v7
	v_cmp_gt_i32_e64 s20, 0, v11
	v_and_b32_e32 v5, v5, v6
	v_not_b32_e32 v6, v29
	v_ashrrev_i32_e32 v10, 31, v10
	s_wait_alu 0xfffd
	v_xor_b32_e32 v8, vcc_lo, v8
	v_cmp_gt_i32_e32 vcc_lo, 0, v29
	v_and_b32_e32 v5, v5, v7
	v_not_b32_e32 v7, v9
	v_ashrrev_i32_e32 v6, 31, v6
	s_wait_alu 0xf1ff
	v_xor_b32_e32 v10, s20, v10
	v_lshlrev_b32_e32 v4, 4, v4
	v_and_b32_e32 v5, v5, v8
	v_cmp_gt_i32_e64 s20, 0, v9
	v_ashrrev_i32_e32 v7, 31, v7
	s_wait_alu 0xfffd
	v_xor_b32_e32 v6, vcc_lo, v6
	v_add_nc_u32_e32 v31, v76, v4
	v_and_b32_e32 v5, v5, v10
	s_wait_alu 0xf1ff
	v_xor_b32_e32 v4, s20, v7
	ds_load_b32 v29, v31 offset:16
	v_and_b32_e32 v5, v5, v6
	; wave barrier
	s_delay_alu instid0(VALU_DEP_1) | instskip(NEXT) | instid1(VALU_DEP_1)
	v_and_b32_e32 v4, v5, v4
	v_mbcnt_lo_u32_b32 v30, v4, 0
	v_cmp_ne_u32_e64 s20, 0, v4
	s_delay_alu instid0(VALU_DEP_2)
	v_cmp_eq_u32_e32 vcc_lo, 0, v30
	s_and_b32 s27, s20, vcc_lo
	s_wait_alu 0xfffe
	s_and_saveexec_b32 s20, s27
	s_cbranch_execz .LBB182_81
; %bb.80:                               ;   in Loop: Header=BB182_67 Depth=1
	s_wait_dscnt 0x0
	v_bcnt_u32_b32 v4, v4, v29
	ds_store_b32 v31, v4 offset:16
.LBB182_81:                             ;   in Loop: Header=BB182_67 Depth=1
	s_wait_alu 0xfffe
	s_or_b32 exec_lo, exec_lo, s20
	v_cmp_ne_u64_e32 vcc_lo, s[24:25], v[36:37]
	; wave barrier
	s_wait_alu 0xfffd
	v_cndmask_b32_e32 v5, 0x7fffffff, v37, vcc_lo
	v_cndmask_b32_e32 v4, -1, v36, vcc_lo
	s_delay_alu instid0(VALU_DEP_1) | instskip(NEXT) | instid1(VALU_DEP_1)
	v_lshrrev_b64 v[4:5], v32, v[4:5]
	v_and_b32_e32 v4, s26, v4
	s_delay_alu instid0(VALU_DEP_1)
	v_and_b32_e32 v5, 1, v4
	v_lshlrev_b32_e32 v6, 30, v4
	v_lshlrev_b32_e32 v7, 29, v4
	;; [unrolled: 1-line block ×4, first 2 shown]
	v_add_co_u32 v5, s20, v5, -1
	s_wait_alu 0xf1ff
	v_cndmask_b32_e64 v9, 0, 1, s20
	v_not_b32_e32 v49, v6
	v_cmp_gt_i32_e64 s20, 0, v6
	v_not_b32_e32 v6, v7
	v_lshlrev_b32_e32 v11, 26, v4
	v_cmp_ne_u32_e32 vcc_lo, 0, v9
	v_ashrrev_i32_e32 v49, 31, v49
	v_lshlrev_b32_e32 v48, 25, v4
	v_ashrrev_i32_e32 v6, 31, v6
	v_lshlrev_b32_e32 v9, 24, v4
	s_wait_alu 0xfffd
	v_xor_b32_e32 v5, vcc_lo, v5
	v_cmp_gt_i32_e32 vcc_lo, 0, v7
	v_not_b32_e32 v7, v8
	s_wait_alu 0xf1ff
	v_xor_b32_e32 v49, s20, v49
	v_cmp_gt_i32_e64 s20, 0, v8
	v_and_b32_e32 v5, exec_lo, v5
	v_not_b32_e32 v8, v10
	v_ashrrev_i32_e32 v7, 31, v7
	s_wait_alu 0xfffd
	v_xor_b32_e32 v6, vcc_lo, v6
	v_cmp_gt_i32_e32 vcc_lo, 0, v10
	v_and_b32_e32 v5, v5, v49
	v_not_b32_e32 v10, v11
	v_ashrrev_i32_e32 v8, 31, v8
	s_wait_alu 0xf1ff
	v_xor_b32_e32 v7, s20, v7
	v_cmp_gt_i32_e64 s20, 0, v11
	v_and_b32_e32 v5, v5, v6
	v_not_b32_e32 v6, v48
	v_ashrrev_i32_e32 v10, 31, v10
	s_wait_alu 0xfffd
	v_xor_b32_e32 v8, vcc_lo, v8
	v_cmp_gt_i32_e32 vcc_lo, 0, v48
	v_and_b32_e32 v5, v5, v7
	v_not_b32_e32 v7, v9
	v_ashrrev_i32_e32 v6, 31, v6
	s_wait_alu 0xf1ff
	v_xor_b32_e32 v10, s20, v10
	v_lshlrev_b32_e32 v4, 4, v4
	v_and_b32_e32 v5, v5, v8
	v_cmp_gt_i32_e64 s20, 0, v9
	v_ashrrev_i32_e32 v7, 31, v7
	s_wait_alu 0xfffd
	v_xor_b32_e32 v6, vcc_lo, v6
	v_add_nc_u32_e32 v50, v76, v4
	v_and_b32_e32 v5, v5, v10
	s_wait_alu 0xf1ff
	v_xor_b32_e32 v4, s20, v7
	ds_load_b32 v48, v50 offset:16
	v_and_b32_e32 v5, v5, v6
	; wave barrier
	s_delay_alu instid0(VALU_DEP_1) | instskip(NEXT) | instid1(VALU_DEP_1)
	v_and_b32_e32 v4, v5, v4
	v_mbcnt_lo_u32_b32 v49, v4, 0
	v_cmp_ne_u32_e64 s20, 0, v4
	s_delay_alu instid0(VALU_DEP_2)
	v_cmp_eq_u32_e32 vcc_lo, 0, v49
	s_and_b32 s26, s20, vcc_lo
	s_wait_alu 0xfffe
	s_and_saveexec_b32 s20, s26
	s_cbranch_execz .LBB182_83
; %bb.82:                               ;   in Loop: Header=BB182_67 Depth=1
	s_wait_dscnt 0x0
	v_bcnt_u32_b32 v4, v4, v48
	ds_store_b32 v50, v4 offset:16
.LBB182_83:                             ;   in Loop: Header=BB182_67 Depth=1
	s_wait_alu 0xfffe
	s_or_b32 exec_lo, exec_lo, s20
	; wave barrier
	s_wait_loadcnt_dscnt 0x0
	s_barrier_signal -1
	s_barrier_wait -1
	global_inv scope:SCOPE_SE
	ds_load_b128 v[8:11], v115 offset:16
	ds_load_b128 v[4:7], v115 offset:32
	s_wait_dscnt 0x1
	v_add_nc_u32_e32 v51, v9, v8
	s_delay_alu instid0(VALU_DEP_1) | instskip(SKIP_1) | instid1(VALU_DEP_1)
	v_add3_u32 v51, v51, v10, v11
	s_wait_dscnt 0x0
	v_add3_u32 v51, v51, v4, v5
	s_delay_alu instid0(VALU_DEP_1) | instskip(NEXT) | instid1(VALU_DEP_1)
	v_add3_u32 v7, v51, v6, v7
	v_mov_b32_dpp v51, v7 row_shr:1 row_mask:0xf bank_mask:0xf
	s_delay_alu instid0(VALU_DEP_1) | instskip(NEXT) | instid1(VALU_DEP_1)
	v_cndmask_b32_e64 v51, v51, 0, s8
	v_add_nc_u32_e32 v7, v51, v7
	s_delay_alu instid0(VALU_DEP_1) | instskip(NEXT) | instid1(VALU_DEP_1)
	v_mov_b32_dpp v51, v7 row_shr:2 row_mask:0xf bank_mask:0xf
	v_cndmask_b32_e64 v51, 0, v51, s9
	s_delay_alu instid0(VALU_DEP_1) | instskip(NEXT) | instid1(VALU_DEP_1)
	v_add_nc_u32_e32 v7, v7, v51
	v_mov_b32_dpp v51, v7 row_shr:4 row_mask:0xf bank_mask:0xf
	s_delay_alu instid0(VALU_DEP_1) | instskip(NEXT) | instid1(VALU_DEP_1)
	v_cndmask_b32_e64 v51, 0, v51, s11
	v_add_nc_u32_e32 v7, v7, v51
	s_delay_alu instid0(VALU_DEP_1) | instskip(NEXT) | instid1(VALU_DEP_1)
	v_mov_b32_dpp v51, v7 row_shr:8 row_mask:0xf bank_mask:0xf
	v_cndmask_b32_e64 v51, 0, v51, s12
	s_delay_alu instid0(VALU_DEP_1) | instskip(SKIP_3) | instid1(VALU_DEP_1)
	v_add_nc_u32_e32 v7, v7, v51
	ds_swizzle_b32 v51, v7 offset:swizzle(BROADCAST,32,15)
	s_wait_dscnt 0x0
	v_cndmask_b32_e64 v51, v51, 0, s13
	v_add_nc_u32_e32 v7, v7, v51
	s_and_saveexec_b32 s20, s14
; %bb.84:                               ;   in Loop: Header=BB182_67 Depth=1
	ds_store_b32 v116, v7
; %bb.85:                               ;   in Loop: Header=BB182_67 Depth=1
	s_wait_alu 0xfffe
	s_or_b32 exec_lo, exec_lo, s20
	s_wait_loadcnt_dscnt 0x0
	s_barrier_signal -1
	s_barrier_wait -1
	global_inv scope:SCOPE_SE
	s_and_saveexec_b32 s20, s15
	s_cbranch_execz .LBB182_87
; %bb.86:                               ;   in Loop: Header=BB182_67 Depth=1
	ds_load_b32 v51, v77
	s_wait_dscnt 0x0
	v_mov_b32_dpp v78, v51 row_shr:1 row_mask:0xf bank_mask:0xf
	s_delay_alu instid0(VALU_DEP_1) | instskip(NEXT) | instid1(VALU_DEP_1)
	v_cndmask_b32_e64 v78, v78, 0, s18
	v_add_nc_u32_e32 v51, v78, v51
	s_delay_alu instid0(VALU_DEP_1) | instskip(NEXT) | instid1(VALU_DEP_1)
	v_mov_b32_dpp v78, v51 row_shr:2 row_mask:0xf bank_mask:0xf
	v_cndmask_b32_e64 v78, 0, v78, s19
	s_delay_alu instid0(VALU_DEP_1)
	v_add_nc_u32_e32 v51, v51, v78
	ds_store_b32 v77, v51
.LBB182_87:                             ;   in Loop: Header=BB182_67 Depth=1
	s_wait_alu 0xfffe
	s_or_b32 exec_lo, exec_lo, s20
	v_mov_b32_e32 v51, 0
	s_wait_loadcnt_dscnt 0x0
	s_barrier_signal -1
	s_barrier_wait -1
	global_inv scope:SCOPE_SE
	s_and_saveexec_b32 s20, s16
; %bb.88:                               ;   in Loop: Header=BB182_67 Depth=1
	ds_load_b32 v51, v73
; %bb.89:                               ;   in Loop: Header=BB182_67 Depth=1
	s_wait_alu 0xfffe
	s_or_b32 exec_lo, exec_lo, s20
	s_wait_dscnt 0x0
	v_add_nc_u32_e32 v7, v51, v7
	v_cmp_lt_u32_e32 vcc_lo, 55, v32
	s_mov_b32 s20, -1
	ds_bpermute_b32 v7, v75, v7
	s_and_b32 vcc_lo, exec_lo, vcc_lo
	s_wait_dscnt 0x0
	v_cndmask_b32_e64 v7, v7, v51, s10
	s_delay_alu instid0(VALU_DEP_1) | instskip(NEXT) | instid1(VALU_DEP_1)
	v_cndmask_b32_e64 v7, v7, 0, s17
	v_add_nc_u32_e32 v8, v7, v8
	s_delay_alu instid0(VALU_DEP_1) | instskip(NEXT) | instid1(VALU_DEP_1)
	v_add_nc_u32_e32 v9, v8, v9
	v_add_nc_u32_e32 v10, v9, v10
	s_delay_alu instid0(VALU_DEP_1) | instskip(NEXT) | instid1(VALU_DEP_1)
	v_add_nc_u32_e32 v78, v10, v11
	;; [unrolled: 3-line block ×3, first 2 shown]
	v_add_nc_u32_e32 v81, v80, v6
	ds_store_b128 v115, v[7:10] offset:16
	ds_store_b128 v115, v[78:81] offset:32
	s_wait_loadcnt_dscnt 0x0
	s_barrier_signal -1
	s_barrier_wait -1
	global_inv scope:SCOPE_SE
	ds_load_b32 v4, v13 offset:16
	ds_load_b32 v5, v16 offset:16
	;; [unrolled: 1-line block ×8, first 2 shown]
	s_wait_dscnt 0x7
	v_add_nc_u32_e32 v85, v4, v12
	s_wait_dscnt 0x6
	v_add3_u32 v84, v15, v14, v5
	s_wait_dscnt 0x5
	v_add3_u32 v83, v18, v17, v6
	;; [unrolled: 2-line block ×7, first 2 shown]
                                        ; implicit-def: $vgpr50_vgpr51
                                        ; implicit-def: $vgpr14_vgpr15
                                        ; implicit-def: $vgpr10_vgpr11
                                        ; implicit-def: $vgpr6_vgpr7
                                        ; implicit-def: $vgpr30_vgpr31
                                        ; implicit-def: $vgpr26_vgpr27
                                        ; implicit-def: $vgpr22_vgpr23
                                        ; implicit-def: $vgpr18_vgpr19
	s_wait_alu 0xfffe
	s_cbranch_vccnz .LBB182_66
; %bb.90:                               ;   in Loop: Header=BB182_67 Depth=1
	v_lshlrev_b32_e32 v16, 3, v85
	v_lshlrev_b32_e32 v19, 3, v82
	;; [unrolled: 1-line block ×8, first 2 shown]
	s_wait_loadcnt 0x0
	s_barrier_signal -1
	s_barrier_wait -1
	global_inv scope:SCOPE_SE
	ds_store_b64 v16, v[34:35]
	ds_store_b64 v17, v[69:70]
	;; [unrolled: 1-line block ×8, first 2 shown]
	s_wait_loadcnt_dscnt 0x0
	s_barrier_signal -1
	s_barrier_wait -1
	global_inv scope:SCOPE_SE
	ds_load_2addr_b64 v[4:7], v74 offset1:32
	ds_load_2addr_b64 v[8:11], v74 offset0:64 offset1:96
	ds_load_2addr_b64 v[12:15], v74 offset0:128 offset1:160
	;; [unrolled: 1-line block ×3, first 2 shown]
	s_wait_loadcnt_dscnt 0x0
	s_barrier_signal -1
	s_barrier_wait -1
	global_inv scope:SCOPE_SE
	ds_store_b64 v16, v[60:61]
	ds_store_b64 v17, v[58:59]
	;; [unrolled: 1-line block ×8, first 2 shown]
	s_wait_loadcnt_dscnt 0x0
	s_barrier_signal -1
	s_barrier_wait -1
	global_inv scope:SCOPE_SE
	ds_load_2addr_b64 v[16:19], v74 offset1:32
	ds_load_2addr_b64 v[20:23], v74 offset0:64 offset1:96
	ds_load_2addr_b64 v[24:27], v74 offset0:128 offset1:160
	;; [unrolled: 1-line block ×3, first 2 shown]
	v_add_co_u32 v32, vcc_lo, v32, 8
	s_wait_alu 0xfffd
	v_add_co_ci_u32_e64 v33, null, 0, v33, vcc_lo
	s_add_co_i32 s23, s23, -8
	s_mov_b32 s20, 0
	s_wait_loadcnt_dscnt 0x0
	s_barrier_signal -1
	s_barrier_wait -1
	global_inv scope:SCOPE_SE
	s_branch .LBB182_66
.LBB182_91:
	v_lshlrev_b32_e32 v16, 3, v85
	v_lshlrev_b32_e32 v19, 3, v82
	;; [unrolled: 1-line block ×9, first 2 shown]
	s_wait_loadcnt 0x0
	s_barrier_signal -1
	s_barrier_wait -1
	global_inv scope:SCOPE_SE
	ds_store_b64 v16, v[34:35]
	ds_store_b64 v17, v[69:70]
	;; [unrolled: 1-line block ×8, first 2 shown]
	s_wait_loadcnt_dscnt 0x0
	s_barrier_signal -1
	s_barrier_wait -1
	global_inv scope:SCOPE_SE
	ds_load_b128 v[0:3], v24
	ds_load_b128 v[4:7], v24 offset:16
	ds_load_b128 v[8:11], v24 offset:32
	ds_load_b128 v[12:15], v24 offset:48
	s_wait_loadcnt_dscnt 0x0
	s_barrier_signal -1
	s_barrier_wait -1
	global_inv scope:SCOPE_SE
	ds_store_b64 v16, v[60:61]
	ds_store_b64 v17, v[58:59]
	;; [unrolled: 1-line block ×8, first 2 shown]
	s_wait_loadcnt_dscnt 0x0
	s_barrier_signal -1
	s_barrier_wait -1
	global_inv scope:SCOPE_SE
	ds_load_b128 v[52:55], v24
	ds_load_b128 v[48:51], v24 offset:16
	ds_load_b128 v[60:63], v24 offset:32
	;; [unrolled: 1-line block ×3, first 2 shown]
	v_cmp_gt_i64_e32 vcc_lo, 0, v[0:1]
	v_ashrrev_i32_e32 v18, 31, v3
	v_ashrrev_i32_e32 v16, 31, v1
	s_wait_alu 0xfffd
	v_cndmask_b32_e64 v17, 0x7fffffff, 0, vcc_lo
	v_cmp_gt_i64_e32 vcc_lo, 0, v[2:3]
	v_not_b32_e32 v18, v18
	v_not_b32_e32 v16, v16
	s_delay_alu instid0(VALU_DEP_4)
	v_xor_b32_e32 v1, v17, v1
	v_ashrrev_i32_e32 v17, 31, v7
	s_wait_alu 0xfffd
	v_cndmask_b32_e64 v19, 0x7fffffff, 0, vcc_lo
	v_cmp_gt_i64_e32 vcc_lo, 0, v[4:5]
	v_xor_b32_e32 v2, v18, v2
	v_xor_b32_e32 v0, v16, v0
	v_ashrrev_i32_e32 v16, 31, v5
	v_xor_b32_e32 v3, v19, v3
	v_not_b32_e32 v17, v17
	s_wait_alu 0xfffd
	v_cndmask_b32_e64 v18, 0x7fffffff, 0, vcc_lo
	v_cmp_gt_i64_e32 vcc_lo, 0, v[6:7]
	v_not_b32_e32 v16, v16
	v_xor_b32_e32 v6, v17, v6
	s_delay_alu instid0(VALU_DEP_4)
	v_xor_b32_e32 v5, v18, v5
	v_ashrrev_i32_e32 v18, 31, v11
	s_wait_alu 0xfffd
	v_cndmask_b32_e64 v19, 0x7fffffff, 0, vcc_lo
	v_cmp_gt_i64_e32 vcc_lo, 0, v[8:9]
	v_xor_b32_e32 v4, v16, v4
	v_ashrrev_i32_e32 v16, 31, v9
	s_delay_alu instid0(VALU_DEP_4) | instskip(SKIP_4) | instid1(VALU_DEP_3)
	v_xor_b32_e32 v7, v19, v7
	s_wait_alu 0xfffd
	v_cndmask_b32_e64 v17, 0x7fffffff, 0, vcc_lo
	v_cmp_gt_i64_e32 vcc_lo, 0, v[10:11]
	v_not_b32_e32 v16, v16
	v_xor_b32_e32 v9, v17, v9
	v_ashrrev_i32_e32 v17, 31, v13
	s_wait_alu 0xfffd
	v_cndmask_b32_e64 v19, 0x7fffffff, 0, vcc_lo
	v_cmp_gt_i64_e32 vcc_lo, 0, v[12:13]
	v_xor_b32_e32 v8, v16, v8
	v_not_b32_e32 v16, v18
	v_ashrrev_i32_e32 v18, 31, v15
	v_xor_b32_e32 v11, v19, v11
	v_not_b32_e32 v17, v17
	s_wait_alu 0xfffd
	v_cndmask_b32_e64 v19, 0x7fffffff, 0, vcc_lo
	v_cmp_gt_i64_e32 vcc_lo, 0, v[14:15]
	v_not_b32_e32 v18, v18
	v_xor_b32_e32 v10, v16, v10
	v_xor_b32_e32 v12, v17, v12
	;; [unrolled: 1-line block ×3, first 2 shown]
	s_wait_alu 0xfffd
	v_cndmask_b32_e64 v20, 0x7fffffff, 0, vcc_lo
	v_xor_b32_e32 v14, v18, v14
	s_delay_alu instid0(VALU_DEP_2)
	v_xor_b32_e32 v15, v20, v15
.LBB182_92:
	s_wait_loadcnt_dscnt 0x0
	s_barrier_signal -1
	s_barrier_wait -1
	global_inv scope:SCOPE_SE
	ds_store_2addr_b64 v114, v[0:1], v[2:3] offset1:1
	ds_store_2addr_b64 v114, v[4:5], v[6:7] offset0:2 offset1:3
	ds_store_2addr_b64 v114, v[8:9], v[10:11] offset0:4 offset1:5
	;; [unrolled: 1-line block ×3, first 2 shown]
	s_wait_loadcnt_dscnt 0x0
	s_barrier_signal -1
	s_barrier_wait -1
	global_inv scope:SCOPE_SE
	ds_load_b64 v[14:15], v107 offset:1024
	ds_load_b64 v[12:13], v108 offset:2048
	;; [unrolled: 1-line block ×7, first 2 shown]
	v_mov_b32_e32 v72, 0
	s_delay_alu instid0(VALU_DEP_1) | instskip(NEXT) | instid1(VALU_DEP_1)
	v_lshlrev_b64_e32 v[2:3], 3, v[71:72]
	v_add_co_u32 v2, vcc_lo, s30, v2
	s_wait_alu 0xfffd
	s_delay_alu instid0(VALU_DEP_2)
	v_add_co_ci_u32_e64 v3, null, s31, v3, vcc_lo
	s_and_saveexec_b32 s8, s0
	s_cbranch_execnz .LBB182_111
; %bb.93:
	s_wait_alu 0xfffe
	s_or_b32 exec_lo, exec_lo, s8
	s_and_saveexec_b32 s8, s1
	s_cbranch_execnz .LBB182_112
.LBB182_94:
	s_wait_alu 0xfffe
	s_or_b32 exec_lo, exec_lo, s8
	s_and_saveexec_b32 s8, s2
	s_cbranch_execnz .LBB182_113
.LBB182_95:
	s_wait_alu 0xfffe
	s_or_b32 exec_lo, exec_lo, s8
	s_and_saveexec_b32 s8, s3
	s_cbranch_execnz .LBB182_114
.LBB182_96:
	s_wait_alu 0xfffe
	s_or_b32 exec_lo, exec_lo, s8
	s_and_saveexec_b32 s8, s4
	s_cbranch_execnz .LBB182_115
.LBB182_97:
	s_wait_alu 0xfffe
	s_or_b32 exec_lo, exec_lo, s8
	s_and_saveexec_b32 s8, s5
	s_cbranch_execnz .LBB182_116
.LBB182_98:
	s_wait_alu 0xfffe
	s_or_b32 exec_lo, exec_lo, s8
	s_and_saveexec_b32 s8, s6
	s_cbranch_execnz .LBB182_117
.LBB182_99:
	s_wait_alu 0xfffe
	s_or_b32 exec_lo, exec_lo, s8
	s_and_saveexec_b32 s8, s7
	s_cbranch_execz .LBB182_101
.LBB182_100:
	s_mul_i32 s10, s22, 0x380
	s_mov_b32 s11, 0
	s_wait_alu 0xfffe
	s_lshl_b64 s[10:11], s[10:11], 3
	s_wait_alu 0xfffe
	v_add_co_u32 v2, vcc_lo, v2, s10
	s_wait_alu 0xfffd
	v_add_co_ci_u32_e64 v3, null, s11, v3, vcc_lo
	s_wait_dscnt 0x0
	global_store_b64 v[2:3], v[0:1], off
.LBB182_101:
	s_wait_alu 0xfffe
	s_or_b32 exec_lo, exec_lo, s8
	s_wait_storecnt 0x0
	s_wait_loadcnt_dscnt 0x0
	s_barrier_signal -1
	s_barrier_wait -1
	global_inv scope:SCOPE_SE
	ds_store_2addr_b64 v114, v[52:53], v[54:55] offset1:1
	ds_store_2addr_b64 v114, v[48:49], v[50:51] offset0:2 offset1:3
	ds_store_2addr_b64 v114, v[60:61], v[62:63] offset0:4 offset1:5
	;; [unrolled: 1-line block ×3, first 2 shown]
	s_wait_loadcnt_dscnt 0x0
	s_barrier_signal -1
	s_barrier_wait -1
	global_inv scope:SCOPE_SE
	ds_load_b64 v[14:15], v107 offset:1024
	ds_load_b64 v[12:13], v108 offset:2048
	;; [unrolled: 1-line block ×7, first 2 shown]
	v_mov_b32_e32 v69, 0
	s_delay_alu instid0(VALU_DEP_1) | instskip(NEXT) | instid1(VALU_DEP_1)
	v_lshlrev_b64_e32 v[2:3], 3, v[68:69]
	v_add_co_u32 v2, vcc_lo, s34, v2
	s_wait_alu 0xfffd
	s_delay_alu instid0(VALU_DEP_2)
	v_add_co_ci_u32_e64 v3, null, s35, v3, vcc_lo
	s_and_saveexec_b32 s8, s0
	s_cbranch_execnz .LBB182_118
; %bb.102:
	s_wait_alu 0xfffe
	s_or_b32 exec_lo, exec_lo, s8
	s_and_saveexec_b32 s0, s1
	s_cbranch_execnz .LBB182_119
.LBB182_103:
	s_or_b32 exec_lo, exec_lo, s0
	s_and_saveexec_b32 s0, s2
	s_cbranch_execnz .LBB182_120
.LBB182_104:
	s_or_b32 exec_lo, exec_lo, s0
	s_and_saveexec_b32 s0, s3
	s_cbranch_execnz .LBB182_121
.LBB182_105:
	s_or_b32 exec_lo, exec_lo, s0
	s_and_saveexec_b32 s0, s4
	s_cbranch_execnz .LBB182_122
.LBB182_106:
	s_or_b32 exec_lo, exec_lo, s0
	s_and_saveexec_b32 s0, s5
	s_cbranch_execnz .LBB182_123
.LBB182_107:
	s_or_b32 exec_lo, exec_lo, s0
	s_and_saveexec_b32 s0, s6
	s_cbranch_execnz .LBB182_124
.LBB182_108:
	s_or_b32 exec_lo, exec_lo, s0
	s_and_saveexec_b32 s0, s7
	s_cbranch_execz .LBB182_110
.LBB182_109:
	s_mul_i32 s0, s28, 0x380
	s_mov_b32 s1, 0
	s_delay_alu instid0(SALU_CYCLE_1) | instskip(NEXT) | instid1(SALU_CYCLE_1)
	s_lshl_b64 s[0:1], s[0:1], 3
	v_add_co_u32 v2, vcc_lo, v2, s0
	s_wait_alu 0xfffd
	v_add_co_ci_u32_e64 v3, null, s1, v3, vcc_lo
	s_wait_dscnt 0x0
	global_store_b64 v[2:3], v[0:1], off
.LBB182_110:
	s_nop 0
	s_sendmsg sendmsg(MSG_DEALLOC_VGPRS)
	s_endpgm
.LBB182_111:
	ds_load_b64 v[16:17], v106
	s_wait_dscnt 0x0
	global_store_b64 v[2:3], v[16:17], off
	s_wait_alu 0xfffe
	s_or_b32 exec_lo, exec_lo, s8
	s_and_saveexec_b32 s8, s1
	s_cbranch_execz .LBB182_94
.LBB182_112:
	s_lshl_b32 s10, s22, 7
	s_mov_b32 s11, 0
	s_wait_alu 0xfffe
	s_lshl_b64 s[10:11], s[10:11], 3
	s_wait_alu 0xfffe
	v_add_co_u32 v16, vcc_lo, v2, s10
	s_wait_alu 0xfffd
	v_add_co_ci_u32_e64 v17, null, s11, v3, vcc_lo
	s_wait_dscnt 0x6
	global_store_b64 v[16:17], v[14:15], off
	s_or_b32 exec_lo, exec_lo, s8
	s_and_saveexec_b32 s8, s2
	s_cbranch_execz .LBB182_95
.LBB182_113:
	s_lshl_b32 s10, s22, 8
	s_mov_b32 s11, 0
	s_wait_alu 0xfffe
	s_lshl_b64 s[10:11], s[10:11], 3
	s_wait_dscnt 0x6
	s_wait_alu 0xfffe
	v_add_co_u32 v14, vcc_lo, v2, s10
	s_wait_alu 0xfffd
	v_add_co_ci_u32_e64 v15, null, s11, v3, vcc_lo
	s_wait_dscnt 0x5
	global_store_b64 v[14:15], v[12:13], off
	s_or_b32 exec_lo, exec_lo, s8
	s_and_saveexec_b32 s8, s3
	s_cbranch_execz .LBB182_96
.LBB182_114:
	s_mul_i32 s10, s22, 0x180
	s_mov_b32 s11, 0
	s_wait_alu 0xfffe
	s_lshl_b64 s[10:11], s[10:11], 3
	s_wait_dscnt 0x5
	s_wait_alu 0xfffe
	v_add_co_u32 v12, vcc_lo, v2, s10
	s_wait_alu 0xfffd
	v_add_co_ci_u32_e64 v13, null, s11, v3, vcc_lo
	s_wait_dscnt 0x4
	global_store_b64 v[12:13], v[10:11], off
	s_or_b32 exec_lo, exec_lo, s8
	s_and_saveexec_b32 s8, s4
	s_cbranch_execz .LBB182_97
.LBB182_115:
	s_lshl_b32 s10, s22, 9
	s_mov_b32 s11, 0
	s_wait_alu 0xfffe
	s_lshl_b64 s[10:11], s[10:11], 3
	s_wait_dscnt 0x4
	s_wait_alu 0xfffe
	v_add_co_u32 v10, vcc_lo, v2, s10
	s_wait_alu 0xfffd
	v_add_co_ci_u32_e64 v11, null, s11, v3, vcc_lo
	s_wait_dscnt 0x3
	global_store_b64 v[10:11], v[8:9], off
	s_or_b32 exec_lo, exec_lo, s8
	s_and_saveexec_b32 s8, s5
	s_cbranch_execz .LBB182_98
.LBB182_116:
	s_mul_i32 s10, s22, 0x280
	s_mov_b32 s11, 0
	s_wait_alu 0xfffe
	s_lshl_b64 s[10:11], s[10:11], 3
	s_wait_dscnt 0x3
	s_wait_alu 0xfffe
	v_add_co_u32 v8, vcc_lo, v2, s10
	s_wait_alu 0xfffd
	v_add_co_ci_u32_e64 v9, null, s11, v3, vcc_lo
	s_wait_dscnt 0x2
	global_store_b64 v[8:9], v[6:7], off
	s_or_b32 exec_lo, exec_lo, s8
	s_and_saveexec_b32 s8, s6
	s_cbranch_execz .LBB182_99
.LBB182_117:
	s_mul_i32 s10, s22, 0x300
	s_mov_b32 s11, 0
	s_wait_alu 0xfffe
	s_lshl_b64 s[10:11], s[10:11], 3
	s_wait_dscnt 0x2
	s_wait_alu 0xfffe
	v_add_co_u32 v6, vcc_lo, v2, s10
	s_wait_alu 0xfffd
	v_add_co_ci_u32_e64 v7, null, s11, v3, vcc_lo
	s_wait_dscnt 0x1
	global_store_b64 v[6:7], v[4:5], off
	s_or_b32 exec_lo, exec_lo, s8
	s_and_saveexec_b32 s8, s7
	s_cbranch_execnz .LBB182_100
	s_branch .LBB182_101
.LBB182_118:
	ds_load_b64 v[16:17], v106
	s_wait_dscnt 0x0
	global_store_b64 v[2:3], v[16:17], off
	s_wait_alu 0xfffe
	s_or_b32 exec_lo, exec_lo, s8
	s_and_saveexec_b32 s0, s1
	s_cbranch_execz .LBB182_103
.LBB182_119:
	s_lshl_b32 s8, s28, 7
	s_mov_b32 s9, 0
	s_wait_alu 0xfffe
	s_lshl_b64 s[8:9], s[8:9], 3
	s_wait_alu 0xfffe
	v_add_co_u32 v16, vcc_lo, v2, s8
	s_wait_alu 0xfffd
	v_add_co_ci_u32_e64 v17, null, s9, v3, vcc_lo
	s_wait_dscnt 0x6
	global_store_b64 v[16:17], v[14:15], off
	s_or_b32 exec_lo, exec_lo, s0
	s_and_saveexec_b32 s0, s2
	s_cbranch_execz .LBB182_104
.LBB182_120:
	s_lshl_b32 s8, s28, 8
	s_mov_b32 s9, 0
	s_wait_alu 0xfffe
	s_lshl_b64 s[8:9], s[8:9], 3
	s_wait_dscnt 0x6
	s_wait_alu 0xfffe
	v_add_co_u32 v14, vcc_lo, v2, s8
	s_wait_alu 0xfffd
	v_add_co_ci_u32_e64 v15, null, s9, v3, vcc_lo
	s_wait_dscnt 0x5
	global_store_b64 v[14:15], v[12:13], off
	s_or_b32 exec_lo, exec_lo, s0
	s_and_saveexec_b32 s0, s3
	s_cbranch_execz .LBB182_105
.LBB182_121:
	s_mul_i32 s2, s28, 0x180
	s_mov_b32 s3, 0
	s_delay_alu instid0(SALU_CYCLE_1)
	s_lshl_b64 s[2:3], s[2:3], 3
	s_wait_dscnt 0x5
	v_add_co_u32 v12, vcc_lo, v2, s2
	s_wait_alu 0xfffd
	v_add_co_ci_u32_e64 v13, null, s3, v3, vcc_lo
	s_wait_dscnt 0x4
	global_store_b64 v[12:13], v[10:11], off
	s_or_b32 exec_lo, exec_lo, s0
	s_and_saveexec_b32 s0, s4
	s_cbranch_execz .LBB182_106
.LBB182_122:
	s_lshl_b32 s2, s28, 9
	s_mov_b32 s3, 0
	s_wait_alu 0xfffe
	s_lshl_b64 s[2:3], s[2:3], 3
	s_wait_dscnt 0x4
	s_wait_alu 0xfffe
	v_add_co_u32 v10, vcc_lo, v2, s2
	s_wait_alu 0xfffd
	v_add_co_ci_u32_e64 v11, null, s3, v3, vcc_lo
	s_wait_dscnt 0x3
	global_store_b64 v[10:11], v[8:9], off
	s_or_b32 exec_lo, exec_lo, s0
	s_and_saveexec_b32 s0, s5
	s_cbranch_execz .LBB182_107
.LBB182_123:
	s_mul_i32 s2, s28, 0x280
	s_mov_b32 s3, 0
	s_wait_alu 0xfffe
	s_lshl_b64 s[2:3], s[2:3], 3
	s_wait_dscnt 0x3
	s_wait_alu 0xfffe
	v_add_co_u32 v8, vcc_lo, v2, s2
	s_wait_alu 0xfffd
	v_add_co_ci_u32_e64 v9, null, s3, v3, vcc_lo
	s_wait_dscnt 0x2
	global_store_b64 v[8:9], v[6:7], off
	s_or_b32 exec_lo, exec_lo, s0
	s_and_saveexec_b32 s0, s6
	s_cbranch_execz .LBB182_108
.LBB182_124:
	s_mul_i32 s2, s28, 0x300
	s_mov_b32 s3, 0
	s_wait_alu 0xfffe
	s_lshl_b64 s[2:3], s[2:3], 3
	s_wait_dscnt 0x2
	s_wait_alu 0xfffe
	v_add_co_u32 v6, vcc_lo, v2, s2
	s_wait_alu 0xfffd
	v_add_co_ci_u32_e64 v7, null, s3, v3, vcc_lo
	s_wait_dscnt 0x1
	global_store_b64 v[6:7], v[4:5], off
	s_or_b32 exec_lo, exec_lo, s0
	s_and_saveexec_b32 s0, s7
	s_cbranch_execnz .LBB182_109
	s_branch .LBB182_110
	.section	.rodata,"a",@progbits
	.p2align	6, 0x0
	.amdhsa_kernel _ZN2at6native18radixSortKVInPlaceILin2ELin1ELi128ELi8EdljEEvNS_4cuda6detail10TensorInfoIT3_T5_EES6_S6_S6_NS4_IT4_S6_EES6_b
		.amdhsa_group_segment_fixed_size 8448
		.amdhsa_private_segment_fixed_size 0
		.amdhsa_kernarg_size 712
		.amdhsa_user_sgpr_count 2
		.amdhsa_user_sgpr_dispatch_ptr 0
		.amdhsa_user_sgpr_queue_ptr 0
		.amdhsa_user_sgpr_kernarg_segment_ptr 1
		.amdhsa_user_sgpr_dispatch_id 0
		.amdhsa_user_sgpr_private_segment_size 0
		.amdhsa_wavefront_size32 1
		.amdhsa_uses_dynamic_stack 0
		.amdhsa_enable_private_segment 0
		.amdhsa_system_sgpr_workgroup_id_x 1
		.amdhsa_system_sgpr_workgroup_id_y 1
		.amdhsa_system_sgpr_workgroup_id_z 1
		.amdhsa_system_sgpr_workgroup_info 0
		.amdhsa_system_vgpr_workitem_id 2
		.amdhsa_next_free_vgpr 143
		.amdhsa_next_free_sgpr 40
		.amdhsa_reserve_vcc 1
		.amdhsa_float_round_mode_32 0
		.amdhsa_float_round_mode_16_64 0
		.amdhsa_float_denorm_mode_32 3
		.amdhsa_float_denorm_mode_16_64 3
		.amdhsa_fp16_overflow 0
		.amdhsa_workgroup_processor_mode 1
		.amdhsa_memory_ordered 1
		.amdhsa_forward_progress 1
		.amdhsa_inst_pref_size 123
		.amdhsa_round_robin_scheduling 0
		.amdhsa_exception_fp_ieee_invalid_op 0
		.amdhsa_exception_fp_denorm_src 0
		.amdhsa_exception_fp_ieee_div_zero 0
		.amdhsa_exception_fp_ieee_overflow 0
		.amdhsa_exception_fp_ieee_underflow 0
		.amdhsa_exception_fp_ieee_inexact 0
		.amdhsa_exception_int_div_zero 0
	.end_amdhsa_kernel
	.section	.text._ZN2at6native18radixSortKVInPlaceILin2ELin1ELi128ELi8EdljEEvNS_4cuda6detail10TensorInfoIT3_T5_EES6_S6_S6_NS4_IT4_S6_EES6_b,"axG",@progbits,_ZN2at6native18radixSortKVInPlaceILin2ELin1ELi128ELi8EdljEEvNS_4cuda6detail10TensorInfoIT3_T5_EES6_S6_S6_NS4_IT4_S6_EES6_b,comdat
.Lfunc_end182:
	.size	_ZN2at6native18radixSortKVInPlaceILin2ELin1ELi128ELi8EdljEEvNS_4cuda6detail10TensorInfoIT3_T5_EES6_S6_S6_NS4_IT4_S6_EES6_b, .Lfunc_end182-_ZN2at6native18radixSortKVInPlaceILin2ELin1ELi128ELi8EdljEEvNS_4cuda6detail10TensorInfoIT3_T5_EES6_S6_S6_NS4_IT4_S6_EES6_b
                                        ; -- End function
	.set _ZN2at6native18radixSortKVInPlaceILin2ELin1ELi128ELi8EdljEEvNS_4cuda6detail10TensorInfoIT3_T5_EES6_S6_S6_NS4_IT4_S6_EES6_b.num_vgpr, 143
	.set _ZN2at6native18radixSortKVInPlaceILin2ELin1ELi128ELi8EdljEEvNS_4cuda6detail10TensorInfoIT3_T5_EES6_S6_S6_NS4_IT4_S6_EES6_b.num_agpr, 0
	.set _ZN2at6native18radixSortKVInPlaceILin2ELin1ELi128ELi8EdljEEvNS_4cuda6detail10TensorInfoIT3_T5_EES6_S6_S6_NS4_IT4_S6_EES6_b.numbered_sgpr, 40
	.set _ZN2at6native18radixSortKVInPlaceILin2ELin1ELi128ELi8EdljEEvNS_4cuda6detail10TensorInfoIT3_T5_EES6_S6_S6_NS4_IT4_S6_EES6_b.num_named_barrier, 0
	.set _ZN2at6native18radixSortKVInPlaceILin2ELin1ELi128ELi8EdljEEvNS_4cuda6detail10TensorInfoIT3_T5_EES6_S6_S6_NS4_IT4_S6_EES6_b.private_seg_size, 0
	.set _ZN2at6native18radixSortKVInPlaceILin2ELin1ELi128ELi8EdljEEvNS_4cuda6detail10TensorInfoIT3_T5_EES6_S6_S6_NS4_IT4_S6_EES6_b.uses_vcc, 1
	.set _ZN2at6native18radixSortKVInPlaceILin2ELin1ELi128ELi8EdljEEvNS_4cuda6detail10TensorInfoIT3_T5_EES6_S6_S6_NS4_IT4_S6_EES6_b.uses_flat_scratch, 0
	.set _ZN2at6native18radixSortKVInPlaceILin2ELin1ELi128ELi8EdljEEvNS_4cuda6detail10TensorInfoIT3_T5_EES6_S6_S6_NS4_IT4_S6_EES6_b.has_dyn_sized_stack, 0
	.set _ZN2at6native18radixSortKVInPlaceILin2ELin1ELi128ELi8EdljEEvNS_4cuda6detail10TensorInfoIT3_T5_EES6_S6_S6_NS4_IT4_S6_EES6_b.has_recursion, 0
	.set _ZN2at6native18radixSortKVInPlaceILin2ELin1ELi128ELi8EdljEEvNS_4cuda6detail10TensorInfoIT3_T5_EES6_S6_S6_NS4_IT4_S6_EES6_b.has_indirect_call, 0
	.section	.AMDGPU.csdata,"",@progbits
; Kernel info:
; codeLenInByte = 15688
; TotalNumSgprs: 42
; NumVgprs: 143
; ScratchSize: 0
; MemoryBound: 0
; FloatMode: 240
; IeeeMode: 1
; LDSByteSize: 8448 bytes/workgroup (compile time only)
; SGPRBlocks: 0
; VGPRBlocks: 17
; NumSGPRsForWavesPerEU: 42
; NumVGPRsForWavesPerEU: 143
; Occupancy: 10
; WaveLimiterHint : 1
; COMPUTE_PGM_RSRC2:SCRATCH_EN: 0
; COMPUTE_PGM_RSRC2:USER_SGPR: 2
; COMPUTE_PGM_RSRC2:TRAP_HANDLER: 0
; COMPUTE_PGM_RSRC2:TGID_X_EN: 1
; COMPUTE_PGM_RSRC2:TGID_Y_EN: 1
; COMPUTE_PGM_RSRC2:TGID_Z_EN: 1
; COMPUTE_PGM_RSRC2:TIDIG_COMP_CNT: 2
	.section	.text._ZN2at6native18radixSortKVInPlaceILin2ELin1ELi32ELi4EdljEEvNS_4cuda6detail10TensorInfoIT3_T5_EES6_S6_S6_NS4_IT4_S6_EES6_b,"axG",@progbits,_ZN2at6native18radixSortKVInPlaceILin2ELin1ELi32ELi4EdljEEvNS_4cuda6detail10TensorInfoIT3_T5_EES6_S6_S6_NS4_IT4_S6_EES6_b,comdat
	.protected	_ZN2at6native18radixSortKVInPlaceILin2ELin1ELi32ELi4EdljEEvNS_4cuda6detail10TensorInfoIT3_T5_EES6_S6_S6_NS4_IT4_S6_EES6_b ; -- Begin function _ZN2at6native18radixSortKVInPlaceILin2ELin1ELi32ELi4EdljEEvNS_4cuda6detail10TensorInfoIT3_T5_EES6_S6_S6_NS4_IT4_S6_EES6_b
	.globl	_ZN2at6native18radixSortKVInPlaceILin2ELin1ELi32ELi4EdljEEvNS_4cuda6detail10TensorInfoIT3_T5_EES6_S6_S6_NS4_IT4_S6_EES6_b
	.p2align	8
	.type	_ZN2at6native18radixSortKVInPlaceILin2ELin1ELi32ELi4EdljEEvNS_4cuda6detail10TensorInfoIT3_T5_EES6_S6_S6_NS4_IT4_S6_EES6_b,@function
_ZN2at6native18radixSortKVInPlaceILin2ELin1ELi32ELi4EdljEEvNS_4cuda6detail10TensorInfoIT3_T5_EES6_S6_S6_NS4_IT4_S6_EES6_b: ; @_ZN2at6native18radixSortKVInPlaceILin2ELin1ELi32ELi4EdljEEvNS_4cuda6detail10TensorInfoIT3_T5_EES6_S6_S6_NS4_IT4_S6_EES6_b
; %bb.0:
	s_clause 0x1
	s_load_b64 s[2:3], s[0:1], 0x1c8
	s_load_b96 s[12:14], s[0:1], 0xd8
	s_lshr_b32 s4, ttmp7, 16
	s_wait_kmcnt 0x0
	s_mul_i32 s3, s3, s4
	s_and_b32 s4, ttmp7, 0xffff
	s_delay_alu instid0(SALU_CYCLE_1) | instskip(NEXT) | instid1(SALU_CYCLE_1)
	s_add_co_i32 s3, s3, s4
	s_mul_i32 s4, s3, s2
	s_delay_alu instid0(SALU_CYCLE_1) | instskip(NEXT) | instid1(SALU_CYCLE_1)
	s_add_co_i32 s4, s4, ttmp9
	s_cmp_ge_u32 s4, s12
	s_cbranch_scc1 .LBB183_62
; %bb.1:
	s_load_b32 s2, s[0:1], 0x1b8
	s_add_nc_u64 s[24:25], s[0:1], 0xe8
	s_mov_b32 s23, 0
	s_mov_b32 s12, s4
	s_wait_kmcnt 0x0
	s_cmp_lt_i32 s2, 2
	s_cbranch_scc1 .LBB183_4
; %bb.2:
	s_add_co_i32 s22, s2, -1
	s_add_co_i32 s5, s2, 1
	s_lshl_b64 s[6:7], s[22:23], 2
	s_mov_b32 s12, s4
	s_add_nc_u64 s[6:7], s[24:25], s[6:7]
	s_delay_alu instid0(SALU_CYCLE_1)
	s_add_nc_u64 s[2:3], s[6:7], 8
.LBB183_3:                              ; =>This Inner Loop Header: Depth=1
	s_clause 0x1
	s_load_b32 s6, s[2:3], 0x0
	s_load_b32 s7, s[2:3], 0x64
	s_mov_b32 s10, s12
	s_add_nc_u64 s[2:3], s[2:3], -4
	s_wait_kmcnt 0x0
	s_cvt_f32_u32 s8, s6
	s_sub_co_i32 s9, 0, s6
	s_wait_alu 0xfffe
	s_delay_alu instid0(SALU_CYCLE_1) | instskip(NEXT) | instid1(TRANS32_DEP_1)
	v_rcp_iflag_f32_e32 v1, s8
	v_readfirstlane_b32 s8, v1
	s_mul_f32 s8, s8, 0x4f7ffffe
	s_wait_alu 0xfffe
	s_delay_alu instid0(SALU_CYCLE_2) | instskip(SKIP_1) | instid1(SALU_CYCLE_2)
	s_cvt_u32_f32 s8, s8
	s_wait_alu 0xfffe
	s_mul_i32 s9, s9, s8
	s_wait_alu 0xfffe
	s_mul_hi_u32 s9, s8, s9
	s_wait_alu 0xfffe
	s_add_co_i32 s8, s8, s9
	s_wait_alu 0xfffe
	s_mul_hi_u32 s8, s12, s8
	s_wait_alu 0xfffe
	s_mul_i32 s9, s8, s6
	s_add_co_i32 s11, s8, 1
	s_wait_alu 0xfffe
	s_sub_co_i32 s9, s12, s9
	s_wait_alu 0xfffe
	s_sub_co_i32 s12, s9, s6
	s_cmp_ge_u32 s9, s6
	s_cselect_b32 s8, s11, s8
	s_cselect_b32 s9, s12, s9
	s_wait_alu 0xfffe
	s_add_co_i32 s11, s8, 1
	s_cmp_ge_u32 s9, s6
	s_cselect_b32 s12, s11, s8
	s_add_co_i32 s5, s5, -1
	s_mul_i32 s6, s12, s6
	s_delay_alu instid0(SALU_CYCLE_1) | instskip(NEXT) | instid1(SALU_CYCLE_1)
	s_sub_co_i32 s6, s10, s6
	s_mul_i32 s6, s7, s6
	s_delay_alu instid0(SALU_CYCLE_1)
	s_add_co_i32 s23, s6, s23
	s_cmp_gt_u32 s5, 2
	s_cbranch_scc1 .LBB183_3
.LBB183_4:
	s_clause 0x2
	s_load_b64 s[16:17], s[0:1], 0x1c0
	s_load_b64 s[2:3], s[0:1], 0x0
	s_load_b32 s5, s[0:1], 0x6c
	s_add_nc_u64 s[20:21], s[0:1], 0x1c8
	s_mov_b32 s1, 0
	s_wait_kmcnt 0x0
	s_bitcmp1_b32 s17, 0
	s_mul_i32 s0, s5, s4
	s_cselect_b32 s15, -1, 0
	s_lshl_b64 s[18:19], s[0:1], 3
	s_and_b32 s0, s15, exec_lo
	s_mov_b32 s4, -1
	s_cselect_b32 s5, -1, 0x7fffffff
	s_mov_b32 s6, s4
	s_mov_b32 s8, s4
	;; [unrolled: 1-line block ×6, first 2 shown]
	v_dual_mov_b32 v1, s4 :: v_dual_and_b32 v36, 0x3ff, v0
	v_mov_b32_e32 v10, s5
	v_dual_mov_b32 v2, s5 :: v_dual_mov_b32 v3, s6
	s_delay_alu instid0(VALU_DEP_3)
	v_mul_lo_u32 v32, s14, v36
	v_cmp_gt_u32_e64 s0, s13, v36
	s_wait_alu 0xfffe
	v_dual_mov_b32 v4, s7 :: v_dual_mov_b32 v5, s8
	v_dual_mov_b32 v6, s9 :: v_dual_mov_b32 v7, s10
	;; [unrolled: 1-line block ×3, first 2 shown]
	s_add_nc_u64 s[18:19], s[2:3], s[18:19]
	s_and_saveexec_b32 s1, s0
	s_cbranch_execz .LBB183_6
; %bb.5:
	v_mov_b32_e32 v33, 0
	s_delay_alu instid0(VALU_DEP_1) | instskip(NEXT) | instid1(VALU_DEP_1)
	v_lshlrev_b64_e32 v[1:2], 3, v[32:33]
	v_add_co_u32 v1, vcc_lo, s18, v1
	s_delay_alu instid0(VALU_DEP_1)
	v_add_co_ci_u32_e64 v2, null, s19, v2, vcc_lo
	global_load_b64 v[9:10], v[1:2], off
	v_dual_mov_b32 v1, s4 :: v_dual_mov_b32 v4, s7
	v_dual_mov_b32 v3, s6 :: v_dual_mov_b32 v6, s9
	;; [unrolled: 1-line block ×4, first 2 shown]
.LBB183_6:
	s_or_b32 exec_lo, exec_lo, s1
	v_add_nc_u32_e32 v11, 32, v36
	s_delay_alu instid0(VALU_DEP_1)
	v_cmp_gt_u32_e64 s1, s13, v11
	s_and_saveexec_b32 s2, s1
	s_cbranch_execz .LBB183_8
; %bb.7:
	v_mul_lo_u32 v1, s14, v11
	v_mov_b32_e32 v2, 0
	s_delay_alu instid0(VALU_DEP_1) | instskip(NEXT) | instid1(VALU_DEP_1)
	v_lshlrev_b64_e32 v[1:2], 3, v[1:2]
	v_add_co_u32 v1, vcc_lo, s18, v1
	s_wait_alu 0xfffd
	s_delay_alu instid0(VALU_DEP_2)
	v_add_co_ci_u32_e64 v2, null, s19, v2, vcc_lo
	global_load_b64 v[3:4], v[1:2], off
.LBB183_8:
	s_or_b32 exec_lo, exec_lo, s2
	v_add_nc_u32_e32 v12, 64, v36
	s_delay_alu instid0(VALU_DEP_1)
	v_cmp_gt_u32_e64 s2, s13, v12
	s_and_saveexec_b32 s3, s2
	s_cbranch_execz .LBB183_10
; %bb.9:
	v_mul_lo_u32 v1, s14, v12
	v_mov_b32_e32 v2, 0
	s_delay_alu instid0(VALU_DEP_1) | instskip(NEXT) | instid1(VALU_DEP_1)
	v_lshlrev_b64_e32 v[1:2], 3, v[1:2]
	v_add_co_u32 v1, vcc_lo, s18, v1
	s_wait_alu 0xfffd
	s_delay_alu instid0(VALU_DEP_2)
	v_add_co_ci_u32_e64 v2, null, s19, v2, vcc_lo
	global_load_b64 v[5:6], v[1:2], off
.LBB183_10:
	s_or_b32 exec_lo, exec_lo, s3
	s_clause 0x1
	s_load_b32 s6, s[24:25], 0x6c
	s_load_b64 s[4:5], s[24:25], 0x0
	v_add_nc_u32_e32 v13, 0x60, v36
	s_delay_alu instid0(VALU_DEP_1)
	v_cmp_gt_u32_e64 s3, s13, v13
	s_and_saveexec_b32 s7, s3
	s_cbranch_execz .LBB183_12
; %bb.11:
	v_mul_lo_u32 v1, s14, v13
	v_mov_b32_e32 v2, 0
	s_delay_alu instid0(VALU_DEP_1) | instskip(NEXT) | instid1(VALU_DEP_1)
	v_lshlrev_b64_e32 v[1:2], 3, v[1:2]
	v_add_co_u32 v1, vcc_lo, s18, v1
	s_wait_alu 0xfffd
	s_delay_alu instid0(VALU_DEP_2)
	v_add_co_ci_u32_e64 v2, null, s19, v2, vcc_lo
	global_load_b64 v[7:8], v[1:2], off
.LBB183_12:
	s_wait_alu 0xfffe
	s_or_b32 exec_lo, exec_lo, s7
	v_lshrrev_b32_e32 v1, 2, v36
	v_lshrrev_b32_e32 v2, 2, v11
	v_lshlrev_b32_e32 v14, 3, v36
	v_lshrrev_b32_e32 v15, 2, v12
	v_lshrrev_b32_e32 v16, 2, v13
	v_and_b32_e32 v1, 0xf8, v1
	v_and_b32_e32 v2, 0x1f8, v2
	s_wait_kmcnt 0x0
	s_mul_i32 s6, s6, s12
	v_and_b32_e32 v15, 0x1f8, v15
	v_and_b32_e32 v16, 0x1f8, v16
	v_add_nc_u32_e32 v55, v1, v14
	v_and_b32_e32 v1, 0x3f8, v36
	v_add_nc_u32_e32 v56, v2, v14
	v_mul_lo_u32 v34, s16, v36
	s_wait_alu 0xfffe
	s_add_co_i32 s6, s6, s23
	s_wait_loadcnt 0x0
	ds_store_b64 v55, v[9:10]
	ds_store_b64 v56, v[3:4] offset:256
	v_lshl_add_u32 v59, v36, 5, v1
	v_mov_b32_e32 v1, 0
	v_dual_mov_b32 v2, 0 :: v_dual_add_nc_u32 v57, v15, v14
	v_add_nc_u32_e32 v58, v16, v14
	ds_store_b64 v57, v[5:6] offset:512
	ds_store_b64 v58, v[7:8] offset:768
	s_wait_dscnt 0x0
	; wave barrier
	global_inv scope:SCOPE_SE
	ds_load_2addr_b64 v[20:23], v59 offset1:1
	ds_load_2addr_b64 v[16:19], v59 offset0:2 offset1:3
	s_mov_b32 s7, 0
	v_mov_b32_e32 v3, 0
	v_mov_b32_e32 v4, 0
	s_wait_alu 0xfffe
	s_lshl_b64 s[6:7], s[6:7], 3
	s_wait_loadcnt_dscnt 0x0
	s_wait_alu 0xfffe
	s_add_nc_u64 s[12:13], s[4:5], s[6:7]
	; wave barrier
	global_inv scope:SCOPE_SE
	s_and_saveexec_b32 s4, s0
	s_cbranch_execz .LBB183_14
; %bb.13:
	v_mov_b32_e32 v35, 0
	s_delay_alu instid0(VALU_DEP_1) | instskip(SKIP_1) | instid1(VALU_DEP_1)
	v_lshlrev_b64_e32 v[3:4], 3, v[34:35]
	s_wait_alu 0xfffe
	v_add_co_u32 v3, vcc_lo, s12, v3
	s_wait_alu 0xfffd
	s_delay_alu instid0(VALU_DEP_2)
	v_add_co_ci_u32_e64 v4, null, s13, v4, vcc_lo
	global_load_b64 v[3:4], v[3:4], off
.LBB183_14:
	s_wait_alu 0xfffe
	s_or_b32 exec_lo, exec_lo, s4
	s_and_saveexec_b32 s4, s1
	s_cbranch_execz .LBB183_16
; %bb.15:
	v_mul_lo_u32 v1, s16, v11
	v_mov_b32_e32 v2, 0
	s_delay_alu instid0(VALU_DEP_1) | instskip(NEXT) | instid1(VALU_DEP_1)
	v_lshlrev_b64_e32 v[1:2], 3, v[1:2]
	v_add_co_u32 v1, vcc_lo, s12, v1
	s_wait_alu 0xfffd
	s_delay_alu instid0(VALU_DEP_2)
	v_add_co_ci_u32_e64 v2, null, s13, v2, vcc_lo
	global_load_b64 v[1:2], v[1:2], off
.LBB183_16:
	s_wait_alu 0xfffe
	s_or_b32 exec_lo, exec_lo, s4
	v_mov_b32_e32 v5, 0
	v_dual_mov_b32 v6, 0 :: v_dual_mov_b32 v7, 0
	v_mov_b32_e32 v8, 0
	s_and_saveexec_b32 s4, s2
	s_cbranch_execz .LBB183_18
; %bb.17:
	v_mul_lo_u32 v7, s16, v12
	v_mov_b32_e32 v8, 0
	s_delay_alu instid0(VALU_DEP_1) | instskip(NEXT) | instid1(VALU_DEP_1)
	v_lshlrev_b64_e32 v[7:8], 3, v[7:8]
	v_add_co_u32 v7, vcc_lo, s12, v7
	s_wait_alu 0xfffd
	s_delay_alu instid0(VALU_DEP_2)
	v_add_co_ci_u32_e64 v8, null, s13, v8, vcc_lo
	global_load_b64 v[7:8], v[7:8], off
.LBB183_18:
	s_wait_alu 0xfffe
	s_or_b32 exec_lo, exec_lo, s4
	s_xor_b32 s4, s15, -1
	s_and_saveexec_b32 s5, s3
	s_cbranch_execz .LBB183_20
; %bb.19:
	v_mul_lo_u32 v5, s16, v13
	v_mov_b32_e32 v6, 0
	s_delay_alu instid0(VALU_DEP_1) | instskip(NEXT) | instid1(VALU_DEP_1)
	v_lshlrev_b64_e32 v[5:6], 3, v[5:6]
	v_add_co_u32 v5, vcc_lo, s12, v5
	s_wait_alu 0xfffd
	s_delay_alu instid0(VALU_DEP_2)
	v_add_co_ci_u32_e64 v6, null, s13, v6, vcc_lo
	global_load_b64 v[5:6], v[5:6], off
.LBB183_20:
	s_wait_alu 0xfffe
	s_or_b32 exec_lo, exec_lo, s5
	s_wait_loadcnt 0x0
	ds_store_b64 v55, v[3:4]
	ds_store_b64 v56, v[1:2] offset:256
	ds_store_b64 v57, v[7:8] offset:512
	;; [unrolled: 1-line block ×3, first 2 shown]
	s_wait_dscnt 0x0
	; wave barrier
	global_inv scope:SCOPE_SE
	ds_load_2addr_b64 v[12:15], v59 offset1:1
	ds_load_2addr_b64 v[8:11], v59 offset0:2 offset1:3
	v_mbcnt_lo_u32_b32 v35, -1, 0
	v_lshlrev_b32_e32 v33, 2, v36
	s_and_b32 vcc_lo, exec_lo, s4
	v_bfe_u32 v64, v0, 10, 10
	v_bfe_u32 v65, v0, 20, 10
	v_and_b32_e32 v67, 3, v35
	v_and_b32_e32 v66, 28, v35
	v_ashrrev_i32_e32 v71, 31, v21
	v_ashrrev_i32_e32 v70, 31, v23
	;; [unrolled: 1-line block ×4, first 2 shown]
	v_cmp_eq_u32_e64 s8, 0, v67
	v_cmp_eq_u32_e64 s7, 1, v67
	;; [unrolled: 1-line block ×4, first 2 shown]
	v_lshlrev_b32_e32 v60, 5, v36
	v_and_b32_e32 v62, 15, v35
	v_and_b32_e32 v63, 16, v35
	v_cmp_eq_u32_e64 s4, 31, v36
	v_cmp_eq_u32_e64 s10, 0, v36
	v_and_or_b32 v61, 0xf80, v33, v35
	s_mov_b32 s9, -1
	; wave barrier
	s_wait_loadcnt_dscnt 0x0
	global_inv scope:SCOPE_SE
	s_wait_alu 0xfffe
	s_cbranch_vccz .LBB183_35
; %bb.21:
	v_cmp_lt_i64_e32 vcc_lo, -1, v[20:21]
	v_xor_b32_e32 v2, v71, v20
	v_xor_b32_e32 v4, v70, v22
	;; [unrolled: 1-line block ×4, first 2 shown]
	ds_bpermute_b32 v47, v66, v14 offset:96
	s_wait_alu 0xfffd
	v_cndmask_b32_e64 v0, -1, 0x80000000, vcc_lo
	v_cmp_lt_i64_e32 vcc_lo, -1, v[22:23]
	ds_bpermute_b32 v3, v66, v2
	ds_bpermute_b32 v7, v66, v4
	;; [unrolled: 1-line block ×3, first 2 shown]
	v_xor_b32_e32 v0, v0, v21
	ds_bpermute_b32 v31, v66, v2 offset:32
	s_wait_alu 0xfffd
	v_cndmask_b32_e64 v1, -1, 0x80000000, vcc_lo
	v_cmp_lt_i64_e32 vcc_lo, -1, v[16:17]
	ds_bpermute_b32 v37, v66, v4 offset:32
	ds_bpermute_b32 v28, v66, v0 offset:32
	;; [unrolled: 1-line block ×3, first 2 shown]
	v_xor_b32_e32 v5, v1, v23
	ds_bpermute_b32 v1, v66, v0
	s_wait_alu 0xfffd
	v_cndmask_b32_e64 v24, -1, 0x80000000, vcc_lo
	v_cmp_lt_i64_e32 vcc_lo, -1, v[18:19]
	ds_bpermute_b32 v43, v66, v4 offset:64
	ds_bpermute_b32 v26, v66, v5
	ds_bpermute_b32 v38, v66, v5 offset:32
	v_xor_b32_e32 v24, v24, v17
	ds_bpermute_b32 v42, v66, v5 offset:64
	s_wait_alu 0xfffd
	v_cndmask_b32_e64 v27, -1, 0x80000000, vcc_lo
	s_wait_dscnt 0xb
	s_wait_alu 0xf1ff
	v_cndmask_b32_e64 v3, 0, v3, s8
	ds_bpermute_b32 v46, v66, v6 offset:64
	ds_bpermute_b32 v30, v66, v24
	ds_bpermute_b32 v40, v66, v24 offset:32
	v_xor_b32_e32 v27, v27, v19
	s_wait_dscnt 0xd
	v_cndmask_b32_e64 v3, v3, v7, s7
	ds_bpermute_b32 v7, v66, v2 offset:64
	s_wait_dscnt 0xc
	v_cndmask_b32_e64 v31, 0, v31, s8
	s_wait_dscnt 0xa
	v_cndmask_b32_e64 v28, 0, v28, s8
	ds_bpermute_b32 v39, v66, v27
	v_cndmask_b32_e64 v3, v3, v25, s6
	s_wait_dscnt 0x9
	v_cndmask_b32_e64 v1, 0, v1, s8
	ds_bpermute_b32 v25, v66, v29
	ds_bpermute_b32 v44, v66, v27 offset:32
	ds_bpermute_b32 v4, v66, v4 offset:96
	;; [unrolled: 1-line block ×3, first 2 shown]
	s_wait_dscnt 0xb
	v_cndmask_b32_e64 v1, v1, v26, s7
	ds_bpermute_b32 v26, v66, v6 offset:32
	s_wait_dscnt 0xb
	v_cndmask_b32_e64 v28, v28, v38, s7
	ds_bpermute_b32 v38, v66, v27 offset:64
	ds_bpermute_b32 v27, v66, v27 offset:96
	;; [unrolled: 1-line block ×3, first 2 shown]
	s_wait_dscnt 0xb
	v_cndmask_b32_e64 v1, v1, v30, s6
	ds_bpermute_b32 v30, v66, v24 offset:64
	s_wait_dscnt 0xb
	v_cndmask_b32_e64 v28, v28, v40, s6
	ds_bpermute_b32 v40, v66, v5 offset:96
	ds_bpermute_b32 v24, v66, v24 offset:96
	s_wait_dscnt 0xc
	v_cndmask_b32_e64 v7, 0, v7, s8
	ds_bpermute_b32 v48, v66, v15 offset:96
	s_wait_dscnt 0xc
	v_cndmask_b32_e64 v1, v1, v39, s5
	ds_bpermute_b32 v39, v66, v0 offset:96
	v_cndmask_b32_e64 v0, v31, v37, s7
	v_cndmask_b32_e64 v31, 0, v41, s8
	ds_bpermute_b32 v37, v66, v2 offset:96
	v_cndmask_b32_e64 v7, v7, v43, s7
	ds_bpermute_b32 v43, v66, v15 offset:32
	ds_bpermute_b32 v41, v66, v12 offset:32
	s_wait_dscnt 0xb
	v_cndmask_b32_e64 v2, v0, v26, s6
	v_cndmask_b32_e64 v5, v31, v42, s7
	ds_bpermute_b32 v26, v66, v13
	v_cndmask_b32_e64 v0, v3, v25, s5
	v_cndmask_b32_e64 v3, v28, v44, s5
	ds_bpermute_b32 v25, v66, v29 offset:64
	s_wait_dscnt 0x9
	v_cndmask_b32_e64 v5, v5, v30, s6
	ds_bpermute_b32 v30, v66, v12
	ds_bpermute_b32 v31, v66, v15
	ds_bpermute_b32 v29, v66, v29 offset:96
	ds_bpermute_b32 v42, v66, v8
	v_cndmask_b32_e64 v5, v5, v38, s5
	ds_bpermute_b32 v38, v66, v14
	s_wait_dscnt 0xa
	v_cndmask_b32_e64 v28, 0, v39, s8
	ds_bpermute_b32 v39, v66, v13 offset:32
	ds_bpermute_b32 v44, v66, v11
	s_wait_dscnt 0xb
	v_cndmask_b32_e64 v37, 0, v37, s8
	v_cndmask_b32_e64 v7, v7, v46, s6
	;; [unrolled: 1-line block ×3, first 2 shown]
	ds_bpermute_b32 v40, v66, v9
	v_cndmask_b32_e64 v2, v2, v45, s5
	v_cndmask_b32_e64 v37, v37, v4, s7
	s_wait_dscnt 0x9
	v_cndmask_b32_e64 v26, 0, v26, s8
	v_cndmask_b32_e64 v24, v28, v24, s6
	ds_bpermute_b32 v28, v66, v9 offset:32
	ds_bpermute_b32 v45, v66, v14 offset:32
	s_wait_dscnt 0xa
	v_cndmask_b32_e64 v4, v7, v25, s5
	s_wait_dscnt 0x9
	v_cndmask_b32_e64 v25, 0, v30, s8
	v_cndmask_b32_e64 v7, v24, v27, s5
	s_wait_dscnt 0x8
	v_cndmask_b32_e64 v24, v26, v31, s7
	v_cndmask_b32_e64 v6, v37, v6, s6
	ds_bpermute_b32 v26, v66, v12 offset:64
	ds_bpermute_b32 v27, v66, v13 offset:64
	s_wait_dscnt 0x7
	v_cndmask_b32_e64 v25, v25, v38, s7
	ds_bpermute_b32 v37, v66, v10
	v_cndmask_b32_e64 v6, v6, v29, s5
	s_wait_dscnt 0x7
	v_cndmask_b32_e64 v29, 0, v39, s8
	ds_bpermute_b32 v38, v66, v8 offset:32
	v_cndmask_b32_e64 v31, v25, v42, s6
	s_wait_dscnt 0x6
	v_cndmask_b32_e64 v24, v24, v40, s6
	ds_bpermute_b32 v40, v66, v14 offset:64
	v_cndmask_b32_e64 v29, v29, v43, s7
	ds_bpermute_b32 v42, v66, v12 offset:96
	v_cndmask_b32_e64 v30, 0, v41, s8
	v_cndmask_b32_e64 v25, v24, v44, s5
	ds_bpermute_b32 v24, v66, v15 offset:64
	ds_bpermute_b32 v44, v66, v13 offset:96
	;; [unrolled: 1-line block ×5, first 2 shown]
	s_wait_dscnt 0xc
	v_cndmask_b32_e64 v28, v29, v28, s6
	ds_bpermute_b32 v29, v66, v10 offset:32
	; wave barrier
	s_wait_loadcnt_dscnt 0x0
	global_inv scope:SCOPE_SE
	s_load_b32 s15, s[20:21], 0xc
	v_cndmask_b32_e64 v30, v30, v45, s7
	ds_bpermute_b32 v45, v66, v10 offset:64
	ds_bpermute_b32 v46, v66, v11 offset:64
	;; [unrolled: 1-line block ×4, first 2 shown]
	v_cndmask_b32_e64 v26, 0, v26, s8
	v_cndmask_b32_e64 v27, 0, v27, s8
	;; [unrolled: 1-line block ×3, first 2 shown]
	s_mov_b32 s22, -1
	s_brev_b32 s23, -2
	v_cndmask_b32_e64 v26, v26, v40, s7
	v_cndmask_b32_e64 v50, v27, v24, s7
	;; [unrolled: 1-line block ×8, first 2 shown]
	s_getpc_b64 s[8:9]
	s_wait_alu 0xfffe
	s_sext_i32_i16 s9, s9
	s_add_co_u32 s8, s8, _ZN7rocprim17ROCPRIM_400000_NS16block_radix_sortIdLj32ELj4ElLj1ELj1ELj0ELNS0_26block_radix_rank_algorithmE1ELNS0_18block_padding_hintE2ELNS0_4arch9wavefront6targetE0EE19radix_bits_per_passE@rel32@lo+12
	s_wait_alu 0xfffe
	s_add_co_ci_u32 s9, s9, _ZN7rocprim17ROCPRIM_400000_NS16block_radix_sortIdLj32ELj4ElLj1ELj1ELj0ELNS0_26block_radix_rank_algorithmE1ELNS0_18block_padding_hintE2ELNS0_4arch9wavefront6targetE0EE19radix_bits_per_passE@rel32@hi+24
	v_cndmask_b32_e64 v26, v30, v29, s5
	v_cndmask_b32_e64 v30, v31, v47, s7
	;; [unrolled: 1-line block ×3, first 2 shown]
	s_wait_kmcnt 0x0
	s_lshr_b32 s7, s15, 16
	s_wait_dscnt 0x2
	v_cndmask_b32_e64 v29, v28, v46, s5
	v_cndmask_b32_e64 v28, v37, v45, s5
	s_wait_alu 0xfffe
	v_mad_u32_u24 v37, v65, s7, v64
	ds_bpermute_b32 v39, v66, v11 offset:96
	ds_bpermute_b32 v40, v66, v10 offset:96
	s_wait_dscnt 0x3
	v_cndmask_b32_e64 v30, v30, v49, s6
	s_wait_dscnt 0x2
	v_cndmask_b32_e64 v31, v31, v51, s6
	s_and_b32 s6, s15, 0xffff
	s_load_b32 s11, s[8:9], 0x0
	v_mad_co_u64_u32 v[37:38], null, v37, s6, v[36:37]
	v_sub_co_u32 v38, s15, v35, 1
	v_lshlrev_b32_e32 v73, 3, v61
	v_cmp_lt_u32_e64 s6, 1, v62
	v_cmp_lt_u32_e64 s7, 3, v62
	s_delay_alu instid0(VALU_DEP_4)
	v_cmp_gt_i32_e32 vcc_lo, 0, v38
	v_lshrrev_b32_e32 v37, 3, v37
	v_cmp_lt_u32_e64 s8, 7, v62
	v_cmp_eq_u32_e64 s9, 0, v63
	s_wait_alu 0xfffd
	v_dual_mov_b32 v75, 0 :: v_dual_cndmask_b32 v38, v38, v35
	v_and_b32_e32 v74, 0x1ffffffc, v37
	s_wait_dscnt 0x1
	v_cndmask_b32_e64 v31, v31, v39, s5
	s_wait_dscnt 0x0
	v_cndmask_b32_e64 v30, v30, v40, s5
	v_cmp_eq_u32_e64 s5, 0, v62
	v_dual_mov_b32 v37, 0 :: v_dual_lshlrev_b32 v72, 2, v38
	v_mov_b32_e32 v38, 0
	s_or_b32 s15, s10, s15
	s_mov_b32 s17, 64
	s_branch .LBB183_23
.LBB183_22:                             ;   in Loop: Header=BB183_23 Depth=1
	s_wait_alu 0xfffe
	s_and_not1_b32 vcc_lo, exec_lo, s10
	s_wait_alu 0xfffe
	s_cbranch_vccz .LBB183_36
.LBB183_23:                             ; =>This Inner Loop Header: Depth=1
	v_dual_mov_b32 v40, v1 :: v_dual_mov_b32 v39, v0
	s_wait_kmcnt 0x0
	s_wait_alu 0xfffe
	s_min_u32 s10, s11, s17
	ds_store_2addr_b32 v60, v75, v75 offset0:1 offset1:2
	ds_store_2addr_b32 v60, v75, v75 offset0:3 offset1:4
	;; [unrolled: 1-line block ×4, first 2 shown]
	s_wait_alu 0xfffe
	s_lshl_b32 s10, -1, s10
	s_wait_loadcnt_dscnt 0x0
	v_cmp_ne_u64_e32 vcc_lo, s[22:23], v[39:40]
	s_wait_alu 0xfffe
	s_not_b32 s24, s10
	; wave barrier
	global_inv scope:SCOPE_SE
	; wave barrier
	s_wait_alu 0xfffd
	v_dual_mov_b32 v50, v7 :: v_dual_cndmask_b32 v1, 0x80000000, v40
	v_dual_cndmask_b32 v0, 0, v39 :: v_dual_mov_b32 v49, v6
	v_mov_b32_e32 v52, v5
	v_dual_mov_b32 v54, v3 :: v_dual_mov_b32 v51, v4
	s_delay_alu instid0(VALU_DEP_3) | instskip(SKIP_2) | instid1(VALU_DEP_2)
	v_lshrrev_b64 v[0:1], v37, v[0:1]
	v_mov_b32_e32 v53, v2
	s_wait_alu 0xfffe
	v_and_b32_e32 v1, s24, v0
	s_delay_alu instid0(VALU_DEP_1)
	v_and_b32_e32 v0, 1, v1
	v_lshlrev_b32_e32 v41, 30, v1
	v_lshlrev_b32_e32 v42, 29, v1
	;; [unrolled: 1-line block ×4, first 2 shown]
	v_add_co_u32 v0, s10, v0, -1
	s_wait_alu 0xf1ff
	v_cndmask_b32_e64 v44, 0, 1, s10
	v_not_b32_e32 v48, v41
	v_cmp_gt_i32_e64 s10, 0, v41
	v_not_b32_e32 v41, v42
	v_lshlrev_b32_e32 v46, 26, v1
	v_cmp_ne_u32_e32 vcc_lo, 0, v44
	v_ashrrev_i32_e32 v48, 31, v48
	v_lshlrev_b32_e32 v47, 25, v1
	v_ashrrev_i32_e32 v41, 31, v41
	v_lshlrev_b32_e32 v44, 24, v1
	s_wait_alu 0xfffd
	v_xor_b32_e32 v0, vcc_lo, v0
	v_cmp_gt_i32_e32 vcc_lo, 0, v42
	v_not_b32_e32 v42, v43
	s_wait_alu 0xf1ff
	v_xor_b32_e32 v48, s10, v48
	v_cmp_gt_i32_e64 s10, 0, v43
	v_and_b32_e32 v0, exec_lo, v0
	v_not_b32_e32 v43, v45
	v_ashrrev_i32_e32 v42, 31, v42
	s_wait_alu 0xfffd
	v_xor_b32_e32 v41, vcc_lo, v41
	v_cmp_gt_i32_e32 vcc_lo, 0, v45
	v_and_b32_e32 v0, v0, v48
	v_not_b32_e32 v45, v46
	v_ashrrev_i32_e32 v43, 31, v43
	s_wait_alu 0xf1ff
	v_xor_b32_e32 v42, s10, v42
	v_cmp_gt_i32_e64 s10, 0, v46
	v_and_b32_e32 v0, v0, v41
	v_ashrrev_i32_e32 v45, 31, v45
	s_wait_alu 0xfffd
	v_xor_b32_e32 v43, vcc_lo, v43
	s_delay_alu instid0(VALU_DEP_3) | instskip(SKIP_2) | instid1(VALU_DEP_2)
	v_and_b32_e32 v0, v0, v42
	s_wait_alu 0xf1ff
	v_xor_b32_e32 v45, s10, v45
	v_and_b32_e32 v0, v0, v43
	s_delay_alu instid0(VALU_DEP_1)
	v_and_b32_e32 v0, v0, v45
	v_mov_b32_e32 v46, v27
	v_not_b32_e32 v41, v47
	v_cmp_gt_i32_e32 vcc_lo, 0, v47
	v_dual_mov_b32 v48, v25 :: v_dual_mov_b32 v47, v24
	v_not_b32_e32 v42, v44
	s_delay_alu instid0(VALU_DEP_4) | instskip(SKIP_2) | instid1(VALU_DEP_4)
	v_ashrrev_i32_e32 v41, 31, v41
	v_cmp_gt_i32_e64 s10, 0, v44
	v_dual_mov_b32 v44, v29 :: v_dual_mov_b32 v45, v26
	v_ashrrev_i32_e32 v42, 31, v42
	s_wait_alu 0xfffd
	v_xor_b32_e32 v41, vcc_lo, v41
	v_mov_b32_e32 v43, v28
	v_lshl_add_u32 v25, v1, 2, v74
	s_wait_alu 0xf1ff
	v_xor_b32_e32 v42, s10, v42
	v_and_b32_e32 v0, v0, v41
	s_delay_alu instid0(VALU_DEP_1) | instskip(SKIP_1) | instid1(VALU_DEP_2)
	v_and_b32_e32 v0, v0, v42
	v_dual_mov_b32 v42, v31 :: v_dual_mov_b32 v41, v30
	v_mbcnt_lo_u32_b32 v24, v0, 0
	v_cmp_ne_u32_e64 s10, 0, v0
	s_delay_alu instid0(VALU_DEP_2)
	v_cmp_eq_u32_e32 vcc_lo, 0, v24
	s_and_b32 s25, s10, vcc_lo
	s_wait_alu 0xfffe
	s_and_saveexec_b32 s10, s25
; %bb.24:                               ;   in Loop: Header=BB183_23 Depth=1
	v_bcnt_u32_b32 v0, v0, 0
	ds_store_b32 v25, v0 offset:4
; %bb.25:                               ;   in Loop: Header=BB183_23 Depth=1
	s_wait_alu 0xfffe
	s_or_b32 exec_lo, exec_lo, s10
	v_cmp_ne_u64_e32 vcc_lo, s[22:23], v[53:54]
	; wave barrier
	s_wait_alu 0xfffd
	v_cndmask_b32_e32 v1, 0x80000000, v54, vcc_lo
	v_cndmask_b32_e32 v0, 0, v53, vcc_lo
	s_delay_alu instid0(VALU_DEP_1) | instskip(NEXT) | instid1(VALU_DEP_1)
	v_lshrrev_b64 v[0:1], v37, v[0:1]
	v_and_b32_e32 v0, s24, v0
	s_delay_alu instid0(VALU_DEP_1)
	v_and_b32_e32 v1, 1, v0
	v_lshlrev_b32_e32 v2, 30, v0
	v_lshlrev_b32_e32 v3, 29, v0
	v_lshlrev_b32_e32 v4, 28, v0
	v_lshlrev_b32_e32 v6, 27, v0
	v_add_co_u32 v1, s10, v1, -1
	s_wait_alu 0xf1ff
	v_cndmask_b32_e64 v5, 0, 1, s10
	v_not_b32_e32 v27, v2
	v_cmp_gt_i32_e64 s10, 0, v2
	v_not_b32_e32 v2, v3
	v_lshlrev_b32_e32 v7, 26, v0
	v_cmp_ne_u32_e32 vcc_lo, 0, v5
	v_ashrrev_i32_e32 v27, 31, v27
	v_lshlrev_b32_e32 v26, 25, v0
	v_ashrrev_i32_e32 v2, 31, v2
	v_lshlrev_b32_e32 v5, 24, v0
	s_wait_alu 0xfffd
	v_xor_b32_e32 v1, vcc_lo, v1
	v_cmp_gt_i32_e32 vcc_lo, 0, v3
	v_not_b32_e32 v3, v4
	s_wait_alu 0xf1ff
	v_xor_b32_e32 v27, s10, v27
	v_cmp_gt_i32_e64 s10, 0, v4
	v_and_b32_e32 v1, exec_lo, v1
	v_not_b32_e32 v4, v6
	v_ashrrev_i32_e32 v3, 31, v3
	s_wait_alu 0xfffd
	v_xor_b32_e32 v2, vcc_lo, v2
	v_cmp_gt_i32_e32 vcc_lo, 0, v6
	v_and_b32_e32 v1, v1, v27
	v_not_b32_e32 v6, v7
	v_ashrrev_i32_e32 v4, 31, v4
	s_wait_alu 0xf1ff
	v_xor_b32_e32 v3, s10, v3
	v_cmp_gt_i32_e64 s10, 0, v7
	v_and_b32_e32 v1, v1, v2
	v_not_b32_e32 v2, v26
	v_ashrrev_i32_e32 v6, 31, v6
	s_wait_alu 0xfffd
	v_xor_b32_e32 v4, vcc_lo, v4
	v_cmp_gt_i32_e32 vcc_lo, 0, v26
	v_and_b32_e32 v1, v1, v3
	v_not_b32_e32 v3, v5
	v_ashrrev_i32_e32 v2, 31, v2
	s_wait_alu 0xf1ff
	v_xor_b32_e32 v6, s10, v6
	v_cmp_gt_i32_e64 s10, 0, v5
	v_and_b32_e32 v1, v1, v4
	v_ashrrev_i32_e32 v3, 31, v3
	s_wait_alu 0xfffd
	v_xor_b32_e32 v2, vcc_lo, v2
	v_lshl_add_u32 v27, v0, 2, v74
	v_and_b32_e32 v1, v1, v6
	s_wait_alu 0xf1ff
	v_xor_b32_e32 v0, s10, v3
	ds_load_b32 v26, v27 offset:4
	v_and_b32_e32 v1, v1, v2
	; wave barrier
	s_delay_alu instid0(VALU_DEP_1) | instskip(NEXT) | instid1(VALU_DEP_1)
	v_and_b32_e32 v0, v1, v0
	v_mbcnt_lo_u32_b32 v28, v0, 0
	v_cmp_ne_u32_e64 s10, 0, v0
	s_delay_alu instid0(VALU_DEP_2)
	v_cmp_eq_u32_e32 vcc_lo, 0, v28
	s_and_b32 s25, s10, vcc_lo
	s_wait_alu 0xfffe
	s_and_saveexec_b32 s10, s25
	s_cbranch_execz .LBB183_27
; %bb.26:                               ;   in Loop: Header=BB183_23 Depth=1
	s_wait_dscnt 0x0
	v_bcnt_u32_b32 v0, v0, v26
	ds_store_b32 v27, v0 offset:4
.LBB183_27:                             ;   in Loop: Header=BB183_23 Depth=1
	s_wait_alu 0xfffe
	s_or_b32 exec_lo, exec_lo, s10
	v_cmp_ne_u64_e32 vcc_lo, s[22:23], v[51:52]
	; wave barrier
	s_wait_alu 0xfffd
	v_cndmask_b32_e32 v1, 0x80000000, v52, vcc_lo
	v_cndmask_b32_e32 v0, 0, v51, vcc_lo
	s_delay_alu instid0(VALU_DEP_1) | instskip(NEXT) | instid1(VALU_DEP_1)
	v_lshrrev_b64 v[0:1], v37, v[0:1]
	v_and_b32_e32 v0, s24, v0
	s_delay_alu instid0(VALU_DEP_1)
	v_and_b32_e32 v1, 1, v0
	v_lshlrev_b32_e32 v2, 30, v0
	v_lshlrev_b32_e32 v3, 29, v0
	;; [unrolled: 1-line block ×4, first 2 shown]
	v_add_co_u32 v1, s10, v1, -1
	s_wait_alu 0xf1ff
	v_cndmask_b32_e64 v5, 0, 1, s10
	v_not_b32_e32 v30, v2
	v_cmp_gt_i32_e64 s10, 0, v2
	v_not_b32_e32 v2, v3
	v_lshlrev_b32_e32 v7, 26, v0
	v_cmp_ne_u32_e32 vcc_lo, 0, v5
	v_ashrrev_i32_e32 v30, 31, v30
	v_lshlrev_b32_e32 v29, 25, v0
	v_ashrrev_i32_e32 v2, 31, v2
	v_lshlrev_b32_e32 v5, 24, v0
	s_wait_alu 0xfffd
	v_xor_b32_e32 v1, vcc_lo, v1
	v_cmp_gt_i32_e32 vcc_lo, 0, v3
	v_not_b32_e32 v3, v4
	s_wait_alu 0xf1ff
	v_xor_b32_e32 v30, s10, v30
	v_cmp_gt_i32_e64 s10, 0, v4
	v_and_b32_e32 v1, exec_lo, v1
	v_not_b32_e32 v4, v6
	v_ashrrev_i32_e32 v3, 31, v3
	s_wait_alu 0xfffd
	v_xor_b32_e32 v2, vcc_lo, v2
	v_cmp_gt_i32_e32 vcc_lo, 0, v6
	v_and_b32_e32 v1, v1, v30
	v_not_b32_e32 v6, v7
	v_ashrrev_i32_e32 v4, 31, v4
	s_wait_alu 0xf1ff
	v_xor_b32_e32 v3, s10, v3
	v_cmp_gt_i32_e64 s10, 0, v7
	v_and_b32_e32 v1, v1, v2
	v_not_b32_e32 v2, v29
	v_ashrrev_i32_e32 v6, 31, v6
	s_wait_alu 0xfffd
	v_xor_b32_e32 v4, vcc_lo, v4
	v_cmp_gt_i32_e32 vcc_lo, 0, v29
	v_and_b32_e32 v1, v1, v3
	v_not_b32_e32 v3, v5
	v_ashrrev_i32_e32 v2, 31, v2
	s_wait_alu 0xf1ff
	v_xor_b32_e32 v6, s10, v6
	v_cmp_gt_i32_e64 s10, 0, v5
	v_and_b32_e32 v1, v1, v4
	v_ashrrev_i32_e32 v3, 31, v3
	s_wait_alu 0xfffd
	v_xor_b32_e32 v2, vcc_lo, v2
	v_lshl_add_u32 v30, v0, 2, v74
	v_and_b32_e32 v1, v1, v6
	s_wait_alu 0xf1ff
	v_xor_b32_e32 v0, s10, v3
	ds_load_b32 v29, v30 offset:4
	v_and_b32_e32 v1, v1, v2
	; wave barrier
	s_delay_alu instid0(VALU_DEP_1) | instskip(NEXT) | instid1(VALU_DEP_1)
	v_and_b32_e32 v0, v1, v0
	v_mbcnt_lo_u32_b32 v31, v0, 0
	v_cmp_ne_u32_e64 s10, 0, v0
	s_delay_alu instid0(VALU_DEP_2)
	v_cmp_eq_u32_e32 vcc_lo, 0, v31
	s_and_b32 s25, s10, vcc_lo
	s_wait_alu 0xfffe
	s_and_saveexec_b32 s10, s25
	s_cbranch_execz .LBB183_29
; %bb.28:                               ;   in Loop: Header=BB183_23 Depth=1
	s_wait_dscnt 0x0
	v_bcnt_u32_b32 v0, v0, v29
	ds_store_b32 v30, v0 offset:4
.LBB183_29:                             ;   in Loop: Header=BB183_23 Depth=1
	s_wait_alu 0xfffe
	s_or_b32 exec_lo, exec_lo, s10
	v_cmp_ne_u64_e32 vcc_lo, s[22:23], v[49:50]
	; wave barrier
	s_wait_alu 0xfffd
	v_cndmask_b32_e32 v1, 0x80000000, v50, vcc_lo
	v_cndmask_b32_e32 v0, 0, v49, vcc_lo
	s_delay_alu instid0(VALU_DEP_1) | instskip(NEXT) | instid1(VALU_DEP_1)
	v_lshrrev_b64 v[0:1], v37, v[0:1]
	v_and_b32_e32 v0, s24, v0
	s_delay_alu instid0(VALU_DEP_1)
	v_and_b32_e32 v1, 1, v0
	v_lshlrev_b32_e32 v2, 30, v0
	v_lshlrev_b32_e32 v3, 29, v0
	;; [unrolled: 1-line block ×4, first 2 shown]
	v_add_co_u32 v1, s10, v1, -1
	s_wait_alu 0xf1ff
	v_cndmask_b32_e64 v5, 0, 1, s10
	v_not_b32_e32 v77, v2
	v_cmp_gt_i32_e64 s10, 0, v2
	v_not_b32_e32 v2, v3
	v_lshlrev_b32_e32 v7, 26, v0
	v_cmp_ne_u32_e32 vcc_lo, 0, v5
	v_ashrrev_i32_e32 v77, 31, v77
	v_lshlrev_b32_e32 v76, 25, v0
	v_ashrrev_i32_e32 v2, 31, v2
	v_lshlrev_b32_e32 v5, 24, v0
	s_wait_alu 0xfffd
	v_xor_b32_e32 v1, vcc_lo, v1
	v_cmp_gt_i32_e32 vcc_lo, 0, v3
	v_not_b32_e32 v3, v4
	s_wait_alu 0xf1ff
	v_xor_b32_e32 v77, s10, v77
	v_cmp_gt_i32_e64 s10, 0, v4
	v_and_b32_e32 v1, exec_lo, v1
	v_not_b32_e32 v4, v6
	v_ashrrev_i32_e32 v3, 31, v3
	s_wait_alu 0xfffd
	v_xor_b32_e32 v2, vcc_lo, v2
	v_cmp_gt_i32_e32 vcc_lo, 0, v6
	v_and_b32_e32 v1, v1, v77
	v_not_b32_e32 v6, v7
	v_ashrrev_i32_e32 v4, 31, v4
	s_wait_alu 0xf1ff
	v_xor_b32_e32 v3, s10, v3
	v_cmp_gt_i32_e64 s10, 0, v7
	v_and_b32_e32 v1, v1, v2
	v_not_b32_e32 v2, v76
	v_ashrrev_i32_e32 v6, 31, v6
	s_wait_alu 0xfffd
	v_xor_b32_e32 v4, vcc_lo, v4
	v_cmp_gt_i32_e32 vcc_lo, 0, v76
	v_and_b32_e32 v1, v1, v3
	v_not_b32_e32 v3, v5
	v_ashrrev_i32_e32 v2, 31, v2
	s_wait_alu 0xf1ff
	v_xor_b32_e32 v6, s10, v6
	v_cmp_gt_i32_e64 s10, 0, v5
	v_and_b32_e32 v1, v1, v4
	v_ashrrev_i32_e32 v3, 31, v3
	s_wait_alu 0xfffd
	v_xor_b32_e32 v2, vcc_lo, v2
	v_lshl_add_u32 v77, v0, 2, v74
	v_and_b32_e32 v1, v1, v6
	s_wait_alu 0xf1ff
	v_xor_b32_e32 v0, s10, v3
	ds_load_b32 v76, v77 offset:4
	v_and_b32_e32 v1, v1, v2
	; wave barrier
	s_delay_alu instid0(VALU_DEP_1) | instskip(NEXT) | instid1(VALU_DEP_1)
	v_and_b32_e32 v0, v1, v0
	v_mbcnt_lo_u32_b32 v80, v0, 0
	v_cmp_ne_u32_e64 s10, 0, v0
	s_delay_alu instid0(VALU_DEP_2)
	v_cmp_eq_u32_e32 vcc_lo, 0, v80
	s_and_b32 s24, s10, vcc_lo
	s_wait_alu 0xfffe
	s_and_saveexec_b32 s10, s24
	s_cbranch_execz .LBB183_31
; %bb.30:                               ;   in Loop: Header=BB183_23 Depth=1
	s_wait_dscnt 0x0
	v_bcnt_u32_b32 v0, v0, v76
	ds_store_b32 v77, v0 offset:4
.LBB183_31:                             ;   in Loop: Header=BB183_23 Depth=1
	s_wait_alu 0xfffe
	s_or_b32 exec_lo, exec_lo, s10
	; wave barrier
	; wave barrier
	s_wait_loadcnt_dscnt 0x0
	global_inv scope:SCOPE_SE
	ds_load_2addr_b32 v[6:7], v60 offset0:1 offset1:2
	ds_load_2addr_b32 v[4:5], v60 offset0:3 offset1:4
	ds_load_2addr_b32 v[2:3], v60 offset0:5 offset1:6
	ds_load_2addr_b32 v[0:1], v60 offset0:7 offset1:8
	s_wait_dscnt 0x3
	v_add_nc_u32_e32 v78, v7, v6
	s_wait_dscnt 0x2
	s_delay_alu instid0(VALU_DEP_1) | instskip(SKIP_1) | instid1(VALU_DEP_1)
	v_add3_u32 v78, v78, v4, v5
	s_wait_dscnt 0x1
	v_add3_u32 v78, v78, v2, v3
	s_wait_dscnt 0x0
	s_delay_alu instid0(VALU_DEP_1) | instskip(NEXT) | instid1(VALU_DEP_1)
	v_add3_u32 v1, v78, v0, v1
	v_mov_b32_dpp v78, v1 row_shr:1 row_mask:0xf bank_mask:0xf
	s_delay_alu instid0(VALU_DEP_1) | instskip(NEXT) | instid1(VALU_DEP_1)
	v_cndmask_b32_e64 v78, v78, 0, s5
	v_add_nc_u32_e32 v1, v78, v1
	s_delay_alu instid0(VALU_DEP_1) | instskip(NEXT) | instid1(VALU_DEP_1)
	v_mov_b32_dpp v78, v1 row_shr:2 row_mask:0xf bank_mask:0xf
	v_cndmask_b32_e64 v78, 0, v78, s6
	s_delay_alu instid0(VALU_DEP_1) | instskip(NEXT) | instid1(VALU_DEP_1)
	v_add_nc_u32_e32 v1, v1, v78
	v_mov_b32_dpp v78, v1 row_shr:4 row_mask:0xf bank_mask:0xf
	s_delay_alu instid0(VALU_DEP_1) | instskip(NEXT) | instid1(VALU_DEP_1)
	v_cndmask_b32_e64 v78, 0, v78, s7
	v_add_nc_u32_e32 v1, v1, v78
	s_delay_alu instid0(VALU_DEP_1) | instskip(NEXT) | instid1(VALU_DEP_1)
	v_mov_b32_dpp v78, v1 row_shr:8 row_mask:0xf bank_mask:0xf
	v_cndmask_b32_e64 v78, 0, v78, s8
	s_delay_alu instid0(VALU_DEP_1) | instskip(SKIP_3) | instid1(VALU_DEP_1)
	v_add_nc_u32_e32 v1, v1, v78
	ds_swizzle_b32 v78, v1 offset:swizzle(BROADCAST,32,15)
	s_wait_dscnt 0x0
	v_cndmask_b32_e64 v78, v78, 0, s9
	v_add_nc_u32_e32 v1, v1, v78
	s_and_saveexec_b32 s10, s4
; %bb.32:                               ;   in Loop: Header=BB183_23 Depth=1
	ds_store_b32 v75, v1
; %bb.33:                               ;   in Loop: Header=BB183_23 Depth=1
	s_wait_alu 0xfffe
	s_or_b32 exec_lo, exec_lo, s10
	ds_bpermute_b32 v1, v72, v1
	; wave barrier
	s_wait_loadcnt_dscnt 0x0
	global_inv scope:SCOPE_SE
	v_cmp_lt_u32_e32 vcc_lo, 55, v37
	s_mov_b32 s10, -1
	s_and_b32 vcc_lo, exec_lo, vcc_lo
	v_cndmask_b32_e64 v1, v1, 0, s15
	s_delay_alu instid0(VALU_DEP_1) | instskip(NEXT) | instid1(VALU_DEP_1)
	v_add_nc_u32_e32 v6, v1, v6
	v_add_nc_u32_e32 v7, v6, v7
	s_delay_alu instid0(VALU_DEP_1) | instskip(NEXT) | instid1(VALU_DEP_1)
	v_add_nc_u32_e32 v4, v7, v4
	v_add_nc_u32_e32 v5, v4, v5
	;; [unrolled: 3-line block ×3, first 2 shown]
	s_delay_alu instid0(VALU_DEP_1)
	v_add_nc_u32_e32 v0, v3, v0
	ds_store_2addr_b32 v60, v1, v6 offset0:1 offset1:2
	ds_store_2addr_b32 v60, v7, v4 offset0:3 offset1:4
	;; [unrolled: 1-line block ×4, first 2 shown]
	; wave barrier
	s_wait_loadcnt_dscnt 0x0
	global_inv scope:SCOPE_SE
	ds_load_b32 v0, v25 offset:4
	ds_load_b32 v1, v27 offset:4
	;; [unrolled: 1-line block ×4, first 2 shown]
                                        ; implicit-def: $vgpr6_vgpr7
	s_wait_dscnt 0x3
	v_add_nc_u32_e32 v79, v0, v24
	s_wait_dscnt 0x2
	v_add3_u32 v78, v28, v26, v1
	s_wait_dscnt 0x1
	v_add3_u32 v77, v31, v29, v2
	;; [unrolled: 2-line block ×3, first 2 shown]
                                        ; implicit-def: $vgpr2_vgpr3
                                        ; implicit-def: $vgpr24_vgpr25
                                        ; implicit-def: $vgpr28_vgpr29
	s_wait_alu 0xfffe
	s_cbranch_vccnz .LBB183_22
; %bb.34:                               ;   in Loop: Header=BB183_23 Depth=1
	v_lshlrev_b32_e32 v24, 3, v79
	v_lshlrev_b32_e32 v25, 3, v78
	;; [unrolled: 1-line block ×4, first 2 shown]
	s_wait_loadcnt 0x0
	; wave barrier
	global_inv scope:SCOPE_SE
	ds_store_b64 v24, v[39:40]
	ds_store_b64 v25, v[53:54]
	;; [unrolled: 1-line block ×4, first 2 shown]
	; wave barrier
	s_wait_loadcnt_dscnt 0x0
	global_inv scope:SCOPE_SE
	ds_load_2addr_b64 v[0:3], v73 offset1:32
	ds_load_2addr_b64 v[4:7], v73 offset0:64 offset1:96
	; wave barrier
	s_wait_loadcnt_dscnt 0x0
	global_inv scope:SCOPE_SE
	ds_store_b64 v24, v[47:48]
	ds_store_b64 v25, v[45:46]
	;; [unrolled: 1-line block ×4, first 2 shown]
	; wave barrier
	s_wait_loadcnt_dscnt 0x0
	global_inv scope:SCOPE_SE
	ds_load_2addr_b64 v[24:27], v73 offset1:32
	ds_load_2addr_b64 v[28:31], v73 offset0:64 offset1:96
	v_add_co_u32 v37, vcc_lo, v37, 8
	s_wait_alu 0xfffd
	v_add_co_ci_u32_e64 v38, null, 0, v38, vcc_lo
	s_add_co_i32 s17, s17, -8
	s_mov_b32 s10, 0
	; wave barrier
	s_wait_loadcnt_dscnt 0x0
	global_inv scope:SCOPE_SE
	s_branch .LBB183_22
.LBB183_35:
                                        ; implicit-def: $vgpr37
                                        ; implicit-def: $vgpr0_vgpr1_vgpr2_vgpr3_vgpr4_vgpr5_vgpr6_vgpr7
	s_and_b32 vcc_lo, exec_lo, s9
	s_wait_alu 0xfffe
	s_cbranch_vccnz .LBB183_37
	s_branch .LBB183_52
.LBB183_36:
	v_lshlrev_b32_e32 v24, 3, v79
	v_lshlrev_b32_e32 v26, 3, v77
	;; [unrolled: 1-line block ×5, first 2 shown]
	s_wait_loadcnt 0x0
	; wave barrier
	global_inv scope:SCOPE_SE
	ds_store_b64 v24, v[39:40]
	ds_store_b64 v25, v[53:54]
	;; [unrolled: 1-line block ×4, first 2 shown]
	; wave barrier
	s_wait_loadcnt_dscnt 0x0
	global_inv scope:SCOPE_SE
	ds_load_b128 v[0:3], v37
	ds_load_b128 v[4:7], v37 offset:16
	; wave barrier
	s_wait_loadcnt_dscnt 0x0
	global_inv scope:SCOPE_SE
	ds_store_b64 v24, v[47:48]
	ds_store_b64 v25, v[45:46]
	;; [unrolled: 1-line block ×4, first 2 shown]
	; wave barrier
	s_wait_loadcnt_dscnt 0x0
	global_inv scope:SCOPE_SE
	v_cmp_lt_i64_e32 vcc_lo, -1, v[0:1]
	v_ashrrev_i32_e32 v25, 31, v1
	v_ashrrev_i32_e32 v28, 31, v3
	;; [unrolled: 1-line block ×4, first 2 shown]
	s_wait_alu 0xfffd
	v_cndmask_b32_e64 v24, 0x80000000, -1, vcc_lo
	v_cmp_lt_i64_e32 vcc_lo, -1, v[2:3]
	v_not_b32_e32 v25, v25
	s_delay_alu instid0(VALU_DEP_3)
	v_xor_b32_e32 v1, v24, v1
	v_not_b32_e32 v24, v28
	s_wait_alu 0xfffd
	v_cndmask_b32_e64 v26, 0x80000000, -1, vcc_lo
	v_cmp_lt_i64_e32 vcc_lo, -1, v[4:5]
	v_xor_b32_e32 v0, v25, v0
	v_not_b32_e32 v28, v31
	v_xor_b32_e32 v2, v24, v2
	v_xor_b32_e32 v3, v26, v3
	v_not_b32_e32 v26, v30
	s_wait_alu 0xfffd
	v_cndmask_b32_e64 v29, 0x80000000, -1, vcc_lo
	v_cmp_lt_i64_e32 vcc_lo, -1, v[6:7]
	v_xor_b32_e32 v6, v28, v6
	v_xor_b32_e32 v4, v26, v4
	s_delay_alu instid0(VALU_DEP_4) | instskip(SKIP_2) | instid1(VALU_DEP_1)
	v_xor_b32_e32 v5, v29, v5
	s_wait_alu 0xfffd
	v_cndmask_b32_e64 v25, 0x80000000, -1, vcc_lo
	v_xor_b32_e32 v7, v25, v7
	s_branch .LBB183_52
.LBB183_37:
	v_cmp_gt_i64_e32 vcc_lo, 0, v[20:21]
	v_not_b32_e32 v1, v71
	v_not_b32_e32 v3, v70
	v_cmp_gt_i64_e64 s4, 0, v[18:19]
	v_cmp_eq_u32_e64 s5, 2, v67
	v_cmp_eq_u32_e64 s6, 3, v67
	s_wait_alu 0xfffd
	v_cndmask_b32_e64 v0, 0x7fffffff, 0, vcc_lo
	v_cmp_gt_i64_e32 vcc_lo, 0, v[22:23]
	v_xor_b32_e32 v1, v1, v20
	v_xor_b32_e32 v4, v3, v22
	v_not_b32_e32 v3, v69
	v_xor_b32_e32 v0, v0, v21
	s_wait_alu 0xf1ff
	v_cndmask_b32_e64 v22, 0x7fffffff, 0, s4
	s_wait_alu 0xfffd
	v_cndmask_b32_e64 v2, 0x7fffffff, 0, vcc_lo
	v_cmp_gt_i64_e32 vcc_lo, 0, v[16:17]
	ds_bpermute_b32 v5, v66, v1
	ds_bpermute_b32 v6, v66, v0
	v_xor_b32_e32 v16, v3, v16
	v_xor_b32_e32 v2, v2, v23
	ds_bpermute_b32 v20, v66, v4
	s_wait_alu 0xfffd
	v_cndmask_b32_e64 v7, 0x7fffffff, 0, vcc_lo
	v_cmp_eq_u32_e32 vcc_lo, 0, v67
	v_cmp_eq_u32_e64 s4, 1, v67
	ds_bpermute_b32 v3, v66, v2
	v_xor_b32_e32 v19, v22, v19
	v_xor_b32_e32 v7, v7, v17
	v_not_b32_e32 v23, v68
	ds_bpermute_b32 v22, v66, v0 offset:32
	ds_bpermute_b32 v40, v66, v1 offset:96
	ds_bpermute_b32 v17, v66, v16
	ds_bpermute_b32 v21, v66, v7
	v_xor_b32_e32 v18, v23, v18
	ds_bpermute_b32 v23, v66, v0 offset:64
	ds_bpermute_b32 v24, v66, v1 offset:32
	;; [unrolled: 1-line block ×3, first 2 shown]
	s_wait_dscnt 0x9
	s_wait_alu 0xfffd
	v_dual_cndmask_b32 v5, 0, v5 :: v_dual_cndmask_b32 v6, 0, v6
	ds_bpermute_b32 v28, v66, v16 offset:32
	ds_bpermute_b32 v29, v66, v4 offset:64
	ds_bpermute_b32 v25, v66, v18
	s_wait_dscnt 0xb
	s_wait_alu 0xf1ff
	v_cndmask_b32_e64 v5, v5, v20, s4
	ds_bpermute_b32 v20, v66, v2 offset:32
	ds_bpermute_b32 v27, v66, v7 offset:32
	s_wait_dscnt 0xc
	v_cndmask_b32_e64 v3, v6, v3, s4
	ds_bpermute_b32 v6, v66, v19
	ds_bpermute_b32 v30, v66, v7 offset:64
	ds_bpermute_b32 v37, v66, v18 offset:32
	s_wait_dscnt 0xe
	v_cndmask_b32_e32 v22, 0, v22, vcc_lo
	ds_bpermute_b32 v38, v66, v16 offset:64
	s_wait_dscnt 0xd
	v_cndmask_b32_e64 v5, v5, v17, s5
	s_wait_dscnt 0xc
	v_cndmask_b32_e64 v3, v3, v21, s5
	ds_bpermute_b32 v21, v66, v1 offset:64
	ds_bpermute_b32 v17, v66, v4 offset:32
	;; [unrolled: 1-line block ×7, first 2 shown]
	; wave barrier
	s_wait_loadcnt_dscnt 0x0
	global_inv scope:SCOPE_SE
	s_load_b32 s7, s[20:21], 0xc
	v_cmp_eq_u32_e64 s8, 0, v63
	v_cmp_eq_u32_e64 s9, 31, v36
	s_mov_b32 s22, 0
	v_cndmask_b32_e64 v1, v3, v6, s6
	ds_bpermute_b32 v6, v66, v0 offset:96
	v_dual_cndmask_b32 v0, 0, v23 :: v_dual_cndmask_b32 v23, 0, v40
	v_cndmask_b32_e64 v3, v22, v20, s4
	ds_bpermute_b32 v22, v66, v13
	ds_bpermute_b32 v40, v66, v8 offset:32
	v_cndmask_b32_e32 v20, 0, v21, vcc_lo
	ds_bpermute_b32 v21, v66, v2 offset:96
	v_cndmask_b32_e64 v2, v0, v26, s4
	v_cndmask_b32_e64 v3, v3, v27, s5
	;; [unrolled: 1-line block ×4, first 2 shown]
	ds_bpermute_b32 v25, v66, v4 offset:96
	v_cndmask_b32_e64 v5, v2, v30, s5
	ds_bpermute_b32 v26, v66, v15
	ds_bpermute_b32 v27, v66, v14
	;; [unrolled: 1-line block ×3, first 2 shown]
	ds_bpermute_b32 v30, v66, v13 offset:32
	v_cndmask_b32_e64 v3, v3, v31, s6
	v_cndmask_b32_e64 v5, v5, v39, s6
	s_wait_dscnt 0x8
	v_cndmask_b32_e32 v6, 0, v6, vcc_lo
	ds_bpermute_b32 v31, v66, v14 offset:32
	ds_bpermute_b32 v39, v66, v15 offset:32
	s_brev_b32 s23, 1
	s_wait_dscnt 0x9
	v_cndmask_b32_e32 v22, 0, v22, vcc_lo
	s_mov_b32 s17, 64
	s_wait_dscnt 0x7
	v_cndmask_b32_e64 v6, v6, v21, s4
	ds_bpermute_b32 v21, v66, v12 offset:32
	v_cndmask_b32_e32 v24, 0, v24, vcc_lo
	v_cndmask_b32_e64 v6, v6, v7, s5
	s_delay_alu instid0(VALU_DEP_2)
	v_cndmask_b32_e64 v17, v24, v17, s4
	ds_bpermute_b32 v24, v66, v12
	v_cndmask_b32_e64 v7, v6, v19, s6
	v_cndmask_b32_e64 v17, v17, v28, s5
	ds_bpermute_b32 v28, v66, v9
	v_cndmask_b32_e64 v2, v17, v37, s6
	v_cndmask_b32_e64 v17, v20, v38, s5
	ds_bpermute_b32 v20, v66, v18 offset:64
	ds_bpermute_b32 v18, v66, v18 offset:96
	ds_bpermute_b32 v38, v66, v10
	ds_bpermute_b32 v37, v66, v11
	s_wait_dscnt 0x5
	v_cndmask_b32_e32 v24, 0, v24, vcc_lo
	s_wait_dscnt 0x3
	v_cndmask_b32_e64 v4, v17, v20, s6
	v_cndmask_b32_e64 v17, v23, v25, s4
	;; [unrolled: 1-line block ×4, first 2 shown]
	ds_bpermute_b32 v23, v66, v13 offset:64
	ds_bpermute_b32 v24, v66, v12 offset:64
	v_cndmask_b32_e64 v16, v17, v16, s5
	v_cndmask_b32_e64 v19, v20, v28, s5
	;; [unrolled: 1-line block ×3, first 2 shown]
	ds_bpermute_b32 v13, v66, v13 offset:96
	ds_bpermute_b32 v12, v66, v12 offset:96
	s_wait_dscnt 0x6
	v_cndmask_b32_e64 v6, v16, v18, s6
	ds_bpermute_b32 v25, v66, v15 offset:64
	s_wait_dscnt 0x6
	v_cndmask_b32_e64 v16, v20, v38, s6
	ds_bpermute_b32 v20, v66, v9 offset:32
	ds_bpermute_b32 v26, v66, v14 offset:64
	;; [unrolled: 1-line block ×4, first 2 shown]
	v_cndmask_b32_e32 v17, 0, v21, vcc_lo
	v_cndmask_b32_e32 v21, 0, v30, vcc_lo
	ds_bpermute_b32 v27, v66, v9 offset:64
	ds_bpermute_b32 v28, v66, v8 offset:64
	;; [unrolled: 1-line block ×4, first 2 shown]
	v_cndmask_b32_e64 v18, v17, v31, s4
	s_wait_dscnt 0xd
	v_cndmask_b32_e64 v17, v19, v37, s6
	v_cndmask_b32_e64 v19, v21, v39, s4
	ds_bpermute_b32 v21, v66, v10 offset:32
	ds_bpermute_b32 v22, v66, v11 offset:32
	;; [unrolled: 1-line block ×6, first 2 shown]
	s_wait_dscnt 0x12
	v_cndmask_b32_e32 v23, 0, v23, vcc_lo
	s_wait_dscnt 0xd
	v_cndmask_b32_e64 v19, v19, v20, s5
	v_dual_cndmask_b32 v20, 0, v24 :: v_dual_cndmask_b32 v13, 0, v13
	v_cndmask_b32_e32 v12, 0, v12, vcc_lo
	v_cndmask_b32_e64 v23, v23, v25, s4
	v_cndmask_b32_e64 v18, v18, v40, s5
	s_wait_dscnt 0xc
	v_cndmask_b32_e64 v20, v20, v26, s4
	s_wait_dscnt 0xb
	;; [unrolled: 2-line block ×4, first 2 shown]
	v_cndmask_b32_e64 v14, v23, v27, s5
	v_lshlrev_b32_e32 v38, 3, v61
	s_wait_dscnt 0x8
	v_cndmask_b32_e64 v15, v20, v28, s5
	s_wait_dscnt 0x7
	v_cndmask_b32_e64 v13, v13, v9, s5
	;; [unrolled: 2-line block ×3, first 2 shown]
	s_getpc_b64 s[4:5]
	s_wait_alu 0xfffe
	s_sext_i32_i16 s5, s5
	s_add_co_u32 s4, s4, _ZN7rocprim17ROCPRIM_400000_NS16block_radix_sortIdLj32ELj4ElLj1ELj1ELj0ELNS0_26block_radix_rank_algorithmE1ELNS0_18block_padding_hintE2ELNS0_4arch9wavefront6targetE0EE19radix_bits_per_passE@rel32@lo+12
	s_wait_alu 0xfffe
	s_add_co_ci_u32 s5, s5, _ZN7rocprim17ROCPRIM_400000_NS16block_radix_sortIdLj32ELj4ElLj1ELj1ELj0ELNS0_26block_radix_rank_algorithmE1ELNS0_18block_padding_hintE2ELNS0_4arch9wavefront6targetE0EE19radix_bits_per_passE@rel32@hi+24
	s_wait_dscnt 0x4
	v_cndmask_b32_e64 v19, v19, v22, s6
	v_cndmask_b32_e64 v18, v18, v21, s6
	s_wait_dscnt 0x2
	v_cndmask_b32_e64 v9, v14, v30, s6
	v_cndmask_b32_e64 v8, v15, v29, s6
	;; [unrolled: 3-line block ×3, first 2 shown]
	s_wait_kmcnt 0x0
	s_lshr_b32 s6, s7, 16
	s_load_b32 s11, s[4:5], 0x0
	v_mad_u32_u24 v12, v65, s6, v64
	s_and_b32 s4, s7, 0xffff
	v_sub_co_u32 v14, s10, v35, 1
	v_cmp_lt_u32_e64 s5, 1, v62
	s_wait_alu 0xfffe
	v_mad_co_u64_u32 v[12:13], null, v12, s4, v[36:37]
	s_delay_alu instid0(VALU_DEP_3)
	v_cmp_gt_i32_e32 vcc_lo, 0, v14
	v_cmp_eq_u32_e64 s4, 0, v62
	v_cmp_lt_u32_e64 s6, 3, v62
	v_cmp_lt_u32_e64 s7, 7, v62
	s_wait_alu 0xfffd
	v_dual_mov_b32 v40, 0 :: v_dual_cndmask_b32 v13, v14, v35
	v_lshrrev_b32_e32 v12, 3, v12
	v_cmp_eq_u32_e32 vcc_lo, 0, v36
	s_delay_alu instid0(VALU_DEP_3) | instskip(NEXT) | instid1(VALU_DEP_3)
	v_lshlrev_b32_e32 v37, 2, v13
	v_dual_mov_b32 v12, 0 :: v_dual_and_b32 v39, 0x1ffffffc, v12
	v_mov_b32_e32 v13, 0
	s_or_b32 s15, vcc_lo, s10
	s_branch .LBB183_39
.LBB183_38:                             ;   in Loop: Header=BB183_39 Depth=1
	s_wait_alu 0xfffe
	s_and_not1_b32 vcc_lo, exec_lo, s10
	s_wait_alu 0xfffe
	s_cbranch_vccz .LBB183_51
.LBB183_39:                             ; =>This Inner Loop Header: Depth=1
	v_dual_mov_b32 v15, v1 :: v_dual_mov_b32 v14, v0
	s_wait_kmcnt 0x0
	s_min_u32 s10, s11, s17
	v_mov_b32_e32 v29, v7
	s_wait_alu 0xfffe
	s_lshl_b32 s10, -1, s10
	ds_store_2addr_b32 v60, v40, v40 offset0:1 offset1:2
	ds_store_2addr_b32 v60, v40, v40 offset0:3 offset1:4
	ds_store_2addr_b32 v60, v40, v40 offset0:5 offset1:6
	ds_store_2addr_b32 v60, v40, v40 offset0:7 offset1:8
	v_cmp_ne_u64_e32 vcc_lo, s[22:23], v[14:15]
	s_wait_alu 0xfffe
	s_not_b32 s20, s10
	; wave barrier
	s_wait_loadcnt_dscnt 0x0
	global_inv scope:SCOPE_SE
	; wave barrier
	s_wait_alu 0xfffd
	v_cndmask_b32_e32 v1, 0x7fffffff, v15, vcc_lo
	v_cndmask_b32_e32 v0, -1, v14, vcc_lo
	v_dual_mov_b32 v28, v6 :: v_dual_mov_b32 v31, v5
	v_mov_b32_e32 v30, v4
	v_mov_b32_e32 v36, v3
	s_delay_alu instid0(VALU_DEP_4) | instskip(SKIP_2) | instid1(VALU_DEP_2)
	v_lshrrev_b64 v[0:1], v12, v[0:1]
	v_mov_b32_e32 v35, v2
	s_wait_alu 0xfffe
	v_and_b32_e32 v1, s20, v0
	s_delay_alu instid0(VALU_DEP_1)
	v_and_b32_e32 v0, 1, v1
	v_lshlrev_b32_e32 v20, 30, v1
	v_lshlrev_b32_e32 v21, 29, v1
	;; [unrolled: 1-line block ×4, first 2 shown]
	v_add_co_u32 v0, s10, v0, -1
	s_wait_alu 0xf1ff
	v_cndmask_b32_e64 v23, 0, 1, s10
	v_not_b32_e32 v27, v20
	v_cmp_gt_i32_e64 s10, 0, v20
	v_not_b32_e32 v20, v21
	v_lshlrev_b32_e32 v25, 26, v1
	v_cmp_ne_u32_e32 vcc_lo, 0, v23
	v_lshlrev_b32_e32 v23, 24, v1
	v_lshlrev_b32_e32 v26, 25, v1
	v_ashrrev_i32_e32 v27, 31, v27
	v_ashrrev_i32_e32 v20, 31, v20
	s_wait_alu 0xfffd
	v_xor_b32_e32 v0, vcc_lo, v0
	v_cmp_gt_i32_e32 vcc_lo, 0, v21
	v_not_b32_e32 v21, v22
	s_wait_alu 0xf1ff
	v_xor_b32_e32 v27, s10, v27
	v_cmp_gt_i32_e64 s10, 0, v22
	v_and_b32_e32 v0, exec_lo, v0
	v_not_b32_e32 v22, v24
	v_ashrrev_i32_e32 v21, 31, v21
	s_wait_alu 0xfffd
	v_xor_b32_e32 v20, vcc_lo, v20
	v_cmp_gt_i32_e32 vcc_lo, 0, v24
	v_and_b32_e32 v0, v0, v27
	v_not_b32_e32 v24, v25
	v_ashrrev_i32_e32 v22, 31, v22
	s_wait_alu 0xf1ff
	v_xor_b32_e32 v21, s10, v21
	v_cmp_gt_i32_e64 s10, 0, v25
	v_and_b32_e32 v0, v0, v20
	v_ashrrev_i32_e32 v24, 31, v24
	s_wait_alu 0xfffd
	v_xor_b32_e32 v22, vcc_lo, v22
	s_delay_alu instid0(VALU_DEP_3)
	v_and_b32_e32 v0, v0, v21
	s_wait_alu 0xf1ff
	v_xor_b32_e32 v24, s10, v24
	v_not_b32_e32 v21, v23
	v_cmp_gt_i32_e64 s10, 0, v23
	v_dual_mov_b32 v23, v9 :: v_dual_and_b32 v0, v0, v22
	s_delay_alu instid0(VALU_DEP_3) | instskip(SKIP_2) | instid1(VALU_DEP_4)
	v_ashrrev_i32_e32 v21, 31, v21
	v_mov_b32_e32 v22, v8
	v_lshl_add_u32 v9, v1, 2, v39
	v_dual_mov_b32 v25, v19 :: v_dual_and_b32 v0, v0, v24
	v_not_b32_e32 v20, v26
	v_cmp_gt_i32_e32 vcc_lo, 0, v26
	s_wait_alu 0xf1ff
	v_xor_b32_e32 v21, s10, v21
	v_dual_mov_b32 v27, v17 :: v_dual_mov_b32 v26, v16
	v_ashrrev_i32_e32 v20, 31, v20
	v_mov_b32_e32 v24, v18
	s_wait_alu 0xfffd
	s_delay_alu instid0(VALU_DEP_2) | instskip(NEXT) | instid1(VALU_DEP_1)
	v_xor_b32_e32 v20, vcc_lo, v20
	v_and_b32_e32 v0, v0, v20
	s_delay_alu instid0(VALU_DEP_1) | instskip(SKIP_1) | instid1(VALU_DEP_2)
	v_dual_mov_b32 v21, v11 :: v_dual_and_b32 v0, v0, v21
	v_mov_b32_e32 v20, v10
	v_mbcnt_lo_u32_b32 v8, v0, 0
	v_cmp_ne_u32_e64 s10, 0, v0
	s_delay_alu instid0(VALU_DEP_2)
	v_cmp_eq_u32_e32 vcc_lo, 0, v8
	s_and_b32 s21, s10, vcc_lo
	s_wait_alu 0xfffe
	s_and_saveexec_b32 s10, s21
; %bb.40:                               ;   in Loop: Header=BB183_39 Depth=1
	v_bcnt_u32_b32 v0, v0, 0
	ds_store_b32 v9, v0 offset:4
; %bb.41:                               ;   in Loop: Header=BB183_39 Depth=1
	s_wait_alu 0xfffe
	s_or_b32 exec_lo, exec_lo, s10
	v_cmp_ne_u64_e32 vcc_lo, s[22:23], v[35:36]
	; wave barrier
	s_wait_alu 0xfffd
	v_cndmask_b32_e32 v1, 0x7fffffff, v36, vcc_lo
	v_cndmask_b32_e32 v0, -1, v35, vcc_lo
	s_delay_alu instid0(VALU_DEP_1) | instskip(NEXT) | instid1(VALU_DEP_1)
	v_lshrrev_b64 v[0:1], v12, v[0:1]
	v_and_b32_e32 v0, s20, v0
	s_delay_alu instid0(VALU_DEP_1)
	v_and_b32_e32 v1, 1, v0
	v_lshlrev_b32_e32 v2, 30, v0
	v_lshlrev_b32_e32 v3, 29, v0
	;; [unrolled: 1-line block ×4, first 2 shown]
	v_add_co_u32 v1, s10, v1, -1
	s_wait_alu 0xf1ff
	v_cndmask_b32_e64 v5, 0, 1, s10
	v_not_b32_e32 v11, v2
	v_cmp_gt_i32_e64 s10, 0, v2
	v_not_b32_e32 v2, v3
	v_lshlrev_b32_e32 v7, 26, v0
	v_cmp_ne_u32_e32 vcc_lo, 0, v5
	v_ashrrev_i32_e32 v11, 31, v11
	v_lshlrev_b32_e32 v10, 25, v0
	v_ashrrev_i32_e32 v2, 31, v2
	v_lshlrev_b32_e32 v5, 24, v0
	s_wait_alu 0xfffd
	v_xor_b32_e32 v1, vcc_lo, v1
	v_cmp_gt_i32_e32 vcc_lo, 0, v3
	v_not_b32_e32 v3, v4
	s_wait_alu 0xf1ff
	v_xor_b32_e32 v11, s10, v11
	v_cmp_gt_i32_e64 s10, 0, v4
	v_and_b32_e32 v1, exec_lo, v1
	v_not_b32_e32 v4, v6
	v_ashrrev_i32_e32 v3, 31, v3
	s_wait_alu 0xfffd
	v_xor_b32_e32 v2, vcc_lo, v2
	v_cmp_gt_i32_e32 vcc_lo, 0, v6
	v_and_b32_e32 v1, v1, v11
	v_not_b32_e32 v6, v7
	v_ashrrev_i32_e32 v4, 31, v4
	s_wait_alu 0xf1ff
	v_xor_b32_e32 v3, s10, v3
	v_cmp_gt_i32_e64 s10, 0, v7
	v_and_b32_e32 v1, v1, v2
	v_not_b32_e32 v2, v10
	v_ashrrev_i32_e32 v6, 31, v6
	s_wait_alu 0xfffd
	v_xor_b32_e32 v4, vcc_lo, v4
	v_cmp_gt_i32_e32 vcc_lo, 0, v10
	v_and_b32_e32 v1, v1, v3
	v_not_b32_e32 v3, v5
	v_ashrrev_i32_e32 v2, 31, v2
	s_wait_alu 0xf1ff
	v_xor_b32_e32 v6, s10, v6
	v_cmp_gt_i32_e64 s10, 0, v5
	v_and_b32_e32 v1, v1, v4
	v_ashrrev_i32_e32 v3, 31, v3
	s_wait_alu 0xfffd
	v_xor_b32_e32 v2, vcc_lo, v2
	v_lshl_add_u32 v11, v0, 2, v39
	v_and_b32_e32 v1, v1, v6
	s_wait_alu 0xf1ff
	v_xor_b32_e32 v0, s10, v3
	ds_load_b32 v10, v11 offset:4
	v_and_b32_e32 v1, v1, v2
	; wave barrier
	s_delay_alu instid0(VALU_DEP_1) | instskip(NEXT) | instid1(VALU_DEP_1)
	v_and_b32_e32 v0, v1, v0
	v_mbcnt_lo_u32_b32 v16, v0, 0
	v_cmp_ne_u32_e64 s10, 0, v0
	s_delay_alu instid0(VALU_DEP_2)
	v_cmp_eq_u32_e32 vcc_lo, 0, v16
	s_and_b32 s21, s10, vcc_lo
	s_wait_alu 0xfffe
	s_and_saveexec_b32 s10, s21
	s_cbranch_execz .LBB183_43
; %bb.42:                               ;   in Loop: Header=BB183_39 Depth=1
	s_wait_dscnt 0x0
	v_bcnt_u32_b32 v0, v0, v10
	ds_store_b32 v11, v0 offset:4
.LBB183_43:                             ;   in Loop: Header=BB183_39 Depth=1
	s_wait_alu 0xfffe
	s_or_b32 exec_lo, exec_lo, s10
	v_cmp_ne_u64_e32 vcc_lo, s[22:23], v[30:31]
	; wave barrier
	s_wait_alu 0xfffd
	v_cndmask_b32_e32 v1, 0x7fffffff, v31, vcc_lo
	v_cndmask_b32_e32 v0, -1, v30, vcc_lo
	s_delay_alu instid0(VALU_DEP_1) | instskip(NEXT) | instid1(VALU_DEP_1)
	v_lshrrev_b64 v[0:1], v12, v[0:1]
	v_and_b32_e32 v0, s20, v0
	s_delay_alu instid0(VALU_DEP_1)
	v_and_b32_e32 v1, 1, v0
	v_lshlrev_b32_e32 v2, 30, v0
	v_lshlrev_b32_e32 v3, 29, v0
	;; [unrolled: 1-line block ×4, first 2 shown]
	v_add_co_u32 v1, s10, v1, -1
	s_wait_alu 0xf1ff
	v_cndmask_b32_e64 v5, 0, 1, s10
	v_not_b32_e32 v18, v2
	v_cmp_gt_i32_e64 s10, 0, v2
	v_not_b32_e32 v2, v3
	v_lshlrev_b32_e32 v7, 26, v0
	v_cmp_ne_u32_e32 vcc_lo, 0, v5
	v_ashrrev_i32_e32 v18, 31, v18
	v_lshlrev_b32_e32 v17, 25, v0
	v_ashrrev_i32_e32 v2, 31, v2
	v_lshlrev_b32_e32 v5, 24, v0
	s_wait_alu 0xfffd
	v_xor_b32_e32 v1, vcc_lo, v1
	v_cmp_gt_i32_e32 vcc_lo, 0, v3
	v_not_b32_e32 v3, v4
	s_wait_alu 0xf1ff
	v_xor_b32_e32 v18, s10, v18
	v_cmp_gt_i32_e64 s10, 0, v4
	v_and_b32_e32 v1, exec_lo, v1
	v_not_b32_e32 v4, v6
	v_ashrrev_i32_e32 v3, 31, v3
	s_wait_alu 0xfffd
	v_xor_b32_e32 v2, vcc_lo, v2
	v_cmp_gt_i32_e32 vcc_lo, 0, v6
	v_and_b32_e32 v1, v1, v18
	v_not_b32_e32 v6, v7
	v_ashrrev_i32_e32 v4, 31, v4
	s_wait_alu 0xf1ff
	v_xor_b32_e32 v3, s10, v3
	v_cmp_gt_i32_e64 s10, 0, v7
	v_and_b32_e32 v1, v1, v2
	v_not_b32_e32 v2, v17
	v_ashrrev_i32_e32 v6, 31, v6
	s_wait_alu 0xfffd
	v_xor_b32_e32 v4, vcc_lo, v4
	v_cmp_gt_i32_e32 vcc_lo, 0, v17
	v_and_b32_e32 v1, v1, v3
	v_not_b32_e32 v3, v5
	v_ashrrev_i32_e32 v2, 31, v2
	s_wait_alu 0xf1ff
	v_xor_b32_e32 v6, s10, v6
	v_cmp_gt_i32_e64 s10, 0, v5
	v_and_b32_e32 v1, v1, v4
	v_ashrrev_i32_e32 v3, 31, v3
	s_wait_alu 0xfffd
	v_xor_b32_e32 v2, vcc_lo, v2
	v_lshl_add_u32 v18, v0, 2, v39
	v_and_b32_e32 v1, v1, v6
	s_wait_alu 0xf1ff
	v_xor_b32_e32 v0, s10, v3
	ds_load_b32 v17, v18 offset:4
	v_and_b32_e32 v1, v1, v2
	; wave barrier
	s_delay_alu instid0(VALU_DEP_1) | instskip(NEXT) | instid1(VALU_DEP_1)
	v_and_b32_e32 v0, v1, v0
	v_mbcnt_lo_u32_b32 v19, v0, 0
	v_cmp_ne_u32_e64 s10, 0, v0
	s_delay_alu instid0(VALU_DEP_2)
	v_cmp_eq_u32_e32 vcc_lo, 0, v19
	s_and_b32 s21, s10, vcc_lo
	s_wait_alu 0xfffe
	s_and_saveexec_b32 s10, s21
	s_cbranch_execz .LBB183_45
; %bb.44:                               ;   in Loop: Header=BB183_39 Depth=1
	s_wait_dscnt 0x0
	v_bcnt_u32_b32 v0, v0, v17
	ds_store_b32 v18, v0 offset:4
.LBB183_45:                             ;   in Loop: Header=BB183_39 Depth=1
	s_wait_alu 0xfffe
	s_or_b32 exec_lo, exec_lo, s10
	v_cmp_ne_u64_e32 vcc_lo, s[22:23], v[28:29]
	; wave barrier
	s_wait_alu 0xfffd
	v_cndmask_b32_e32 v1, 0x7fffffff, v29, vcc_lo
	v_cndmask_b32_e32 v0, -1, v28, vcc_lo
	s_delay_alu instid0(VALU_DEP_1) | instskip(NEXT) | instid1(VALU_DEP_1)
	v_lshrrev_b64 v[0:1], v12, v[0:1]
	v_and_b32_e32 v0, s20, v0
	s_delay_alu instid0(VALU_DEP_1)
	v_and_b32_e32 v1, 1, v0
	v_lshlrev_b32_e32 v2, 30, v0
	v_lshlrev_b32_e32 v3, 29, v0
	;; [unrolled: 1-line block ×4, first 2 shown]
	v_add_co_u32 v1, s10, v1, -1
	s_wait_alu 0xf1ff
	v_cndmask_b32_e64 v5, 0, 1, s10
	v_not_b32_e32 v42, v2
	v_cmp_gt_i32_e64 s10, 0, v2
	v_not_b32_e32 v2, v3
	v_lshlrev_b32_e32 v7, 26, v0
	v_cmp_ne_u32_e32 vcc_lo, 0, v5
	v_ashrrev_i32_e32 v42, 31, v42
	v_lshlrev_b32_e32 v41, 25, v0
	v_ashrrev_i32_e32 v2, 31, v2
	v_lshlrev_b32_e32 v5, 24, v0
	s_wait_alu 0xfffd
	v_xor_b32_e32 v1, vcc_lo, v1
	v_cmp_gt_i32_e32 vcc_lo, 0, v3
	v_not_b32_e32 v3, v4
	s_wait_alu 0xf1ff
	v_xor_b32_e32 v42, s10, v42
	v_cmp_gt_i32_e64 s10, 0, v4
	v_and_b32_e32 v1, exec_lo, v1
	v_not_b32_e32 v4, v6
	v_ashrrev_i32_e32 v3, 31, v3
	s_wait_alu 0xfffd
	v_xor_b32_e32 v2, vcc_lo, v2
	v_cmp_gt_i32_e32 vcc_lo, 0, v6
	v_and_b32_e32 v1, v1, v42
	v_not_b32_e32 v6, v7
	v_ashrrev_i32_e32 v4, 31, v4
	s_wait_alu 0xf1ff
	v_xor_b32_e32 v3, s10, v3
	v_cmp_gt_i32_e64 s10, 0, v7
	v_and_b32_e32 v1, v1, v2
	v_not_b32_e32 v2, v41
	v_ashrrev_i32_e32 v6, 31, v6
	s_wait_alu 0xfffd
	v_xor_b32_e32 v4, vcc_lo, v4
	v_cmp_gt_i32_e32 vcc_lo, 0, v41
	v_and_b32_e32 v1, v1, v3
	v_not_b32_e32 v3, v5
	v_ashrrev_i32_e32 v2, 31, v2
	s_wait_alu 0xf1ff
	v_xor_b32_e32 v6, s10, v6
	v_cmp_gt_i32_e64 s10, 0, v5
	v_and_b32_e32 v1, v1, v4
	v_ashrrev_i32_e32 v3, 31, v3
	s_wait_alu 0xfffd
	v_xor_b32_e32 v2, vcc_lo, v2
	v_lshl_add_u32 v42, v0, 2, v39
	v_and_b32_e32 v1, v1, v6
	s_wait_alu 0xf1ff
	v_xor_b32_e32 v0, s10, v3
	ds_load_b32 v41, v42 offset:4
	v_and_b32_e32 v1, v1, v2
	; wave barrier
	s_delay_alu instid0(VALU_DEP_1) | instskip(NEXT) | instid1(VALU_DEP_1)
	v_and_b32_e32 v0, v1, v0
	v_mbcnt_lo_u32_b32 v45, v0, 0
	v_cmp_ne_u32_e64 s10, 0, v0
	s_delay_alu instid0(VALU_DEP_2)
	v_cmp_eq_u32_e32 vcc_lo, 0, v45
	s_and_b32 s20, s10, vcc_lo
	s_wait_alu 0xfffe
	s_and_saveexec_b32 s10, s20
	s_cbranch_execz .LBB183_47
; %bb.46:                               ;   in Loop: Header=BB183_39 Depth=1
	s_wait_dscnt 0x0
	v_bcnt_u32_b32 v0, v0, v41
	ds_store_b32 v42, v0 offset:4
.LBB183_47:                             ;   in Loop: Header=BB183_39 Depth=1
	s_wait_alu 0xfffe
	s_or_b32 exec_lo, exec_lo, s10
	; wave barrier
	; wave barrier
	s_wait_loadcnt_dscnt 0x0
	global_inv scope:SCOPE_SE
	ds_load_2addr_b32 v[6:7], v60 offset0:1 offset1:2
	ds_load_2addr_b32 v[4:5], v60 offset0:3 offset1:4
	ds_load_2addr_b32 v[2:3], v60 offset0:5 offset1:6
	ds_load_2addr_b32 v[0:1], v60 offset0:7 offset1:8
	s_wait_dscnt 0x3
	v_add_nc_u32_e32 v43, v7, v6
	s_wait_dscnt 0x2
	s_delay_alu instid0(VALU_DEP_1) | instskip(SKIP_1) | instid1(VALU_DEP_1)
	v_add3_u32 v43, v43, v4, v5
	s_wait_dscnt 0x1
	v_add3_u32 v43, v43, v2, v3
	s_wait_dscnt 0x0
	s_delay_alu instid0(VALU_DEP_1) | instskip(NEXT) | instid1(VALU_DEP_1)
	v_add3_u32 v1, v43, v0, v1
	v_mov_b32_dpp v43, v1 row_shr:1 row_mask:0xf bank_mask:0xf
	s_delay_alu instid0(VALU_DEP_1) | instskip(NEXT) | instid1(VALU_DEP_1)
	v_cndmask_b32_e64 v43, v43, 0, s4
	v_add_nc_u32_e32 v1, v43, v1
	s_delay_alu instid0(VALU_DEP_1) | instskip(NEXT) | instid1(VALU_DEP_1)
	v_mov_b32_dpp v43, v1 row_shr:2 row_mask:0xf bank_mask:0xf
	v_cndmask_b32_e64 v43, 0, v43, s5
	s_delay_alu instid0(VALU_DEP_1) | instskip(NEXT) | instid1(VALU_DEP_1)
	v_add_nc_u32_e32 v1, v1, v43
	v_mov_b32_dpp v43, v1 row_shr:4 row_mask:0xf bank_mask:0xf
	s_delay_alu instid0(VALU_DEP_1) | instskip(NEXT) | instid1(VALU_DEP_1)
	v_cndmask_b32_e64 v43, 0, v43, s6
	v_add_nc_u32_e32 v1, v1, v43
	s_delay_alu instid0(VALU_DEP_1) | instskip(NEXT) | instid1(VALU_DEP_1)
	v_mov_b32_dpp v43, v1 row_shr:8 row_mask:0xf bank_mask:0xf
	v_cndmask_b32_e64 v43, 0, v43, s7
	s_delay_alu instid0(VALU_DEP_1) | instskip(SKIP_3) | instid1(VALU_DEP_1)
	v_add_nc_u32_e32 v1, v1, v43
	ds_swizzle_b32 v43, v1 offset:swizzle(BROADCAST,32,15)
	s_wait_dscnt 0x0
	v_cndmask_b32_e64 v43, v43, 0, s8
	v_add_nc_u32_e32 v1, v1, v43
	s_and_saveexec_b32 s10, s9
; %bb.48:                               ;   in Loop: Header=BB183_39 Depth=1
	ds_store_b32 v40, v1
; %bb.49:                               ;   in Loop: Header=BB183_39 Depth=1
	s_wait_alu 0xfffe
	s_or_b32 exec_lo, exec_lo, s10
	ds_bpermute_b32 v1, v37, v1
	; wave barrier
	s_wait_loadcnt_dscnt 0x0
	global_inv scope:SCOPE_SE
	v_cmp_lt_u32_e32 vcc_lo, 55, v12
	s_mov_b32 s10, -1
	s_and_b32 vcc_lo, exec_lo, vcc_lo
	v_cndmask_b32_e64 v1, v1, 0, s15
	s_delay_alu instid0(VALU_DEP_1) | instskip(NEXT) | instid1(VALU_DEP_1)
	v_add_nc_u32_e32 v6, v1, v6
	v_add_nc_u32_e32 v7, v6, v7
	s_delay_alu instid0(VALU_DEP_1) | instskip(NEXT) | instid1(VALU_DEP_1)
	v_add_nc_u32_e32 v4, v7, v4
	v_add_nc_u32_e32 v5, v4, v5
	;; [unrolled: 3-line block ×3, first 2 shown]
	s_delay_alu instid0(VALU_DEP_1)
	v_add_nc_u32_e32 v0, v3, v0
	ds_store_2addr_b32 v60, v1, v6 offset0:1 offset1:2
	ds_store_2addr_b32 v60, v7, v4 offset0:3 offset1:4
	;; [unrolled: 1-line block ×4, first 2 shown]
	; wave barrier
	s_wait_loadcnt_dscnt 0x0
	global_inv scope:SCOPE_SE
	ds_load_b32 v0, v9 offset:4
	ds_load_b32 v1, v11 offset:4
	;; [unrolled: 1-line block ×4, first 2 shown]
                                        ; implicit-def: $vgpr6_vgpr7
	s_wait_dscnt 0x3
	v_add_nc_u32_e32 v44, v0, v8
	s_wait_dscnt 0x2
	v_add3_u32 v43, v16, v10, v1
	s_wait_dscnt 0x1
	v_add3_u32 v42, v19, v17, v2
	s_wait_dscnt 0x0
	v_add3_u32 v41, v45, v41, v3
                                        ; implicit-def: $vgpr2_vgpr3
                                        ; implicit-def: $vgpr16_vgpr17
                                        ; implicit-def: $vgpr8_vgpr9
	s_wait_alu 0xfffe
	s_cbranch_vccnz .LBB183_38
; %bb.50:                               ;   in Loop: Header=BB183_39 Depth=1
	v_lshlrev_b32_e32 v8, 3, v44
	v_lshlrev_b32_e32 v9, 3, v43
	;; [unrolled: 1-line block ×4, first 2 shown]
	s_wait_loadcnt 0x0
	; wave barrier
	global_inv scope:SCOPE_SE
	ds_store_b64 v8, v[14:15]
	ds_store_b64 v9, v[35:36]
	;; [unrolled: 1-line block ×4, first 2 shown]
	; wave barrier
	s_wait_loadcnt_dscnt 0x0
	global_inv scope:SCOPE_SE
	ds_load_2addr_b64 v[0:3], v38 offset1:32
	ds_load_2addr_b64 v[4:7], v38 offset0:64 offset1:96
	; wave barrier
	s_wait_loadcnt_dscnt 0x0
	global_inv scope:SCOPE_SE
	ds_store_b64 v8, v[26:27]
	ds_store_b64 v9, v[24:25]
	;; [unrolled: 1-line block ×4, first 2 shown]
	; wave barrier
	s_wait_loadcnt_dscnt 0x0
	global_inv scope:SCOPE_SE
	ds_load_2addr_b64 v[16:19], v38 offset1:32
	ds_load_2addr_b64 v[8:11], v38 offset0:64 offset1:96
	v_add_co_u32 v12, vcc_lo, v12, 8
	s_wait_alu 0xfffd
	v_add_co_ci_u32_e64 v13, null, 0, v13, vcc_lo
	s_add_co_i32 s17, s17, -8
	s_mov_b32 s10, 0
	; wave barrier
	s_wait_loadcnt_dscnt 0x0
	global_inv scope:SCOPE_SE
	s_branch .LBB183_38
.LBB183_51:
	v_lshlrev_b32_e32 v8, 3, v44
	v_lshlrev_b32_e32 v10, 3, v42
	;; [unrolled: 1-line block ×5, first 2 shown]
	s_wait_loadcnt 0x0
	; wave barrier
	global_inv scope:SCOPE_SE
	ds_store_b64 v8, v[14:15]
	ds_store_b64 v9, v[35:36]
	;; [unrolled: 1-line block ×4, first 2 shown]
	; wave barrier
	s_wait_loadcnt_dscnt 0x0
	global_inv scope:SCOPE_SE
	ds_load_b128 v[0:3], v37
	ds_load_b128 v[4:7], v37 offset:16
	; wave barrier
	s_wait_loadcnt_dscnt 0x0
	global_inv scope:SCOPE_SE
	ds_store_b64 v8, v[26:27]
	ds_store_b64 v9, v[24:25]
	;; [unrolled: 1-line block ×4, first 2 shown]
	; wave barrier
	s_wait_loadcnt_dscnt 0x0
	global_inv scope:SCOPE_SE
	v_cmp_gt_i64_e32 vcc_lo, 0, v[0:1]
	v_ashrrev_i32_e32 v9, 31, v1
	v_ashrrev_i32_e32 v13, 31, v3
	;; [unrolled: 1-line block ×4, first 2 shown]
	s_wait_alu 0xfffd
	v_cndmask_b32_e64 v8, 0x7fffffff, 0, vcc_lo
	v_cmp_gt_i64_e32 vcc_lo, 0, v[2:3]
	v_not_b32_e32 v9, v9
	s_delay_alu instid0(VALU_DEP_3)
	v_xor_b32_e32 v1, v8, v1
	v_not_b32_e32 v8, v13
	s_wait_alu 0xfffd
	v_cndmask_b32_e64 v12, 0x7fffffff, 0, vcc_lo
	v_cmp_gt_i64_e32 vcc_lo, 0, v[4:5]
	v_xor_b32_e32 v0, v9, v0
	v_not_b32_e32 v13, v16
	v_xor_b32_e32 v2, v8, v2
	v_xor_b32_e32 v3, v12, v3
	v_not_b32_e32 v12, v15
	s_wait_alu 0xfffd
	v_cndmask_b32_e64 v14, 0x7fffffff, 0, vcc_lo
	v_cmp_gt_i64_e32 vcc_lo, 0, v[6:7]
	v_xor_b32_e32 v6, v13, v6
	v_xor_b32_e32 v4, v12, v4
	s_delay_alu instid0(VALU_DEP_4) | instskip(SKIP_2) | instid1(VALU_DEP_1)
	v_xor_b32_e32 v5, v14, v5
	s_wait_alu 0xfffd
	v_cndmask_b32_e64 v9, 0x7fffffff, 0, vcc_lo
	v_xor_b32_e32 v7, v9, v7
.LBB183_52:
	ds_load_2addr_b64 v[8:11], v37 offset1:1
	ds_load_2addr_b64 v[12:15], v37 offset0:2 offset1:3
	; wave barrier
	s_wait_loadcnt_dscnt 0x0
	global_inv scope:SCOPE_SE
	ds_store_2addr_b64 v59, v[0:1], v[2:3] offset1:1
	ds_store_2addr_b64 v59, v[4:5], v[6:7] offset0:2 offset1:3
	; wave barrier
	s_wait_loadcnt_dscnt 0x0
	global_inv scope:SCOPE_SE
	ds_load_b64 v[6:7], v56 offset:256
	ds_load_b64 v[4:5], v57 offset:512
	;; [unrolled: 1-line block ×3, first 2 shown]
	v_mov_b32_e32 v33, 0
	s_delay_alu instid0(VALU_DEP_1) | instskip(NEXT) | instid1(VALU_DEP_1)
	v_lshlrev_b64_e32 v[2:3], 3, v[32:33]
	v_add_co_u32 v2, vcc_lo, s18, v2
	s_wait_alu 0xfffd
	s_delay_alu instid0(VALU_DEP_2)
	v_add_co_ci_u32_e64 v3, null, s19, v3, vcc_lo
	s_and_saveexec_b32 s4, s0
	s_cbranch_execnz .LBB183_63
; %bb.53:
	s_wait_alu 0xfffe
	s_or_b32 exec_lo, exec_lo, s4
	s_and_saveexec_b32 s4, s1
	s_cbranch_execnz .LBB183_64
.LBB183_54:
	s_wait_alu 0xfffe
	s_or_b32 exec_lo, exec_lo, s4
	s_and_saveexec_b32 s4, s2
	s_cbranch_execnz .LBB183_65
.LBB183_55:
	s_wait_alu 0xfffe
	s_or_b32 exec_lo, exec_lo, s4
	s_and_saveexec_b32 s4, s3
	s_cbranch_execz .LBB183_57
.LBB183_56:
	s_mul_i32 s6, s14, 0x60
	s_mov_b32 s7, 0
	s_wait_alu 0xfffe
	s_lshl_b64 s[6:7], s[6:7], 3
	s_wait_alu 0xfffe
	v_add_co_u32 v2, vcc_lo, v2, s6
	s_wait_alu 0xfffd
	v_add_co_ci_u32_e64 v3, null, s7, v3, vcc_lo
	s_wait_dscnt 0x0
	global_store_b64 v[2:3], v[0:1], off
.LBB183_57:
	s_wait_alu 0xfffe
	s_or_b32 exec_lo, exec_lo, s4
	s_wait_storecnt 0x0
	; wave barrier
	s_wait_loadcnt_dscnt 0x0
	global_inv scope:SCOPE_SE
	ds_store_2addr_b64 v59, v[8:9], v[10:11] offset1:1
	ds_store_2addr_b64 v59, v[12:13], v[14:15] offset0:2 offset1:3
	; wave barrier
	s_wait_loadcnt_dscnt 0x0
	global_inv scope:SCOPE_SE
	ds_load_b64 v[6:7], v56 offset:256
	ds_load_b64 v[4:5], v57 offset:512
	;; [unrolled: 1-line block ×3, first 2 shown]
	v_mov_b32_e32 v35, 0
	s_delay_alu instid0(VALU_DEP_1) | instskip(NEXT) | instid1(VALU_DEP_1)
	v_lshlrev_b64_e32 v[2:3], 3, v[34:35]
	v_add_co_u32 v2, vcc_lo, s12, v2
	s_wait_alu 0xfffd
	s_delay_alu instid0(VALU_DEP_2)
	v_add_co_ci_u32_e64 v3, null, s13, v3, vcc_lo
	s_and_saveexec_b32 s4, s0
	s_cbranch_execnz .LBB183_66
; %bb.58:
	s_wait_alu 0xfffe
	s_or_b32 exec_lo, exec_lo, s4
	s_and_saveexec_b32 s0, s1
	s_cbranch_execnz .LBB183_67
.LBB183_59:
	s_or_b32 exec_lo, exec_lo, s0
	s_and_saveexec_b32 s0, s2
	s_cbranch_execnz .LBB183_68
.LBB183_60:
	s_or_b32 exec_lo, exec_lo, s0
	s_and_saveexec_b32 s0, s3
	s_cbranch_execz .LBB183_62
.LBB183_61:
	s_mul_i32 s0, s16, 0x60
	s_mov_b32 s1, 0
	s_delay_alu instid0(SALU_CYCLE_1) | instskip(NEXT) | instid1(SALU_CYCLE_1)
	s_lshl_b64 s[0:1], s[0:1], 3
	v_add_co_u32 v2, vcc_lo, v2, s0
	s_wait_alu 0xfffd
	v_add_co_ci_u32_e64 v3, null, s1, v3, vcc_lo
	s_wait_dscnt 0x0
	global_store_b64 v[2:3], v[0:1], off
.LBB183_62:
	s_endpgm
.LBB183_63:
	ds_load_b64 v[16:17], v55
	s_wait_dscnt 0x0
	global_store_b64 v[2:3], v[16:17], off
	s_wait_alu 0xfffe
	s_or_b32 exec_lo, exec_lo, s4
	s_and_saveexec_b32 s4, s1
	s_cbranch_execz .LBB183_54
.LBB183_64:
	s_lshl_b32 s6, s14, 5
	s_mov_b32 s7, 0
	s_wait_alu 0xfffe
	s_lshl_b64 s[6:7], s[6:7], 3
	s_wait_alu 0xfffe
	v_add_co_u32 v16, vcc_lo, v2, s6
	s_wait_alu 0xfffd
	v_add_co_ci_u32_e64 v17, null, s7, v3, vcc_lo
	s_wait_dscnt 0x2
	global_store_b64 v[16:17], v[6:7], off
	s_or_b32 exec_lo, exec_lo, s4
	s_and_saveexec_b32 s4, s2
	s_cbranch_execz .LBB183_55
.LBB183_65:
	s_lshl_b32 s6, s14, 6
	s_mov_b32 s7, 0
	s_wait_alu 0xfffe
	s_lshl_b64 s[6:7], s[6:7], 3
	s_wait_dscnt 0x2
	s_wait_alu 0xfffe
	v_add_co_u32 v6, vcc_lo, v2, s6
	s_wait_alu 0xfffd
	v_add_co_ci_u32_e64 v7, null, s7, v3, vcc_lo
	s_wait_dscnt 0x1
	global_store_b64 v[6:7], v[4:5], off
	s_or_b32 exec_lo, exec_lo, s4
	s_and_saveexec_b32 s4, s3
	s_cbranch_execnz .LBB183_56
	s_branch .LBB183_57
.LBB183_66:
	ds_load_b64 v[8:9], v55
	s_wait_dscnt 0x0
	global_store_b64 v[2:3], v[8:9], off
	s_wait_alu 0xfffe
	s_or_b32 exec_lo, exec_lo, s4
	s_and_saveexec_b32 s0, s1
	s_cbranch_execz .LBB183_59
.LBB183_67:
	s_lshl_b32 s4, s16, 5
	s_mov_b32 s5, 0
	s_wait_alu 0xfffe
	s_lshl_b64 s[4:5], s[4:5], 3
	s_wait_alu 0xfffe
	v_add_co_u32 v8, vcc_lo, v2, s4
	s_wait_alu 0xfffd
	v_add_co_ci_u32_e64 v9, null, s5, v3, vcc_lo
	s_wait_dscnt 0x2
	global_store_b64 v[8:9], v[6:7], off
	s_or_b32 exec_lo, exec_lo, s0
	s_and_saveexec_b32 s0, s2
	s_cbranch_execz .LBB183_60
.LBB183_68:
	s_lshl_b32 s4, s16, 6
	s_mov_b32 s5, 0
	s_wait_alu 0xfffe
	s_lshl_b64 s[4:5], s[4:5], 3
	s_wait_dscnt 0x2
	s_wait_alu 0xfffe
	v_add_co_u32 v6, vcc_lo, v2, s4
	s_wait_alu 0xfffd
	v_add_co_ci_u32_e64 v7, null, s5, v3, vcc_lo
	s_wait_dscnt 0x1
	global_store_b64 v[6:7], v[4:5], off
	s_or_b32 exec_lo, exec_lo, s0
	s_and_saveexec_b32 s0, s3
	s_cbranch_execnz .LBB183_61
	s_branch .LBB183_62
	.section	.rodata,"a",@progbits
	.p2align	6, 0x0
	.amdhsa_kernel _ZN2at6native18radixSortKVInPlaceILin2ELin1ELi32ELi4EdljEEvNS_4cuda6detail10TensorInfoIT3_T5_EES6_S6_S6_NS4_IT4_S6_EES6_b
		.amdhsa_group_segment_fixed_size 1056
		.amdhsa_private_segment_fixed_size 0
		.amdhsa_kernarg_size 712
		.amdhsa_user_sgpr_count 2
		.amdhsa_user_sgpr_dispatch_ptr 0
		.amdhsa_user_sgpr_queue_ptr 0
		.amdhsa_user_sgpr_kernarg_segment_ptr 1
		.amdhsa_user_sgpr_dispatch_id 0
		.amdhsa_user_sgpr_private_segment_size 0
		.amdhsa_wavefront_size32 1
		.amdhsa_uses_dynamic_stack 0
		.amdhsa_enable_private_segment 0
		.amdhsa_system_sgpr_workgroup_id_x 1
		.amdhsa_system_sgpr_workgroup_id_y 1
		.amdhsa_system_sgpr_workgroup_id_z 1
		.amdhsa_system_sgpr_workgroup_info 0
		.amdhsa_system_vgpr_workitem_id 2
		.amdhsa_next_free_vgpr 81
		.amdhsa_next_free_sgpr 26
		.amdhsa_reserve_vcc 1
		.amdhsa_float_round_mode_32 0
		.amdhsa_float_round_mode_16_64 0
		.amdhsa_float_denorm_mode_32 3
		.amdhsa_float_denorm_mode_16_64 3
		.amdhsa_fp16_overflow 0
		.amdhsa_workgroup_processor_mode 1
		.amdhsa_memory_ordered 1
		.amdhsa_forward_progress 1
		.amdhsa_inst_pref_size 85
		.amdhsa_round_robin_scheduling 0
		.amdhsa_exception_fp_ieee_invalid_op 0
		.amdhsa_exception_fp_denorm_src 0
		.amdhsa_exception_fp_ieee_div_zero 0
		.amdhsa_exception_fp_ieee_overflow 0
		.amdhsa_exception_fp_ieee_underflow 0
		.amdhsa_exception_fp_ieee_inexact 0
		.amdhsa_exception_int_div_zero 0
	.end_amdhsa_kernel
	.section	.text._ZN2at6native18radixSortKVInPlaceILin2ELin1ELi32ELi4EdljEEvNS_4cuda6detail10TensorInfoIT3_T5_EES6_S6_S6_NS4_IT4_S6_EES6_b,"axG",@progbits,_ZN2at6native18radixSortKVInPlaceILin2ELin1ELi32ELi4EdljEEvNS_4cuda6detail10TensorInfoIT3_T5_EES6_S6_S6_NS4_IT4_S6_EES6_b,comdat
.Lfunc_end183:
	.size	_ZN2at6native18radixSortKVInPlaceILin2ELin1ELi32ELi4EdljEEvNS_4cuda6detail10TensorInfoIT3_T5_EES6_S6_S6_NS4_IT4_S6_EES6_b, .Lfunc_end183-_ZN2at6native18radixSortKVInPlaceILin2ELin1ELi32ELi4EdljEEvNS_4cuda6detail10TensorInfoIT3_T5_EES6_S6_S6_NS4_IT4_S6_EES6_b
                                        ; -- End function
	.set _ZN2at6native18radixSortKVInPlaceILin2ELin1ELi32ELi4EdljEEvNS_4cuda6detail10TensorInfoIT3_T5_EES6_S6_S6_NS4_IT4_S6_EES6_b.num_vgpr, 81
	.set _ZN2at6native18radixSortKVInPlaceILin2ELin1ELi32ELi4EdljEEvNS_4cuda6detail10TensorInfoIT3_T5_EES6_S6_S6_NS4_IT4_S6_EES6_b.num_agpr, 0
	.set _ZN2at6native18radixSortKVInPlaceILin2ELin1ELi32ELi4EdljEEvNS_4cuda6detail10TensorInfoIT3_T5_EES6_S6_S6_NS4_IT4_S6_EES6_b.numbered_sgpr, 26
	.set _ZN2at6native18radixSortKVInPlaceILin2ELin1ELi32ELi4EdljEEvNS_4cuda6detail10TensorInfoIT3_T5_EES6_S6_S6_NS4_IT4_S6_EES6_b.num_named_barrier, 0
	.set _ZN2at6native18radixSortKVInPlaceILin2ELin1ELi32ELi4EdljEEvNS_4cuda6detail10TensorInfoIT3_T5_EES6_S6_S6_NS4_IT4_S6_EES6_b.private_seg_size, 0
	.set _ZN2at6native18radixSortKVInPlaceILin2ELin1ELi32ELi4EdljEEvNS_4cuda6detail10TensorInfoIT3_T5_EES6_S6_S6_NS4_IT4_S6_EES6_b.uses_vcc, 1
	.set _ZN2at6native18radixSortKVInPlaceILin2ELin1ELi32ELi4EdljEEvNS_4cuda6detail10TensorInfoIT3_T5_EES6_S6_S6_NS4_IT4_S6_EES6_b.uses_flat_scratch, 0
	.set _ZN2at6native18radixSortKVInPlaceILin2ELin1ELi32ELi4EdljEEvNS_4cuda6detail10TensorInfoIT3_T5_EES6_S6_S6_NS4_IT4_S6_EES6_b.has_dyn_sized_stack, 0
	.set _ZN2at6native18radixSortKVInPlaceILin2ELin1ELi32ELi4EdljEEvNS_4cuda6detail10TensorInfoIT3_T5_EES6_S6_S6_NS4_IT4_S6_EES6_b.has_recursion, 0
	.set _ZN2at6native18radixSortKVInPlaceILin2ELin1ELi32ELi4EdljEEvNS_4cuda6detail10TensorInfoIT3_T5_EES6_S6_S6_NS4_IT4_S6_EES6_b.has_indirect_call, 0
	.section	.AMDGPU.csdata,"",@progbits
; Kernel info:
; codeLenInByte = 10788
; TotalNumSgprs: 28
; NumVgprs: 81
; ScratchSize: 0
; MemoryBound: 0
; FloatMode: 240
; IeeeMode: 1
; LDSByteSize: 1056 bytes/workgroup (compile time only)
; SGPRBlocks: 0
; VGPRBlocks: 10
; NumSGPRsForWavesPerEU: 28
; NumVGPRsForWavesPerEU: 81
; Occupancy: 16
; WaveLimiterHint : 1
; COMPUTE_PGM_RSRC2:SCRATCH_EN: 0
; COMPUTE_PGM_RSRC2:USER_SGPR: 2
; COMPUTE_PGM_RSRC2:TRAP_HANDLER: 0
; COMPUTE_PGM_RSRC2:TGID_X_EN: 1
; COMPUTE_PGM_RSRC2:TGID_Y_EN: 1
; COMPUTE_PGM_RSRC2:TGID_Z_EN: 1
; COMPUTE_PGM_RSRC2:TIDIG_COMP_CNT: 2
	.section	.text._ZN2at6native18radixSortKVInPlaceILin2ELin1ELi16ELi2EdljEEvNS_4cuda6detail10TensorInfoIT3_T5_EES6_S6_S6_NS4_IT4_S6_EES6_b,"axG",@progbits,_ZN2at6native18radixSortKVInPlaceILin2ELin1ELi16ELi2EdljEEvNS_4cuda6detail10TensorInfoIT3_T5_EES6_S6_S6_NS4_IT4_S6_EES6_b,comdat
	.protected	_ZN2at6native18radixSortKVInPlaceILin2ELin1ELi16ELi2EdljEEvNS_4cuda6detail10TensorInfoIT3_T5_EES6_S6_S6_NS4_IT4_S6_EES6_b ; -- Begin function _ZN2at6native18radixSortKVInPlaceILin2ELin1ELi16ELi2EdljEEvNS_4cuda6detail10TensorInfoIT3_T5_EES6_S6_S6_NS4_IT4_S6_EES6_b
	.globl	_ZN2at6native18radixSortKVInPlaceILin2ELin1ELi16ELi2EdljEEvNS_4cuda6detail10TensorInfoIT3_T5_EES6_S6_S6_NS4_IT4_S6_EES6_b
	.p2align	8
	.type	_ZN2at6native18radixSortKVInPlaceILin2ELin1ELi16ELi2EdljEEvNS_4cuda6detail10TensorInfoIT3_T5_EES6_S6_S6_NS4_IT4_S6_EES6_b,@function
_ZN2at6native18radixSortKVInPlaceILin2ELin1ELi16ELi2EdljEEvNS_4cuda6detail10TensorInfoIT3_T5_EES6_S6_S6_NS4_IT4_S6_EES6_b: ; @_ZN2at6native18radixSortKVInPlaceILin2ELin1ELi16ELi2EdljEEvNS_4cuda6detail10TensorInfoIT3_T5_EES6_S6_S6_NS4_IT4_S6_EES6_b
; %bb.0:
	s_clause 0x1
	s_load_b64 s[2:3], s[0:1], 0x1c8
	s_load_b96 s[16:18], s[0:1], 0xd8
	s_lshr_b32 s4, ttmp7, 16
	s_wait_kmcnt 0x0
	s_mul_i32 s3, s3, s4
	s_and_b32 s4, ttmp7, 0xffff
	s_delay_alu instid0(SALU_CYCLE_1) | instskip(NEXT) | instid1(SALU_CYCLE_1)
	s_add_co_i32 s3, s3, s4
	s_mul_i32 s6, s3, s2
	s_delay_alu instid0(SALU_CYCLE_1) | instskip(NEXT) | instid1(SALU_CYCLE_1)
	s_add_co_i32 s6, s6, ttmp9
	s_cmp_ge_u32 s6, s16
	s_cbranch_scc1 .LBB184_54
; %bb.1:
	s_load_b32 s4, s[0:1], 0x1b8
	s_add_nc_u64 s[8:9], s[0:1], 0xe8
	s_mov_b32 s3, 0
	s_mov_b32 s2, s6
	s_wait_kmcnt 0x0
	s_cmp_lt_i32 s4, 2
	s_cbranch_scc1 .LBB184_4
; %bb.2:
	s_add_co_i32 s2, s4, -1
	s_add_co_i32 s7, s4, 1
	s_lshl_b64 s[10:11], s[2:3], 2
	s_mov_b32 s2, s6
	s_add_nc_u64 s[10:11], s[8:9], s[10:11]
	s_delay_alu instid0(SALU_CYCLE_1)
	s_add_nc_u64 s[4:5], s[10:11], 8
.LBB184_3:                              ; =>This Inner Loop Header: Depth=1
	s_clause 0x1
	s_load_b32 s10, s[4:5], 0x0
	s_load_b32 s11, s[4:5], 0x64
	s_mov_b32 s14, s2
	s_add_nc_u64 s[4:5], s[4:5], -4
	s_wait_kmcnt 0x0
	s_cvt_f32_u32 s12, s10
	s_sub_co_i32 s13, 0, s10
	s_wait_alu 0xfffe
	s_delay_alu instid0(SALU_CYCLE_1) | instskip(NEXT) | instid1(TRANS32_DEP_1)
	v_rcp_iflag_f32_e32 v1, s12
	v_readfirstlane_b32 s12, v1
	s_mul_f32 s12, s12, 0x4f7ffffe
	s_wait_alu 0xfffe
	s_delay_alu instid0(SALU_CYCLE_2) | instskip(SKIP_1) | instid1(SALU_CYCLE_2)
	s_cvt_u32_f32 s12, s12
	s_wait_alu 0xfffe
	s_mul_i32 s13, s13, s12
	s_wait_alu 0xfffe
	s_mul_hi_u32 s13, s12, s13
	s_wait_alu 0xfffe
	s_add_co_i32 s12, s12, s13
	s_wait_alu 0xfffe
	s_mul_hi_u32 s2, s2, s12
	s_delay_alu instid0(SALU_CYCLE_1)
	s_mul_i32 s12, s2, s10
	s_add_co_i32 s13, s2, 1
	s_wait_alu 0xfffe
	s_sub_co_i32 s12, s14, s12
	s_wait_alu 0xfffe
	s_sub_co_i32 s15, s12, s10
	s_cmp_ge_u32 s12, s10
	s_cselect_b32 s2, s13, s2
	s_cselect_b32 s12, s15, s12
	s_add_co_i32 s13, s2, 1
	s_wait_alu 0xfffe
	s_cmp_ge_u32 s12, s10
	s_cselect_b32 s2, s13, s2
	s_add_co_i32 s7, s7, -1
	s_mul_i32 s10, s2, s10
	s_delay_alu instid0(SALU_CYCLE_1) | instskip(NEXT) | instid1(SALU_CYCLE_1)
	s_sub_co_i32 s10, s14, s10
	s_mul_i32 s10, s11, s10
	s_delay_alu instid0(SALU_CYCLE_1)
	s_add_co_i32 s3, s10, s3
	s_cmp_gt_u32 s7, 2
	s_cbranch_scc1 .LBB184_3
.LBB184_4:
	s_clause 0x2
	s_load_b64 s[10:11], s[0:1], 0x0
	s_load_b32 s4, s[0:1], 0x6c
	s_load_b64 s[20:21], s[0:1], 0x1c0
	s_mov_b32 s1, 0
	v_mul_lo_u32 v20, s18, v0
	s_wait_kmcnt 0x0
	s_mul_i32 s0, s4, s6
	s_bitcmp1_b32 s21, 0
	s_mov_b32 s4, -1
	s_cselect_b32 s12, -1, 0
	s_lshl_b64 s[14:15], s[0:1], 3
	s_wait_alu 0xfffe
	s_and_b32 s0, s12, exec_lo
	s_cselect_b32 s5, -1, 0x7fffffff
	s_mov_b32 s6, s4
	s_mov_b32 s7, s5
	v_dual_mov_b32 v1, s4 :: v_dual_mov_b32 v2, s5
	v_cmp_gt_u32_e64 s0, s17, v0
	v_dual_mov_b32 v3, s6 :: v_dual_mov_b32 v4, s7
	v_dual_mov_b32 v6, s5 :: v_dual_mov_b32 v5, s4
	s_add_nc_u64 s[22:23], s[10:11], s[14:15]
	s_and_saveexec_b32 s1, s0
	s_cbranch_execz .LBB184_6
; %bb.5:
	v_mov_b32_e32 v21, 0
	s_delay_alu instid0(VALU_DEP_1) | instskip(NEXT) | instid1(VALU_DEP_1)
	v_lshlrev_b64_e32 v[1:2], 3, v[20:21]
	v_add_co_u32 v1, vcc_lo, s22, v1
	s_delay_alu instid0(VALU_DEP_1)
	v_add_co_ci_u32_e64 v2, null, s23, v2, vcc_lo
	global_load_b64 v[5:6], v[1:2], off
	v_dual_mov_b32 v1, s4 :: v_dual_mov_b32 v4, s7
	v_dual_mov_b32 v3, s6 :: v_dual_mov_b32 v2, s5
.LBB184_6:
	s_or_b32 exec_lo, exec_lo, s1
	s_clause 0x1
	s_load_b32 s6, s[8:9], 0x6c
	s_load_b64 s[4:5], s[8:9], 0x0
	v_or_b32_e32 v7, 16, v0
	s_delay_alu instid0(VALU_DEP_1)
	v_cmp_gt_u32_e64 s1, s17, v7
	s_and_saveexec_b32 s7, s1
	s_cbranch_execz .LBB184_8
; %bb.7:
	v_mul_lo_u32 v1, s18, v7
	v_mov_b32_e32 v2, 0
	s_delay_alu instid0(VALU_DEP_1) | instskip(NEXT) | instid1(VALU_DEP_1)
	v_lshlrev_b64_e32 v[1:2], 3, v[1:2]
	v_add_co_u32 v1, vcc_lo, s22, v1
	s_wait_alu 0xfffd
	s_delay_alu instid0(VALU_DEP_2)
	v_add_co_ci_u32_e64 v2, null, s23, v2, vcc_lo
	global_load_b64 v[3:4], v[1:2], off
.LBB184_8:
	s_wait_alu 0xfffe
	s_or_b32 exec_lo, exec_lo, s7
	v_dual_mov_b32 v18, 0 :: v_dual_lshlrev_b32 v29, 3, v0
	v_lshlrev_b32_e32 v30, 4, v0
	s_wait_kmcnt 0x0
	s_mul_i32 s2, s6, s2
	v_mul_lo_u32 v17, s20, v0
	s_wait_loadcnt 0x0
	ds_store_2addr_b64 v29, v[5:6], v[3:4] offset1:16
	s_wait_dscnt 0x0
	; wave barrier
	global_inv scope:SCOPE_SE
	v_mov_b32_e32 v5, 0
	ds_load_2addr_b64 v[1:4], v30 offset1:1
	s_add_co_i32 s2, s2, s3
	s_mov_b32 s3, 0
	v_dual_mov_b32 v6, 0 :: v_dual_mov_b32 v19, v18
	s_lshl_b64 s[2:3], s[2:3], 3
	s_wait_loadcnt_dscnt 0x0
	s_add_nc_u64 s[16:17], s[4:5], s[2:3]
	; wave barrier
	global_inv scope:SCOPE_SE
	s_and_saveexec_b32 s2, s0
	s_cbranch_execz .LBB184_10
; %bb.9:
	v_lshlrev_b64_e32 v[5:6], 3, v[17:18]
	v_mov_b32_e32 v19, v18
	s_wait_alu 0xfffe
	s_delay_alu instid0(VALU_DEP_2) | instskip(SKIP_1) | instid1(VALU_DEP_3)
	v_add_co_u32 v5, vcc_lo, s16, v5
	s_wait_alu 0xfffd
	v_add_co_ci_u32_e64 v6, null, s17, v6, vcc_lo
	global_load_b64 v[5:6], v[5:6], off
.LBB184_10:
	s_or_b32 exec_lo, exec_lo, s2
	s_xor_b32 s8, s12, -1
	s_and_saveexec_b32 s2, s1
	s_cbranch_execz .LBB184_12
; %bb.11:
	v_mul_lo_u32 v7, s20, v7
	v_mov_b32_e32 v8, 0
	s_delay_alu instid0(VALU_DEP_1) | instskip(SKIP_1) | instid1(VALU_DEP_1)
	v_lshlrev_b64_e32 v[7:8], 3, v[7:8]
	s_wait_alu 0xfffe
	v_add_co_u32 v7, vcc_lo, s16, v7
	s_wait_alu 0xfffd
	s_delay_alu instid0(VALU_DEP_2)
	v_add_co_ci_u32_e64 v8, null, s17, v8, vcc_lo
	global_load_b64 v[18:19], v[7:8], off
.LBB184_12:
	s_or_b32 exec_lo, exec_lo, s2
	v_mbcnt_lo_u32_b32 v9, -1, 0
	s_getpc_b64 s[2:3]
	s_sext_i32_i16 s3, s3
	s_add_co_u32 s2, s2, _ZN7rocprim17ROCPRIM_400000_NS16block_radix_sortIdLj16ELj2ElLj1ELj1ELj0ELNS0_26block_radix_rank_algorithmE1ELNS0_18block_padding_hintE2ELNS0_4arch9wavefront6targetE0EE19radix_bits_per_passE@rel32@lo+8
	s_add_co_ci_u32 s3, s3, _ZN7rocprim17ROCPRIM_400000_NS16block_radix_sortIdLj16ELj2ElLj1ELj1ELj0ELNS0_26block_radix_rank_algorithmE1ELNS0_18block_padding_hintE2ELNS0_4arch9wavefront6targetE0EE19radix_bits_per_passE@rel32@hi+16
	s_wait_loadcnt 0x0
	ds_store_2addr_b64 v29, v[5:6], v[18:19] offset1:16
	s_wait_dscnt 0x0
	; wave barrier
	global_inv scope:SCOPE_SE
	ds_load_2addr_b64 v[5:8], v30 offset1:1
	v_sub_co_u32 v11, s15, v9, 1
	v_and_b32_e32 v12, 16, v9
	s_load_b32 s19, s[2:3], 0x0
	v_and_b32_e32 v10, 15, v9
	v_cmp_gt_u32_e64 s2, 0x80, v0
	v_cmp_eq_u32_e64 s7, 15, v0
	v_cmp_lt_i32_e32 vcc_lo, v11, v12
	v_lshlrev_b32_e32 v32, 5, v0
	v_cmp_eq_u32_e64 s3, 0, v10
	v_cmp_lt_u32_e64 s4, 1, v10
	v_cmp_lt_u32_e64 s5, 3, v10
	s_wait_alu 0xfffd
	v_cndmask_b32_e32 v9, v11, v9, vcc_lo
	v_cmp_lt_u32_e64 s6, 7, v10
	v_sub_nc_u32_e32 v31, v32, v30
	s_and_b32 vcc_lo, exec_lo, s8
	v_ashrrev_i32_e32 v35, 31, v2
	v_lshlrev_b32_e32 v33, 2, v9
	v_ashrrev_i32_e32 v34, 31, v4
	v_cmp_gt_u32_e64 s8, 0x70, v0
	v_cmp_gt_u32_e64 s9, 0x60, v0
	;; [unrolled: 1-line block ×7, first 2 shown]
	s_mov_b32 s21, -1
	; wave barrier
	s_wait_loadcnt_dscnt 0x0
	global_inv scope:SCOPE_SE
	s_wait_alu 0xfffe
	s_cbranch_vccz .LBB184_28
; %bb.13:
	v_cmp_lt_i64_e32 vcc_lo, -1, v[1:2]
	v_dual_mov_b32 v23, 0 :: v_dual_lshlrev_b32 v36, 2, v0
	v_xor_b32_e32 v9, v35, v1
	v_dual_mov_b32 v24, 0 :: v_dual_mov_b32 v37, 0
	s_wait_alu 0xfffd
	v_cndmask_b32_e64 v10, -1, 0x80000000, vcc_lo
	v_cmp_lt_i64_e32 vcc_lo, -1, v[3:4]
	v_dual_mov_b32 v14, v6 :: v_dual_mov_b32 v13, v5
	v_dual_mov_b32 v16, v8 :: v_dual_mov_b32 v15, v7
	s_delay_alu instid0(VALU_DEP_4)
	v_xor_b32_e32 v10, v10, v2
	s_wait_alu 0xfffd
	v_cndmask_b32_e64 v11, -1, 0x80000000, vcc_lo
	s_mov_b32 s24, -1
	s_brev_b32 s25, -2
	s_mov_b32 s21, 64
	s_delay_alu instid0(VALU_DEP_1)
	v_xor_b32_e32 v12, v11, v4
	v_xor_b32_e32 v11, v34, v3
	s_branch .LBB184_15
.LBB184_14:                             ;   in Loop: Header=BB184_15 Depth=1
	s_wait_alu 0xfffe
	s_and_not1_b32 vcc_lo, exec_lo, s26
	s_wait_alu 0xfffe
	s_cbranch_vccz .LBB184_29
.LBB184_15:                             ; =>This Inner Loop Header: Depth=1
	s_delay_alu instid0(VALU_DEP_1)
	v_dual_mov_b32 v26, v12 :: v_dual_mov_b32 v25, v11
	v_dual_mov_b32 v28, v10 :: v_dual_mov_b32 v27, v9
	;; [unrolled: 1-line block ×4, first 2 shown]
	s_and_saveexec_b32 s26, s2
	s_cbranch_execz .LBB184_24
; %bb.16:                               ;   in Loop: Header=BB184_15 Depth=1
	ds_store_b32 v36, v37
	s_and_b32 exec_lo, exec_lo, s8
	s_cbranch_execz .LBB184_24
; %bb.17:                               ;   in Loop: Header=BB184_15 Depth=1
	ds_store_b32 v36, v37 offset:64
	s_and_b32 exec_lo, exec_lo, s9
	s_cbranch_execz .LBB184_24
; %bb.18:                               ;   in Loop: Header=BB184_15 Depth=1
	ds_store_b32 v36, v37 offset:128
	;; [unrolled: 4-line block ×6, first 2 shown]
	s_and_b32 exec_lo, exec_lo, s14
; %bb.23:                               ;   in Loop: Header=BB184_15 Depth=1
	ds_store_b32 v36, v37 offset:448
.LBB184_24:                             ;   in Loop: Header=BB184_15 Depth=1
	s_wait_alu 0xfffe
	s_or_b32 exec_lo, exec_lo, s26
	v_cmp_ne_u64_e32 vcc_lo, s[24:25], v[27:28]
	s_wait_kmcnt 0x0
	s_min_u32 s26, s19, s21
	s_wait_alu 0xfffe
	s_lshl_b32 s26, -1, s26
	s_wait_alu 0xfffe
	s_not_b32 s26, s26
	s_wait_alu 0xfffd
	v_cndmask_b32_e32 v10, 0x80000000, v28, vcc_lo
	v_cndmask_b32_e32 v9, 0, v27, vcc_lo
	v_cmp_ne_u64_e32 vcc_lo, s[24:25], v[25:26]
	s_delay_alu instid0(VALU_DEP_2) | instskip(SKIP_1) | instid1(VALU_DEP_1)
	v_lshrrev_b64 v[9:10], v23, v[9:10]
	s_wait_alu 0xfffe
	v_and_b32_e32 v9, s26, v9
	s_delay_alu instid0(VALU_DEP_1) | instskip(SKIP_1) | instid1(VALU_DEP_2)
	v_lshlrev_b32_e32 v10, 4, v9
	v_lshrrev_b32_e32 v9, 2, v9
	v_and_or_b32 v11, 0x70, v10, v0
	s_delay_alu instid0(VALU_DEP_2) | instskip(SKIP_3) | instid1(VALU_DEP_3)
	v_and_b32_e32 v12, 0x1ffffffe, v9
	s_wait_alu 0xfffd
	v_cndmask_b32_e32 v10, 0x80000000, v26, vcc_lo
	v_cndmask_b32_e32 v9, 0, v25, vcc_lo
	v_lshl_add_u32 v38, v11, 2, v12
	s_delay_alu instid0(VALU_DEP_2) | instskip(SKIP_2) | instid1(VALU_DEP_1)
	v_lshrrev_b64 v[9:10], v23, v[9:10]
	ds_load_u16 v39, v38
	v_and_b32_e32 v9, s26, v9
	v_lshlrev_b32_e32 v10, 4, v9
	v_lshrrev_b32_e32 v9, 2, v9
	s_delay_alu instid0(VALU_DEP_2) | instskip(NEXT) | instid1(VALU_DEP_2)
	v_and_or_b32 v10, 0x70, v10, v0
	v_and_b32_e32 v9, 0x1ffffffe, v9
	s_delay_alu instid0(VALU_DEP_1)
	v_lshl_add_u32 v40, v10, 2, v9
	s_wait_dscnt 0x0
	v_add_nc_u16 v11, v39, 1
	ds_store_b16 v38, v11
	ds_load_u16 v41, v40
	s_wait_dscnt 0x0
	v_add_nc_u16 v9, v41, 1
	ds_store_b16 v40, v9
	; wave barrier
	s_wait_loadcnt_dscnt 0x0
	global_inv scope:SCOPE_SE
	ds_load_b128 v[13:16], v32
	ds_load_b128 v[9:12], v32 offset:16
	s_wait_dscnt 0x1
	v_add_nc_u32_e32 v42, v14, v13
	s_delay_alu instid0(VALU_DEP_1) | instskip(SKIP_1) | instid1(VALU_DEP_1)
	v_add3_u32 v42, v42, v15, v16
	s_wait_dscnt 0x0
	v_add3_u32 v42, v42, v9, v10
	s_delay_alu instid0(VALU_DEP_1) | instskip(NEXT) | instid1(VALU_DEP_1)
	v_add3_u32 v12, v42, v11, v12
	v_mov_b32_dpp v42, v12 row_shr:1 row_mask:0xf bank_mask:0xf
	s_delay_alu instid0(VALU_DEP_1) | instskip(NEXT) | instid1(VALU_DEP_1)
	v_cndmask_b32_e64 v42, v42, 0, s3
	v_add_nc_u32_e32 v12, v42, v12
	s_delay_alu instid0(VALU_DEP_1) | instskip(NEXT) | instid1(VALU_DEP_1)
	v_mov_b32_dpp v42, v12 row_shr:2 row_mask:0xf bank_mask:0xf
	v_cndmask_b32_e64 v42, 0, v42, s4
	s_delay_alu instid0(VALU_DEP_1) | instskip(NEXT) | instid1(VALU_DEP_1)
	v_add_nc_u32_e32 v12, v12, v42
	v_mov_b32_dpp v42, v12 row_shr:4 row_mask:0xf bank_mask:0xf
	s_delay_alu instid0(VALU_DEP_1) | instskip(NEXT) | instid1(VALU_DEP_1)
	v_cndmask_b32_e64 v42, 0, v42, s5
	v_add_nc_u32_e32 v12, v12, v42
	s_delay_alu instid0(VALU_DEP_1) | instskip(NEXT) | instid1(VALU_DEP_1)
	v_mov_b32_dpp v42, v12 row_shr:8 row_mask:0xf bank_mask:0xf
	v_cndmask_b32_e64 v42, 0, v42, s6
	s_delay_alu instid0(VALU_DEP_1)
	v_add_nc_u32_e32 v12, v12, v42
	s_and_saveexec_b32 s26, s7
; %bb.25:                               ;   in Loop: Header=BB184_15 Depth=1
	ds_store_b32 v37, v12 offset:512
; %bb.26:                               ;   in Loop: Header=BB184_15 Depth=1
	s_wait_alu 0xfffe
	s_or_b32 exec_lo, exec_lo, s26
	ds_bpermute_b32 v12, v33, v12
	; wave barrier
	s_wait_loadcnt_dscnt 0x0
	global_inv scope:SCOPE_SE
	ds_load_b32 v42, v37 offset:512
	v_cmp_lt_u32_e32 vcc_lo, 59, v23
	s_mov_b32 s26, -1
	s_and_b32 vcc_lo, exec_lo, vcc_lo
	v_cndmask_b32_e64 v12, v12, 0, s15
	s_wait_dscnt 0x0
	s_delay_alu instid0(VALU_DEP_1) | instskip(NEXT) | instid1(VALU_DEP_1)
	v_lshl_add_u32 v12, v42, 16, v12
	v_add_nc_u32_e32 v13, v12, v13
	s_delay_alu instid0(VALU_DEP_1) | instskip(NEXT) | instid1(VALU_DEP_1)
	v_add_nc_u32_e32 v14, v13, v14
	v_add_nc_u32_e32 v15, v14, v15
	s_delay_alu instid0(VALU_DEP_1) | instskip(NEXT) | instid1(VALU_DEP_1)
	v_add_nc_u32_e32 v42, v15, v16
	;; [unrolled: 3-line block ×3, first 2 shown]
	v_add_nc_u32_e32 v45, v44, v11
	v_and_b32_e32 v11, 0xffff, v39
	ds_store_b128 v32, v[12:15]
	ds_store_b128 v32, v[42:45] offset:16
	; wave barrier
	s_wait_loadcnt_dscnt 0x0
	global_inv scope:SCOPE_SE
	ds_load_u16 v9, v38
	ds_load_u16 v10, v40
	v_and_b32_e32 v12, 0xffff, v41
                                        ; implicit-def: $vgpr15_vgpr16
	s_wait_dscnt 0x1
	v_add_nc_u32_e32 v39, v9, v11
	s_wait_dscnt 0x0
	s_delay_alu instid0(VALU_DEP_2)
	v_add_nc_u32_e32 v38, v10, v12
                                        ; implicit-def: $vgpr11_vgpr12
	s_wait_alu 0xfffe
	s_cbranch_vccnz .LBB184_14
; %bb.27:                               ;   in Loop: Header=BB184_15 Depth=1
	v_lshlrev_b32_e32 v13, 3, v39
	s_delay_alu instid0(VALU_DEP_2)
	v_lshlrev_b32_e32 v14, 3, v38
	s_wait_loadcnt 0x0
	; wave barrier
	global_inv scope:SCOPE_SE
	v_add_co_u32 v23, vcc_lo, v23, 4
	ds_store_b64 v13, v[27:28]
	ds_store_b64 v14, v[25:26]
	; wave barrier
	s_wait_loadcnt_dscnt 0x0
	global_inv scope:SCOPE_SE
	ds_load_b128 v[9:12], v31
	; wave barrier
	s_wait_loadcnt_dscnt 0x0
	global_inv scope:SCOPE_SE
	ds_store_b64 v13, v[21:22]
	ds_store_b64 v14, v[18:19]
	; wave barrier
	s_wait_loadcnt_dscnt 0x0
	global_inv scope:SCOPE_SE
	ds_load_b128 v[13:16], v31
	s_wait_alu 0xfffd
	v_add_co_ci_u32_e64 v24, null, 0, v24, vcc_lo
	s_add_co_i32 s21, s21, -4
	s_mov_b32 s26, 0
	; wave barrier
	s_wait_loadcnt_dscnt 0x0
	global_inv scope:SCOPE_SE
	s_branch .LBB184_14
.LBB184_28:
                                        ; implicit-def: $vgpr11_vgpr12
                                        ; implicit-def: $vgpr13_vgpr14_vgpr15_vgpr16
	s_and_b32 vcc_lo, exec_lo, s21
	s_wait_alu 0xfffe
	s_cbranch_vccnz .LBB184_30
	s_branch .LBB184_46
.LBB184_29:
	v_lshlrev_b32_e32 v9, 3, v39
	v_lshlrev_b32_e32 v10, 3, v38
	s_wait_loadcnt 0x0
	; wave barrier
	global_inv scope:SCOPE_SE
	ds_store_b64 v9, v[27:28]
	ds_store_b64 v10, v[25:26]
	; wave barrier
	s_wait_loadcnt_dscnt 0x0
	global_inv scope:SCOPE_SE
	ds_load_b128 v[13:16], v31
	; wave barrier
	s_wait_loadcnt_dscnt 0x0
	global_inv scope:SCOPE_SE
	ds_store_b64 v9, v[21:22]
	ds_store_b64 v10, v[18:19]
	; wave barrier
	s_wait_loadcnt_dscnt 0x0
	global_inv scope:SCOPE_SE
	ds_load_b128 v[9:12], v31
	v_cmp_lt_i64_e32 vcc_lo, -1, v[13:14]
	v_ashrrev_i32_e32 v18, 31, v14
	v_ashrrev_i32_e32 v19, 31, v16
	s_wait_alu 0xfffd
	v_cndmask_b32_e64 v21, 0x80000000, -1, vcc_lo
	v_cmp_lt_i64_e32 vcc_lo, -1, v[15:16]
	v_not_b32_e32 v18, v18
	v_not_b32_e32 v19, v19
	s_delay_alu instid0(VALU_DEP_4) | instskip(SKIP_4) | instid1(VALU_DEP_3)
	v_xor_b32_e32 v14, v21, v14
	s_wait_alu 0xfffd
	v_cndmask_b32_e64 v22, 0x80000000, -1, vcc_lo
	v_xor_b32_e32 v13, v18, v13
	v_xor_b32_e32 v15, v19, v15
	;; [unrolled: 1-line block ×3, first 2 shown]
	s_branch .LBB184_46
.LBB184_30:
	v_cmp_gt_i64_e32 vcc_lo, 0, v[1:2]
	s_wait_dscnt 0x0
	v_not_b32_e32 v10, v35
	v_not_b32_e32 v12, v34
	v_dual_mov_b32 v13, 0 :: v_dual_mov_b32 v22, 0
	v_cmp_gt_u32_e64 s8, 0x70, v0
	s_wait_alu 0xfffd
	v_cndmask_b32_e64 v9, 0x7fffffff, 0, vcc_lo
	v_cmp_gt_i64_e32 vcc_lo, 0, v[3:4]
	v_xor_b32_e32 v1, v10, v1
	v_xor_b32_e32 v3, v12, v3
	v_cmp_gt_u32_e64 s9, 0x60, v0
	v_xor_b32_e32 v2, v9, v2
	v_mul_i32_i24_e32 v9, -12, v0
	s_wait_alu 0xfffd
	v_cndmask_b32_e64 v11, 0x7fffffff, 0, vcc_lo
	v_cmp_gt_u32_e64 s10, 0x50, v0
	v_cmp_gt_u32_e64 s11, 64, v0
	;; [unrolled: 1-line block ×4, first 2 shown]
	v_xor_b32_e32 v4, v11, v4
	v_cmp_gt_u32_e64 s14, 16, v0
	v_dual_mov_b32 v14, 0 :: v_dual_add_nc_u32 v21, v31, v9
	s_mov_b32 s24, 0
	s_brev_b32 s25, 1
	s_mov_b32 s21, 64
	s_branch .LBB184_32
.LBB184_31:                             ;   in Loop: Header=BB184_32 Depth=1
	s_wait_alu 0xfffe
	s_and_not1_b32 vcc_lo, exec_lo, s26
	s_wait_alu 0xfffe
	s_cbranch_vccz .LBB184_45
.LBB184_32:                             ; =>This Inner Loop Header: Depth=1
	v_dual_mov_b32 v16, v4 :: v_dual_mov_b32 v15, v3
	v_dual_mov_b32 v19, v2 :: v_dual_mov_b32 v18, v1
	;; [unrolled: 1-line block ×4, first 2 shown]
	s_and_saveexec_b32 s26, s2
	s_cbranch_execz .LBB184_41
; %bb.33:                               ;   in Loop: Header=BB184_32 Depth=1
	ds_store_b32 v21, v22
	s_and_b32 exec_lo, exec_lo, s8
	s_cbranch_execz .LBB184_41
; %bb.34:                               ;   in Loop: Header=BB184_32 Depth=1
	ds_store_b32 v21, v22 offset:64
	s_and_b32 exec_lo, exec_lo, s9
	s_cbranch_execz .LBB184_41
; %bb.35:                               ;   in Loop: Header=BB184_32 Depth=1
	ds_store_b32 v21, v22 offset:128
	;; [unrolled: 4-line block ×6, first 2 shown]
	s_and_b32 exec_lo, exec_lo, s14
; %bb.40:                               ;   in Loop: Header=BB184_32 Depth=1
	ds_store_b32 v21, v22 offset:448
.LBB184_41:                             ;   in Loop: Header=BB184_32 Depth=1
	s_wait_alu 0xfffe
	s_or_b32 exec_lo, exec_lo, s26
	v_cmp_ne_u64_e32 vcc_lo, s[24:25], v[18:19]
	s_wait_kmcnt 0x0
	s_min_u32 s26, s19, s21
	s_wait_alu 0xfffe
	s_lshl_b32 s26, -1, s26
	s_wait_alu 0xfffe
	s_not_b32 s26, s26
	s_wait_alu 0xfffd
	v_cndmask_b32_e32 v2, 0x7fffffff, v19, vcc_lo
	v_cndmask_b32_e32 v1, -1, v18, vcc_lo
	v_cmp_ne_u64_e32 vcc_lo, s[24:25], v[15:16]
	s_delay_alu instid0(VALU_DEP_2) | instskip(SKIP_1) | instid1(VALU_DEP_1)
	v_lshrrev_b64 v[1:2], v13, v[1:2]
	s_wait_alu 0xfffe
	v_and_b32_e32 v1, s26, v1
	s_delay_alu instid0(VALU_DEP_1) | instskip(SKIP_2) | instid1(VALU_DEP_1)
	v_lshlrev_b32_e32 v2, 4, v1
	v_lshrrev_b32_e32 v1, 2, v1
	s_wait_alu 0xfffd
	v_dual_cndmask_b32 v1, -1, v15 :: v_dual_and_b32 v4, 0x1ffffffe, v1
	s_delay_alu instid0(VALU_DEP_3) | instskip(SKIP_1) | instid1(VALU_DEP_2)
	v_and_or_b32 v3, 0x70, v2, v0
	v_cndmask_b32_e32 v2, 0x7fffffff, v16, vcc_lo
	v_lshl_add_u32 v23, v3, 2, v4
	s_delay_alu instid0(VALU_DEP_2) | instskip(SKIP_2) | instid1(VALU_DEP_1)
	v_lshrrev_b64 v[1:2], v13, v[1:2]
	ds_load_u16 v24, v23
	v_and_b32_e32 v1, s26, v1
	v_lshlrev_b32_e32 v2, 4, v1
	v_lshrrev_b32_e32 v1, 2, v1
	s_delay_alu instid0(VALU_DEP_2) | instskip(NEXT) | instid1(VALU_DEP_2)
	v_and_or_b32 v2, 0x70, v2, v0
	v_and_b32_e32 v1, 0x1ffffffe, v1
	s_delay_alu instid0(VALU_DEP_1)
	v_lshl_add_u32 v25, v2, 2, v1
	s_wait_dscnt 0x0
	v_add_nc_u16 v3, v24, 1
	ds_store_b16 v23, v3
	ds_load_u16 v26, v25
	s_wait_dscnt 0x0
	v_add_nc_u16 v1, v26, 1
	ds_store_b16 v25, v1
	; wave barrier
	s_wait_loadcnt_dscnt 0x0
	global_inv scope:SCOPE_SE
	ds_load_b128 v[5:8], v32
	ds_load_b128 v[1:4], v32 offset:16
	s_wait_dscnt 0x1
	v_add_nc_u32_e32 v27, v6, v5
	s_delay_alu instid0(VALU_DEP_1) | instskip(SKIP_1) | instid1(VALU_DEP_1)
	v_add3_u32 v27, v27, v7, v8
	s_wait_dscnt 0x0
	v_add3_u32 v27, v27, v1, v2
	s_delay_alu instid0(VALU_DEP_1) | instskip(NEXT) | instid1(VALU_DEP_1)
	v_add3_u32 v4, v27, v3, v4
	v_mov_b32_dpp v27, v4 row_shr:1 row_mask:0xf bank_mask:0xf
	s_delay_alu instid0(VALU_DEP_1) | instskip(NEXT) | instid1(VALU_DEP_1)
	v_cndmask_b32_e64 v27, v27, 0, s3
	v_add_nc_u32_e32 v4, v27, v4
	s_delay_alu instid0(VALU_DEP_1) | instskip(NEXT) | instid1(VALU_DEP_1)
	v_mov_b32_dpp v27, v4 row_shr:2 row_mask:0xf bank_mask:0xf
	v_cndmask_b32_e64 v27, 0, v27, s4
	s_delay_alu instid0(VALU_DEP_1) | instskip(NEXT) | instid1(VALU_DEP_1)
	v_add_nc_u32_e32 v4, v4, v27
	v_mov_b32_dpp v27, v4 row_shr:4 row_mask:0xf bank_mask:0xf
	s_delay_alu instid0(VALU_DEP_1) | instskip(NEXT) | instid1(VALU_DEP_1)
	v_cndmask_b32_e64 v27, 0, v27, s5
	v_add_nc_u32_e32 v4, v4, v27
	s_delay_alu instid0(VALU_DEP_1) | instskip(NEXT) | instid1(VALU_DEP_1)
	v_mov_b32_dpp v27, v4 row_shr:8 row_mask:0xf bank_mask:0xf
	v_cndmask_b32_e64 v27, 0, v27, s6
	s_delay_alu instid0(VALU_DEP_1)
	v_add_nc_u32_e32 v4, v4, v27
	s_and_saveexec_b32 s26, s7
; %bb.42:                               ;   in Loop: Header=BB184_32 Depth=1
	ds_store_b32 v22, v4 offset:512
; %bb.43:                               ;   in Loop: Header=BB184_32 Depth=1
	s_wait_alu 0xfffe
	s_or_b32 exec_lo, exec_lo, s26
	ds_bpermute_b32 v4, v33, v4
	; wave barrier
	s_wait_loadcnt_dscnt 0x0
	global_inv scope:SCOPE_SE
	ds_load_b32 v27, v22 offset:512
	v_cmp_lt_u32_e32 vcc_lo, 59, v13
	s_mov_b32 s26, -1
	s_and_b32 vcc_lo, exec_lo, vcc_lo
	v_cndmask_b32_e64 v4, v4, 0, s15
	s_wait_dscnt 0x0
	s_delay_alu instid0(VALU_DEP_1) | instskip(NEXT) | instid1(VALU_DEP_1)
	v_lshl_add_u32 v4, v27, 16, v4
	v_add_nc_u32_e32 v5, v4, v5
	s_delay_alu instid0(VALU_DEP_1) | instskip(NEXT) | instid1(VALU_DEP_1)
	v_add_nc_u32_e32 v6, v5, v6
	v_add_nc_u32_e32 v7, v6, v7
	s_delay_alu instid0(VALU_DEP_1) | instskip(NEXT) | instid1(VALU_DEP_1)
	v_add_nc_u32_e32 v34, v7, v8
	;; [unrolled: 3-line block ×3, first 2 shown]
	v_add_nc_u32_e32 v37, v36, v3
	v_and_b32_e32 v3, 0xffff, v24
	ds_store_b128 v32, v[4:7]
	ds_store_b128 v32, v[34:37] offset:16
	; wave barrier
	s_wait_loadcnt_dscnt 0x0
	global_inv scope:SCOPE_SE
	ds_load_u16 v1, v23
	ds_load_u16 v2, v25
	v_and_b32_e32 v4, 0xffff, v26
                                        ; implicit-def: $vgpr7_vgpr8
	s_wait_dscnt 0x1
	v_add_nc_u32_e32 v24, v1, v3
	s_wait_dscnt 0x0
	s_delay_alu instid0(VALU_DEP_2)
	v_add_nc_u32_e32 v23, v2, v4
                                        ; implicit-def: $vgpr3_vgpr4
	s_wait_alu 0xfffe
	s_cbranch_vccnz .LBB184_31
; %bb.44:                               ;   in Loop: Header=BB184_32 Depth=1
	v_lshlrev_b32_e32 v5, 3, v24
	s_delay_alu instid0(VALU_DEP_2)
	v_lshlrev_b32_e32 v6, 3, v23
	s_wait_loadcnt 0x0
	; wave barrier
	global_inv scope:SCOPE_SE
	v_add_co_u32 v13, vcc_lo, v13, 4
	ds_store_b64 v5, v[18:19]
	ds_store_b64 v6, v[15:16]
	; wave barrier
	s_wait_loadcnt_dscnt 0x0
	global_inv scope:SCOPE_SE
	ds_load_b128 v[1:4], v31
	; wave barrier
	s_wait_loadcnt_dscnt 0x0
	global_inv scope:SCOPE_SE
	ds_store_b64 v5, v[11:12]
	ds_store_b64 v6, v[9:10]
	; wave barrier
	s_wait_loadcnt_dscnt 0x0
	global_inv scope:SCOPE_SE
	ds_load_b128 v[5:8], v31
	s_wait_alu 0xfffd
	v_add_co_ci_u32_e64 v14, null, 0, v14, vcc_lo
	s_add_co_i32 s21, s21, -4
	s_mov_b32 s26, 0
	; wave barrier
	s_wait_loadcnt_dscnt 0x0
	global_inv scope:SCOPE_SE
	s_branch .LBB184_31
.LBB184_45:
	v_lshlrev_b32_e32 v4, 3, v24
	v_lshlrev_b32_e32 v5, 3, v23
	s_wait_loadcnt 0x0
	; wave barrier
	global_inv scope:SCOPE_SE
	ds_store_b64 v4, v[18:19]
	ds_store_b64 v5, v[15:16]
	; wave barrier
	s_wait_loadcnt_dscnt 0x0
	global_inv scope:SCOPE_SE
	ds_load_b128 v[0:3], v31
	; wave barrier
	s_wait_loadcnt_dscnt 0x0
	global_inv scope:SCOPE_SE
	ds_store_b64 v4, v[11:12]
	ds_store_b64 v5, v[9:10]
	; wave barrier
	s_wait_loadcnt_dscnt 0x0
	global_inv scope:SCOPE_SE
	ds_load_b128 v[9:12], v31
	v_cmp_gt_i64_e32 vcc_lo, 0, v[0:1]
	v_ashrrev_i32_e32 v4, 31, v1
	v_ashrrev_i32_e32 v5, 31, v3
	s_wait_alu 0xfffd
	v_cndmask_b32_e64 v6, 0x7fffffff, 0, vcc_lo
	v_cmp_gt_i64_e32 vcc_lo, 0, v[2:3]
	v_not_b32_e32 v4, v4
	v_not_b32_e32 v5, v5
	s_delay_alu instid0(VALU_DEP_4) | instskip(SKIP_4) | instid1(VALU_DEP_3)
	v_xor_b32_e32 v14, v6, v1
	s_wait_alu 0xfffd
	v_cndmask_b32_e64 v7, 0x7fffffff, 0, vcc_lo
	v_xor_b32_e32 v13, v4, v0
	v_xor_b32_e32 v15, v5, v2
	;; [unrolled: 1-line block ×3, first 2 shown]
.LBB184_46:
	; wave barrier
	s_wait_loadcnt_dscnt 0x0
	global_inv scope:SCOPE_SE
	ds_store_2addr_b64 v30, v[13:14], v[15:16] offset1:1
	; wave barrier
	s_wait_loadcnt_dscnt 0x0
	global_inv scope:SCOPE_SE
	ds_load_b64 v[0:1], v29 offset:128
	v_mov_b32_e32 v21, 0
	s_delay_alu instid0(VALU_DEP_1) | instskip(NEXT) | instid1(VALU_DEP_1)
	v_lshlrev_b64_e32 v[2:3], 3, v[20:21]
	v_add_co_u32 v2, vcc_lo, s22, v2
	s_wait_alu 0xfffd
	s_delay_alu instid0(VALU_DEP_2)
	v_add_co_ci_u32_e64 v3, null, s23, v3, vcc_lo
	s_and_saveexec_b32 s2, s0
	s_cbranch_execz .LBB184_48
; %bb.47:
	ds_load_b64 v[4:5], v29
	s_wait_dscnt 0x0
	global_store_b64 v[2:3], v[4:5], off
.LBB184_48:
	s_wait_alu 0xfffe
	s_or_b32 exec_lo, exec_lo, s2
	s_and_saveexec_b32 s2, s1
	s_cbranch_execz .LBB184_50
; %bb.49:
	s_lshl_b32 s4, s18, 4
	s_mov_b32 s5, 0
	s_wait_alu 0xfffe
	s_lshl_b64 s[4:5], s[4:5], 3
	s_wait_alu 0xfffe
	v_add_co_u32 v2, vcc_lo, v2, s4
	s_wait_alu 0xfffd
	v_add_co_ci_u32_e64 v3, null, s5, v3, vcc_lo
	s_wait_dscnt 0x0
	global_store_b64 v[2:3], v[0:1], off
.LBB184_50:
	s_wait_alu 0xfffe
	s_or_b32 exec_lo, exec_lo, s2
	s_wait_storecnt 0x0
	; wave barrier
	s_wait_loadcnt_dscnt 0x0
	global_inv scope:SCOPE_SE
	ds_store_2addr_b64 v30, v[9:10], v[11:12] offset1:1
	; wave barrier
	s_wait_loadcnt_dscnt 0x0
	global_inv scope:SCOPE_SE
	ds_load_b64 v[0:1], v29 offset:128
	v_mov_b32_e32 v18, 0
	s_delay_alu instid0(VALU_DEP_1) | instskip(NEXT) | instid1(VALU_DEP_1)
	v_lshlrev_b64_e32 v[2:3], 3, v[17:18]
	v_add_co_u32 v2, vcc_lo, s16, v2
	s_wait_alu 0xfffd
	s_delay_alu instid0(VALU_DEP_2)
	v_add_co_ci_u32_e64 v3, null, s17, v3, vcc_lo
	s_and_saveexec_b32 s2, s0
	s_cbranch_execz .LBB184_52
; %bb.51:
	ds_load_b64 v[4:5], v29
	s_wait_dscnt 0x0
	global_store_b64 v[2:3], v[4:5], off
.LBB184_52:
	s_wait_alu 0xfffe
	s_or_b32 exec_lo, exec_lo, s2
	s_and_saveexec_b32 s0, s1
	s_cbranch_execz .LBB184_54
; %bb.53:
	s_lshl_b32 s0, s20, 4
	s_mov_b32 s1, 0
	s_delay_alu instid0(SALU_CYCLE_1) | instskip(NEXT) | instid1(SALU_CYCLE_1)
	s_lshl_b64 s[0:1], s[0:1], 3
	v_add_co_u32 v2, vcc_lo, v2, s0
	s_wait_alu 0xfffd
	v_add_co_ci_u32_e64 v3, null, s1, v3, vcc_lo
	s_wait_dscnt 0x0
	global_store_b64 v[2:3], v[0:1], off
.LBB184_54:
	s_endpgm
	.section	.rodata,"a",@progbits
	.p2align	6, 0x0
	.amdhsa_kernel _ZN2at6native18radixSortKVInPlaceILin2ELin1ELi16ELi2EdljEEvNS_4cuda6detail10TensorInfoIT3_T5_EES6_S6_S6_NS4_IT4_S6_EES6_b
		.amdhsa_group_segment_fixed_size 528
		.amdhsa_private_segment_fixed_size 0
		.amdhsa_kernarg_size 712
		.amdhsa_user_sgpr_count 2
		.amdhsa_user_sgpr_dispatch_ptr 0
		.amdhsa_user_sgpr_queue_ptr 0
		.amdhsa_user_sgpr_kernarg_segment_ptr 1
		.amdhsa_user_sgpr_dispatch_id 0
		.amdhsa_user_sgpr_private_segment_size 0
		.amdhsa_wavefront_size32 1
		.amdhsa_uses_dynamic_stack 0
		.amdhsa_enable_private_segment 0
		.amdhsa_system_sgpr_workgroup_id_x 1
		.amdhsa_system_sgpr_workgroup_id_y 1
		.amdhsa_system_sgpr_workgroup_id_z 1
		.amdhsa_system_sgpr_workgroup_info 0
		.amdhsa_system_vgpr_workitem_id 0
		.amdhsa_next_free_vgpr 46
		.amdhsa_next_free_sgpr 27
		.amdhsa_reserve_vcc 1
		.amdhsa_float_round_mode_32 0
		.amdhsa_float_round_mode_16_64 0
		.amdhsa_float_denorm_mode_32 3
		.amdhsa_float_denorm_mode_16_64 3
		.amdhsa_fp16_overflow 0
		.amdhsa_workgroup_processor_mode 1
		.amdhsa_memory_ordered 1
		.amdhsa_forward_progress 1
		.amdhsa_inst_pref_size 34
		.amdhsa_round_robin_scheduling 0
		.amdhsa_exception_fp_ieee_invalid_op 0
		.amdhsa_exception_fp_denorm_src 0
		.amdhsa_exception_fp_ieee_div_zero 0
		.amdhsa_exception_fp_ieee_overflow 0
		.amdhsa_exception_fp_ieee_underflow 0
		.amdhsa_exception_fp_ieee_inexact 0
		.amdhsa_exception_int_div_zero 0
	.end_amdhsa_kernel
	.section	.text._ZN2at6native18radixSortKVInPlaceILin2ELin1ELi16ELi2EdljEEvNS_4cuda6detail10TensorInfoIT3_T5_EES6_S6_S6_NS4_IT4_S6_EES6_b,"axG",@progbits,_ZN2at6native18radixSortKVInPlaceILin2ELin1ELi16ELi2EdljEEvNS_4cuda6detail10TensorInfoIT3_T5_EES6_S6_S6_NS4_IT4_S6_EES6_b,comdat
.Lfunc_end184:
	.size	_ZN2at6native18radixSortKVInPlaceILin2ELin1ELi16ELi2EdljEEvNS_4cuda6detail10TensorInfoIT3_T5_EES6_S6_S6_NS4_IT4_S6_EES6_b, .Lfunc_end184-_ZN2at6native18radixSortKVInPlaceILin2ELin1ELi16ELi2EdljEEvNS_4cuda6detail10TensorInfoIT3_T5_EES6_S6_S6_NS4_IT4_S6_EES6_b
                                        ; -- End function
	.set _ZN2at6native18radixSortKVInPlaceILin2ELin1ELi16ELi2EdljEEvNS_4cuda6detail10TensorInfoIT3_T5_EES6_S6_S6_NS4_IT4_S6_EES6_b.num_vgpr, 46
	.set _ZN2at6native18radixSortKVInPlaceILin2ELin1ELi16ELi2EdljEEvNS_4cuda6detail10TensorInfoIT3_T5_EES6_S6_S6_NS4_IT4_S6_EES6_b.num_agpr, 0
	.set _ZN2at6native18radixSortKVInPlaceILin2ELin1ELi16ELi2EdljEEvNS_4cuda6detail10TensorInfoIT3_T5_EES6_S6_S6_NS4_IT4_S6_EES6_b.numbered_sgpr, 27
	.set _ZN2at6native18radixSortKVInPlaceILin2ELin1ELi16ELi2EdljEEvNS_4cuda6detail10TensorInfoIT3_T5_EES6_S6_S6_NS4_IT4_S6_EES6_b.num_named_barrier, 0
	.set _ZN2at6native18radixSortKVInPlaceILin2ELin1ELi16ELi2EdljEEvNS_4cuda6detail10TensorInfoIT3_T5_EES6_S6_S6_NS4_IT4_S6_EES6_b.private_seg_size, 0
	.set _ZN2at6native18radixSortKVInPlaceILin2ELin1ELi16ELi2EdljEEvNS_4cuda6detail10TensorInfoIT3_T5_EES6_S6_S6_NS4_IT4_S6_EES6_b.uses_vcc, 1
	.set _ZN2at6native18radixSortKVInPlaceILin2ELin1ELi16ELi2EdljEEvNS_4cuda6detail10TensorInfoIT3_T5_EES6_S6_S6_NS4_IT4_S6_EES6_b.uses_flat_scratch, 0
	.set _ZN2at6native18radixSortKVInPlaceILin2ELin1ELi16ELi2EdljEEvNS_4cuda6detail10TensorInfoIT3_T5_EES6_S6_S6_NS4_IT4_S6_EES6_b.has_dyn_sized_stack, 0
	.set _ZN2at6native18radixSortKVInPlaceILin2ELin1ELi16ELi2EdljEEvNS_4cuda6detail10TensorInfoIT3_T5_EES6_S6_S6_NS4_IT4_S6_EES6_b.has_recursion, 0
	.set _ZN2at6native18radixSortKVInPlaceILin2ELin1ELi16ELi2EdljEEvNS_4cuda6detail10TensorInfoIT3_T5_EES6_S6_S6_NS4_IT4_S6_EES6_b.has_indirect_call, 0
	.section	.AMDGPU.csdata,"",@progbits
; Kernel info:
; codeLenInByte = 4236
; TotalNumSgprs: 29
; NumVgprs: 46
; ScratchSize: 0
; MemoryBound: 0
; FloatMode: 240
; IeeeMode: 1
; LDSByteSize: 528 bytes/workgroup (compile time only)
; SGPRBlocks: 0
; VGPRBlocks: 5
; NumSGPRsForWavesPerEU: 29
; NumVGPRsForWavesPerEU: 46
; Occupancy: 16
; WaveLimiterHint : 1
; COMPUTE_PGM_RSRC2:SCRATCH_EN: 0
; COMPUTE_PGM_RSRC2:USER_SGPR: 2
; COMPUTE_PGM_RSRC2:TRAP_HANDLER: 0
; COMPUTE_PGM_RSRC2:TGID_X_EN: 1
; COMPUTE_PGM_RSRC2:TGID_Y_EN: 1
; COMPUTE_PGM_RSRC2:TGID_Z_EN: 1
; COMPUTE_PGM_RSRC2:TIDIG_COMP_CNT: 0
	.section	.text._ZN2at6native18radixSortKVInPlaceILi2ELin1ELi512ELi8EdljEEvNS_4cuda6detail10TensorInfoIT3_T5_EES6_S6_S6_NS4_IT4_S6_EES6_b,"axG",@progbits,_ZN2at6native18radixSortKVInPlaceILi2ELin1ELi512ELi8EdljEEvNS_4cuda6detail10TensorInfoIT3_T5_EES6_S6_S6_NS4_IT4_S6_EES6_b,comdat
	.protected	_ZN2at6native18radixSortKVInPlaceILi2ELin1ELi512ELi8EdljEEvNS_4cuda6detail10TensorInfoIT3_T5_EES6_S6_S6_NS4_IT4_S6_EES6_b ; -- Begin function _ZN2at6native18radixSortKVInPlaceILi2ELin1ELi512ELi8EdljEEvNS_4cuda6detail10TensorInfoIT3_T5_EES6_S6_S6_NS4_IT4_S6_EES6_b
	.globl	_ZN2at6native18radixSortKVInPlaceILi2ELin1ELi512ELi8EdljEEvNS_4cuda6detail10TensorInfoIT3_T5_EES6_S6_S6_NS4_IT4_S6_EES6_b
	.p2align	8
	.type	_ZN2at6native18radixSortKVInPlaceILi2ELin1ELi512ELi8EdljEEvNS_4cuda6detail10TensorInfoIT3_T5_EES6_S6_S6_NS4_IT4_S6_EES6_b,@function
_ZN2at6native18radixSortKVInPlaceILi2ELin1ELi512ELi8EdljEEvNS_4cuda6detail10TensorInfoIT3_T5_EES6_S6_S6_NS4_IT4_S6_EES6_b: ; @_ZN2at6native18radixSortKVInPlaceILi2ELin1ELi512ELi8EdljEEvNS_4cuda6detail10TensorInfoIT3_T5_EES6_S6_S6_NS4_IT4_S6_EES6_b
; %bb.0:
	s_clause 0x1
	s_load_b64 s[2:3], s[0:1], 0x1c8
	s_load_b96 s[24:26], s[0:1], 0xd8
	s_lshr_b32 s4, ttmp7, 16
	s_wait_kmcnt 0x0
	s_mul_i32 s3, s3, s4
	s_and_b32 s4, ttmp7, 0xffff
	s_delay_alu instid0(SALU_CYCLE_1) | instskip(NEXT) | instid1(SALU_CYCLE_1)
	s_add_co_i32 s3, s3, s4
	s_mul_i32 s2, s3, s2
	s_delay_alu instid0(SALU_CYCLE_1) | instskip(NEXT) | instid1(SALU_CYCLE_1)
	s_add_co_i32 s2, s2, ttmp9
	s_cmp_ge_u32 s2, s24
	s_cbranch_scc1 .LBB185_110
; %bb.1:
	s_clause 0x2
	s_load_b32 s10, s[0:1], 0xc
	s_load_b64 s[6:7], s[0:1], 0x6c
	s_load_b32 s8, s[0:1], 0x1b8
	s_add_nc_u64 s[34:35], s[0:1], 0xe8
	s_mov_b32 s24, s2
	s_wait_kmcnt 0x0
	s_cvt_f32_u32 s3, s10
	s_delay_alu instid0(SALU_CYCLE_3) | instskip(NEXT) | instid1(TRANS32_DEP_1)
	v_rcp_iflag_f32_e32 v1, s3
	v_readfirstlane_b32 s3, v1
	s_mul_f32 s3, s3, 0x4f7ffffe
	s_wait_alu 0xfffe
	s_delay_alu instid0(SALU_CYCLE_2) | instskip(SKIP_2) | instid1(SALU_CYCLE_1)
	s_cvt_u32_f32 s4, s3
	s_sub_co_i32 s3, 0, s10
	s_wait_alu 0xfffe
	s_mul_i32 s5, s3, s4
	s_mov_b32 s3, 0
	s_mul_hi_u32 s9, s4, s5
	s_wait_alu 0xfffe
	s_mov_b32 s5, s3
	s_add_co_i32 s4, s4, s9
	s_cmp_lt_i32 s8, 2
	s_mov_b32 s23, s3
	s_cbranch_scc1 .LBB185_4
; %bb.2:
	s_add_co_i32 s22, s8, -1
	s_mov_b32 s23, 0
	s_add_co_i32 s11, s8, 1
	s_lshl_b64 s[12:13], s[22:23], 2
	s_mov_b32 s24, s2
	s_add_nc_u64 s[12:13], s[34:35], s[12:13]
	s_delay_alu instid0(SALU_CYCLE_1)
	s_add_nc_u64 s[8:9], s[12:13], 8
.LBB185_3:                              ; =>This Inner Loop Header: Depth=1
	s_clause 0x1
	s_load_b32 s12, s[8:9], 0x0
	s_load_b32 s13, s[8:9], 0x64
	s_mov_b32 s16, s24
	s_add_nc_u64 s[8:9], s[8:9], -4
	s_wait_kmcnt 0x0
	s_cvt_f32_u32 s14, s12
	s_sub_co_i32 s15, 0, s12
	s_wait_alu 0xfffe
	s_delay_alu instid0(SALU_CYCLE_1) | instskip(NEXT) | instid1(TRANS32_DEP_1)
	v_rcp_iflag_f32_e32 v1, s14
	v_readfirstlane_b32 s14, v1
	s_mul_f32 s14, s14, 0x4f7ffffe
	s_wait_alu 0xfffe
	s_delay_alu instid0(SALU_CYCLE_2) | instskip(SKIP_1) | instid1(SALU_CYCLE_2)
	s_cvt_u32_f32 s14, s14
	s_wait_alu 0xfffe
	s_mul_i32 s15, s15, s14
	s_wait_alu 0xfffe
	s_mul_hi_u32 s15, s14, s15
	s_wait_alu 0xfffe
	s_add_co_i32 s14, s14, s15
	s_wait_alu 0xfffe
	s_mul_hi_u32 s14, s24, s14
	s_wait_alu 0xfffe
	s_mul_i32 s15, s14, s12
	s_add_co_i32 s17, s14, 1
	s_wait_alu 0xfffe
	s_sub_co_i32 s15, s24, s15
	s_wait_alu 0xfffe
	s_sub_co_i32 s18, s15, s12
	s_cmp_ge_u32 s15, s12
	s_cselect_b32 s14, s17, s14
	s_cselect_b32 s15, s18, s15
	s_wait_alu 0xfffe
	s_add_co_i32 s17, s14, 1
	s_cmp_ge_u32 s15, s12
	s_cselect_b32 s24, s17, s14
	s_add_co_i32 s11, s11, -1
	s_mul_i32 s12, s24, s12
	s_delay_alu instid0(SALU_CYCLE_1) | instskip(NEXT) | instid1(SALU_CYCLE_1)
	s_sub_co_i32 s12, s16, s12
	s_mul_i32 s12, s13, s12
	s_delay_alu instid0(SALU_CYCLE_1)
	s_add_co_i32 s23, s12, s23
	s_cmp_gt_u32 s11, 2
	s_cbranch_scc1 .LBB185_3
.LBB185_4:
	s_mul_u64 s[4:5], s[2:3], s[4:5]
	s_clause 0x1
	s_load_b64 s[30:31], s[0:1], 0x0
	s_load_b64 s[28:29], s[0:1], 0x1c0
	s_mul_i32 s3, s5, s10
	s_add_nc_u64 s[20:21], s[0:1], 0x1c8
	s_wait_alu 0xfffe
	s_sub_co_i32 s0, s2, s3
	s_add_co_i32 s1, s5, 1
	s_sub_co_i32 s3, s0, s10
	s_cmp_ge_u32 s0, s10
	s_mov_b32 s4, -1
	s_cselect_b32 s1, s1, s5
	s_wait_alu 0xfffe
	s_cselect_b32 s0, s3, s0
	s_add_co_i32 s3, s1, 1
	s_cmp_ge_u32 s0, s10
	s_mov_b32 s8, s4
	s_wait_alu 0xfffe
	s_cselect_b32 s0, s3, s1
	s_mov_b32 s1, 0
	s_mul_i32 s3, s0, s10
	s_mul_i32 s0, s0, s6
	s_wait_alu 0xfffe
	s_sub_co_i32 s2, s2, s3
	s_mov_b32 s6, s4
	s_wait_alu 0xfffe
	s_mul_i32 s2, s2, s7
	s_mov_b32 s10, s4
	s_wait_alu 0xfffe
	s_add_co_i32 s0, s0, s2
	s_wait_kmcnt 0x0
	s_bitcmp1_b32 s29, 0
	s_mov_b32 s12, s4
	s_cselect_b32 s22, -1, 0
	s_lshl_b64 s[2:3], s[0:1], 3
	s_and_b32 s0, s22, exec_lo
	s_cselect_b32 s5, -1, 0x7fffffff
	s_mov_b32 s14, s4
	s_mov_b32 s7, s5
	;; [unrolled: 1-line block ×10, first 2 shown]
	v_and_b32_e32 v73, 0x3ff, v0
	v_dual_mov_b32 v1, s4 :: v_dual_mov_b32 v4, s7
	v_dual_mov_b32 v2, s5 :: v_dual_mov_b32 v15, s18
	v_mov_b32_e32 v18, s5
	s_delay_alu instid0(VALU_DEP_4)
	v_mul_lo_u32 v71, s26, v73
	v_cmp_gt_u32_e64 s0, s25, v73
	v_dual_mov_b32 v3, s6 :: v_dual_mov_b32 v6, s9
	v_dual_mov_b32 v5, s8 :: v_dual_mov_b32 v8, s11
	;; [unrolled: 1-line block ×3, first 2 shown]
	s_wait_alu 0xfffe
	v_dual_mov_b32 v9, s12 :: v_dual_mov_b32 v12, s15
	v_dual_mov_b32 v11, s14 :: v_dual_mov_b32 v14, s17
	;; [unrolled: 1-line block ×3, first 2 shown]
	v_mov_b32_e32 v17, s4
	s_add_nc_u64 s[30:31], s[30:31], s[2:3]
	s_and_saveexec_b32 s1, s0
	s_cbranch_execz .LBB185_6
; %bb.5:
	v_mov_b32_e32 v72, 0
	s_delay_alu instid0(VALU_DEP_1) | instskip(NEXT) | instid1(VALU_DEP_1)
	v_lshlrev_b64_e32 v[1:2], 3, v[71:72]
	v_add_co_u32 v1, vcc_lo, s30, v1
	s_delay_alu instid0(VALU_DEP_1)
	v_add_co_ci_u32_e64 v2, null, s31, v2, vcc_lo
	global_load_b64 v[17:18], v[1:2], off
	v_dual_mov_b32 v1, s4 :: v_dual_mov_b32 v2, s5
	v_dual_mov_b32 v3, s6 :: v_dual_mov_b32 v4, s7
	;; [unrolled: 1-line block ×8, first 2 shown]
.LBB185_6:
	s_or_b32 exec_lo, exec_lo, s1
	v_add_nc_u32_e32 v32, 0x200, v73
	s_delay_alu instid0(VALU_DEP_1)
	v_cmp_gt_u32_e64 s1, s25, v32
	s_and_saveexec_b32 s2, s1
	s_cbranch_execz .LBB185_8
; %bb.7:
	v_mul_lo_u32 v1, s26, v32
	v_mov_b32_e32 v2, 0
	s_delay_alu instid0(VALU_DEP_1) | instskip(NEXT) | instid1(VALU_DEP_1)
	v_lshlrev_b64_e32 v[1:2], 3, v[1:2]
	v_add_co_u32 v1, vcc_lo, s30, v1
	s_wait_alu 0xfffd
	s_delay_alu instid0(VALU_DEP_2)
	v_add_co_ci_u32_e64 v2, null, s31, v2, vcc_lo
	global_load_b64 v[3:4], v[1:2], off
.LBB185_8:
	s_wait_alu 0xfffe
	s_or_b32 exec_lo, exec_lo, s2
	v_or_b32_e32 v33, 0x400, v73
	s_delay_alu instid0(VALU_DEP_1)
	v_cmp_gt_u32_e64 s2, s25, v33
	s_and_saveexec_b32 s3, s2
	s_cbranch_execz .LBB185_10
; %bb.9:
	v_mul_lo_u32 v1, s26, v33
	v_mov_b32_e32 v2, 0
	s_delay_alu instid0(VALU_DEP_1) | instskip(NEXT) | instid1(VALU_DEP_1)
	v_lshlrev_b64_e32 v[1:2], 3, v[1:2]
	v_add_co_u32 v1, vcc_lo, s30, v1
	s_wait_alu 0xfffd
	s_delay_alu instid0(VALU_DEP_2)
	v_add_co_ci_u32_e64 v2, null, s31, v2, vcc_lo
	global_load_b64 v[5:6], v[1:2], off
.LBB185_10:
	s_wait_alu 0xfffe
	s_or_b32 exec_lo, exec_lo, s3
	v_add_nc_u32_e32 v34, 0x600, v73
	s_delay_alu instid0(VALU_DEP_1)
	v_cmp_gt_u32_e64 s3, s25, v34
	s_and_saveexec_b32 s4, s3
	s_cbranch_execz .LBB185_12
; %bb.11:
	v_mul_lo_u32 v1, s26, v34
	v_mov_b32_e32 v2, 0
	s_delay_alu instid0(VALU_DEP_1) | instskip(NEXT) | instid1(VALU_DEP_1)
	v_lshlrev_b64_e32 v[1:2], 3, v[1:2]
	v_add_co_u32 v1, vcc_lo, s30, v1
	s_wait_alu 0xfffd
	s_delay_alu instid0(VALU_DEP_2)
	v_add_co_ci_u32_e64 v2, null, s31, v2, vcc_lo
	global_load_b64 v[7:8], v[1:2], off
.LBB185_12:
	s_wait_alu 0xfffe
	s_or_b32 exec_lo, exec_lo, s4
	v_or_b32_e32 v35, 0x800, v73
	s_delay_alu instid0(VALU_DEP_1)
	v_cmp_gt_u32_e64 s4, s25, v35
	s_and_saveexec_b32 s5, s4
	s_cbranch_execz .LBB185_14
; %bb.13:
	v_mul_lo_u32 v1, s26, v35
	v_mov_b32_e32 v2, 0
	s_delay_alu instid0(VALU_DEP_1) | instskip(NEXT) | instid1(VALU_DEP_1)
	v_lshlrev_b64_e32 v[1:2], 3, v[1:2]
	v_add_co_u32 v1, vcc_lo, s30, v1
	s_wait_alu 0xfffd
	s_delay_alu instid0(VALU_DEP_2)
	v_add_co_ci_u32_e64 v2, null, s31, v2, vcc_lo
	global_load_b64 v[9:10], v[1:2], off
.LBB185_14:
	s_wait_alu 0xfffe
	;; [unrolled: 36-line block ×3, first 2 shown]
	s_or_b32 exec_lo, exec_lo, s7
	s_clause 0x1
	s_load_b32 s10, s[34:35], 0x6c
	s_load_b64 s[8:9], s[34:35], 0x0
	v_add_nc_u32_e32 v38, 0xe00, v73
	s_delay_alu instid0(VALU_DEP_1)
	v_cmp_gt_u32_e64 s7, s25, v38
	s_and_saveexec_b32 s11, s7
	s_cbranch_execz .LBB185_20
; %bb.19:
	v_mul_lo_u32 v1, s26, v38
	v_mov_b32_e32 v2, 0
	s_delay_alu instid0(VALU_DEP_1) | instskip(NEXT) | instid1(VALU_DEP_1)
	v_lshlrev_b64_e32 v[1:2], 3, v[1:2]
	v_add_co_u32 v1, vcc_lo, s30, v1
	s_wait_alu 0xfffd
	s_delay_alu instid0(VALU_DEP_2)
	v_add_co_ci_u32_e64 v2, null, s31, v2, vcc_lo
	global_load_b64 v[15:16], v[1:2], off
.LBB185_20:
	s_wait_alu 0xfffe
	s_or_b32 exec_lo, exec_lo, s11
	v_lshrrev_b32_e32 v2, 2, v33
	v_dual_mov_b32 v69, 0 :: v_dual_lshlrev_b32 v72, 3, v73
	v_lshrrev_b32_e32 v1, 2, v32
	v_lshrrev_b32_e32 v19, 2, v34
	s_delay_alu instid0(VALU_DEP_4) | instskip(SKIP_1) | instid1(VALU_DEP_4)
	v_and_b32_e32 v2, 0x1f8, v2
	v_lshrrev_b32_e32 v48, 5, v73
	v_dual_mov_b32 v70, v69 :: v_dual_and_b32 v1, 0x1f8, v1
	s_delay_alu instid0(VALU_DEP_4) | instskip(NEXT) | instid1(VALU_DEP_4)
	v_and_b32_e32 v19, 0x3f8, v19
	v_add_nc_u32_e32 v108, v2, v72
	v_lshrrev_b32_e32 v2, 2, v36
	v_lshl_add_u32 v106, v48, 3, v72
	v_add_nc_u32_e32 v107, v1, v72
	v_lshrrev_b32_e32 v1, 2, v35
	v_lshrrev_b32_e32 v20, 2, v38
	v_and_b32_e32 v2, 0x3f8, v2
	s_wait_kmcnt 0x0
	s_mul_i32 s10, s10, s24
	v_mul_lo_u32 v68, s28, v73
	v_and_b32_e32 v1, 0x3f8, v1
	s_mov_b32 s11, 0
	v_dual_mov_b32 v2, v69 :: v_dual_add_nc_u32 v111, v2, v72
	v_add_nc_u32_e32 v109, v19, v72
	v_lshrrev_b32_e32 v19, 2, v37
	s_wait_loadcnt 0x0
	ds_store_b64 v106, v[17:18]
	ds_store_b64 v107, v[3:4] offset:4096
	ds_store_b64 v108, v[5:6] offset:8192
	;; [unrolled: 1-line block ×3, first 2 shown]
	v_dual_mov_b32 v7, v69 :: v_dual_and_b32 v4, 0x7f8, v20
	v_lshlrev_b32_e32 v5, 1, v73
	v_dual_mov_b32 v8, v69 :: v_dual_and_b32 v3, 0x3f8, v19
	v_mov_b32_e32 v6, v69
	v_add_nc_u32_e32 v110, v1, v72
	v_add_nc_u32_e32 v113, v4, v72
	s_delay_alu instid0(VALU_DEP_4)
	v_add_nc_u32_e32 v112, v3, v72
	ds_store_b64 v110, v[9:10] offset:16384
	ds_store_b64 v111, v[11:12] offset:20480
	;; [unrolled: 1-line block ×4, first 2 shown]
	v_dual_mov_b32 v10, v69 :: v_dual_and_b32 v1, 0x7f8, v5
	s_wait_dscnt 0x0
	s_barrier_signal -1
	s_barrier_wait -1
	global_inv scope:SCOPE_SE
	v_lshl_add_u32 v114, v73, 6, v1
	ds_load_2addr_b64 v[28:31], v114 offset1:1
	ds_load_2addr_b64 v[24:27], v114 offset0:2 offset1:3
	ds_load_2addr_b64 v[20:23], v114 offset0:4 offset1:5
	;; [unrolled: 1-line block ×3, first 2 shown]
	s_wait_alu 0xfffe
	s_add_co_i32 s10, s10, s23
	v_mov_b32_e32 v11, 0
	v_mov_b32_e32 v1, v69
	v_dual_mov_b32 v3, v69 :: v_dual_mov_b32 v4, v69
	v_mov_b32_e32 v5, v69
	v_mov_b32_e32 v9, v69
	v_dual_mov_b32 v13, v69 :: v_dual_mov_b32 v12, 0
	v_mov_b32_e32 v14, v69
	s_wait_alu 0xfffe
	s_lshl_b64 s[10:11], s[10:11], 3
	s_wait_loadcnt_dscnt 0x0
	s_wait_alu 0xfffe
	s_add_nc_u64 s[24:25], s[8:9], s[10:11]
	s_barrier_signal -1
	s_barrier_wait -1
	global_inv scope:SCOPE_SE
	s_and_saveexec_b32 s8, s0
	s_cbranch_execnz .LBB185_56
; %bb.21:
	s_wait_alu 0xfffe
	s_or_b32 exec_lo, exec_lo, s8
	s_and_saveexec_b32 s8, s1
	s_cbranch_execnz .LBB185_57
.LBB185_22:
	s_wait_alu 0xfffe
	s_or_b32 exec_lo, exec_lo, s8
	s_and_saveexec_b32 s8, s2
	s_cbranch_execnz .LBB185_58
.LBB185_23:
	s_wait_alu 0xfffe
	s_or_b32 exec_lo, exec_lo, s8
	s_and_saveexec_b32 s8, s3
	s_cbranch_execnz .LBB185_59
.LBB185_24:
	s_wait_alu 0xfffe
	s_or_b32 exec_lo, exec_lo, s8
	s_and_saveexec_b32 s8, s4
	s_cbranch_execnz .LBB185_60
.LBB185_25:
	s_wait_alu 0xfffe
	s_or_b32 exec_lo, exec_lo, s8
	s_and_saveexec_b32 s8, s5
	s_cbranch_execnz .LBB185_61
.LBB185_26:
	s_wait_alu 0xfffe
	s_or_b32 exec_lo, exec_lo, s8
	s_and_saveexec_b32 s8, s6
	s_cbranch_execnz .LBB185_62
.LBB185_27:
	s_wait_alu 0xfffe
	s_or_b32 exec_lo, exec_lo, s8
	s_xor_b32 s8, s22, -1
	s_and_saveexec_b32 s9, s7
	s_cbranch_execz .LBB185_29
.LBB185_28:
	v_mul_lo_u32 v13, s28, v38
	v_mov_b32_e32 v14, 0
	s_delay_alu instid0(VALU_DEP_1) | instskip(NEXT) | instid1(VALU_DEP_1)
	v_lshlrev_b64_e32 v[13:14], 3, v[13:14]
	v_add_co_u32 v13, vcc_lo, s24, v13
	s_wait_alu 0xfffd
	s_delay_alu instid0(VALU_DEP_2)
	v_add_co_ci_u32_e64 v14, null, s25, v14, vcc_lo
	global_load_b64 v[13:14], v[13:14], off
.LBB185_29:
	s_wait_alu 0xfffe
	s_or_b32 exec_lo, exec_lo, s9
	s_wait_loadcnt 0x0
	ds_store_b64 v106, v[11:12]
	ds_store_b64 v107, v[69:70] offset:4096
	ds_store_b64 v108, v[1:2] offset:8192
	;; [unrolled: 1-line block ×7, first 2 shown]
	s_wait_dscnt 0x0
	s_barrier_signal -1
	s_barrier_wait -1
	global_inv scope:SCOPE_SE
	ds_load_2addr_b64 v[44:47], v114 offset1:1
	ds_load_2addr_b64 v[40:43], v114 offset0:2 offset1:3
	ds_load_2addr_b64 v[36:39], v114 offset0:4 offset1:5
	;; [unrolled: 1-line block ×3, first 2 shown]
	s_and_b32 vcc_lo, exec_lo, s8
	v_bfe_u32 v120, v0, 10, 10
	v_bfe_u32 v121, v0, 20, 10
	v_ashrrev_i32_e32 v129, 31, v29
	v_ashrrev_i32_e32 v128, 31, v31
	;; [unrolled: 1-line block ×8, first 2 shown]
	v_mbcnt_lo_u32_b32 v118, -1, 0
	v_and_b32_e32 v119, 0x3e0, v73
	v_lshlrev_b32_e32 v115, 2, v72
	v_cmp_gt_u32_e64 s8, 16, v73
	v_cmp_lt_u32_e64 s9, 31, v73
	v_cmp_eq_u32_e64 s10, 0, v73
	v_lshlrev_b32_e32 v116, 2, v48
	v_mul_i32_i24_e32 v117, 0xffffffe4, v73
	s_wait_loadcnt_dscnt 0x0
	s_barrier_signal -1
	s_barrier_wait -1
	global_inv scope:SCOPE_SE
	s_wait_alu 0xfffe
	s_cbranch_vccz .LBB185_63
; %bb.30:
	v_cmp_lt_i64_e32 vcc_lo, -1, v[28:29]
	v_or_b32_e32 v14, v118, v119
	s_mov_b32 s36, 0
	s_getpc_b64 s[12:13]
	s_wait_alu 0xfffe
	s_sext_i32_i16 s13, s13
	s_add_co_u32 s12, s12, _ZN7rocprim17ROCPRIM_400000_NS16block_radix_sortIdLj512ELj8ElLj1ELj1ELj0ELNS0_26block_radix_rank_algorithmE1ELNS0_18block_padding_hintE2ELNS0_4arch9wavefront6targetE0EE19radix_bits_per_passE@rel32@lo+12
	s_wait_alu 0xfffe
	s_add_co_ci_u32 s13, s13, _ZN7rocprim17ROCPRIM_400000_NS16block_radix_sortIdLj512ELj8ElLj1ELj1ELj0ELNS0_26block_radix_rank_algorithmE1ELNS0_18block_padding_hintE2ELNS0_4arch9wavefront6targetE0EE19radix_bits_per_passE@rel32@hi+24
	s_mov_b32 s37, s36
	s_mov_b32 s38, s36
	s_wait_alu 0xfffd
	v_cndmask_b32_e64 v0, -1, 0x80000000, vcc_lo
	v_cmp_lt_i64_e32 vcc_lo, -1, v[30:31]
	v_lshlrev_b32_e32 v48, 6, v14
	s_mov_b32 s39, s36
	v_and_b32_e32 v69, 16, v118
	v_xor_b32_e32 v1, v0, v29
	v_xor_b32_e32 v0, v129, v28
	s_wait_alu 0xfffd
	v_cndmask_b32_e64 v2, -1, 0x80000000, vcc_lo
	v_cmp_lt_i64_e32 vcc_lo, -1, v[24:25]
	v_and_or_b32 v49, 0x1f00, v72, v118
	s_load_b32 s19, s[12:13], 0x0
	v_cmp_eq_u32_e64 s16, 0, v69
	v_xor_b32_e32 v3, v2, v31
	v_xor_b32_e32 v2, v128, v30
	v_cndmask_b32_e64 v4, -1, 0x80000000, vcc_lo
	v_cmp_lt_i64_e32 vcc_lo, -1, v[26:27]
	v_mov_b32_e32 v69, 0
	v_xor_b32_e32 v14, v122, v18
	v_add_nc_u32_e32 v132, -4, v116
	v_xor_b32_e32 v5, v4, v25
	v_xor_b32_e32 v4, v127, v24
	s_wait_alu 0xfffd
	v_cndmask_b32_e64 v6, -1, 0x80000000, vcc_lo
	v_cmp_lt_i64_e32 vcc_lo, -1, v[20:21]
	v_add_nc_u32_e32 v134, v115, v117
	s_mov_b32 s22, -1
	s_brev_b32 s23, -2
	v_xor_b32_e32 v7, v6, v27
	v_xor_b32_e32 v6, v126, v26
	s_wait_alu 0xfffd
	v_cndmask_b32_e64 v8, -1, 0x80000000, vcc_lo
	v_cmp_lt_i64_e32 vcc_lo, -1, v[22:23]
	ds_store_b128 v48, v[0:3]
	ds_store_b128 v48, v[4:7] offset:16
	v_sub_co_u32 v3, s12, v118, 1
	v_xor_b32_e32 v9, v8, v21
	s_wait_alu 0xfffd
	v_cndmask_b32_e64 v10, -1, 0x80000000, vcc_lo
	v_cmp_lt_i64_e32 vcc_lo, -1, v[16:17]
	v_xor_b32_e32 v8, v125, v20
	v_and_b32_e32 v2, 15, v118
	s_mov_b32 s27, 64
	v_xor_b32_e32 v11, v10, v23
	v_xor_b32_e32 v10, v124, v22
	s_wait_alu 0xfffd
	v_cndmask_b32_e64 v12, -1, 0x80000000, vcc_lo
	v_cmp_lt_i64_e32 vcc_lo, -1, v[18:19]
	v_cmp_lt_u32_e64 s13, 1, v2
	v_cmp_lt_u32_e64 s15, 7, v2
	v_mov_b32_e32 v70, 0
	v_xor_b32_e32 v13, v12, v17
	v_xor_b32_e32 v12, v123, v16
	s_wait_alu 0xfffd
	v_cndmask_b32_e64 v15, -1, 0x80000000, vcc_lo
	v_cmp_gt_i32_e32 vcc_lo, 0, v3
	v_lshlrev_b32_e32 v130, 3, v49
	s_delay_alu instid0(VALU_DEP_3)
	v_xor_b32_e32 v15, v15, v19
	ds_store_b128 v48, v[8:11] offset:32
	ds_store_b128 v48, v[12:15] offset:48
	; wave barrier
	s_wait_alu 0xfffd
	v_cndmask_b32_e32 v3, v3, v118, vcc_lo
	ds_load_2addr_b64 v[4:7], v130 offset1:32
	ds_load_2addr_b64 v[8:11], v130 offset0:64 offset1:96
	ds_load_2addr_b64 v[12:15], v130 offset0:128 offset1:160
	;; [unrolled: 1-line block ×3, first 2 shown]
	; wave barrier
	ds_store_b128 v48, v[44:47]
	ds_store_b128 v48, v[40:43] offset:16
	ds_store_b128 v48, v[36:39] offset:32
	;; [unrolled: 1-line block ×3, first 2 shown]
	; wave barrier
	ds_load_2addr_b64 v[48:51], v130 offset1:32
	ds_load_2addr_b64 v[52:55], v130 offset0:64 offset1:96
	ds_load_2addr_b64 v[56:59], v130 offset0:128 offset1:160
	;; [unrolled: 1-line block ×3, first 2 shown]
	s_wait_loadcnt_dscnt 0x0
	s_barrier_signal -1
	s_barrier_wait -1
	global_inv scope:SCOPE_SE
	s_load_b32 s11, s[20:21], 0xc
	v_lshlrev_b32_e32 v131, 2, v3
	s_wait_kmcnt 0x0
	s_lshr_b32 s14, s11, 16
	s_and_b32 s11, s11, 0xffff
	s_wait_alu 0xfffe
	v_mad_u32_u24 v0, v121, s14, v120
	v_cmp_lt_u32_e64 s14, 3, v2
	s_delay_alu instid0(VALU_DEP_2) | instskip(SKIP_2) | instid1(VALU_DEP_2)
	v_mad_co_u64_u32 v[0:1], null, v0, s11, v[73:74]
	v_min_u32_e32 v1, 0x1e0, v119
	v_cmp_eq_u32_e64 s11, 0, v2
	v_or_b32_e32 v1, 31, v1
	s_delay_alu instid0(VALU_DEP_4) | instskip(NEXT) | instid1(VALU_DEP_2)
	v_lshrrev_b32_e32 v0, 3, v0
	v_cmp_eq_u32_e64 s17, v73, v1
	s_delay_alu instid0(VALU_DEP_2)
	v_dual_mov_b32 v0, s36 :: v_dual_and_b32 v133, 0x1ffffffc, v0
	v_dual_mov_b32 v1, s37 :: v_dual_mov_b32 v2, s38
	v_mov_b32_e32 v3, s39
	s_branch .LBB185_32
.LBB185_31:                             ;   in Loop: Header=BB185_32 Depth=1
	s_wait_alu 0xfffe
	s_and_not1_b32 vcc_lo, exec_lo, s18
	s_wait_alu 0xfffe
	s_cbranch_vccz .LBB185_64
.LBB185_32:                             ; =>This Inner Loop Header: Depth=1
	v_dual_mov_b32 v75, v5 :: v_dual_mov_b32 v74, v4
	s_min_u32 s18, s19, s27
	v_mov_b32_e32 v79, v65
	s_wait_alu 0xfffe
	s_lshl_b32 s18, -1, s18
	ds_store_b128 v115, v[0:3] offset:64
	ds_store_b128 v115, v[0:3] offset:80
	v_cmp_ne_u64_e32 vcc_lo, s[22:23], v[74:75]
	s_wait_alu 0xfffe
	s_not_b32 s29, s18
	s_wait_loadcnt_dscnt 0x0
	s_barrier_signal -1
	s_barrier_wait -1
	s_wait_alu 0xfffd
	v_dual_mov_b32 v77, v67 :: v_dual_cndmask_b32 v4, 0, v74
	v_dual_cndmask_b32 v5, 0x80000000, v75 :: v_dual_mov_b32 v76, v66
	global_inv scope:SCOPE_SE
	; wave barrier
	v_lshrrev_b64 v[4:5], v69, v[4:5]
	v_dual_mov_b32 v78, v64 :: v_dual_mov_b32 v99, v13
	v_mov_b32_e32 v101, v11
	v_mov_b32_e32 v103, v9
	;; [unrolled: 1-line block ×3, first 2 shown]
	s_wait_alu 0xfffe
	v_and_b32_e32 v5, s29, v4
	v_dual_mov_b32 v81, v15 :: v_dual_mov_b32 v80, v14
	v_mov_b32_e32 v98, v12
	s_delay_alu instid0(VALU_DEP_3)
	v_dual_mov_b32 v100, v10 :: v_dual_lshlrev_b32 v67, 26, v5
	v_and_b32_e32 v4, 1, v5
	v_lshlrev_b32_e32 v14, 30, v5
	v_lshlrev_b32_e32 v15, 29, v5
	;; [unrolled: 1-line block ×4, first 2 shown]
	v_add_co_u32 v4, s18, v4, -1
	s_wait_alu 0xf1ff
	v_cndmask_b32_e64 v65, 0, 1, s18
	v_not_b32_e32 v83, v14
	v_cmp_gt_i32_e64 s18, 0, v14
	v_not_b32_e32 v14, v15
	v_lshlrev_b32_e32 v82, 25, v5
	v_cmp_ne_u32_e32 vcc_lo, 0, v65
	v_ashrrev_i32_e32 v83, 31, v83
	v_dual_mov_b32 v102, v8 :: v_dual_lshlrev_b32 v65, 24, v5
	v_ashrrev_i32_e32 v14, 31, v14
	s_wait_alu 0xfffd
	v_xor_b32_e32 v4, vcc_lo, v4
	v_cmp_gt_i32_e32 vcc_lo, 0, v15
	v_not_b32_e32 v15, v64
	s_wait_alu 0xf1ff
	v_xor_b32_e32 v83, s18, v83
	v_cmp_gt_i32_e64 s18, 0, v64
	v_and_b32_e32 v4, exec_lo, v4
	v_not_b32_e32 v64, v66
	v_ashrrev_i32_e32 v15, 31, v15
	s_wait_alu 0xfffd
	v_xor_b32_e32 v14, vcc_lo, v14
	v_cmp_gt_i32_e32 vcc_lo, 0, v66
	v_dual_mov_b32 v85, v61 :: v_dual_and_b32 v4, v4, v83
	v_not_b32_e32 v66, v67
	v_ashrrev_i32_e32 v64, 31, v64
	s_wait_alu 0xf1ff
	v_xor_b32_e32 v15, s18, v15
	v_dual_mov_b32 v87, v59 :: v_dual_and_b32 v4, v4, v14
	v_cmp_gt_i32_e64 s18, 0, v67
	v_not_b32_e32 v14, v82
	v_ashrrev_i32_e32 v66, 31, v66
	s_wait_alu 0xfffd
	v_xor_b32_e32 v64, vcc_lo, v64
	v_dual_mov_b32 v89, v57 :: v_dual_and_b32 v4, v4, v15
	v_cmp_gt_i32_e32 vcc_lo, 0, v82
	v_not_b32_e32 v15, v65
	v_ashrrev_i32_e32 v14, 31, v14
	s_wait_alu 0xf1ff
	v_xor_b32_e32 v66, s18, v66
	v_dual_mov_b32 v91, v55 :: v_dual_and_b32 v4, v4, v64
	v_cmp_gt_i32_e64 s18, 0, v65
	v_ashrrev_i32_e32 v12, 31, v15
	s_wait_alu 0xfffd
	v_xor_b32_e32 v13, vcc_lo, v14
	v_dual_mov_b32 v93, v53 :: v_dual_and_b32 v4, v4, v66
	v_dual_mov_b32 v104, v6 :: v_dual_mov_b32 v95, v51
	s_wait_alu 0xf1ff
	v_xor_b32_e32 v6, s18, v12
	s_delay_alu instid0(VALU_DEP_3) | instskip(SKIP_2) | instid1(VALU_DEP_3)
	v_dual_mov_b32 v97, v49 :: v_dual_and_b32 v4, v4, v13
	v_dual_mov_b32 v83, v63 :: v_dual_mov_b32 v82, v62
	v_lshlrev_b32_e32 v5, 6, v5
	v_and_b32_e32 v4, v4, v6
	v_mov_b32_e32 v84, v60
	v_mov_b32_e32 v86, v58
	;; [unrolled: 1-line block ×4, first 2 shown]
	v_mbcnt_lo_u32_b32 v12, v4, 0
	v_cmp_ne_u32_e64 s18, 0, v4
	v_mov_b32_e32 v92, v52
	v_mov_b32_e32 v94, v50
	v_mov_b32_e32 v96, v48
	v_cmp_eq_u32_e32 vcc_lo, 0, v12
	v_add_nc_u32_e32 v13, v133, v5
	s_and_b32 s33, s18, vcc_lo
	s_delay_alu instid0(SALU_CYCLE_1)
	s_and_saveexec_b32 s18, s33
; %bb.33:                               ;   in Loop: Header=BB185_32 Depth=1
	v_bcnt_u32_b32 v4, v4, 0
	ds_store_b32 v13, v4 offset:64
; %bb.34:                               ;   in Loop: Header=BB185_32 Depth=1
	s_wait_alu 0xfffe
	s_or_b32 exec_lo, exec_lo, s18
	v_cmp_ne_u64_e32 vcc_lo, s[22:23], v[104:105]
	; wave barrier
	s_wait_alu 0xfffd
	v_cndmask_b32_e32 v5, 0x80000000, v105, vcc_lo
	v_cndmask_b32_e32 v4, 0, v104, vcc_lo
	s_delay_alu instid0(VALU_DEP_1) | instskip(NEXT) | instid1(VALU_DEP_1)
	v_lshrrev_b64 v[4:5], v69, v[4:5]
	v_and_b32_e32 v4, s29, v4
	s_delay_alu instid0(VALU_DEP_1)
	v_and_b32_e32 v5, 1, v4
	v_lshlrev_b32_e32 v6, 30, v4
	v_lshlrev_b32_e32 v7, 29, v4
	;; [unrolled: 1-line block ×4, first 2 shown]
	v_add_co_u32 v5, s18, v5, -1
	s_wait_alu 0xf1ff
	v_cndmask_b32_e64 v9, 0, 1, s18
	v_not_b32_e32 v15, v6
	v_cmp_gt_i32_e64 s18, 0, v6
	v_not_b32_e32 v6, v7
	v_lshlrev_b32_e32 v11, 26, v4
	v_cmp_ne_u32_e32 vcc_lo, 0, v9
	v_ashrrev_i32_e32 v15, 31, v15
	v_lshlrev_b32_e32 v14, 25, v4
	v_ashrrev_i32_e32 v6, 31, v6
	v_lshlrev_b32_e32 v9, 24, v4
	s_wait_alu 0xfffd
	v_xor_b32_e32 v5, vcc_lo, v5
	v_cmp_gt_i32_e32 vcc_lo, 0, v7
	v_not_b32_e32 v7, v8
	s_wait_alu 0xf1ff
	v_xor_b32_e32 v15, s18, v15
	v_cmp_gt_i32_e64 s18, 0, v8
	v_and_b32_e32 v5, exec_lo, v5
	v_not_b32_e32 v8, v10
	v_ashrrev_i32_e32 v7, 31, v7
	s_wait_alu 0xfffd
	v_xor_b32_e32 v6, vcc_lo, v6
	v_cmp_gt_i32_e32 vcc_lo, 0, v10
	v_and_b32_e32 v5, v5, v15
	v_not_b32_e32 v10, v11
	v_ashrrev_i32_e32 v8, 31, v8
	s_wait_alu 0xf1ff
	v_xor_b32_e32 v7, s18, v7
	v_cmp_gt_i32_e64 s18, 0, v11
	v_and_b32_e32 v5, v5, v6
	v_not_b32_e32 v6, v14
	v_ashrrev_i32_e32 v10, 31, v10
	s_wait_alu 0xfffd
	v_xor_b32_e32 v8, vcc_lo, v8
	v_cmp_gt_i32_e32 vcc_lo, 0, v14
	v_and_b32_e32 v5, v5, v7
	v_not_b32_e32 v7, v9
	v_ashrrev_i32_e32 v6, 31, v6
	s_wait_alu 0xf1ff
	v_xor_b32_e32 v10, s18, v10
	v_lshlrev_b32_e32 v4, 6, v4
	v_and_b32_e32 v5, v5, v8
	v_cmp_gt_i32_e64 s18, 0, v9
	v_ashrrev_i32_e32 v7, 31, v7
	s_wait_alu 0xfffd
	v_xor_b32_e32 v6, vcc_lo, v6
	v_add_nc_u32_e32 v48, v133, v4
	v_and_b32_e32 v5, v5, v10
	s_wait_alu 0xf1ff
	v_xor_b32_e32 v4, s18, v7
	ds_load_b32 v14, v48 offset:64
	v_and_b32_e32 v5, v5, v6
	; wave barrier
	s_delay_alu instid0(VALU_DEP_1) | instskip(NEXT) | instid1(VALU_DEP_1)
	v_and_b32_e32 v4, v5, v4
	v_mbcnt_lo_u32_b32 v15, v4, 0
	v_cmp_ne_u32_e64 s18, 0, v4
	s_delay_alu instid0(VALU_DEP_2) | instskip(SKIP_1) | instid1(SALU_CYCLE_1)
	v_cmp_eq_u32_e32 vcc_lo, 0, v15
	s_and_b32 s33, s18, vcc_lo
	s_and_saveexec_b32 s18, s33
	s_cbranch_execz .LBB185_36
; %bb.35:                               ;   in Loop: Header=BB185_32 Depth=1
	s_wait_dscnt 0x0
	v_bcnt_u32_b32 v4, v4, v14
	ds_store_b32 v48, v4 offset:64
.LBB185_36:                             ;   in Loop: Header=BB185_32 Depth=1
	s_wait_alu 0xfffe
	s_or_b32 exec_lo, exec_lo, s18
	v_cmp_ne_u64_e32 vcc_lo, s[22:23], v[102:103]
	; wave barrier
	s_wait_alu 0xfffd
	v_cndmask_b32_e32 v5, 0x80000000, v103, vcc_lo
	v_cndmask_b32_e32 v4, 0, v102, vcc_lo
	s_delay_alu instid0(VALU_DEP_1) | instskip(NEXT) | instid1(VALU_DEP_1)
	v_lshrrev_b64 v[4:5], v69, v[4:5]
	v_and_b32_e32 v4, s29, v4
	s_delay_alu instid0(VALU_DEP_1)
	v_and_b32_e32 v5, 1, v4
	v_lshlrev_b32_e32 v6, 30, v4
	v_lshlrev_b32_e32 v7, 29, v4
	;; [unrolled: 1-line block ×4, first 2 shown]
	v_add_co_u32 v5, s18, v5, -1
	s_wait_alu 0xf1ff
	v_cndmask_b32_e64 v9, 0, 1, s18
	v_not_b32_e32 v50, v6
	v_cmp_gt_i32_e64 s18, 0, v6
	v_not_b32_e32 v6, v7
	v_lshlrev_b32_e32 v11, 26, v4
	v_cmp_ne_u32_e32 vcc_lo, 0, v9
	v_ashrrev_i32_e32 v50, 31, v50
	v_lshlrev_b32_e32 v49, 25, v4
	v_ashrrev_i32_e32 v6, 31, v6
	v_lshlrev_b32_e32 v9, 24, v4
	s_wait_alu 0xfffd
	v_xor_b32_e32 v5, vcc_lo, v5
	v_cmp_gt_i32_e32 vcc_lo, 0, v7
	v_not_b32_e32 v7, v8
	s_wait_alu 0xf1ff
	v_xor_b32_e32 v50, s18, v50
	v_cmp_gt_i32_e64 s18, 0, v8
	v_and_b32_e32 v5, exec_lo, v5
	v_not_b32_e32 v8, v10
	v_ashrrev_i32_e32 v7, 31, v7
	s_wait_alu 0xfffd
	v_xor_b32_e32 v6, vcc_lo, v6
	v_cmp_gt_i32_e32 vcc_lo, 0, v10
	v_and_b32_e32 v5, v5, v50
	v_not_b32_e32 v10, v11
	v_ashrrev_i32_e32 v8, 31, v8
	s_wait_alu 0xf1ff
	v_xor_b32_e32 v7, s18, v7
	v_cmp_gt_i32_e64 s18, 0, v11
	v_and_b32_e32 v5, v5, v6
	v_not_b32_e32 v6, v49
	v_ashrrev_i32_e32 v10, 31, v10
	s_wait_alu 0xfffd
	v_xor_b32_e32 v8, vcc_lo, v8
	v_cmp_gt_i32_e32 vcc_lo, 0, v49
	v_and_b32_e32 v5, v5, v7
	v_not_b32_e32 v7, v9
	v_ashrrev_i32_e32 v6, 31, v6
	s_wait_alu 0xf1ff
	v_xor_b32_e32 v10, s18, v10
	v_lshlrev_b32_e32 v4, 6, v4
	v_and_b32_e32 v5, v5, v8
	v_cmp_gt_i32_e64 s18, 0, v9
	v_ashrrev_i32_e32 v7, 31, v7
	s_wait_alu 0xfffd
	v_xor_b32_e32 v6, vcc_lo, v6
	v_add_nc_u32_e32 v51, v133, v4
	v_and_b32_e32 v5, v5, v10
	s_wait_alu 0xf1ff
	v_xor_b32_e32 v4, s18, v7
	ds_load_b32 v49, v51 offset:64
	v_and_b32_e32 v5, v5, v6
	; wave barrier
	s_delay_alu instid0(VALU_DEP_1) | instskip(NEXT) | instid1(VALU_DEP_1)
	v_and_b32_e32 v4, v5, v4
	v_mbcnt_lo_u32_b32 v50, v4, 0
	v_cmp_ne_u32_e64 s18, 0, v4
	s_delay_alu instid0(VALU_DEP_2) | instskip(SKIP_1) | instid1(SALU_CYCLE_1)
	v_cmp_eq_u32_e32 vcc_lo, 0, v50
	s_and_b32 s33, s18, vcc_lo
	s_and_saveexec_b32 s18, s33
	s_cbranch_execz .LBB185_38
; %bb.37:                               ;   in Loop: Header=BB185_32 Depth=1
	s_wait_dscnt 0x0
	v_bcnt_u32_b32 v4, v4, v49
	ds_store_b32 v51, v4 offset:64
.LBB185_38:                             ;   in Loop: Header=BB185_32 Depth=1
	s_wait_alu 0xfffe
	s_or_b32 exec_lo, exec_lo, s18
	v_cmp_ne_u64_e32 vcc_lo, s[22:23], v[100:101]
	; wave barrier
	s_wait_alu 0xfffd
	v_cndmask_b32_e32 v5, 0x80000000, v101, vcc_lo
	v_cndmask_b32_e32 v4, 0, v100, vcc_lo
	s_delay_alu instid0(VALU_DEP_1) | instskip(NEXT) | instid1(VALU_DEP_1)
	v_lshrrev_b64 v[4:5], v69, v[4:5]
	v_and_b32_e32 v4, s29, v4
	s_delay_alu instid0(VALU_DEP_1)
	v_and_b32_e32 v5, 1, v4
	v_lshlrev_b32_e32 v6, 30, v4
	v_lshlrev_b32_e32 v7, 29, v4
	;; [unrolled: 1-line block ×4, first 2 shown]
	v_add_co_u32 v5, s18, v5, -1
	s_wait_alu 0xf1ff
	v_cndmask_b32_e64 v9, 0, 1, s18
	v_not_b32_e32 v53, v6
	v_cmp_gt_i32_e64 s18, 0, v6
	v_not_b32_e32 v6, v7
	v_lshlrev_b32_e32 v11, 26, v4
	v_cmp_ne_u32_e32 vcc_lo, 0, v9
	v_ashrrev_i32_e32 v53, 31, v53
	v_lshlrev_b32_e32 v52, 25, v4
	v_ashrrev_i32_e32 v6, 31, v6
	v_lshlrev_b32_e32 v9, 24, v4
	s_wait_alu 0xfffd
	v_xor_b32_e32 v5, vcc_lo, v5
	v_cmp_gt_i32_e32 vcc_lo, 0, v7
	v_not_b32_e32 v7, v8
	s_wait_alu 0xf1ff
	v_xor_b32_e32 v53, s18, v53
	v_cmp_gt_i32_e64 s18, 0, v8
	v_and_b32_e32 v5, exec_lo, v5
	v_not_b32_e32 v8, v10
	v_ashrrev_i32_e32 v7, 31, v7
	s_wait_alu 0xfffd
	v_xor_b32_e32 v6, vcc_lo, v6
	v_cmp_gt_i32_e32 vcc_lo, 0, v10
	v_and_b32_e32 v5, v5, v53
	v_not_b32_e32 v10, v11
	v_ashrrev_i32_e32 v8, 31, v8
	s_wait_alu 0xf1ff
	v_xor_b32_e32 v7, s18, v7
	v_cmp_gt_i32_e64 s18, 0, v11
	v_and_b32_e32 v5, v5, v6
	v_not_b32_e32 v6, v52
	v_ashrrev_i32_e32 v10, 31, v10
	s_wait_alu 0xfffd
	v_xor_b32_e32 v8, vcc_lo, v8
	v_cmp_gt_i32_e32 vcc_lo, 0, v52
	v_and_b32_e32 v5, v5, v7
	v_not_b32_e32 v7, v9
	v_ashrrev_i32_e32 v6, 31, v6
	s_wait_alu 0xf1ff
	v_xor_b32_e32 v10, s18, v10
	v_lshlrev_b32_e32 v4, 6, v4
	v_and_b32_e32 v5, v5, v8
	v_cmp_gt_i32_e64 s18, 0, v9
	v_ashrrev_i32_e32 v7, 31, v7
	s_wait_alu 0xfffd
	v_xor_b32_e32 v6, vcc_lo, v6
	v_add_nc_u32_e32 v54, v133, v4
	v_and_b32_e32 v5, v5, v10
	s_wait_alu 0xf1ff
	v_xor_b32_e32 v4, s18, v7
	ds_load_b32 v52, v54 offset:64
	v_and_b32_e32 v5, v5, v6
	; wave barrier
	s_delay_alu instid0(VALU_DEP_1) | instskip(NEXT) | instid1(VALU_DEP_1)
	v_and_b32_e32 v4, v5, v4
	v_mbcnt_lo_u32_b32 v53, v4, 0
	v_cmp_ne_u32_e64 s18, 0, v4
	s_delay_alu instid0(VALU_DEP_2) | instskip(SKIP_1) | instid1(SALU_CYCLE_1)
	v_cmp_eq_u32_e32 vcc_lo, 0, v53
	s_and_b32 s33, s18, vcc_lo
	s_and_saveexec_b32 s18, s33
	s_cbranch_execz .LBB185_40
; %bb.39:                               ;   in Loop: Header=BB185_32 Depth=1
	s_wait_dscnt 0x0
	v_bcnt_u32_b32 v4, v4, v52
	ds_store_b32 v54, v4 offset:64
.LBB185_40:                             ;   in Loop: Header=BB185_32 Depth=1
	s_wait_alu 0xfffe
	s_or_b32 exec_lo, exec_lo, s18
	v_cmp_ne_u64_e32 vcc_lo, s[22:23], v[98:99]
	; wave barrier
	s_wait_alu 0xfffd
	v_cndmask_b32_e32 v5, 0x80000000, v99, vcc_lo
	v_cndmask_b32_e32 v4, 0, v98, vcc_lo
	s_delay_alu instid0(VALU_DEP_1) | instskip(NEXT) | instid1(VALU_DEP_1)
	v_lshrrev_b64 v[4:5], v69, v[4:5]
	v_and_b32_e32 v4, s29, v4
	s_delay_alu instid0(VALU_DEP_1)
	v_and_b32_e32 v5, 1, v4
	v_lshlrev_b32_e32 v6, 30, v4
	v_lshlrev_b32_e32 v7, 29, v4
	;; [unrolled: 1-line block ×4, first 2 shown]
	v_add_co_u32 v5, s18, v5, -1
	s_wait_alu 0xf1ff
	v_cndmask_b32_e64 v9, 0, 1, s18
	v_not_b32_e32 v56, v6
	v_cmp_gt_i32_e64 s18, 0, v6
	v_not_b32_e32 v6, v7
	v_lshlrev_b32_e32 v11, 26, v4
	v_cmp_ne_u32_e32 vcc_lo, 0, v9
	v_ashrrev_i32_e32 v56, 31, v56
	v_lshlrev_b32_e32 v55, 25, v4
	v_ashrrev_i32_e32 v6, 31, v6
	v_lshlrev_b32_e32 v9, 24, v4
	s_wait_alu 0xfffd
	v_xor_b32_e32 v5, vcc_lo, v5
	v_cmp_gt_i32_e32 vcc_lo, 0, v7
	v_not_b32_e32 v7, v8
	s_wait_alu 0xf1ff
	v_xor_b32_e32 v56, s18, v56
	v_cmp_gt_i32_e64 s18, 0, v8
	v_and_b32_e32 v5, exec_lo, v5
	v_not_b32_e32 v8, v10
	v_ashrrev_i32_e32 v7, 31, v7
	s_wait_alu 0xfffd
	v_xor_b32_e32 v6, vcc_lo, v6
	v_cmp_gt_i32_e32 vcc_lo, 0, v10
	v_and_b32_e32 v5, v5, v56
	v_not_b32_e32 v10, v11
	v_ashrrev_i32_e32 v8, 31, v8
	s_wait_alu 0xf1ff
	v_xor_b32_e32 v7, s18, v7
	v_cmp_gt_i32_e64 s18, 0, v11
	v_and_b32_e32 v5, v5, v6
	v_not_b32_e32 v6, v55
	v_ashrrev_i32_e32 v10, 31, v10
	s_wait_alu 0xfffd
	v_xor_b32_e32 v8, vcc_lo, v8
	v_cmp_gt_i32_e32 vcc_lo, 0, v55
	v_and_b32_e32 v5, v5, v7
	v_not_b32_e32 v7, v9
	v_ashrrev_i32_e32 v6, 31, v6
	s_wait_alu 0xf1ff
	v_xor_b32_e32 v10, s18, v10
	v_lshlrev_b32_e32 v4, 6, v4
	v_and_b32_e32 v5, v5, v8
	v_cmp_gt_i32_e64 s18, 0, v9
	v_ashrrev_i32_e32 v7, 31, v7
	s_wait_alu 0xfffd
	v_xor_b32_e32 v6, vcc_lo, v6
	v_add_nc_u32_e32 v57, v133, v4
	v_and_b32_e32 v5, v5, v10
	s_wait_alu 0xf1ff
	v_xor_b32_e32 v4, s18, v7
	ds_load_b32 v55, v57 offset:64
	v_and_b32_e32 v5, v5, v6
	; wave barrier
	s_delay_alu instid0(VALU_DEP_1) | instskip(NEXT) | instid1(VALU_DEP_1)
	v_and_b32_e32 v4, v5, v4
	v_mbcnt_lo_u32_b32 v56, v4, 0
	v_cmp_ne_u32_e64 s18, 0, v4
	s_delay_alu instid0(VALU_DEP_2) | instskip(SKIP_1) | instid1(SALU_CYCLE_1)
	v_cmp_eq_u32_e32 vcc_lo, 0, v56
	s_and_b32 s33, s18, vcc_lo
	s_and_saveexec_b32 s18, s33
	s_cbranch_execz .LBB185_42
; %bb.41:                               ;   in Loop: Header=BB185_32 Depth=1
	s_wait_dscnt 0x0
	v_bcnt_u32_b32 v4, v4, v55
	ds_store_b32 v57, v4 offset:64
.LBB185_42:                             ;   in Loop: Header=BB185_32 Depth=1
	s_wait_alu 0xfffe
	s_or_b32 exec_lo, exec_lo, s18
	v_cmp_ne_u64_e32 vcc_lo, s[22:23], v[80:81]
	; wave barrier
	s_wait_alu 0xfffd
	v_cndmask_b32_e32 v5, 0x80000000, v81, vcc_lo
	v_cndmask_b32_e32 v4, 0, v80, vcc_lo
	s_delay_alu instid0(VALU_DEP_1) | instskip(NEXT) | instid1(VALU_DEP_1)
	v_lshrrev_b64 v[4:5], v69, v[4:5]
	v_and_b32_e32 v4, s29, v4
	s_delay_alu instid0(VALU_DEP_1)
	v_and_b32_e32 v5, 1, v4
	v_lshlrev_b32_e32 v6, 30, v4
	v_lshlrev_b32_e32 v7, 29, v4
	;; [unrolled: 1-line block ×4, first 2 shown]
	v_add_co_u32 v5, s18, v5, -1
	s_wait_alu 0xf1ff
	v_cndmask_b32_e64 v9, 0, 1, s18
	v_not_b32_e32 v59, v6
	v_cmp_gt_i32_e64 s18, 0, v6
	v_not_b32_e32 v6, v7
	v_lshlrev_b32_e32 v11, 26, v4
	v_cmp_ne_u32_e32 vcc_lo, 0, v9
	v_ashrrev_i32_e32 v59, 31, v59
	v_lshlrev_b32_e32 v58, 25, v4
	v_ashrrev_i32_e32 v6, 31, v6
	v_lshlrev_b32_e32 v9, 24, v4
	s_wait_alu 0xfffd
	v_xor_b32_e32 v5, vcc_lo, v5
	v_cmp_gt_i32_e32 vcc_lo, 0, v7
	v_not_b32_e32 v7, v8
	s_wait_alu 0xf1ff
	v_xor_b32_e32 v59, s18, v59
	v_cmp_gt_i32_e64 s18, 0, v8
	v_and_b32_e32 v5, exec_lo, v5
	v_not_b32_e32 v8, v10
	v_ashrrev_i32_e32 v7, 31, v7
	s_wait_alu 0xfffd
	v_xor_b32_e32 v6, vcc_lo, v6
	v_cmp_gt_i32_e32 vcc_lo, 0, v10
	v_and_b32_e32 v5, v5, v59
	v_not_b32_e32 v10, v11
	v_ashrrev_i32_e32 v8, 31, v8
	s_wait_alu 0xf1ff
	v_xor_b32_e32 v7, s18, v7
	v_cmp_gt_i32_e64 s18, 0, v11
	v_and_b32_e32 v5, v5, v6
	v_not_b32_e32 v6, v58
	v_ashrrev_i32_e32 v10, 31, v10
	s_wait_alu 0xfffd
	v_xor_b32_e32 v8, vcc_lo, v8
	v_cmp_gt_i32_e32 vcc_lo, 0, v58
	v_and_b32_e32 v5, v5, v7
	v_not_b32_e32 v7, v9
	v_ashrrev_i32_e32 v6, 31, v6
	s_wait_alu 0xf1ff
	v_xor_b32_e32 v10, s18, v10
	v_lshlrev_b32_e32 v4, 6, v4
	v_and_b32_e32 v5, v5, v8
	v_cmp_gt_i32_e64 s18, 0, v9
	v_ashrrev_i32_e32 v7, 31, v7
	s_wait_alu 0xfffd
	v_xor_b32_e32 v6, vcc_lo, v6
	v_add_nc_u32_e32 v60, v133, v4
	v_and_b32_e32 v5, v5, v10
	s_wait_alu 0xf1ff
	v_xor_b32_e32 v4, s18, v7
	ds_load_b32 v58, v60 offset:64
	v_and_b32_e32 v5, v5, v6
	; wave barrier
	s_delay_alu instid0(VALU_DEP_1) | instskip(NEXT) | instid1(VALU_DEP_1)
	v_and_b32_e32 v4, v5, v4
	v_mbcnt_lo_u32_b32 v59, v4, 0
	v_cmp_ne_u32_e64 s18, 0, v4
	s_delay_alu instid0(VALU_DEP_2) | instskip(SKIP_1) | instid1(SALU_CYCLE_1)
	v_cmp_eq_u32_e32 vcc_lo, 0, v59
	s_and_b32 s33, s18, vcc_lo
	s_and_saveexec_b32 s18, s33
	s_cbranch_execz .LBB185_44
; %bb.43:                               ;   in Loop: Header=BB185_32 Depth=1
	s_wait_dscnt 0x0
	v_bcnt_u32_b32 v4, v4, v58
	ds_store_b32 v60, v4 offset:64
.LBB185_44:                             ;   in Loop: Header=BB185_32 Depth=1
	s_wait_alu 0xfffe
	s_or_b32 exec_lo, exec_lo, s18
	v_cmp_ne_u64_e32 vcc_lo, s[22:23], v[78:79]
	; wave barrier
	s_wait_alu 0xfffd
	v_cndmask_b32_e32 v5, 0x80000000, v79, vcc_lo
	v_cndmask_b32_e32 v4, 0, v78, vcc_lo
	s_delay_alu instid0(VALU_DEP_1) | instskip(NEXT) | instid1(VALU_DEP_1)
	v_lshrrev_b64 v[4:5], v69, v[4:5]
	v_and_b32_e32 v4, s29, v4
	s_delay_alu instid0(VALU_DEP_1)
	v_and_b32_e32 v5, 1, v4
	v_lshlrev_b32_e32 v6, 30, v4
	v_lshlrev_b32_e32 v7, 29, v4
	;; [unrolled: 1-line block ×4, first 2 shown]
	v_add_co_u32 v5, s18, v5, -1
	s_wait_alu 0xf1ff
	v_cndmask_b32_e64 v9, 0, 1, s18
	v_not_b32_e32 v62, v6
	v_cmp_gt_i32_e64 s18, 0, v6
	v_not_b32_e32 v6, v7
	v_lshlrev_b32_e32 v11, 26, v4
	v_cmp_ne_u32_e32 vcc_lo, 0, v9
	v_ashrrev_i32_e32 v62, 31, v62
	v_lshlrev_b32_e32 v61, 25, v4
	v_ashrrev_i32_e32 v6, 31, v6
	v_lshlrev_b32_e32 v9, 24, v4
	s_wait_alu 0xfffd
	v_xor_b32_e32 v5, vcc_lo, v5
	v_cmp_gt_i32_e32 vcc_lo, 0, v7
	v_not_b32_e32 v7, v8
	s_wait_alu 0xf1ff
	v_xor_b32_e32 v62, s18, v62
	v_cmp_gt_i32_e64 s18, 0, v8
	v_and_b32_e32 v5, exec_lo, v5
	v_not_b32_e32 v8, v10
	v_ashrrev_i32_e32 v7, 31, v7
	s_wait_alu 0xfffd
	v_xor_b32_e32 v6, vcc_lo, v6
	v_cmp_gt_i32_e32 vcc_lo, 0, v10
	v_and_b32_e32 v5, v5, v62
	v_not_b32_e32 v10, v11
	v_ashrrev_i32_e32 v8, 31, v8
	s_wait_alu 0xf1ff
	v_xor_b32_e32 v7, s18, v7
	v_cmp_gt_i32_e64 s18, 0, v11
	v_and_b32_e32 v5, v5, v6
	v_not_b32_e32 v6, v61
	v_ashrrev_i32_e32 v10, 31, v10
	s_wait_alu 0xfffd
	v_xor_b32_e32 v8, vcc_lo, v8
	v_cmp_gt_i32_e32 vcc_lo, 0, v61
	v_and_b32_e32 v5, v5, v7
	v_not_b32_e32 v7, v9
	v_ashrrev_i32_e32 v6, 31, v6
	s_wait_alu 0xf1ff
	v_xor_b32_e32 v10, s18, v10
	v_lshlrev_b32_e32 v4, 6, v4
	v_and_b32_e32 v5, v5, v8
	v_cmp_gt_i32_e64 s18, 0, v9
	v_ashrrev_i32_e32 v7, 31, v7
	s_wait_alu 0xfffd
	v_xor_b32_e32 v6, vcc_lo, v6
	v_add_nc_u32_e32 v63, v133, v4
	v_and_b32_e32 v5, v5, v10
	s_wait_alu 0xf1ff
	v_xor_b32_e32 v4, s18, v7
	ds_load_b32 v61, v63 offset:64
	v_and_b32_e32 v5, v5, v6
	; wave barrier
	s_delay_alu instid0(VALU_DEP_1) | instskip(NEXT) | instid1(VALU_DEP_1)
	v_and_b32_e32 v4, v5, v4
	v_mbcnt_lo_u32_b32 v62, v4, 0
	v_cmp_ne_u32_e64 s18, 0, v4
	s_delay_alu instid0(VALU_DEP_2) | instskip(SKIP_1) | instid1(SALU_CYCLE_1)
	v_cmp_eq_u32_e32 vcc_lo, 0, v62
	s_and_b32 s33, s18, vcc_lo
	s_and_saveexec_b32 s18, s33
	s_cbranch_execz .LBB185_46
; %bb.45:                               ;   in Loop: Header=BB185_32 Depth=1
	s_wait_dscnt 0x0
	v_bcnt_u32_b32 v4, v4, v61
	ds_store_b32 v63, v4 offset:64
.LBB185_46:                             ;   in Loop: Header=BB185_32 Depth=1
	s_wait_alu 0xfffe
	s_or_b32 exec_lo, exec_lo, s18
	v_cmp_ne_u64_e32 vcc_lo, s[22:23], v[76:77]
	; wave barrier
	s_wait_alu 0xfffd
	v_cndmask_b32_e32 v5, 0x80000000, v77, vcc_lo
	v_cndmask_b32_e32 v4, 0, v76, vcc_lo
	s_delay_alu instid0(VALU_DEP_1) | instskip(NEXT) | instid1(VALU_DEP_1)
	v_lshrrev_b64 v[4:5], v69, v[4:5]
	v_and_b32_e32 v4, s29, v4
	s_delay_alu instid0(VALU_DEP_1)
	v_and_b32_e32 v5, 1, v4
	v_lshlrev_b32_e32 v6, 30, v4
	v_lshlrev_b32_e32 v7, 29, v4
	;; [unrolled: 1-line block ×4, first 2 shown]
	v_add_co_u32 v5, s18, v5, -1
	s_wait_alu 0xf1ff
	v_cndmask_b32_e64 v9, 0, 1, s18
	v_not_b32_e32 v65, v6
	v_cmp_gt_i32_e64 s18, 0, v6
	v_not_b32_e32 v6, v7
	v_lshlrev_b32_e32 v11, 26, v4
	v_cmp_ne_u32_e32 vcc_lo, 0, v9
	v_ashrrev_i32_e32 v65, 31, v65
	v_lshlrev_b32_e32 v64, 25, v4
	v_ashrrev_i32_e32 v6, 31, v6
	v_lshlrev_b32_e32 v9, 24, v4
	s_wait_alu 0xfffd
	v_xor_b32_e32 v5, vcc_lo, v5
	v_cmp_gt_i32_e32 vcc_lo, 0, v7
	v_not_b32_e32 v7, v8
	s_wait_alu 0xf1ff
	v_xor_b32_e32 v65, s18, v65
	v_cmp_gt_i32_e64 s18, 0, v8
	v_and_b32_e32 v5, exec_lo, v5
	v_not_b32_e32 v8, v10
	v_ashrrev_i32_e32 v7, 31, v7
	s_wait_alu 0xfffd
	v_xor_b32_e32 v6, vcc_lo, v6
	v_cmp_gt_i32_e32 vcc_lo, 0, v10
	v_and_b32_e32 v5, v5, v65
	v_not_b32_e32 v10, v11
	v_ashrrev_i32_e32 v8, 31, v8
	s_wait_alu 0xf1ff
	v_xor_b32_e32 v7, s18, v7
	v_cmp_gt_i32_e64 s18, 0, v11
	v_and_b32_e32 v5, v5, v6
	v_not_b32_e32 v6, v64
	v_ashrrev_i32_e32 v10, 31, v10
	s_wait_alu 0xfffd
	v_xor_b32_e32 v8, vcc_lo, v8
	v_cmp_gt_i32_e32 vcc_lo, 0, v64
	v_and_b32_e32 v5, v5, v7
	v_not_b32_e32 v7, v9
	v_ashrrev_i32_e32 v6, 31, v6
	s_wait_alu 0xf1ff
	v_xor_b32_e32 v10, s18, v10
	v_lshlrev_b32_e32 v4, 6, v4
	v_and_b32_e32 v5, v5, v8
	v_cmp_gt_i32_e64 s18, 0, v9
	v_ashrrev_i32_e32 v7, 31, v7
	s_wait_alu 0xfffd
	v_xor_b32_e32 v6, vcc_lo, v6
	v_add_nc_u32_e32 v66, v133, v4
	v_and_b32_e32 v5, v5, v10
	s_wait_alu 0xf1ff
	v_xor_b32_e32 v4, s18, v7
	ds_load_b32 v64, v66 offset:64
	v_and_b32_e32 v5, v5, v6
	; wave barrier
	s_delay_alu instid0(VALU_DEP_1) | instskip(NEXT) | instid1(VALU_DEP_1)
	v_and_b32_e32 v4, v5, v4
	v_mbcnt_lo_u32_b32 v65, v4, 0
	v_cmp_ne_u32_e64 s18, 0, v4
	s_delay_alu instid0(VALU_DEP_2)
	v_cmp_eq_u32_e32 vcc_lo, 0, v65
	s_and_b32 s29, s18, vcc_lo
	s_wait_alu 0xfffe
	s_and_saveexec_b32 s18, s29
	s_cbranch_execz .LBB185_48
; %bb.47:                               ;   in Loop: Header=BB185_32 Depth=1
	s_wait_dscnt 0x0
	v_bcnt_u32_b32 v4, v4, v64
	ds_store_b32 v66, v4 offset:64
.LBB185_48:                             ;   in Loop: Header=BB185_32 Depth=1
	s_wait_alu 0xfffe
	s_or_b32 exec_lo, exec_lo, s18
	; wave barrier
	s_wait_loadcnt_dscnt 0x0
	s_barrier_signal -1
	s_barrier_wait -1
	global_inv scope:SCOPE_SE
	ds_load_b128 v[8:11], v115 offset:64
	ds_load_b128 v[4:7], v115 offset:80
	s_wait_dscnt 0x1
	v_add_nc_u32_e32 v67, v9, v8
	s_delay_alu instid0(VALU_DEP_1) | instskip(SKIP_1) | instid1(VALU_DEP_1)
	v_add3_u32 v67, v67, v10, v11
	s_wait_dscnt 0x0
	v_add3_u32 v67, v67, v4, v5
	s_delay_alu instid0(VALU_DEP_1) | instskip(NEXT) | instid1(VALU_DEP_1)
	v_add3_u32 v7, v67, v6, v7
	v_mov_b32_dpp v67, v7 row_shr:1 row_mask:0xf bank_mask:0xf
	s_delay_alu instid0(VALU_DEP_1) | instskip(NEXT) | instid1(VALU_DEP_1)
	v_cndmask_b32_e64 v67, v67, 0, s11
	v_add_nc_u32_e32 v7, v67, v7
	s_delay_alu instid0(VALU_DEP_1) | instskip(NEXT) | instid1(VALU_DEP_1)
	v_mov_b32_dpp v67, v7 row_shr:2 row_mask:0xf bank_mask:0xf
	v_cndmask_b32_e64 v67, 0, v67, s13
	s_delay_alu instid0(VALU_DEP_1) | instskip(NEXT) | instid1(VALU_DEP_1)
	v_add_nc_u32_e32 v7, v7, v67
	v_mov_b32_dpp v67, v7 row_shr:4 row_mask:0xf bank_mask:0xf
	s_delay_alu instid0(VALU_DEP_1) | instskip(NEXT) | instid1(VALU_DEP_1)
	v_cndmask_b32_e64 v67, 0, v67, s14
	v_add_nc_u32_e32 v7, v7, v67
	s_delay_alu instid0(VALU_DEP_1) | instskip(NEXT) | instid1(VALU_DEP_1)
	v_mov_b32_dpp v67, v7 row_shr:8 row_mask:0xf bank_mask:0xf
	v_cndmask_b32_e64 v67, 0, v67, s15
	s_delay_alu instid0(VALU_DEP_1) | instskip(SKIP_3) | instid1(VALU_DEP_1)
	v_add_nc_u32_e32 v7, v7, v67
	ds_swizzle_b32 v67, v7 offset:swizzle(BROADCAST,32,15)
	s_wait_dscnt 0x0
	v_cndmask_b32_e64 v67, v67, 0, s16
	v_add_nc_u32_e32 v7, v7, v67
	s_and_saveexec_b32 s18, s17
; %bb.49:                               ;   in Loop: Header=BB185_32 Depth=1
	ds_store_b32 v116, v7
; %bb.50:                               ;   in Loop: Header=BB185_32 Depth=1
	s_wait_alu 0xfffe
	s_or_b32 exec_lo, exec_lo, s18
	s_wait_loadcnt_dscnt 0x0
	s_barrier_signal -1
	s_barrier_wait -1
	global_inv scope:SCOPE_SE
	s_and_saveexec_b32 s18, s8
	s_cbranch_execz .LBB185_52
; %bb.51:                               ;   in Loop: Header=BB185_32 Depth=1
	ds_load_b32 v67, v134
	s_wait_dscnt 0x0
	v_mov_b32_dpp v135, v67 row_shr:1 row_mask:0xf bank_mask:0xf
	s_delay_alu instid0(VALU_DEP_1) | instskip(NEXT) | instid1(VALU_DEP_1)
	v_cndmask_b32_e64 v135, v135, 0, s11
	v_add_nc_u32_e32 v67, v135, v67
	s_delay_alu instid0(VALU_DEP_1) | instskip(NEXT) | instid1(VALU_DEP_1)
	v_mov_b32_dpp v135, v67 row_shr:2 row_mask:0xf bank_mask:0xf
	v_cndmask_b32_e64 v135, 0, v135, s13
	s_delay_alu instid0(VALU_DEP_1) | instskip(NEXT) | instid1(VALU_DEP_1)
	v_add_nc_u32_e32 v67, v67, v135
	v_mov_b32_dpp v135, v67 row_shr:4 row_mask:0xf bank_mask:0xf
	s_delay_alu instid0(VALU_DEP_1) | instskip(NEXT) | instid1(VALU_DEP_1)
	v_cndmask_b32_e64 v135, 0, v135, s14
	v_add_nc_u32_e32 v67, v67, v135
	s_delay_alu instid0(VALU_DEP_1) | instskip(NEXT) | instid1(VALU_DEP_1)
	v_mov_b32_dpp v135, v67 row_shr:8 row_mask:0xf bank_mask:0xf
	v_cndmask_b32_e64 v135, 0, v135, s15
	s_delay_alu instid0(VALU_DEP_1)
	v_add_nc_u32_e32 v67, v67, v135
	ds_store_b32 v134, v67
.LBB185_52:                             ;   in Loop: Header=BB185_32 Depth=1
	s_wait_alu 0xfffe
	s_or_b32 exec_lo, exec_lo, s18
	v_mov_b32_e32 v67, 0
	s_wait_loadcnt_dscnt 0x0
	s_barrier_signal -1
	s_barrier_wait -1
	global_inv scope:SCOPE_SE
	s_and_saveexec_b32 s18, s9
; %bb.53:                               ;   in Loop: Header=BB185_32 Depth=1
	ds_load_b32 v67, v132
; %bb.54:                               ;   in Loop: Header=BB185_32 Depth=1
	s_wait_alu 0xfffe
	s_or_b32 exec_lo, exec_lo, s18
	s_wait_dscnt 0x0
	v_add_nc_u32_e32 v7, v67, v7
	v_cmp_lt_u32_e32 vcc_lo, 55, v69
	s_mov_b32 s18, -1
	ds_bpermute_b32 v7, v131, v7
	s_and_b32 vcc_lo, exec_lo, vcc_lo
	s_wait_dscnt 0x0
	v_cndmask_b32_e64 v7, v7, v67, s12
	s_delay_alu instid0(VALU_DEP_1) | instskip(NEXT) | instid1(VALU_DEP_1)
	v_cndmask_b32_e64 v7, v7, 0, s10
	v_add_nc_u32_e32 v8, v7, v8
	s_delay_alu instid0(VALU_DEP_1) | instskip(NEXT) | instid1(VALU_DEP_1)
	v_add_nc_u32_e32 v9, v8, v9
	v_add_nc_u32_e32 v10, v9, v10
	s_delay_alu instid0(VALU_DEP_1) | instskip(NEXT) | instid1(VALU_DEP_1)
	v_add_nc_u32_e32 v135, v10, v11
	;; [unrolled: 3-line block ×3, first 2 shown]
	v_add_nc_u32_e32 v138, v137, v6
	ds_store_b128 v115, v[7:10] offset:64
	ds_store_b128 v115, v[135:138] offset:80
	s_wait_loadcnt_dscnt 0x0
	s_barrier_signal -1
	s_barrier_wait -1
	global_inv scope:SCOPE_SE
	ds_load_b32 v4, v13 offset:64
	ds_load_b32 v5, v48 offset:64
	;; [unrolled: 1-line block ×8, first 2 shown]
	s_wait_dscnt 0x7
	v_add_nc_u32_e32 v142, v4, v12
	s_wait_dscnt 0x6
	v_add3_u32 v141, v15, v14, v5
	s_wait_dscnt 0x5
	v_add3_u32 v140, v50, v49, v6
	;; [unrolled: 2-line block ×7, first 2 shown]
                                        ; implicit-def: $vgpr66_vgpr67
                                        ; implicit-def: $vgpr14_vgpr15
                                        ; implicit-def: $vgpr10_vgpr11
                                        ; implicit-def: $vgpr6_vgpr7
                                        ; implicit-def: $vgpr62_vgpr63
                                        ; implicit-def: $vgpr58_vgpr59
                                        ; implicit-def: $vgpr54_vgpr55
                                        ; implicit-def: $vgpr50_vgpr51
	s_wait_alu 0xfffe
	s_cbranch_vccnz .LBB185_31
; %bb.55:                               ;   in Loop: Header=BB185_32 Depth=1
	v_lshlrev_b32_e32 v48, 3, v142
	v_lshlrev_b32_e32 v51, 3, v139
	;; [unrolled: 1-line block ×8, first 2 shown]
	s_wait_loadcnt 0x0
	s_barrier_signal -1
	s_barrier_wait -1
	global_inv scope:SCOPE_SE
	ds_store_b64 v48, v[74:75]
	ds_store_b64 v49, v[104:105]
	;; [unrolled: 1-line block ×8, first 2 shown]
	s_wait_loadcnt_dscnt 0x0
	s_barrier_signal -1
	s_barrier_wait -1
	global_inv scope:SCOPE_SE
	ds_load_2addr_b64 v[4:7], v130 offset1:32
	ds_load_2addr_b64 v[8:11], v130 offset0:64 offset1:96
	ds_load_2addr_b64 v[12:15], v130 offset0:128 offset1:160
	;; [unrolled: 1-line block ×3, first 2 shown]
	s_wait_loadcnt_dscnt 0x0
	s_barrier_signal -1
	s_barrier_wait -1
	global_inv scope:SCOPE_SE
	ds_store_b64 v48, v[96:97]
	ds_store_b64 v49, v[94:95]
	;; [unrolled: 1-line block ×8, first 2 shown]
	s_wait_loadcnt_dscnt 0x0
	s_barrier_signal -1
	s_barrier_wait -1
	global_inv scope:SCOPE_SE
	ds_load_2addr_b64 v[48:51], v130 offset1:32
	ds_load_2addr_b64 v[52:55], v130 offset0:64 offset1:96
	ds_load_2addr_b64 v[56:59], v130 offset0:128 offset1:160
	;; [unrolled: 1-line block ×3, first 2 shown]
	v_add_co_u32 v69, vcc_lo, v69, 8
	s_wait_alu 0xfffd
	v_add_co_ci_u32_e64 v70, null, 0, v70, vcc_lo
	s_add_co_i32 s27, s27, -8
	s_mov_b32 s18, 0
	s_wait_loadcnt_dscnt 0x0
	s_barrier_signal -1
	s_barrier_wait -1
	global_inv scope:SCOPE_SE
	s_branch .LBB185_31
.LBB185_56:
	v_lshlrev_b64_e32 v[1:2], 3, v[68:69]
	v_mov_b32_e32 v70, v69
	v_dual_mov_b32 v4, v69 :: v_dual_mov_b32 v5, v69
	v_dual_mov_b32 v6, v69 :: v_dual_mov_b32 v7, v69
	s_wait_alu 0xfffe
	s_delay_alu instid0(VALU_DEP_4)
	v_add_co_u32 v1, vcc_lo, s24, v1
	s_wait_alu 0xfffd
	v_add_co_ci_u32_e64 v2, null, s25, v2, vcc_lo
	v_dual_mov_b32 v8, v69 :: v_dual_mov_b32 v9, v69
	v_dual_mov_b32 v10, v69 :: v_dual_mov_b32 v13, v69
	global_load_b64 v[11:12], v[1:2], off
	v_dual_mov_b32 v1, v69 :: v_dual_mov_b32 v2, v69
	v_dual_mov_b32 v3, v69 :: v_dual_mov_b32 v14, v69
	s_or_b32 exec_lo, exec_lo, s8
	s_and_saveexec_b32 s8, s1
	s_cbranch_execz .LBB185_22
.LBB185_57:
	v_mul_lo_u32 v39, s28, v32
	v_mov_b32_e32 v40, 0
	s_delay_alu instid0(VALU_DEP_1) | instskip(NEXT) | instid1(VALU_DEP_1)
	v_lshlrev_b64_e32 v[39:40], 3, v[39:40]
	v_add_co_u32 v39, vcc_lo, s24, v39
	s_wait_alu 0xfffd
	s_delay_alu instid0(VALU_DEP_2)
	v_add_co_ci_u32_e64 v40, null, s25, v40, vcc_lo
	global_load_b64 v[69:70], v[39:40], off
	s_wait_alu 0xfffe
	s_or_b32 exec_lo, exec_lo, s8
	s_and_saveexec_b32 s8, s2
	s_cbranch_execz .LBB185_23
.LBB185_58:
	v_mul_lo_u32 v1, s28, v33
	v_mov_b32_e32 v2, 0
	s_delay_alu instid0(VALU_DEP_1) | instskip(NEXT) | instid1(VALU_DEP_1)
	v_lshlrev_b64_e32 v[1:2], 3, v[1:2]
	v_add_co_u32 v1, vcc_lo, s24, v1
	s_wait_alu 0xfffd
	s_delay_alu instid0(VALU_DEP_2)
	v_add_co_ci_u32_e64 v2, null, s25, v2, vcc_lo
	global_load_b64 v[1:2], v[1:2], off
	s_wait_alu 0xfffe
	s_or_b32 exec_lo, exec_lo, s8
	s_and_saveexec_b32 s8, s3
	s_cbranch_execz .LBB185_24
.LBB185_59:
	v_mul_lo_u32 v3, s28, v34
	v_mov_b32_e32 v4, 0
	s_delay_alu instid0(VALU_DEP_1) | instskip(NEXT) | instid1(VALU_DEP_1)
	v_lshlrev_b64_e32 v[3:4], 3, v[3:4]
	v_add_co_u32 v3, vcc_lo, s24, v3
	s_wait_alu 0xfffd
	s_delay_alu instid0(VALU_DEP_2)
	v_add_co_ci_u32_e64 v4, null, s25, v4, vcc_lo
	global_load_b64 v[3:4], v[3:4], off
	s_wait_alu 0xfffe
	s_or_b32 exec_lo, exec_lo, s8
	s_and_saveexec_b32 s8, s4
	s_cbranch_execz .LBB185_25
.LBB185_60:
	v_mul_lo_u32 v5, s28, v35
	v_mov_b32_e32 v6, 0
	s_delay_alu instid0(VALU_DEP_1) | instskip(NEXT) | instid1(VALU_DEP_1)
	v_lshlrev_b64_e32 v[5:6], 3, v[5:6]
	v_add_co_u32 v5, vcc_lo, s24, v5
	s_wait_alu 0xfffd
	s_delay_alu instid0(VALU_DEP_2)
	v_add_co_ci_u32_e64 v6, null, s25, v6, vcc_lo
	global_load_b64 v[5:6], v[5:6], off
	s_wait_alu 0xfffe
	s_or_b32 exec_lo, exec_lo, s8
	s_and_saveexec_b32 s8, s5
	s_cbranch_execz .LBB185_26
.LBB185_61:
	v_mul_lo_u32 v7, s28, v36
	v_mov_b32_e32 v8, 0
	s_delay_alu instid0(VALU_DEP_1) | instskip(NEXT) | instid1(VALU_DEP_1)
	v_lshlrev_b64_e32 v[7:8], 3, v[7:8]
	v_add_co_u32 v7, vcc_lo, s24, v7
	s_wait_alu 0xfffd
	s_delay_alu instid0(VALU_DEP_2)
	v_add_co_ci_u32_e64 v8, null, s25, v8, vcc_lo
	global_load_b64 v[7:8], v[7:8], off
	s_wait_alu 0xfffe
	s_or_b32 exec_lo, exec_lo, s8
	s_and_saveexec_b32 s8, s6
	s_cbranch_execz .LBB185_27
.LBB185_62:
	v_mul_lo_u32 v9, s28, v37
	v_mov_b32_e32 v10, 0
	s_delay_alu instid0(VALU_DEP_1) | instskip(NEXT) | instid1(VALU_DEP_1)
	v_lshlrev_b64_e32 v[9:10], 3, v[9:10]
	v_add_co_u32 v9, vcc_lo, s24, v9
	s_wait_alu 0xfffd
	s_delay_alu instid0(VALU_DEP_2)
	v_add_co_ci_u32_e64 v10, null, s25, v10, vcc_lo
	global_load_b64 v[9:10], v[9:10], off
	s_wait_alu 0xfffe
	s_or_b32 exec_lo, exec_lo, s8
	s_xor_b32 s8, s22, -1
	s_and_saveexec_b32 s9, s7
	s_cbranch_execnz .LBB185_28
	s_branch .LBB185_29
.LBB185_63:
                                        ; implicit-def: $vgpr58_vgpr59
                                        ; implicit-def: $vgpr62_vgpr63
                                        ; implicit-def: $vgpr50_vgpr51
                                        ; implicit-def: $vgpr54_vgpr55
                                        ; implicit-def: $vgpr0_vgpr1_vgpr2_vgpr3_vgpr4_vgpr5_vgpr6_vgpr7_vgpr8_vgpr9_vgpr10_vgpr11_vgpr12_vgpr13_vgpr14_vgpr15
	s_cbranch_execnz .LBB185_65
	s_branch .LBB185_92
.LBB185_64:
	v_lshlrev_b32_e32 v48, 3, v142
	v_lshlrev_b32_e32 v51, 3, v139
	v_lshlrev_b32_e32 v56, 3, v72
	v_lshlrev_b32_e32 v49, 3, v141
	v_lshlrev_b32_e32 v52, 3, v138
	v_lshlrev_b32_e32 v50, 3, v140
	v_lshlrev_b32_e32 v53, 3, v137
	v_lshlrev_b32_e32 v54, 3, v136
	v_lshlrev_b32_e32 v55, 3, v135
	s_wait_loadcnt 0x0
	s_barrier_signal -1
	s_barrier_wait -1
	global_inv scope:SCOPE_SE
	ds_store_b64 v48, v[74:75]
	ds_store_b64 v49, v[104:105]
	ds_store_b64 v50, v[102:103]
	ds_store_b64 v51, v[100:101]
	ds_store_b64 v52, v[98:99]
	ds_store_b64 v53, v[80:81]
	ds_store_b64 v54, v[78:79]
	ds_store_b64 v55, v[76:77]
	s_wait_loadcnt_dscnt 0x0
	s_barrier_signal -1
	s_barrier_wait -1
	global_inv scope:SCOPE_SE
	ds_load_b128 v[0:3], v56
	ds_load_b128 v[4:7], v56 offset:16
	ds_load_b128 v[8:11], v56 offset:32
	;; [unrolled: 1-line block ×3, first 2 shown]
	s_wait_loadcnt_dscnt 0x0
	s_barrier_signal -1
	s_barrier_wait -1
	global_inv scope:SCOPE_SE
	ds_store_b64 v48, v[96:97]
	ds_store_b64 v49, v[94:95]
	;; [unrolled: 1-line block ×8, first 2 shown]
	s_wait_loadcnt_dscnt 0x0
	s_barrier_signal -1
	s_barrier_wait -1
	global_inv scope:SCOPE_SE
	ds_load_b128 v[52:55], v56
	ds_load_b128 v[48:51], v56 offset:16
	v_cmp_lt_i64_e32 vcc_lo, -1, v[0:1]
	v_ashrrev_i32_e32 v66, 31, v3
	v_ashrrev_i32_e32 v57, 31, v1
	s_wait_alu 0xfffd
	v_cndmask_b32_e64 v64, 0x80000000, -1, vcc_lo
	v_cmp_lt_i64_e32 vcc_lo, -1, v[2:3]
	v_not_b32_e32 v66, v66
	v_not_b32_e32 v65, v57
	ds_load_b128 v[60:63], v56 offset:32
	ds_load_b128 v[56:59], v56 offset:48
	v_xor_b32_e32 v1, v64, v1
	v_ashrrev_i32_e32 v64, 31, v5
	s_wait_alu 0xfffd
	v_cndmask_b32_e64 v67, 0x80000000, -1, vcc_lo
	v_cmp_lt_i64_e32 vcc_lo, -1, v[4:5]
	v_xor_b32_e32 v2, v66, v2
	v_xor_b32_e32 v0, v65, v0
	v_ashrrev_i32_e32 v65, 31, v7
	v_xor_b32_e32 v3, v67, v3
	v_not_b32_e32 v64, v64
	s_wait_alu 0xfffd
	v_cndmask_b32_e64 v66, 0x80000000, -1, vcc_lo
	v_cmp_lt_i64_e32 vcc_lo, -1, v[6:7]
	v_not_b32_e32 v65, v65
	v_xor_b32_e32 v4, v64, v4
	v_ashrrev_i32_e32 v64, 31, v9
	v_xor_b32_e32 v5, v66, v5
	s_wait_alu 0xfffd
	v_cndmask_b32_e64 v67, 0x80000000, -1, vcc_lo
	v_cmp_lt_i64_e32 vcc_lo, -1, v[8:9]
	v_xor_b32_e32 v6, v65, v6
	v_not_b32_e32 v64, v64
	v_ashrrev_i32_e32 v66, 31, v11
	v_xor_b32_e32 v7, v67, v7
	s_wait_alu 0xfffd
	v_cndmask_b32_e64 v65, 0x80000000, -1, vcc_lo
	v_cmp_lt_i64_e32 vcc_lo, -1, v[10:11]
	v_xor_b32_e32 v8, v64, v8
	v_not_b32_e32 v64, v66
	v_ashrrev_i32_e32 v66, 31, v15
	v_xor_b32_e32 v9, v65, v9
	v_ashrrev_i32_e32 v65, 31, v13
	s_wait_alu 0xfffd
	v_cndmask_b32_e64 v67, 0x80000000, -1, vcc_lo
	v_cmp_lt_i64_e32 vcc_lo, -1, v[12:13]
	v_not_b32_e32 v66, v66
	v_xor_b32_e32 v10, v64, v10
	v_not_b32_e32 v65, v65
	v_xor_b32_e32 v11, v67, v11
	s_wait_alu 0xfffd
	v_cndmask_b32_e64 v67, 0x80000000, -1, vcc_lo
	v_cmp_lt_i64_e32 vcc_lo, -1, v[14:15]
	v_xor_b32_e32 v12, v65, v12
	v_xor_b32_e32 v14, v66, v14
	s_delay_alu instid0(VALU_DEP_4) | instskip(SKIP_2) | instid1(VALU_DEP_1)
	v_xor_b32_e32 v13, v67, v13
	s_wait_alu 0xfffd
	v_cndmask_b32_e64 v69, 0x80000000, -1, vcc_lo
	v_xor_b32_e32 v15, v69, v15
	s_branch .LBB185_92
.LBB185_65:
	v_cmp_gt_i64_e32 vcc_lo, 0, v[28:29]
	v_not_b32_e32 v12, v124
	v_not_b32_e32 v8, v126
	;; [unrolled: 1-line block ×4, first 2 shown]
	v_or_b32_e32 v14, v118, v119
	s_wait_alu 0xfffd
	v_cndmask_b32_e64 v0, 0x7fffffff, 0, vcc_lo
	v_cmp_gt_i64_e32 vcc_lo, 0, v[30:31]
	s_getpc_b64 s[8:9]
	s_wait_alu 0xfffe
	s_sext_i32_i16 s9, s9
	s_add_co_u32 s8, s8, _ZN7rocprim17ROCPRIM_400000_NS16block_radix_sortIdLj512ELj8ElLj1ELj1ELj0ELNS0_26block_radix_rank_algorithmE1ELNS0_18block_padding_hintE2ELNS0_4arch9wavefront6targetE0EE19radix_bits_per_passE@rel32@lo+12
	s_wait_alu 0xfffe
	s_add_co_ci_u32 s9, s9, _ZN7rocprim17ROCPRIM_400000_NS16block_radix_sortIdLj512ELj8ElLj1ELj1ELj0ELNS0_26block_radix_rank_algorithmE1ELNS0_18block_padding_hintE2ELNS0_4arch9wavefront6targetE0EE19radix_bits_per_passE@rel32@hi+24
	v_cmp_gt_u32_e64 s15, 16, v73
	s_load_b32 s19, s[8:9], 0x0
	v_xor_b32_e32 v1, v0, v29
	v_xor_b32_e32 v0, v2, v28
	v_cndmask_b32_e64 v3, 0x7fffffff, 0, vcc_lo
	v_cmp_gt_i64_e32 vcc_lo, 0, v[24:25]
	v_xor_b32_e32 v2, v4, v30
	v_not_b32_e32 v4, v127
	v_cmp_lt_u32_e64 s16, 31, v73
	v_xor_b32_e32 v3, v3, v31
	v_cmp_eq_u32_e64 s17, 0, v73
	s_wait_alu 0xfffd
	v_cndmask_b32_e64 v5, 0x7fffffff, 0, vcc_lo
	v_cmp_gt_i64_e32 vcc_lo, 0, v[26:27]
	v_xor_b32_e32 v4, v4, v24
	v_add_nc_u32_e32 v77, v115, v117
	s_delay_alu instid0(VALU_DEP_4) | instskip(SKIP_3) | instid1(VALU_DEP_2)
	v_xor_b32_e32 v5, v5, v25
	s_wait_alu 0xfffd
	v_cndmask_b32_e64 v6, 0x7fffffff, 0, vcc_lo
	v_cmp_gt_i64_e32 vcc_lo, 0, v[20:21]
	v_xor_b32_e32 v7, v6, v27
	v_xor_b32_e32 v6, v8, v26
	s_wait_alu 0xfffd
	v_cndmask_b32_e64 v9, 0x7fffffff, 0, vcc_lo
	v_cmp_gt_i64_e32 vcc_lo, 0, v[22:23]
	v_not_b32_e32 v8, v125
	s_delay_alu instid0(VALU_DEP_3)
	v_xor_b32_e32 v9, v9, v21
	s_wait_alu 0xfffd
	v_cndmask_b32_e64 v10, 0x7fffffff, 0, vcc_lo
	v_cmp_gt_i64_e32 vcc_lo, 0, v[16:17]
	v_xor_b32_e32 v8, v8, v20
	v_lshlrev_b32_e32 v20, 6, v14
	ds_store_b128 v20, v[0:3]
	ds_store_b128 v20, v[4:7] offset:16
	s_wait_alu 0xfffd
	v_cndmask_b32_e64 v13, 0x7fffffff, 0, vcc_lo
	v_xor_b32_e32 v11, v10, v23
	v_xor_b32_e32 v10, v12, v22
	v_not_b32_e32 v12, v123
	v_cmp_gt_i64_e32 vcc_lo, 0, v[18:19]
	v_xor_b32_e32 v13, v13, v17
	v_not_b32_e32 v17, v122
	v_and_b32_e32 v3, 16, v118
	v_xor_b32_e32 v12, v12, v16
	v_and_or_b32 v16, 0x1f00, v72, v118
	s_wait_alu 0xfffd
	v_cndmask_b32_e64 v15, 0x7fffffff, 0, vcc_lo
	v_xor_b32_e32 v14, v17, v18
	s_delay_alu instid0(VALU_DEP_3) | instskip(NEXT) | instid1(VALU_DEP_3)
	v_lshlrev_b32_e32 v74, 3, v16
	v_xor_b32_e32 v15, v15, v19
	ds_store_b128 v20, v[8:11] offset:32
	ds_store_b128 v20, v[12:15] offset:48
	; wave barrier
	ds_load_2addr_b64 v[4:7], v74 offset1:32
	ds_load_2addr_b64 v[8:11], v74 offset0:64 offset1:96
	ds_load_2addr_b64 v[12:15], v74 offset0:128 offset1:160
	s_wait_dscnt 0x9
	ds_load_2addr_b64 v[48:51], v74 offset0:192 offset1:224
	; wave barrier
	ds_store_b128 v20, v[44:47]
	ds_store_b128 v20, v[40:43] offset:16
	ds_store_b128 v20, v[36:39] offset:32
	;; [unrolled: 1-line block ×3, first 2 shown]
	; wave barrier
	ds_load_2addr_b64 v[16:19], v74 offset1:32
	ds_load_2addr_b64 v[20:23], v74 offset0:64 offset1:96
	ds_load_2addr_b64 v[24:27], v74 offset0:128 offset1:160
	;; [unrolled: 1-line block ×3, first 2 shown]
	s_wait_loadcnt_dscnt 0x0
	s_barrier_signal -1
	s_barrier_wait -1
	global_inv scope:SCOPE_SE
	s_load_b32 s10, s[20:21], 0xc
	s_mov_b32 s20, 0
	s_delay_alu instid0(SALU_CYCLE_1) | instskip(SKIP_3) | instid1(VALU_DEP_1)
	s_mov_b32 s21, s20
	s_mov_b32 s22, s20
	;; [unrolled: 1-line block ×3, first 2 shown]
	v_and_b32_e32 v2, 15, v118
	v_cmp_lt_u32_e64 s9, 1, v2
	v_cmp_lt_u32_e64 s12, 7, v2
	s_wait_kmcnt 0x0
	s_lshr_b32 s11, s10, 16
	s_and_b32 s8, s10, 0xffff
	s_wait_alu 0xfffe
	v_mad_u32_u24 v0, v121, s11, v120
	v_sub_co_u32 v32, s10, v118, 1
	v_cmp_lt_u32_e64 s11, 3, v2
	s_delay_alu instid0(VALU_DEP_3) | instskip(SKIP_1) | instid1(VALU_DEP_4)
	v_mad_co_u64_u32 v[0:1], null, v0, s8, v[73:74]
	v_min_u32_e32 v1, 0x1e0, v119
	v_cmp_gt_i32_e32 vcc_lo, 0, v32
	v_cmp_eq_u32_e64 s8, 0, v2
	s_delay_alu instid0(VALU_DEP_3)
	v_or_b32_e32 v1, 31, v1
	s_wait_alu 0xfffd
	v_cndmask_b32_e32 v2, v32, v118, vcc_lo
	v_lshrrev_b32_e32 v0, 3, v0
	v_mov_b32_e32 v32, 0
	v_cmp_eq_u32_e64 s13, 0, v3
	v_cmp_eq_u32_e64 s14, v73, v1
	v_add_nc_u32_e32 v73, -4, v116
	v_lshlrev_b32_e32 v75, 2, v2
	v_and_b32_e32 v76, 0x1ffffffc, v0
	v_dual_mov_b32 v0, s20 :: v_dual_mov_b32 v33, 0
	v_dual_mov_b32 v1, s21 :: v_dual_mov_b32 v2, s22
	v_mov_b32_e32 v3, s23
	s_mov_b32 s22, 64
	s_brev_b32 s21, 1
	s_branch .LBB185_67
.LBB185_66:                             ;   in Loop: Header=BB185_67 Depth=1
	s_wait_alu 0xfffe
	s_and_not1_b32 vcc_lo, exec_lo, s18
	s_wait_alu 0xfffe
	s_cbranch_vccz .LBB185_91
.LBB185_67:                             ; =>This Inner Loop Header: Depth=1
	v_dual_mov_b32 v35, v5 :: v_dual_mov_b32 v34, v4
	s_wait_alu 0xfffe
	s_min_u32 s18, s19, s22
	v_dual_mov_b32 v70, v7 :: v_dual_mov_b32 v59, v19
	s_wait_alu 0xfffe
	s_lshl_b32 s18, -1, s18
	v_cmp_ne_u64_e32 vcc_lo, s[20:21], v[34:35]
	s_wait_alu 0xfffe
	s_not_b32 s23, s18
	v_mov_b32_e32 v58, v18
	ds_store_b128 v115, v[0:3] offset:64
	ds_store_b128 v115, v[0:3] offset:80
	s_wait_loadcnt_dscnt 0x0
	s_wait_alu 0xfffd
	v_dual_mov_b32 v36, v50 :: v_dual_cndmask_b32 v5, 0x7fffffff, v35
	v_dual_cndmask_b32 v4, -1, v34 :: v_dual_mov_b32 v37, v51
	s_barrier_signal -1
	s_barrier_wait -1
	global_inv scope:SCOPE_SE
	v_lshrrev_b64 v[4:5], v32, v[4:5]
	; wave barrier
	v_dual_mov_b32 v38, v48 :: v_dual_mov_b32 v39, v49
	v_mov_b32_e32 v63, v13
	s_wait_alu 0xfffe
	s_delay_alu instid0(VALU_DEP_3) | instskip(SKIP_2) | instid1(VALU_DEP_3)
	v_and_b32_e32 v5, s23, v4
	v_dual_mov_b32 v41, v15 :: v_dual_mov_b32 v40, v14
	v_dual_mov_b32 v65, v11 :: v_dual_mov_b32 v62, v12
	v_lshlrev_b32_e32 v15, 29, v5
	v_and_b32_e32 v4, 1, v5
	v_lshlrev_b32_e32 v14, 30, v5
	v_lshlrev_b32_e32 v42, 28, v5
	v_dual_mov_b32 v67, v9 :: v_dual_lshlrev_b32 v44, 27, v5
	s_delay_alu instid0(VALU_DEP_4)
	v_add_co_u32 v4, s18, v4, -1
	s_wait_alu 0xf1ff
	v_cndmask_b32_e64 v43, 0, 1, s18
	v_not_b32_e32 v47, v14
	v_cmp_gt_i32_e64 s18, 0, v14
	v_not_b32_e32 v14, v15
	v_dual_mov_b32 v64, v10 :: v_dual_lshlrev_b32 v45, 26, v5
	v_cmp_ne_u32_e32 vcc_lo, 0, v43
	v_ashrrev_i32_e32 v47, 31, v47
	s_delay_alu instid0(VALU_DEP_4)
	v_ashrrev_i32_e32 v14, 31, v14
	v_dual_mov_b32 v69, v6 :: v_dual_lshlrev_b32 v46, 25, v5
	s_wait_alu 0xfffd
	v_xor_b32_e32 v4, vcc_lo, v4
	v_cmp_gt_i32_e32 vcc_lo, 0, v15
	v_not_b32_e32 v15, v42
	s_wait_alu 0xf1ff
	v_xor_b32_e32 v47, s18, v47
	v_cmp_gt_i32_e64 s18, 0, v42
	v_and_b32_e32 v4, exec_lo, v4
	v_not_b32_e32 v42, v44
	v_ashrrev_i32_e32 v15, 31, v15
	s_wait_alu 0xfffd
	v_xor_b32_e32 v14, vcc_lo, v14
	v_cmp_gt_i32_e32 vcc_lo, 0, v44
	v_and_b32_e32 v4, v4, v47
	v_not_b32_e32 v44, v45
	v_ashrrev_i32_e32 v42, 31, v42
	s_wait_alu 0xf1ff
	v_xor_b32_e32 v15, s18, v15
	v_dual_mov_b32 v66, v8 :: v_dual_lshlrev_b32 v43, 24, v5
	v_and_b32_e32 v4, v4, v14
	v_cmp_gt_i32_e64 s18, 0, v45
	v_not_b32_e32 v14, v46
	v_ashrrev_i32_e32 v44, 31, v44
	s_wait_alu 0xfffd
	v_xor_b32_e32 v42, vcc_lo, v42
	v_cmp_gt_i32_e32 vcc_lo, 0, v46
	v_dual_mov_b32 v47, v27 :: v_dual_and_b32 v4, v4, v15
	v_mov_b32_e32 v53, v25
	v_not_b32_e32 v15, v43
	v_ashrrev_i32_e32 v14, 31, v14
	s_wait_alu 0xf1ff
	v_xor_b32_e32 v44, s18, v44
	v_dual_mov_b32 v55, v23 :: v_dual_and_b32 v4, v4, v42
	v_cmp_gt_i32_e64 s18, 0, v43
	v_ashrrev_i32_e32 v12, 31, v15
	s_wait_alu 0xfffd
	v_xor_b32_e32 v13, vcc_lo, v14
	v_dual_mov_b32 v57, v21 :: v_dual_and_b32 v4, v4, v44
	v_mov_b32_e32 v61, v17
	s_wait_alu 0xf1ff
	v_xor_b32_e32 v6, s18, v12
	s_delay_alu instid0(VALU_DEP_3) | instskip(SKIP_2) | instid1(VALU_DEP_3)
	v_dual_mov_b32 v43, v31 :: v_dual_and_b32 v4, v4, v13
	v_dual_mov_b32 v42, v30 :: v_dual_lshlrev_b32 v5, 6, v5
	v_dual_mov_b32 v45, v29 :: v_dual_mov_b32 v44, v28
	v_and_b32_e32 v4, v4, v6
	s_delay_alu instid0(VALU_DEP_3) | instskip(SKIP_2) | instid1(VALU_DEP_4)
	v_dual_mov_b32 v46, v26 :: v_dual_add_nc_u32 v13, v76, v5
	v_mov_b32_e32 v52, v24
	v_mov_b32_e32 v54, v22
	v_mbcnt_lo_u32_b32 v12, v4, 0
	v_cmp_ne_u32_e64 s18, 0, v4
	v_mov_b32_e32 v56, v20
	v_mov_b32_e32 v60, v16
	s_delay_alu instid0(VALU_DEP_4)
	v_cmp_eq_u32_e32 vcc_lo, 0, v12
	s_and_b32 s27, s18, vcc_lo
	s_wait_alu 0xfffe
	s_and_saveexec_b32 s18, s27
; %bb.68:                               ;   in Loop: Header=BB185_67 Depth=1
	v_bcnt_u32_b32 v4, v4, 0
	ds_store_b32 v13, v4 offset:64
; %bb.69:                               ;   in Loop: Header=BB185_67 Depth=1
	s_wait_alu 0xfffe
	s_or_b32 exec_lo, exec_lo, s18
	v_cmp_ne_u64_e32 vcc_lo, s[20:21], v[69:70]
	; wave barrier
	s_wait_alu 0xfffd
	v_cndmask_b32_e32 v5, 0x7fffffff, v70, vcc_lo
	v_cndmask_b32_e32 v4, -1, v69, vcc_lo
	s_delay_alu instid0(VALU_DEP_1) | instskip(NEXT) | instid1(VALU_DEP_1)
	v_lshrrev_b64 v[4:5], v32, v[4:5]
	v_and_b32_e32 v4, s23, v4
	s_delay_alu instid0(VALU_DEP_1)
	v_and_b32_e32 v5, 1, v4
	v_lshlrev_b32_e32 v6, 30, v4
	v_lshlrev_b32_e32 v7, 29, v4
	;; [unrolled: 1-line block ×4, first 2 shown]
	v_add_co_u32 v5, s18, v5, -1
	s_wait_alu 0xf1ff
	v_cndmask_b32_e64 v9, 0, 1, s18
	v_not_b32_e32 v15, v6
	v_cmp_gt_i32_e64 s18, 0, v6
	v_not_b32_e32 v6, v7
	v_lshlrev_b32_e32 v11, 26, v4
	v_cmp_ne_u32_e32 vcc_lo, 0, v9
	v_ashrrev_i32_e32 v15, 31, v15
	v_lshlrev_b32_e32 v14, 25, v4
	v_ashrrev_i32_e32 v6, 31, v6
	v_lshlrev_b32_e32 v9, 24, v4
	s_wait_alu 0xfffd
	v_xor_b32_e32 v5, vcc_lo, v5
	v_cmp_gt_i32_e32 vcc_lo, 0, v7
	v_not_b32_e32 v7, v8
	s_wait_alu 0xf1ff
	v_xor_b32_e32 v15, s18, v15
	v_cmp_gt_i32_e64 s18, 0, v8
	v_and_b32_e32 v5, exec_lo, v5
	v_not_b32_e32 v8, v10
	v_ashrrev_i32_e32 v7, 31, v7
	s_wait_alu 0xfffd
	v_xor_b32_e32 v6, vcc_lo, v6
	v_cmp_gt_i32_e32 vcc_lo, 0, v10
	v_and_b32_e32 v5, v5, v15
	v_not_b32_e32 v10, v11
	v_ashrrev_i32_e32 v8, 31, v8
	s_wait_alu 0xf1ff
	v_xor_b32_e32 v7, s18, v7
	v_cmp_gt_i32_e64 s18, 0, v11
	v_and_b32_e32 v5, v5, v6
	v_not_b32_e32 v6, v14
	v_ashrrev_i32_e32 v10, 31, v10
	s_wait_alu 0xfffd
	v_xor_b32_e32 v8, vcc_lo, v8
	v_cmp_gt_i32_e32 vcc_lo, 0, v14
	v_and_b32_e32 v5, v5, v7
	v_not_b32_e32 v7, v9
	v_ashrrev_i32_e32 v6, 31, v6
	s_wait_alu 0xf1ff
	v_xor_b32_e32 v10, s18, v10
	v_lshlrev_b32_e32 v4, 6, v4
	v_and_b32_e32 v5, v5, v8
	v_cmp_gt_i32_e64 s18, 0, v9
	v_ashrrev_i32_e32 v7, 31, v7
	s_wait_alu 0xfffd
	v_xor_b32_e32 v6, vcc_lo, v6
	v_add_nc_u32_e32 v16, v76, v4
	v_and_b32_e32 v5, v5, v10
	s_wait_alu 0xf1ff
	v_xor_b32_e32 v4, s18, v7
	ds_load_b32 v14, v16 offset:64
	v_and_b32_e32 v5, v5, v6
	; wave barrier
	s_delay_alu instid0(VALU_DEP_1) | instskip(NEXT) | instid1(VALU_DEP_1)
	v_and_b32_e32 v4, v5, v4
	v_mbcnt_lo_u32_b32 v15, v4, 0
	v_cmp_ne_u32_e64 s18, 0, v4
	s_delay_alu instid0(VALU_DEP_2)
	v_cmp_eq_u32_e32 vcc_lo, 0, v15
	s_and_b32 s27, s18, vcc_lo
	s_wait_alu 0xfffe
	s_and_saveexec_b32 s18, s27
	s_cbranch_execz .LBB185_71
; %bb.70:                               ;   in Loop: Header=BB185_67 Depth=1
	s_wait_dscnt 0x0
	v_bcnt_u32_b32 v4, v4, v14
	ds_store_b32 v16, v4 offset:64
.LBB185_71:                             ;   in Loop: Header=BB185_67 Depth=1
	s_wait_alu 0xfffe
	s_or_b32 exec_lo, exec_lo, s18
	v_cmp_ne_u64_e32 vcc_lo, s[20:21], v[66:67]
	; wave barrier
	s_wait_alu 0xfffd
	v_cndmask_b32_e32 v5, 0x7fffffff, v67, vcc_lo
	v_cndmask_b32_e32 v4, -1, v66, vcc_lo
	s_delay_alu instid0(VALU_DEP_1) | instskip(NEXT) | instid1(VALU_DEP_1)
	v_lshrrev_b64 v[4:5], v32, v[4:5]
	v_and_b32_e32 v4, s23, v4
	s_delay_alu instid0(VALU_DEP_1)
	v_and_b32_e32 v5, 1, v4
	v_lshlrev_b32_e32 v6, 30, v4
	v_lshlrev_b32_e32 v7, 29, v4
	;; [unrolled: 1-line block ×4, first 2 shown]
	v_add_co_u32 v5, s18, v5, -1
	s_wait_alu 0xf1ff
	v_cndmask_b32_e64 v9, 0, 1, s18
	v_not_b32_e32 v18, v6
	v_cmp_gt_i32_e64 s18, 0, v6
	v_not_b32_e32 v6, v7
	v_lshlrev_b32_e32 v11, 26, v4
	v_cmp_ne_u32_e32 vcc_lo, 0, v9
	v_ashrrev_i32_e32 v18, 31, v18
	v_lshlrev_b32_e32 v17, 25, v4
	v_ashrrev_i32_e32 v6, 31, v6
	v_lshlrev_b32_e32 v9, 24, v4
	s_wait_alu 0xfffd
	v_xor_b32_e32 v5, vcc_lo, v5
	v_cmp_gt_i32_e32 vcc_lo, 0, v7
	v_not_b32_e32 v7, v8
	s_wait_alu 0xf1ff
	v_xor_b32_e32 v18, s18, v18
	v_cmp_gt_i32_e64 s18, 0, v8
	v_and_b32_e32 v5, exec_lo, v5
	v_not_b32_e32 v8, v10
	v_ashrrev_i32_e32 v7, 31, v7
	s_wait_alu 0xfffd
	v_xor_b32_e32 v6, vcc_lo, v6
	v_cmp_gt_i32_e32 vcc_lo, 0, v10
	v_and_b32_e32 v5, v5, v18
	v_not_b32_e32 v10, v11
	v_ashrrev_i32_e32 v8, 31, v8
	s_wait_alu 0xf1ff
	v_xor_b32_e32 v7, s18, v7
	v_cmp_gt_i32_e64 s18, 0, v11
	v_and_b32_e32 v5, v5, v6
	v_not_b32_e32 v6, v17
	v_ashrrev_i32_e32 v10, 31, v10
	s_wait_alu 0xfffd
	v_xor_b32_e32 v8, vcc_lo, v8
	v_cmp_gt_i32_e32 vcc_lo, 0, v17
	v_and_b32_e32 v5, v5, v7
	v_not_b32_e32 v7, v9
	v_ashrrev_i32_e32 v6, 31, v6
	s_wait_alu 0xf1ff
	v_xor_b32_e32 v10, s18, v10
	v_lshlrev_b32_e32 v4, 6, v4
	v_and_b32_e32 v5, v5, v8
	v_cmp_gt_i32_e64 s18, 0, v9
	v_ashrrev_i32_e32 v7, 31, v7
	s_wait_alu 0xfffd
	v_xor_b32_e32 v6, vcc_lo, v6
	v_add_nc_u32_e32 v19, v76, v4
	v_and_b32_e32 v5, v5, v10
	s_wait_alu 0xf1ff
	v_xor_b32_e32 v4, s18, v7
	ds_load_b32 v17, v19 offset:64
	v_and_b32_e32 v5, v5, v6
	; wave barrier
	s_delay_alu instid0(VALU_DEP_1) | instskip(NEXT) | instid1(VALU_DEP_1)
	v_and_b32_e32 v4, v5, v4
	v_mbcnt_lo_u32_b32 v18, v4, 0
	v_cmp_ne_u32_e64 s18, 0, v4
	s_delay_alu instid0(VALU_DEP_2)
	v_cmp_eq_u32_e32 vcc_lo, 0, v18
	s_and_b32 s27, s18, vcc_lo
	s_wait_alu 0xfffe
	s_and_saveexec_b32 s18, s27
	s_cbranch_execz .LBB185_73
; %bb.72:                               ;   in Loop: Header=BB185_67 Depth=1
	s_wait_dscnt 0x0
	v_bcnt_u32_b32 v4, v4, v17
	ds_store_b32 v19, v4 offset:64
.LBB185_73:                             ;   in Loop: Header=BB185_67 Depth=1
	s_wait_alu 0xfffe
	s_or_b32 exec_lo, exec_lo, s18
	v_cmp_ne_u64_e32 vcc_lo, s[20:21], v[64:65]
	; wave barrier
	s_wait_alu 0xfffd
	v_cndmask_b32_e32 v5, 0x7fffffff, v65, vcc_lo
	v_cndmask_b32_e32 v4, -1, v64, vcc_lo
	s_delay_alu instid0(VALU_DEP_1) | instskip(NEXT) | instid1(VALU_DEP_1)
	v_lshrrev_b64 v[4:5], v32, v[4:5]
	v_and_b32_e32 v4, s23, v4
	s_delay_alu instid0(VALU_DEP_1)
	v_and_b32_e32 v5, 1, v4
	v_lshlrev_b32_e32 v6, 30, v4
	v_lshlrev_b32_e32 v7, 29, v4
	;; [unrolled: 1-line block ×4, first 2 shown]
	v_add_co_u32 v5, s18, v5, -1
	s_wait_alu 0xf1ff
	v_cndmask_b32_e64 v9, 0, 1, s18
	v_not_b32_e32 v21, v6
	v_cmp_gt_i32_e64 s18, 0, v6
	v_not_b32_e32 v6, v7
	v_lshlrev_b32_e32 v11, 26, v4
	v_cmp_ne_u32_e32 vcc_lo, 0, v9
	v_ashrrev_i32_e32 v21, 31, v21
	v_lshlrev_b32_e32 v20, 25, v4
	v_ashrrev_i32_e32 v6, 31, v6
	v_lshlrev_b32_e32 v9, 24, v4
	s_wait_alu 0xfffd
	v_xor_b32_e32 v5, vcc_lo, v5
	v_cmp_gt_i32_e32 vcc_lo, 0, v7
	v_not_b32_e32 v7, v8
	s_wait_alu 0xf1ff
	v_xor_b32_e32 v21, s18, v21
	v_cmp_gt_i32_e64 s18, 0, v8
	v_and_b32_e32 v5, exec_lo, v5
	v_not_b32_e32 v8, v10
	v_ashrrev_i32_e32 v7, 31, v7
	s_wait_alu 0xfffd
	v_xor_b32_e32 v6, vcc_lo, v6
	v_cmp_gt_i32_e32 vcc_lo, 0, v10
	v_and_b32_e32 v5, v5, v21
	v_not_b32_e32 v10, v11
	v_ashrrev_i32_e32 v8, 31, v8
	s_wait_alu 0xf1ff
	v_xor_b32_e32 v7, s18, v7
	v_cmp_gt_i32_e64 s18, 0, v11
	v_and_b32_e32 v5, v5, v6
	v_not_b32_e32 v6, v20
	v_ashrrev_i32_e32 v10, 31, v10
	s_wait_alu 0xfffd
	v_xor_b32_e32 v8, vcc_lo, v8
	v_cmp_gt_i32_e32 vcc_lo, 0, v20
	v_and_b32_e32 v5, v5, v7
	v_not_b32_e32 v7, v9
	v_ashrrev_i32_e32 v6, 31, v6
	s_wait_alu 0xf1ff
	v_xor_b32_e32 v10, s18, v10
	v_lshlrev_b32_e32 v4, 6, v4
	v_and_b32_e32 v5, v5, v8
	v_cmp_gt_i32_e64 s18, 0, v9
	v_ashrrev_i32_e32 v7, 31, v7
	s_wait_alu 0xfffd
	v_xor_b32_e32 v6, vcc_lo, v6
	v_add_nc_u32_e32 v22, v76, v4
	v_and_b32_e32 v5, v5, v10
	s_wait_alu 0xf1ff
	v_xor_b32_e32 v4, s18, v7
	ds_load_b32 v20, v22 offset:64
	v_and_b32_e32 v5, v5, v6
	; wave barrier
	s_delay_alu instid0(VALU_DEP_1) | instskip(NEXT) | instid1(VALU_DEP_1)
	v_and_b32_e32 v4, v5, v4
	v_mbcnt_lo_u32_b32 v21, v4, 0
	v_cmp_ne_u32_e64 s18, 0, v4
	s_delay_alu instid0(VALU_DEP_2)
	v_cmp_eq_u32_e32 vcc_lo, 0, v21
	s_and_b32 s27, s18, vcc_lo
	s_wait_alu 0xfffe
	s_and_saveexec_b32 s18, s27
	s_cbranch_execz .LBB185_75
; %bb.74:                               ;   in Loop: Header=BB185_67 Depth=1
	s_wait_dscnt 0x0
	v_bcnt_u32_b32 v4, v4, v20
	ds_store_b32 v22, v4 offset:64
.LBB185_75:                             ;   in Loop: Header=BB185_67 Depth=1
	s_wait_alu 0xfffe
	s_or_b32 exec_lo, exec_lo, s18
	v_cmp_ne_u64_e32 vcc_lo, s[20:21], v[62:63]
	; wave barrier
	s_wait_alu 0xfffd
	v_cndmask_b32_e32 v5, 0x7fffffff, v63, vcc_lo
	v_cndmask_b32_e32 v4, -1, v62, vcc_lo
	s_delay_alu instid0(VALU_DEP_1) | instskip(NEXT) | instid1(VALU_DEP_1)
	v_lshrrev_b64 v[4:5], v32, v[4:5]
	v_and_b32_e32 v4, s23, v4
	s_delay_alu instid0(VALU_DEP_1)
	v_and_b32_e32 v5, 1, v4
	v_lshlrev_b32_e32 v6, 30, v4
	v_lshlrev_b32_e32 v7, 29, v4
	;; [unrolled: 1-line block ×4, first 2 shown]
	v_add_co_u32 v5, s18, v5, -1
	s_wait_alu 0xf1ff
	v_cndmask_b32_e64 v9, 0, 1, s18
	v_not_b32_e32 v24, v6
	v_cmp_gt_i32_e64 s18, 0, v6
	v_not_b32_e32 v6, v7
	v_lshlrev_b32_e32 v11, 26, v4
	v_cmp_ne_u32_e32 vcc_lo, 0, v9
	v_ashrrev_i32_e32 v24, 31, v24
	v_lshlrev_b32_e32 v23, 25, v4
	v_ashrrev_i32_e32 v6, 31, v6
	v_lshlrev_b32_e32 v9, 24, v4
	s_wait_alu 0xfffd
	v_xor_b32_e32 v5, vcc_lo, v5
	v_cmp_gt_i32_e32 vcc_lo, 0, v7
	v_not_b32_e32 v7, v8
	s_wait_alu 0xf1ff
	v_xor_b32_e32 v24, s18, v24
	v_cmp_gt_i32_e64 s18, 0, v8
	v_and_b32_e32 v5, exec_lo, v5
	v_not_b32_e32 v8, v10
	v_ashrrev_i32_e32 v7, 31, v7
	s_wait_alu 0xfffd
	v_xor_b32_e32 v6, vcc_lo, v6
	v_cmp_gt_i32_e32 vcc_lo, 0, v10
	v_and_b32_e32 v5, v5, v24
	v_not_b32_e32 v10, v11
	v_ashrrev_i32_e32 v8, 31, v8
	s_wait_alu 0xf1ff
	v_xor_b32_e32 v7, s18, v7
	v_cmp_gt_i32_e64 s18, 0, v11
	v_and_b32_e32 v5, v5, v6
	v_not_b32_e32 v6, v23
	v_ashrrev_i32_e32 v10, 31, v10
	s_wait_alu 0xfffd
	v_xor_b32_e32 v8, vcc_lo, v8
	v_cmp_gt_i32_e32 vcc_lo, 0, v23
	v_and_b32_e32 v5, v5, v7
	v_not_b32_e32 v7, v9
	v_ashrrev_i32_e32 v6, 31, v6
	s_wait_alu 0xf1ff
	v_xor_b32_e32 v10, s18, v10
	v_lshlrev_b32_e32 v4, 6, v4
	v_and_b32_e32 v5, v5, v8
	v_cmp_gt_i32_e64 s18, 0, v9
	v_ashrrev_i32_e32 v7, 31, v7
	s_wait_alu 0xfffd
	v_xor_b32_e32 v6, vcc_lo, v6
	v_add_nc_u32_e32 v25, v76, v4
	v_and_b32_e32 v5, v5, v10
	s_wait_alu 0xf1ff
	v_xor_b32_e32 v4, s18, v7
	ds_load_b32 v23, v25 offset:64
	v_and_b32_e32 v5, v5, v6
	; wave barrier
	s_delay_alu instid0(VALU_DEP_1) | instskip(NEXT) | instid1(VALU_DEP_1)
	v_and_b32_e32 v4, v5, v4
	v_mbcnt_lo_u32_b32 v24, v4, 0
	v_cmp_ne_u32_e64 s18, 0, v4
	s_delay_alu instid0(VALU_DEP_2)
	v_cmp_eq_u32_e32 vcc_lo, 0, v24
	s_and_b32 s27, s18, vcc_lo
	s_wait_alu 0xfffe
	s_and_saveexec_b32 s18, s27
	s_cbranch_execz .LBB185_77
; %bb.76:                               ;   in Loop: Header=BB185_67 Depth=1
	s_wait_dscnt 0x0
	v_bcnt_u32_b32 v4, v4, v23
	ds_store_b32 v25, v4 offset:64
.LBB185_77:                             ;   in Loop: Header=BB185_67 Depth=1
	s_wait_alu 0xfffe
	s_or_b32 exec_lo, exec_lo, s18
	v_cmp_ne_u64_e32 vcc_lo, s[20:21], v[40:41]
	; wave barrier
	s_wait_alu 0xfffd
	v_cndmask_b32_e32 v5, 0x7fffffff, v41, vcc_lo
	v_cndmask_b32_e32 v4, -1, v40, vcc_lo
	s_delay_alu instid0(VALU_DEP_1) | instskip(NEXT) | instid1(VALU_DEP_1)
	v_lshrrev_b64 v[4:5], v32, v[4:5]
	v_and_b32_e32 v4, s23, v4
	s_delay_alu instid0(VALU_DEP_1)
	v_and_b32_e32 v5, 1, v4
	v_lshlrev_b32_e32 v6, 30, v4
	v_lshlrev_b32_e32 v7, 29, v4
	;; [unrolled: 1-line block ×4, first 2 shown]
	v_add_co_u32 v5, s18, v5, -1
	s_wait_alu 0xf1ff
	v_cndmask_b32_e64 v9, 0, 1, s18
	v_not_b32_e32 v27, v6
	v_cmp_gt_i32_e64 s18, 0, v6
	v_not_b32_e32 v6, v7
	v_lshlrev_b32_e32 v11, 26, v4
	v_cmp_ne_u32_e32 vcc_lo, 0, v9
	v_ashrrev_i32_e32 v27, 31, v27
	v_lshlrev_b32_e32 v26, 25, v4
	v_ashrrev_i32_e32 v6, 31, v6
	v_lshlrev_b32_e32 v9, 24, v4
	s_wait_alu 0xfffd
	v_xor_b32_e32 v5, vcc_lo, v5
	v_cmp_gt_i32_e32 vcc_lo, 0, v7
	v_not_b32_e32 v7, v8
	s_wait_alu 0xf1ff
	v_xor_b32_e32 v27, s18, v27
	v_cmp_gt_i32_e64 s18, 0, v8
	v_and_b32_e32 v5, exec_lo, v5
	v_not_b32_e32 v8, v10
	v_ashrrev_i32_e32 v7, 31, v7
	s_wait_alu 0xfffd
	v_xor_b32_e32 v6, vcc_lo, v6
	v_cmp_gt_i32_e32 vcc_lo, 0, v10
	v_and_b32_e32 v5, v5, v27
	v_not_b32_e32 v10, v11
	v_ashrrev_i32_e32 v8, 31, v8
	s_wait_alu 0xf1ff
	v_xor_b32_e32 v7, s18, v7
	v_cmp_gt_i32_e64 s18, 0, v11
	v_and_b32_e32 v5, v5, v6
	v_not_b32_e32 v6, v26
	v_ashrrev_i32_e32 v10, 31, v10
	s_wait_alu 0xfffd
	v_xor_b32_e32 v8, vcc_lo, v8
	v_cmp_gt_i32_e32 vcc_lo, 0, v26
	v_and_b32_e32 v5, v5, v7
	v_not_b32_e32 v7, v9
	v_ashrrev_i32_e32 v6, 31, v6
	s_wait_alu 0xf1ff
	v_xor_b32_e32 v10, s18, v10
	v_lshlrev_b32_e32 v4, 6, v4
	v_and_b32_e32 v5, v5, v8
	v_cmp_gt_i32_e64 s18, 0, v9
	v_ashrrev_i32_e32 v7, 31, v7
	s_wait_alu 0xfffd
	v_xor_b32_e32 v6, vcc_lo, v6
	v_add_nc_u32_e32 v28, v76, v4
	v_and_b32_e32 v5, v5, v10
	s_wait_alu 0xf1ff
	v_xor_b32_e32 v4, s18, v7
	ds_load_b32 v26, v28 offset:64
	v_and_b32_e32 v5, v5, v6
	; wave barrier
	s_delay_alu instid0(VALU_DEP_1) | instskip(NEXT) | instid1(VALU_DEP_1)
	v_and_b32_e32 v4, v5, v4
	v_mbcnt_lo_u32_b32 v27, v4, 0
	v_cmp_ne_u32_e64 s18, 0, v4
	s_delay_alu instid0(VALU_DEP_2)
	v_cmp_eq_u32_e32 vcc_lo, 0, v27
	s_and_b32 s27, s18, vcc_lo
	s_wait_alu 0xfffe
	s_and_saveexec_b32 s18, s27
	s_cbranch_execz .LBB185_79
; %bb.78:                               ;   in Loop: Header=BB185_67 Depth=1
	s_wait_dscnt 0x0
	v_bcnt_u32_b32 v4, v4, v26
	ds_store_b32 v28, v4 offset:64
.LBB185_79:                             ;   in Loop: Header=BB185_67 Depth=1
	s_wait_alu 0xfffe
	s_or_b32 exec_lo, exec_lo, s18
	v_cmp_ne_u64_e32 vcc_lo, s[20:21], v[38:39]
	; wave barrier
	s_wait_alu 0xfffd
	v_cndmask_b32_e32 v5, 0x7fffffff, v39, vcc_lo
	v_cndmask_b32_e32 v4, -1, v38, vcc_lo
	s_delay_alu instid0(VALU_DEP_1) | instskip(NEXT) | instid1(VALU_DEP_1)
	v_lshrrev_b64 v[4:5], v32, v[4:5]
	v_and_b32_e32 v4, s23, v4
	s_delay_alu instid0(VALU_DEP_1)
	v_and_b32_e32 v5, 1, v4
	v_lshlrev_b32_e32 v6, 30, v4
	v_lshlrev_b32_e32 v7, 29, v4
	;; [unrolled: 1-line block ×4, first 2 shown]
	v_add_co_u32 v5, s18, v5, -1
	s_wait_alu 0xf1ff
	v_cndmask_b32_e64 v9, 0, 1, s18
	v_not_b32_e32 v30, v6
	v_cmp_gt_i32_e64 s18, 0, v6
	v_not_b32_e32 v6, v7
	v_lshlrev_b32_e32 v11, 26, v4
	v_cmp_ne_u32_e32 vcc_lo, 0, v9
	v_ashrrev_i32_e32 v30, 31, v30
	v_lshlrev_b32_e32 v29, 25, v4
	v_ashrrev_i32_e32 v6, 31, v6
	v_lshlrev_b32_e32 v9, 24, v4
	s_wait_alu 0xfffd
	v_xor_b32_e32 v5, vcc_lo, v5
	v_cmp_gt_i32_e32 vcc_lo, 0, v7
	v_not_b32_e32 v7, v8
	s_wait_alu 0xf1ff
	v_xor_b32_e32 v30, s18, v30
	v_cmp_gt_i32_e64 s18, 0, v8
	v_and_b32_e32 v5, exec_lo, v5
	v_not_b32_e32 v8, v10
	v_ashrrev_i32_e32 v7, 31, v7
	s_wait_alu 0xfffd
	v_xor_b32_e32 v6, vcc_lo, v6
	v_cmp_gt_i32_e32 vcc_lo, 0, v10
	v_and_b32_e32 v5, v5, v30
	v_not_b32_e32 v10, v11
	v_ashrrev_i32_e32 v8, 31, v8
	s_wait_alu 0xf1ff
	v_xor_b32_e32 v7, s18, v7
	v_cmp_gt_i32_e64 s18, 0, v11
	v_and_b32_e32 v5, v5, v6
	v_not_b32_e32 v6, v29
	v_ashrrev_i32_e32 v10, 31, v10
	s_wait_alu 0xfffd
	v_xor_b32_e32 v8, vcc_lo, v8
	v_cmp_gt_i32_e32 vcc_lo, 0, v29
	v_and_b32_e32 v5, v5, v7
	v_not_b32_e32 v7, v9
	v_ashrrev_i32_e32 v6, 31, v6
	s_wait_alu 0xf1ff
	v_xor_b32_e32 v10, s18, v10
	v_lshlrev_b32_e32 v4, 6, v4
	v_and_b32_e32 v5, v5, v8
	v_cmp_gt_i32_e64 s18, 0, v9
	v_ashrrev_i32_e32 v7, 31, v7
	s_wait_alu 0xfffd
	v_xor_b32_e32 v6, vcc_lo, v6
	v_add_nc_u32_e32 v31, v76, v4
	v_and_b32_e32 v5, v5, v10
	s_wait_alu 0xf1ff
	v_xor_b32_e32 v4, s18, v7
	ds_load_b32 v29, v31 offset:64
	v_and_b32_e32 v5, v5, v6
	; wave barrier
	s_delay_alu instid0(VALU_DEP_1) | instskip(NEXT) | instid1(VALU_DEP_1)
	v_and_b32_e32 v4, v5, v4
	v_mbcnt_lo_u32_b32 v30, v4, 0
	v_cmp_ne_u32_e64 s18, 0, v4
	s_delay_alu instid0(VALU_DEP_2)
	v_cmp_eq_u32_e32 vcc_lo, 0, v30
	s_and_b32 s27, s18, vcc_lo
	s_wait_alu 0xfffe
	s_and_saveexec_b32 s18, s27
	s_cbranch_execz .LBB185_81
; %bb.80:                               ;   in Loop: Header=BB185_67 Depth=1
	s_wait_dscnt 0x0
	v_bcnt_u32_b32 v4, v4, v29
	ds_store_b32 v31, v4 offset:64
.LBB185_81:                             ;   in Loop: Header=BB185_67 Depth=1
	s_wait_alu 0xfffe
	s_or_b32 exec_lo, exec_lo, s18
	v_cmp_ne_u64_e32 vcc_lo, s[20:21], v[36:37]
	; wave barrier
	s_wait_alu 0xfffd
	v_cndmask_b32_e32 v5, 0x7fffffff, v37, vcc_lo
	v_cndmask_b32_e32 v4, -1, v36, vcc_lo
	s_delay_alu instid0(VALU_DEP_1) | instskip(NEXT) | instid1(VALU_DEP_1)
	v_lshrrev_b64 v[4:5], v32, v[4:5]
	v_and_b32_e32 v4, s23, v4
	s_delay_alu instid0(VALU_DEP_1)
	v_and_b32_e32 v5, 1, v4
	v_lshlrev_b32_e32 v6, 30, v4
	v_lshlrev_b32_e32 v7, 29, v4
	;; [unrolled: 1-line block ×4, first 2 shown]
	v_add_co_u32 v5, s18, v5, -1
	s_wait_alu 0xf1ff
	v_cndmask_b32_e64 v9, 0, 1, s18
	v_not_b32_e32 v49, v6
	v_cmp_gt_i32_e64 s18, 0, v6
	v_not_b32_e32 v6, v7
	v_lshlrev_b32_e32 v11, 26, v4
	v_cmp_ne_u32_e32 vcc_lo, 0, v9
	v_ashrrev_i32_e32 v49, 31, v49
	v_lshlrev_b32_e32 v48, 25, v4
	v_ashrrev_i32_e32 v6, 31, v6
	v_lshlrev_b32_e32 v9, 24, v4
	s_wait_alu 0xfffd
	v_xor_b32_e32 v5, vcc_lo, v5
	v_cmp_gt_i32_e32 vcc_lo, 0, v7
	v_not_b32_e32 v7, v8
	s_wait_alu 0xf1ff
	v_xor_b32_e32 v49, s18, v49
	v_cmp_gt_i32_e64 s18, 0, v8
	v_and_b32_e32 v5, exec_lo, v5
	v_not_b32_e32 v8, v10
	v_ashrrev_i32_e32 v7, 31, v7
	s_wait_alu 0xfffd
	v_xor_b32_e32 v6, vcc_lo, v6
	v_cmp_gt_i32_e32 vcc_lo, 0, v10
	v_and_b32_e32 v5, v5, v49
	v_not_b32_e32 v10, v11
	v_ashrrev_i32_e32 v8, 31, v8
	s_wait_alu 0xf1ff
	v_xor_b32_e32 v7, s18, v7
	v_cmp_gt_i32_e64 s18, 0, v11
	v_and_b32_e32 v5, v5, v6
	v_not_b32_e32 v6, v48
	v_ashrrev_i32_e32 v10, 31, v10
	s_wait_alu 0xfffd
	v_xor_b32_e32 v8, vcc_lo, v8
	v_cmp_gt_i32_e32 vcc_lo, 0, v48
	v_and_b32_e32 v5, v5, v7
	v_not_b32_e32 v7, v9
	v_ashrrev_i32_e32 v6, 31, v6
	s_wait_alu 0xf1ff
	v_xor_b32_e32 v10, s18, v10
	v_lshlrev_b32_e32 v4, 6, v4
	v_and_b32_e32 v5, v5, v8
	v_cmp_gt_i32_e64 s18, 0, v9
	v_ashrrev_i32_e32 v7, 31, v7
	s_wait_alu 0xfffd
	v_xor_b32_e32 v6, vcc_lo, v6
	v_add_nc_u32_e32 v50, v76, v4
	v_and_b32_e32 v5, v5, v10
	s_wait_alu 0xf1ff
	v_xor_b32_e32 v4, s18, v7
	ds_load_b32 v48, v50 offset:64
	v_and_b32_e32 v5, v5, v6
	; wave barrier
	s_delay_alu instid0(VALU_DEP_1) | instskip(NEXT) | instid1(VALU_DEP_1)
	v_and_b32_e32 v4, v5, v4
	v_mbcnt_lo_u32_b32 v49, v4, 0
	v_cmp_ne_u32_e64 s18, 0, v4
	s_delay_alu instid0(VALU_DEP_2)
	v_cmp_eq_u32_e32 vcc_lo, 0, v49
	s_and_b32 s23, s18, vcc_lo
	s_wait_alu 0xfffe
	s_and_saveexec_b32 s18, s23
	s_cbranch_execz .LBB185_83
; %bb.82:                               ;   in Loop: Header=BB185_67 Depth=1
	s_wait_dscnt 0x0
	v_bcnt_u32_b32 v4, v4, v48
	ds_store_b32 v50, v4 offset:64
.LBB185_83:                             ;   in Loop: Header=BB185_67 Depth=1
	s_wait_alu 0xfffe
	s_or_b32 exec_lo, exec_lo, s18
	; wave barrier
	s_wait_loadcnt_dscnt 0x0
	s_barrier_signal -1
	s_barrier_wait -1
	global_inv scope:SCOPE_SE
	ds_load_b128 v[8:11], v115 offset:64
	ds_load_b128 v[4:7], v115 offset:80
	s_wait_dscnt 0x1
	v_add_nc_u32_e32 v51, v9, v8
	s_delay_alu instid0(VALU_DEP_1) | instskip(SKIP_1) | instid1(VALU_DEP_1)
	v_add3_u32 v51, v51, v10, v11
	s_wait_dscnt 0x0
	v_add3_u32 v51, v51, v4, v5
	s_delay_alu instid0(VALU_DEP_1) | instskip(NEXT) | instid1(VALU_DEP_1)
	v_add3_u32 v7, v51, v6, v7
	v_mov_b32_dpp v51, v7 row_shr:1 row_mask:0xf bank_mask:0xf
	s_delay_alu instid0(VALU_DEP_1) | instskip(NEXT) | instid1(VALU_DEP_1)
	v_cndmask_b32_e64 v51, v51, 0, s8
	v_add_nc_u32_e32 v7, v51, v7
	s_delay_alu instid0(VALU_DEP_1) | instskip(NEXT) | instid1(VALU_DEP_1)
	v_mov_b32_dpp v51, v7 row_shr:2 row_mask:0xf bank_mask:0xf
	v_cndmask_b32_e64 v51, 0, v51, s9
	s_delay_alu instid0(VALU_DEP_1) | instskip(NEXT) | instid1(VALU_DEP_1)
	v_add_nc_u32_e32 v7, v7, v51
	v_mov_b32_dpp v51, v7 row_shr:4 row_mask:0xf bank_mask:0xf
	s_delay_alu instid0(VALU_DEP_1) | instskip(NEXT) | instid1(VALU_DEP_1)
	v_cndmask_b32_e64 v51, 0, v51, s11
	v_add_nc_u32_e32 v7, v7, v51
	s_delay_alu instid0(VALU_DEP_1) | instskip(NEXT) | instid1(VALU_DEP_1)
	v_mov_b32_dpp v51, v7 row_shr:8 row_mask:0xf bank_mask:0xf
	v_cndmask_b32_e64 v51, 0, v51, s12
	s_delay_alu instid0(VALU_DEP_1) | instskip(SKIP_3) | instid1(VALU_DEP_1)
	v_add_nc_u32_e32 v7, v7, v51
	ds_swizzle_b32 v51, v7 offset:swizzle(BROADCAST,32,15)
	s_wait_dscnt 0x0
	v_cndmask_b32_e64 v51, v51, 0, s13
	v_add_nc_u32_e32 v7, v7, v51
	s_and_saveexec_b32 s18, s14
; %bb.84:                               ;   in Loop: Header=BB185_67 Depth=1
	ds_store_b32 v116, v7
; %bb.85:                               ;   in Loop: Header=BB185_67 Depth=1
	s_wait_alu 0xfffe
	s_or_b32 exec_lo, exec_lo, s18
	s_wait_loadcnt_dscnt 0x0
	s_barrier_signal -1
	s_barrier_wait -1
	global_inv scope:SCOPE_SE
	s_and_saveexec_b32 s18, s15
	s_cbranch_execz .LBB185_87
; %bb.86:                               ;   in Loop: Header=BB185_67 Depth=1
	ds_load_b32 v51, v77
	s_wait_dscnt 0x0
	v_mov_b32_dpp v78, v51 row_shr:1 row_mask:0xf bank_mask:0xf
	s_delay_alu instid0(VALU_DEP_1) | instskip(NEXT) | instid1(VALU_DEP_1)
	v_cndmask_b32_e64 v78, v78, 0, s8
	v_add_nc_u32_e32 v51, v78, v51
	s_delay_alu instid0(VALU_DEP_1) | instskip(NEXT) | instid1(VALU_DEP_1)
	v_mov_b32_dpp v78, v51 row_shr:2 row_mask:0xf bank_mask:0xf
	v_cndmask_b32_e64 v78, 0, v78, s9
	s_delay_alu instid0(VALU_DEP_1) | instskip(NEXT) | instid1(VALU_DEP_1)
	v_add_nc_u32_e32 v51, v51, v78
	v_mov_b32_dpp v78, v51 row_shr:4 row_mask:0xf bank_mask:0xf
	s_delay_alu instid0(VALU_DEP_1) | instskip(NEXT) | instid1(VALU_DEP_1)
	v_cndmask_b32_e64 v78, 0, v78, s11
	v_add_nc_u32_e32 v51, v51, v78
	s_delay_alu instid0(VALU_DEP_1) | instskip(NEXT) | instid1(VALU_DEP_1)
	v_mov_b32_dpp v78, v51 row_shr:8 row_mask:0xf bank_mask:0xf
	v_cndmask_b32_e64 v78, 0, v78, s12
	s_delay_alu instid0(VALU_DEP_1)
	v_add_nc_u32_e32 v51, v51, v78
	ds_store_b32 v77, v51
.LBB185_87:                             ;   in Loop: Header=BB185_67 Depth=1
	s_wait_alu 0xfffe
	s_or_b32 exec_lo, exec_lo, s18
	v_mov_b32_e32 v51, 0
	s_wait_loadcnt_dscnt 0x0
	s_barrier_signal -1
	s_barrier_wait -1
	global_inv scope:SCOPE_SE
	s_and_saveexec_b32 s18, s16
; %bb.88:                               ;   in Loop: Header=BB185_67 Depth=1
	ds_load_b32 v51, v73
; %bb.89:                               ;   in Loop: Header=BB185_67 Depth=1
	s_wait_alu 0xfffe
	s_or_b32 exec_lo, exec_lo, s18
	s_wait_dscnt 0x0
	v_add_nc_u32_e32 v7, v51, v7
	v_cmp_lt_u32_e32 vcc_lo, 55, v32
	s_mov_b32 s18, -1
	ds_bpermute_b32 v7, v75, v7
	s_and_b32 vcc_lo, exec_lo, vcc_lo
	s_wait_dscnt 0x0
	v_cndmask_b32_e64 v7, v7, v51, s10
	s_delay_alu instid0(VALU_DEP_1) | instskip(NEXT) | instid1(VALU_DEP_1)
	v_cndmask_b32_e64 v7, v7, 0, s17
	v_add_nc_u32_e32 v8, v7, v8
	s_delay_alu instid0(VALU_DEP_1) | instskip(NEXT) | instid1(VALU_DEP_1)
	v_add_nc_u32_e32 v9, v8, v9
	v_add_nc_u32_e32 v10, v9, v10
	s_delay_alu instid0(VALU_DEP_1) | instskip(NEXT) | instid1(VALU_DEP_1)
	v_add_nc_u32_e32 v78, v10, v11
	;; [unrolled: 3-line block ×3, first 2 shown]
	v_add_nc_u32_e32 v81, v80, v6
	ds_store_b128 v115, v[7:10] offset:64
	ds_store_b128 v115, v[78:81] offset:80
	s_wait_loadcnt_dscnt 0x0
	s_barrier_signal -1
	s_barrier_wait -1
	global_inv scope:SCOPE_SE
	ds_load_b32 v4, v13 offset:64
	ds_load_b32 v5, v16 offset:64
	;; [unrolled: 1-line block ×8, first 2 shown]
	s_wait_dscnt 0x7
	v_add_nc_u32_e32 v85, v4, v12
	s_wait_dscnt 0x6
	v_add3_u32 v84, v15, v14, v5
	s_wait_dscnt 0x5
	v_add3_u32 v83, v18, v17, v6
	;; [unrolled: 2-line block ×7, first 2 shown]
                                        ; implicit-def: $vgpr50_vgpr51
                                        ; implicit-def: $vgpr14_vgpr15
                                        ; implicit-def: $vgpr10_vgpr11
                                        ; implicit-def: $vgpr6_vgpr7
                                        ; implicit-def: $vgpr30_vgpr31
                                        ; implicit-def: $vgpr26_vgpr27
                                        ; implicit-def: $vgpr22_vgpr23
                                        ; implicit-def: $vgpr18_vgpr19
	s_wait_alu 0xfffe
	s_cbranch_vccnz .LBB185_66
; %bb.90:                               ;   in Loop: Header=BB185_67 Depth=1
	v_lshlrev_b32_e32 v16, 3, v85
	v_lshlrev_b32_e32 v19, 3, v82
	;; [unrolled: 1-line block ×8, first 2 shown]
	s_wait_loadcnt 0x0
	s_barrier_signal -1
	s_barrier_wait -1
	global_inv scope:SCOPE_SE
	ds_store_b64 v16, v[34:35]
	ds_store_b64 v17, v[69:70]
	;; [unrolled: 1-line block ×8, first 2 shown]
	s_wait_loadcnt_dscnt 0x0
	s_barrier_signal -1
	s_barrier_wait -1
	global_inv scope:SCOPE_SE
	ds_load_2addr_b64 v[4:7], v74 offset1:32
	ds_load_2addr_b64 v[8:11], v74 offset0:64 offset1:96
	ds_load_2addr_b64 v[12:15], v74 offset0:128 offset1:160
	;; [unrolled: 1-line block ×3, first 2 shown]
	s_wait_loadcnt_dscnt 0x0
	s_barrier_signal -1
	s_barrier_wait -1
	global_inv scope:SCOPE_SE
	ds_store_b64 v16, v[60:61]
	ds_store_b64 v17, v[58:59]
	;; [unrolled: 1-line block ×8, first 2 shown]
	s_wait_loadcnt_dscnt 0x0
	s_barrier_signal -1
	s_barrier_wait -1
	global_inv scope:SCOPE_SE
	ds_load_2addr_b64 v[16:19], v74 offset1:32
	ds_load_2addr_b64 v[20:23], v74 offset0:64 offset1:96
	ds_load_2addr_b64 v[24:27], v74 offset0:128 offset1:160
	;; [unrolled: 1-line block ×3, first 2 shown]
	v_add_co_u32 v32, vcc_lo, v32, 8
	s_wait_alu 0xfffd
	v_add_co_ci_u32_e64 v33, null, 0, v33, vcc_lo
	s_add_co_i32 s22, s22, -8
	s_mov_b32 s18, 0
	s_wait_loadcnt_dscnt 0x0
	s_barrier_signal -1
	s_barrier_wait -1
	global_inv scope:SCOPE_SE
	s_branch .LBB185_66
.LBB185_91:
	v_lshlrev_b32_e32 v16, 3, v85
	v_lshlrev_b32_e32 v19, 3, v82
	;; [unrolled: 1-line block ×9, first 2 shown]
	s_wait_loadcnt 0x0
	s_barrier_signal -1
	s_barrier_wait -1
	global_inv scope:SCOPE_SE
	ds_store_b64 v16, v[34:35]
	ds_store_b64 v17, v[69:70]
	;; [unrolled: 1-line block ×8, first 2 shown]
	s_wait_loadcnt_dscnt 0x0
	s_barrier_signal -1
	s_barrier_wait -1
	global_inv scope:SCOPE_SE
	ds_load_b128 v[0:3], v24
	ds_load_b128 v[4:7], v24 offset:16
	ds_load_b128 v[8:11], v24 offset:32
	;; [unrolled: 1-line block ×3, first 2 shown]
	s_wait_loadcnt_dscnt 0x0
	s_barrier_signal -1
	s_barrier_wait -1
	global_inv scope:SCOPE_SE
	ds_store_b64 v16, v[60:61]
	ds_store_b64 v17, v[58:59]
	;; [unrolled: 1-line block ×8, first 2 shown]
	s_wait_loadcnt_dscnt 0x0
	s_barrier_signal -1
	s_barrier_wait -1
	global_inv scope:SCOPE_SE
	ds_load_b128 v[52:55], v24
	ds_load_b128 v[48:51], v24 offset:16
	ds_load_b128 v[60:63], v24 offset:32
	;; [unrolled: 1-line block ×3, first 2 shown]
	v_cmp_gt_i64_e32 vcc_lo, 0, v[0:1]
	v_ashrrev_i32_e32 v18, 31, v3
	v_ashrrev_i32_e32 v16, 31, v1
	s_wait_alu 0xfffd
	v_cndmask_b32_e64 v17, 0x7fffffff, 0, vcc_lo
	v_cmp_gt_i64_e32 vcc_lo, 0, v[2:3]
	v_not_b32_e32 v18, v18
	v_not_b32_e32 v16, v16
	s_delay_alu instid0(VALU_DEP_4)
	v_xor_b32_e32 v1, v17, v1
	v_ashrrev_i32_e32 v17, 31, v7
	s_wait_alu 0xfffd
	v_cndmask_b32_e64 v19, 0x7fffffff, 0, vcc_lo
	v_cmp_gt_i64_e32 vcc_lo, 0, v[4:5]
	v_xor_b32_e32 v2, v18, v2
	v_xor_b32_e32 v0, v16, v0
	v_ashrrev_i32_e32 v16, 31, v5
	v_xor_b32_e32 v3, v19, v3
	v_not_b32_e32 v17, v17
	s_wait_alu 0xfffd
	v_cndmask_b32_e64 v18, 0x7fffffff, 0, vcc_lo
	v_cmp_gt_i64_e32 vcc_lo, 0, v[6:7]
	v_not_b32_e32 v16, v16
	v_xor_b32_e32 v6, v17, v6
	s_delay_alu instid0(VALU_DEP_4)
	v_xor_b32_e32 v5, v18, v5
	v_ashrrev_i32_e32 v18, 31, v11
	s_wait_alu 0xfffd
	v_cndmask_b32_e64 v19, 0x7fffffff, 0, vcc_lo
	v_cmp_gt_i64_e32 vcc_lo, 0, v[8:9]
	v_xor_b32_e32 v4, v16, v4
	v_ashrrev_i32_e32 v16, 31, v9
	s_delay_alu instid0(VALU_DEP_4) | instskip(SKIP_4) | instid1(VALU_DEP_3)
	v_xor_b32_e32 v7, v19, v7
	s_wait_alu 0xfffd
	v_cndmask_b32_e64 v17, 0x7fffffff, 0, vcc_lo
	v_cmp_gt_i64_e32 vcc_lo, 0, v[10:11]
	v_not_b32_e32 v16, v16
	v_xor_b32_e32 v9, v17, v9
	v_ashrrev_i32_e32 v17, 31, v13
	s_wait_alu 0xfffd
	v_cndmask_b32_e64 v19, 0x7fffffff, 0, vcc_lo
	v_cmp_gt_i64_e32 vcc_lo, 0, v[12:13]
	v_xor_b32_e32 v8, v16, v8
	v_not_b32_e32 v16, v18
	v_ashrrev_i32_e32 v18, 31, v15
	v_xor_b32_e32 v11, v19, v11
	v_not_b32_e32 v17, v17
	s_wait_alu 0xfffd
	v_cndmask_b32_e64 v19, 0x7fffffff, 0, vcc_lo
	v_cmp_gt_i64_e32 vcc_lo, 0, v[14:15]
	v_not_b32_e32 v18, v18
	v_xor_b32_e32 v10, v16, v10
	v_xor_b32_e32 v12, v17, v12
	;; [unrolled: 1-line block ×3, first 2 shown]
	s_wait_alu 0xfffd
	v_cndmask_b32_e64 v20, 0x7fffffff, 0, vcc_lo
	v_xor_b32_e32 v14, v18, v14
	s_delay_alu instid0(VALU_DEP_2)
	v_xor_b32_e32 v15, v20, v15
.LBB185_92:
	s_wait_loadcnt_dscnt 0x0
	s_barrier_signal -1
	s_barrier_wait -1
	global_inv scope:SCOPE_SE
	ds_store_2addr_b64 v114, v[0:1], v[2:3] offset1:1
	ds_store_2addr_b64 v114, v[4:5], v[6:7] offset0:2 offset1:3
	ds_store_2addr_b64 v114, v[8:9], v[10:11] offset0:4 offset1:5
	;; [unrolled: 1-line block ×3, first 2 shown]
	s_wait_loadcnt_dscnt 0x0
	s_barrier_signal -1
	s_barrier_wait -1
	global_inv scope:SCOPE_SE
	ds_load_b64 v[14:15], v107 offset:4096
	ds_load_b64 v[12:13], v108 offset:8192
	;; [unrolled: 1-line block ×7, first 2 shown]
	v_mov_b32_e32 v72, 0
	s_delay_alu instid0(VALU_DEP_1) | instskip(NEXT) | instid1(VALU_DEP_1)
	v_lshlrev_b64_e32 v[2:3], 3, v[71:72]
	v_add_co_u32 v2, vcc_lo, s30, v2
	s_wait_alu 0xfffd
	s_delay_alu instid0(VALU_DEP_2)
	v_add_co_ci_u32_e64 v3, null, s31, v3, vcc_lo
	s_and_saveexec_b32 s8, s0
	s_cbranch_execnz .LBB185_111
; %bb.93:
	s_wait_alu 0xfffe
	s_or_b32 exec_lo, exec_lo, s8
	s_and_saveexec_b32 s8, s1
	s_cbranch_execnz .LBB185_112
.LBB185_94:
	s_wait_alu 0xfffe
	s_or_b32 exec_lo, exec_lo, s8
	s_and_saveexec_b32 s8, s2
	s_cbranch_execnz .LBB185_113
.LBB185_95:
	s_wait_alu 0xfffe
	s_or_b32 exec_lo, exec_lo, s8
	s_and_saveexec_b32 s8, s3
	s_cbranch_execnz .LBB185_114
.LBB185_96:
	s_wait_alu 0xfffe
	s_or_b32 exec_lo, exec_lo, s8
	s_and_saveexec_b32 s8, s4
	s_cbranch_execnz .LBB185_115
.LBB185_97:
	s_wait_alu 0xfffe
	s_or_b32 exec_lo, exec_lo, s8
	s_and_saveexec_b32 s8, s5
	s_cbranch_execnz .LBB185_116
.LBB185_98:
	s_wait_alu 0xfffe
	s_or_b32 exec_lo, exec_lo, s8
	s_and_saveexec_b32 s8, s6
	s_cbranch_execnz .LBB185_117
.LBB185_99:
	s_wait_alu 0xfffe
	s_or_b32 exec_lo, exec_lo, s8
	s_and_saveexec_b32 s8, s7
	s_cbranch_execz .LBB185_101
.LBB185_100:
	s_mul_i32 s10, s26, 0xe00
	s_mov_b32 s11, 0
	s_wait_alu 0xfffe
	s_lshl_b64 s[10:11], s[10:11], 3
	s_wait_alu 0xfffe
	v_add_co_u32 v2, vcc_lo, v2, s10
	s_wait_alu 0xfffd
	v_add_co_ci_u32_e64 v3, null, s11, v3, vcc_lo
	s_wait_dscnt 0x0
	global_store_b64 v[2:3], v[0:1], off
.LBB185_101:
	s_wait_alu 0xfffe
	s_or_b32 exec_lo, exec_lo, s8
	s_wait_storecnt 0x0
	s_wait_loadcnt_dscnt 0x0
	s_barrier_signal -1
	s_barrier_wait -1
	global_inv scope:SCOPE_SE
	ds_store_2addr_b64 v114, v[52:53], v[54:55] offset1:1
	ds_store_2addr_b64 v114, v[48:49], v[50:51] offset0:2 offset1:3
	ds_store_2addr_b64 v114, v[60:61], v[62:63] offset0:4 offset1:5
	;; [unrolled: 1-line block ×3, first 2 shown]
	s_wait_loadcnt_dscnt 0x0
	s_barrier_signal -1
	s_barrier_wait -1
	global_inv scope:SCOPE_SE
	ds_load_b64 v[14:15], v107 offset:4096
	ds_load_b64 v[12:13], v108 offset:8192
	;; [unrolled: 1-line block ×7, first 2 shown]
	v_mov_b32_e32 v69, 0
	s_delay_alu instid0(VALU_DEP_1) | instskip(NEXT) | instid1(VALU_DEP_1)
	v_lshlrev_b64_e32 v[2:3], 3, v[68:69]
	v_add_co_u32 v2, vcc_lo, s24, v2
	s_wait_alu 0xfffd
	s_delay_alu instid0(VALU_DEP_2)
	v_add_co_ci_u32_e64 v3, null, s25, v3, vcc_lo
	s_and_saveexec_b32 s8, s0
	s_cbranch_execnz .LBB185_118
; %bb.102:
	s_wait_alu 0xfffe
	s_or_b32 exec_lo, exec_lo, s8
	s_and_saveexec_b32 s0, s1
	s_cbranch_execnz .LBB185_119
.LBB185_103:
	s_or_b32 exec_lo, exec_lo, s0
	s_and_saveexec_b32 s0, s2
	s_cbranch_execnz .LBB185_120
.LBB185_104:
	s_or_b32 exec_lo, exec_lo, s0
	s_and_saveexec_b32 s0, s3
	s_cbranch_execnz .LBB185_121
.LBB185_105:
	s_or_b32 exec_lo, exec_lo, s0
	s_and_saveexec_b32 s0, s4
	s_cbranch_execnz .LBB185_122
.LBB185_106:
	s_or_b32 exec_lo, exec_lo, s0
	s_and_saveexec_b32 s0, s5
	s_cbranch_execnz .LBB185_123
.LBB185_107:
	s_or_b32 exec_lo, exec_lo, s0
	s_and_saveexec_b32 s0, s6
	s_cbranch_execnz .LBB185_124
.LBB185_108:
	s_or_b32 exec_lo, exec_lo, s0
	s_and_saveexec_b32 s0, s7
	s_cbranch_execz .LBB185_110
.LBB185_109:
	s_mul_i32 s0, s28, 0xe00
	s_mov_b32 s1, 0
	s_delay_alu instid0(SALU_CYCLE_1) | instskip(NEXT) | instid1(SALU_CYCLE_1)
	s_lshl_b64 s[0:1], s[0:1], 3
	v_add_co_u32 v2, vcc_lo, v2, s0
	s_wait_alu 0xfffd
	v_add_co_ci_u32_e64 v3, null, s1, v3, vcc_lo
	s_wait_dscnt 0x0
	global_store_b64 v[2:3], v[0:1], off
.LBB185_110:
	s_nop 0
	s_sendmsg sendmsg(MSG_DEALLOC_VGPRS)
	s_endpgm
.LBB185_111:
	ds_load_b64 v[16:17], v106
	s_wait_dscnt 0x0
	global_store_b64 v[2:3], v[16:17], off
	s_wait_alu 0xfffe
	s_or_b32 exec_lo, exec_lo, s8
	s_and_saveexec_b32 s8, s1
	s_cbranch_execz .LBB185_94
.LBB185_112:
	s_lshl_b32 s10, s26, 9
	s_mov_b32 s11, 0
	s_wait_alu 0xfffe
	s_lshl_b64 s[10:11], s[10:11], 3
	s_wait_alu 0xfffe
	v_add_co_u32 v16, vcc_lo, v2, s10
	s_wait_alu 0xfffd
	v_add_co_ci_u32_e64 v17, null, s11, v3, vcc_lo
	s_wait_dscnt 0x6
	global_store_b64 v[16:17], v[14:15], off
	s_or_b32 exec_lo, exec_lo, s8
	s_and_saveexec_b32 s8, s2
	s_cbranch_execz .LBB185_95
.LBB185_113:
	s_lshl_b32 s10, s26, 10
	s_mov_b32 s11, 0
	s_wait_alu 0xfffe
	s_lshl_b64 s[10:11], s[10:11], 3
	s_wait_dscnt 0x6
	s_wait_alu 0xfffe
	v_add_co_u32 v14, vcc_lo, v2, s10
	s_wait_alu 0xfffd
	v_add_co_ci_u32_e64 v15, null, s11, v3, vcc_lo
	s_wait_dscnt 0x5
	global_store_b64 v[14:15], v[12:13], off
	s_or_b32 exec_lo, exec_lo, s8
	s_and_saveexec_b32 s8, s3
	s_cbranch_execz .LBB185_96
.LBB185_114:
	s_mul_i32 s10, s26, 0x600
	s_mov_b32 s11, 0
	s_wait_alu 0xfffe
	s_lshl_b64 s[10:11], s[10:11], 3
	s_wait_dscnt 0x5
	s_wait_alu 0xfffe
	v_add_co_u32 v12, vcc_lo, v2, s10
	s_wait_alu 0xfffd
	v_add_co_ci_u32_e64 v13, null, s11, v3, vcc_lo
	s_wait_dscnt 0x4
	global_store_b64 v[12:13], v[10:11], off
	s_or_b32 exec_lo, exec_lo, s8
	s_and_saveexec_b32 s8, s4
	s_cbranch_execz .LBB185_97
.LBB185_115:
	s_lshl_b32 s10, s26, 11
	s_mov_b32 s11, 0
	s_wait_alu 0xfffe
	s_lshl_b64 s[10:11], s[10:11], 3
	s_wait_dscnt 0x4
	s_wait_alu 0xfffe
	v_add_co_u32 v10, vcc_lo, v2, s10
	s_wait_alu 0xfffd
	v_add_co_ci_u32_e64 v11, null, s11, v3, vcc_lo
	s_wait_dscnt 0x3
	global_store_b64 v[10:11], v[8:9], off
	s_or_b32 exec_lo, exec_lo, s8
	s_and_saveexec_b32 s8, s5
	s_cbranch_execz .LBB185_98
.LBB185_116:
	s_mul_i32 s10, s26, 0xa00
	s_mov_b32 s11, 0
	s_wait_alu 0xfffe
	s_lshl_b64 s[10:11], s[10:11], 3
	s_wait_dscnt 0x3
	s_wait_alu 0xfffe
	v_add_co_u32 v8, vcc_lo, v2, s10
	s_wait_alu 0xfffd
	v_add_co_ci_u32_e64 v9, null, s11, v3, vcc_lo
	s_wait_dscnt 0x2
	global_store_b64 v[8:9], v[6:7], off
	s_or_b32 exec_lo, exec_lo, s8
	s_and_saveexec_b32 s8, s6
	s_cbranch_execz .LBB185_99
.LBB185_117:
	s_mul_i32 s10, s26, 0xc00
	s_mov_b32 s11, 0
	s_wait_alu 0xfffe
	s_lshl_b64 s[10:11], s[10:11], 3
	s_wait_dscnt 0x2
	s_wait_alu 0xfffe
	v_add_co_u32 v6, vcc_lo, v2, s10
	s_wait_alu 0xfffd
	v_add_co_ci_u32_e64 v7, null, s11, v3, vcc_lo
	s_wait_dscnt 0x1
	global_store_b64 v[6:7], v[4:5], off
	s_or_b32 exec_lo, exec_lo, s8
	s_and_saveexec_b32 s8, s7
	s_cbranch_execnz .LBB185_100
	s_branch .LBB185_101
.LBB185_118:
	ds_load_b64 v[16:17], v106
	s_wait_dscnt 0x0
	global_store_b64 v[2:3], v[16:17], off
	s_wait_alu 0xfffe
	s_or_b32 exec_lo, exec_lo, s8
	s_and_saveexec_b32 s0, s1
	s_cbranch_execz .LBB185_103
.LBB185_119:
	s_lshl_b32 s8, s28, 9
	s_mov_b32 s9, 0
	s_wait_alu 0xfffe
	s_lshl_b64 s[8:9], s[8:9], 3
	s_wait_alu 0xfffe
	v_add_co_u32 v16, vcc_lo, v2, s8
	s_wait_alu 0xfffd
	v_add_co_ci_u32_e64 v17, null, s9, v3, vcc_lo
	s_wait_dscnt 0x6
	global_store_b64 v[16:17], v[14:15], off
	s_or_b32 exec_lo, exec_lo, s0
	s_and_saveexec_b32 s0, s2
	s_cbranch_execz .LBB185_104
.LBB185_120:
	s_lshl_b32 s8, s28, 10
	s_mov_b32 s9, 0
	s_wait_alu 0xfffe
	s_lshl_b64 s[8:9], s[8:9], 3
	s_wait_dscnt 0x6
	s_wait_alu 0xfffe
	v_add_co_u32 v14, vcc_lo, v2, s8
	s_wait_alu 0xfffd
	v_add_co_ci_u32_e64 v15, null, s9, v3, vcc_lo
	s_wait_dscnt 0x5
	global_store_b64 v[14:15], v[12:13], off
	s_or_b32 exec_lo, exec_lo, s0
	s_and_saveexec_b32 s0, s3
	s_cbranch_execz .LBB185_105
.LBB185_121:
	s_mul_i32 s2, s28, 0x600
	s_mov_b32 s3, 0
	s_wait_alu 0xfffe
	s_lshl_b64 s[2:3], s[2:3], 3
	s_wait_dscnt 0x5
	s_wait_alu 0xfffe
	v_add_co_u32 v12, vcc_lo, v2, s2
	s_wait_alu 0xfffd
	v_add_co_ci_u32_e64 v13, null, s3, v3, vcc_lo
	s_wait_dscnt 0x4
	global_store_b64 v[12:13], v[10:11], off
	s_or_b32 exec_lo, exec_lo, s0
	s_and_saveexec_b32 s0, s4
	s_cbranch_execz .LBB185_106
.LBB185_122:
	s_lshl_b32 s2, s28, 11
	s_mov_b32 s3, 0
	s_wait_alu 0xfffe
	s_lshl_b64 s[2:3], s[2:3], 3
	s_wait_dscnt 0x4
	s_wait_alu 0xfffe
	v_add_co_u32 v10, vcc_lo, v2, s2
	s_wait_alu 0xfffd
	v_add_co_ci_u32_e64 v11, null, s3, v3, vcc_lo
	s_wait_dscnt 0x3
	global_store_b64 v[10:11], v[8:9], off
	s_or_b32 exec_lo, exec_lo, s0
	s_and_saveexec_b32 s0, s5
	s_cbranch_execz .LBB185_107
.LBB185_123:
	s_mul_i32 s2, s28, 0xa00
	s_mov_b32 s3, 0
	s_wait_alu 0xfffe
	s_lshl_b64 s[2:3], s[2:3], 3
	s_wait_dscnt 0x3
	s_wait_alu 0xfffe
	v_add_co_u32 v8, vcc_lo, v2, s2
	s_wait_alu 0xfffd
	v_add_co_ci_u32_e64 v9, null, s3, v3, vcc_lo
	s_wait_dscnt 0x2
	global_store_b64 v[8:9], v[6:7], off
	s_or_b32 exec_lo, exec_lo, s0
	s_and_saveexec_b32 s0, s6
	s_cbranch_execz .LBB185_108
.LBB185_124:
	s_mul_i32 s2, s28, 0xc00
	s_mov_b32 s3, 0
	s_wait_alu 0xfffe
	s_lshl_b64 s[2:3], s[2:3], 3
	s_wait_dscnt 0x2
	s_wait_alu 0xfffe
	v_add_co_u32 v6, vcc_lo, v2, s2
	s_wait_alu 0xfffd
	v_add_co_ci_u32_e64 v7, null, s3, v3, vcc_lo
	s_wait_dscnt 0x1
	global_store_b64 v[6:7], v[4:5], off
	s_or_b32 exec_lo, exec_lo, s0
	s_and_saveexec_b32 s0, s7
	s_cbranch_execnz .LBB185_109
	s_branch .LBB185_110
	.section	.rodata,"a",@progbits
	.p2align	6, 0x0
	.amdhsa_kernel _ZN2at6native18radixSortKVInPlaceILi2ELin1ELi512ELi8EdljEEvNS_4cuda6detail10TensorInfoIT3_T5_EES6_S6_S6_NS4_IT4_S6_EES6_b
		.amdhsa_group_segment_fixed_size 33792
		.amdhsa_private_segment_fixed_size 0
		.amdhsa_kernarg_size 712
		.amdhsa_user_sgpr_count 2
		.amdhsa_user_sgpr_dispatch_ptr 0
		.amdhsa_user_sgpr_queue_ptr 0
		.amdhsa_user_sgpr_kernarg_segment_ptr 1
		.amdhsa_user_sgpr_dispatch_id 0
		.amdhsa_user_sgpr_private_segment_size 0
		.amdhsa_wavefront_size32 1
		.amdhsa_uses_dynamic_stack 0
		.amdhsa_enable_private_segment 0
		.amdhsa_system_sgpr_workgroup_id_x 1
		.amdhsa_system_sgpr_workgroup_id_y 1
		.amdhsa_system_sgpr_workgroup_id_z 1
		.amdhsa_system_sgpr_workgroup_info 0
		.amdhsa_system_vgpr_workitem_id 2
		.amdhsa_next_free_vgpr 143
		.amdhsa_next_free_sgpr 40
		.amdhsa_reserve_vcc 1
		.amdhsa_float_round_mode_32 0
		.amdhsa_float_round_mode_16_64 0
		.amdhsa_float_denorm_mode_32 3
		.amdhsa_float_denorm_mode_16_64 3
		.amdhsa_fp16_overflow 0
		.amdhsa_workgroup_processor_mode 1
		.amdhsa_memory_ordered 1
		.amdhsa_forward_progress 1
		.amdhsa_inst_pref_size 125
		.amdhsa_round_robin_scheduling 0
		.amdhsa_exception_fp_ieee_invalid_op 0
		.amdhsa_exception_fp_denorm_src 0
		.amdhsa_exception_fp_ieee_div_zero 0
		.amdhsa_exception_fp_ieee_overflow 0
		.amdhsa_exception_fp_ieee_underflow 0
		.amdhsa_exception_fp_ieee_inexact 0
		.amdhsa_exception_int_div_zero 0
	.end_amdhsa_kernel
	.section	.text._ZN2at6native18radixSortKVInPlaceILi2ELin1ELi512ELi8EdljEEvNS_4cuda6detail10TensorInfoIT3_T5_EES6_S6_S6_NS4_IT4_S6_EES6_b,"axG",@progbits,_ZN2at6native18radixSortKVInPlaceILi2ELin1ELi512ELi8EdljEEvNS_4cuda6detail10TensorInfoIT3_T5_EES6_S6_S6_NS4_IT4_S6_EES6_b,comdat
.Lfunc_end185:
	.size	_ZN2at6native18radixSortKVInPlaceILi2ELin1ELi512ELi8EdljEEvNS_4cuda6detail10TensorInfoIT3_T5_EES6_S6_S6_NS4_IT4_S6_EES6_b, .Lfunc_end185-_ZN2at6native18radixSortKVInPlaceILi2ELin1ELi512ELi8EdljEEvNS_4cuda6detail10TensorInfoIT3_T5_EES6_S6_S6_NS4_IT4_S6_EES6_b
                                        ; -- End function
	.set _ZN2at6native18radixSortKVInPlaceILi2ELin1ELi512ELi8EdljEEvNS_4cuda6detail10TensorInfoIT3_T5_EES6_S6_S6_NS4_IT4_S6_EES6_b.num_vgpr, 143
	.set _ZN2at6native18radixSortKVInPlaceILi2ELin1ELi512ELi8EdljEEvNS_4cuda6detail10TensorInfoIT3_T5_EES6_S6_S6_NS4_IT4_S6_EES6_b.num_agpr, 0
	.set _ZN2at6native18radixSortKVInPlaceILi2ELin1ELi512ELi8EdljEEvNS_4cuda6detail10TensorInfoIT3_T5_EES6_S6_S6_NS4_IT4_S6_EES6_b.numbered_sgpr, 40
	.set _ZN2at6native18radixSortKVInPlaceILi2ELin1ELi512ELi8EdljEEvNS_4cuda6detail10TensorInfoIT3_T5_EES6_S6_S6_NS4_IT4_S6_EES6_b.num_named_barrier, 0
	.set _ZN2at6native18radixSortKVInPlaceILi2ELin1ELi512ELi8EdljEEvNS_4cuda6detail10TensorInfoIT3_T5_EES6_S6_S6_NS4_IT4_S6_EES6_b.private_seg_size, 0
	.set _ZN2at6native18radixSortKVInPlaceILi2ELin1ELi512ELi8EdljEEvNS_4cuda6detail10TensorInfoIT3_T5_EES6_S6_S6_NS4_IT4_S6_EES6_b.uses_vcc, 1
	.set _ZN2at6native18radixSortKVInPlaceILi2ELin1ELi512ELi8EdljEEvNS_4cuda6detail10TensorInfoIT3_T5_EES6_S6_S6_NS4_IT4_S6_EES6_b.uses_flat_scratch, 0
	.set _ZN2at6native18radixSortKVInPlaceILi2ELin1ELi512ELi8EdljEEvNS_4cuda6detail10TensorInfoIT3_T5_EES6_S6_S6_NS4_IT4_S6_EES6_b.has_dyn_sized_stack, 0
	.set _ZN2at6native18radixSortKVInPlaceILi2ELin1ELi512ELi8EdljEEvNS_4cuda6detail10TensorInfoIT3_T5_EES6_S6_S6_NS4_IT4_S6_EES6_b.has_recursion, 0
	.set _ZN2at6native18radixSortKVInPlaceILi2ELin1ELi512ELi8EdljEEvNS_4cuda6detail10TensorInfoIT3_T5_EES6_S6_S6_NS4_IT4_S6_EES6_b.has_indirect_call, 0
	.section	.AMDGPU.csdata,"",@progbits
; Kernel info:
; codeLenInByte = 15932
; TotalNumSgprs: 42
; NumVgprs: 143
; ScratchSize: 0
; MemoryBound: 0
; FloatMode: 240
; IeeeMode: 1
; LDSByteSize: 33792 bytes/workgroup (compile time only)
; SGPRBlocks: 0
; VGPRBlocks: 17
; NumSGPRsForWavesPerEU: 42
; NumVGPRsForWavesPerEU: 143
; Occupancy: 10
; WaveLimiterHint : 1
; COMPUTE_PGM_RSRC2:SCRATCH_EN: 0
; COMPUTE_PGM_RSRC2:USER_SGPR: 2
; COMPUTE_PGM_RSRC2:TRAP_HANDLER: 0
; COMPUTE_PGM_RSRC2:TGID_X_EN: 1
; COMPUTE_PGM_RSRC2:TGID_Y_EN: 1
; COMPUTE_PGM_RSRC2:TGID_Z_EN: 1
; COMPUTE_PGM_RSRC2:TIDIG_COMP_CNT: 2
	.section	.text._ZN2at6native18radixSortKVInPlaceILi2ELin1ELi256ELi8EdljEEvNS_4cuda6detail10TensorInfoIT3_T5_EES6_S6_S6_NS4_IT4_S6_EES6_b,"axG",@progbits,_ZN2at6native18radixSortKVInPlaceILi2ELin1ELi256ELi8EdljEEvNS_4cuda6detail10TensorInfoIT3_T5_EES6_S6_S6_NS4_IT4_S6_EES6_b,comdat
	.protected	_ZN2at6native18radixSortKVInPlaceILi2ELin1ELi256ELi8EdljEEvNS_4cuda6detail10TensorInfoIT3_T5_EES6_S6_S6_NS4_IT4_S6_EES6_b ; -- Begin function _ZN2at6native18radixSortKVInPlaceILi2ELin1ELi256ELi8EdljEEvNS_4cuda6detail10TensorInfoIT3_T5_EES6_S6_S6_NS4_IT4_S6_EES6_b
	.globl	_ZN2at6native18radixSortKVInPlaceILi2ELin1ELi256ELi8EdljEEvNS_4cuda6detail10TensorInfoIT3_T5_EES6_S6_S6_NS4_IT4_S6_EES6_b
	.p2align	8
	.type	_ZN2at6native18radixSortKVInPlaceILi2ELin1ELi256ELi8EdljEEvNS_4cuda6detail10TensorInfoIT3_T5_EES6_S6_S6_NS4_IT4_S6_EES6_b,@function
_ZN2at6native18radixSortKVInPlaceILi2ELin1ELi256ELi8EdljEEvNS_4cuda6detail10TensorInfoIT3_T5_EES6_S6_S6_NS4_IT4_S6_EES6_b: ; @_ZN2at6native18radixSortKVInPlaceILi2ELin1ELi256ELi8EdljEEvNS_4cuda6detail10TensorInfoIT3_T5_EES6_S6_S6_NS4_IT4_S6_EES6_b
; %bb.0:
	s_clause 0x1
	s_load_b64 s[2:3], s[0:1], 0x1c8
	s_load_b96 s[20:22], s[0:1], 0xd8
	s_lshr_b32 s4, ttmp7, 16
	s_wait_kmcnt 0x0
	s_mul_i32 s3, s3, s4
	s_and_b32 s4, ttmp7, 0xffff
	s_delay_alu instid0(SALU_CYCLE_1) | instskip(NEXT) | instid1(SALU_CYCLE_1)
	s_add_co_i32 s3, s3, s4
	s_mul_i32 s2, s3, s2
	s_delay_alu instid0(SALU_CYCLE_1) | instskip(NEXT) | instid1(SALU_CYCLE_1)
	s_add_co_i32 s2, s2, ttmp9
	s_cmp_ge_u32 s2, s20
	s_cbranch_scc1 .LBB186_110
; %bb.1:
	s_clause 0x2
	s_load_b32 s10, s[0:1], 0xc
	s_load_b64 s[6:7], s[0:1], 0x6c
	s_load_b32 s8, s[0:1], 0x1b8
	s_add_nc_u64 s[34:35], s[0:1], 0xe8
	s_mov_b32 s23, s2
	s_wait_kmcnt 0x0
	s_cvt_f32_u32 s3, s10
	s_delay_alu instid0(SALU_CYCLE_3) | instskip(NEXT) | instid1(TRANS32_DEP_1)
	v_rcp_iflag_f32_e32 v1, s3
	v_readfirstlane_b32 s3, v1
	s_mul_f32 s3, s3, 0x4f7ffffe
	s_wait_alu 0xfffe
	s_delay_alu instid0(SALU_CYCLE_2) | instskip(SKIP_2) | instid1(SALU_CYCLE_1)
	s_cvt_u32_f32 s4, s3
	s_sub_co_i32 s3, 0, s10
	s_wait_alu 0xfffe
	s_mul_i32 s5, s3, s4
	s_mov_b32 s3, 0
	s_mul_hi_u32 s9, s4, s5
	s_wait_alu 0xfffe
	s_mov_b32 s5, s3
	s_add_co_i32 s4, s4, s9
	s_cmp_lt_i32 s8, 2
	s_mov_b32 s27, s3
	s_cbranch_scc1 .LBB186_4
; %bb.2:
	s_add_co_i32 s26, s8, -1
	s_mov_b32 s27, 0
	s_add_co_i32 s11, s8, 1
	s_lshl_b64 s[12:13], s[26:27], 2
	s_mov_b32 s23, s2
	s_add_nc_u64 s[12:13], s[34:35], s[12:13]
	s_delay_alu instid0(SALU_CYCLE_1)
	s_add_nc_u64 s[8:9], s[12:13], 8
.LBB186_3:                              ; =>This Inner Loop Header: Depth=1
	s_clause 0x1
	s_load_b32 s12, s[8:9], 0x0
	s_load_b32 s13, s[8:9], 0x64
	s_mov_b32 s16, s23
	s_add_nc_u64 s[8:9], s[8:9], -4
	s_wait_kmcnt 0x0
	s_cvt_f32_u32 s14, s12
	s_sub_co_i32 s15, 0, s12
	s_wait_alu 0xfffe
	s_delay_alu instid0(SALU_CYCLE_1) | instskip(NEXT) | instid1(TRANS32_DEP_1)
	v_rcp_iflag_f32_e32 v1, s14
	v_readfirstlane_b32 s14, v1
	s_mul_f32 s14, s14, 0x4f7ffffe
	s_wait_alu 0xfffe
	s_delay_alu instid0(SALU_CYCLE_2) | instskip(SKIP_1) | instid1(SALU_CYCLE_2)
	s_cvt_u32_f32 s14, s14
	s_wait_alu 0xfffe
	s_mul_i32 s15, s15, s14
	s_wait_alu 0xfffe
	s_mul_hi_u32 s15, s14, s15
	s_wait_alu 0xfffe
	s_add_co_i32 s14, s14, s15
	s_wait_alu 0xfffe
	s_mul_hi_u32 s14, s23, s14
	s_wait_alu 0xfffe
	s_mul_i32 s15, s14, s12
	s_add_co_i32 s17, s14, 1
	s_wait_alu 0xfffe
	s_sub_co_i32 s15, s23, s15
	s_wait_alu 0xfffe
	s_sub_co_i32 s18, s15, s12
	s_cmp_ge_u32 s15, s12
	s_cselect_b32 s14, s17, s14
	s_cselect_b32 s15, s18, s15
	s_wait_alu 0xfffe
	s_add_co_i32 s17, s14, 1
	s_cmp_ge_u32 s15, s12
	s_cselect_b32 s23, s17, s14
	s_add_co_i32 s11, s11, -1
	s_mul_i32 s12, s23, s12
	s_delay_alu instid0(SALU_CYCLE_1) | instskip(NEXT) | instid1(SALU_CYCLE_1)
	s_sub_co_i32 s12, s16, s12
	s_mul_i32 s12, s13, s12
	s_delay_alu instid0(SALU_CYCLE_1)
	s_add_co_i32 s27, s12, s27
	s_cmp_gt_u32 s11, 2
	s_cbranch_scc1 .LBB186_3
.LBB186_4:
	s_mul_u64 s[4:5], s[2:3], s[4:5]
	s_clause 0x1
	s_load_b64 s[30:31], s[0:1], 0x0
	s_load_b64 s[28:29], s[0:1], 0x1c0
	s_mul_i32 s3, s5, s10
	s_add_nc_u64 s[24:25], s[0:1], 0x1c8
	s_wait_alu 0xfffe
	s_sub_co_i32 s0, s2, s3
	s_add_co_i32 s1, s5, 1
	s_sub_co_i32 s3, s0, s10
	s_cmp_ge_u32 s0, s10
	s_mov_b32 s4, -1
	s_cselect_b32 s1, s1, s5
	s_wait_alu 0xfffe
	s_cselect_b32 s0, s3, s0
	s_add_co_i32 s3, s1, 1
	s_cmp_ge_u32 s0, s10
	s_mov_b32 s8, s4
	s_wait_alu 0xfffe
	s_cselect_b32 s0, s3, s1
	s_mov_b32 s1, 0
	s_mul_i32 s3, s0, s10
	s_mul_i32 s0, s0, s6
	s_wait_alu 0xfffe
	s_sub_co_i32 s2, s2, s3
	s_mov_b32 s6, s4
	s_wait_alu 0xfffe
	s_mul_i32 s2, s2, s7
	s_mov_b32 s10, s4
	s_wait_alu 0xfffe
	s_add_co_i32 s0, s0, s2
	s_wait_kmcnt 0x0
	s_bitcmp1_b32 s29, 0
	s_mov_b32 s12, s4
	s_cselect_b32 s20, -1, 0
	s_lshl_b64 s[2:3], s[0:1], 3
	s_and_b32 s0, s20, exec_lo
	s_cselect_b32 s5, -1, 0x7fffffff
	s_mov_b32 s14, s4
	s_mov_b32 s7, s5
	;; [unrolled: 1-line block ×10, first 2 shown]
	v_and_b32_e32 v73, 0x3ff, v0
	v_dual_mov_b32 v1, s4 :: v_dual_mov_b32 v4, s7
	v_dual_mov_b32 v2, s5 :: v_dual_mov_b32 v15, s18
	v_mov_b32_e32 v18, s5
	s_delay_alu instid0(VALU_DEP_4)
	v_mul_lo_u32 v71, s22, v73
	v_cmp_gt_u32_e64 s0, s21, v73
	v_dual_mov_b32 v3, s6 :: v_dual_mov_b32 v6, s9
	v_dual_mov_b32 v5, s8 :: v_dual_mov_b32 v8, s11
	;; [unrolled: 1-line block ×3, first 2 shown]
	s_wait_alu 0xfffe
	v_dual_mov_b32 v9, s12 :: v_dual_mov_b32 v12, s15
	v_dual_mov_b32 v11, s14 :: v_dual_mov_b32 v14, s17
	;; [unrolled: 1-line block ×3, first 2 shown]
	v_mov_b32_e32 v17, s4
	s_add_nc_u64 s[30:31], s[30:31], s[2:3]
	s_and_saveexec_b32 s1, s0
	s_cbranch_execz .LBB186_6
; %bb.5:
	v_mov_b32_e32 v72, 0
	s_delay_alu instid0(VALU_DEP_1) | instskip(NEXT) | instid1(VALU_DEP_1)
	v_lshlrev_b64_e32 v[1:2], 3, v[71:72]
	v_add_co_u32 v1, vcc_lo, s30, v1
	s_delay_alu instid0(VALU_DEP_1)
	v_add_co_ci_u32_e64 v2, null, s31, v2, vcc_lo
	global_load_b64 v[17:18], v[1:2], off
	v_dual_mov_b32 v1, s4 :: v_dual_mov_b32 v2, s5
	v_dual_mov_b32 v3, s6 :: v_dual_mov_b32 v4, s7
	;; [unrolled: 1-line block ×8, first 2 shown]
.LBB186_6:
	s_or_b32 exec_lo, exec_lo, s1
	v_add_nc_u32_e32 v32, 0x100, v73
	s_delay_alu instid0(VALU_DEP_1)
	v_cmp_gt_u32_e64 s1, s21, v32
	s_and_saveexec_b32 s2, s1
	s_cbranch_execz .LBB186_8
; %bb.7:
	v_mul_lo_u32 v1, s22, v32
	v_mov_b32_e32 v2, 0
	s_delay_alu instid0(VALU_DEP_1) | instskip(NEXT) | instid1(VALU_DEP_1)
	v_lshlrev_b64_e32 v[1:2], 3, v[1:2]
	v_add_co_u32 v1, vcc_lo, s30, v1
	s_wait_alu 0xfffd
	s_delay_alu instid0(VALU_DEP_2)
	v_add_co_ci_u32_e64 v2, null, s31, v2, vcc_lo
	global_load_b64 v[3:4], v[1:2], off
.LBB186_8:
	s_wait_alu 0xfffe
	s_or_b32 exec_lo, exec_lo, s2
	v_add_nc_u32_e32 v33, 0x200, v73
	s_delay_alu instid0(VALU_DEP_1)
	v_cmp_gt_u32_e64 s2, s21, v33
	s_and_saveexec_b32 s3, s2
	s_cbranch_execz .LBB186_10
; %bb.9:
	v_mul_lo_u32 v1, s22, v33
	v_mov_b32_e32 v2, 0
	s_delay_alu instid0(VALU_DEP_1) | instskip(NEXT) | instid1(VALU_DEP_1)
	v_lshlrev_b64_e32 v[1:2], 3, v[1:2]
	v_add_co_u32 v1, vcc_lo, s30, v1
	s_wait_alu 0xfffd
	s_delay_alu instid0(VALU_DEP_2)
	v_add_co_ci_u32_e64 v2, null, s31, v2, vcc_lo
	global_load_b64 v[5:6], v[1:2], off
.LBB186_10:
	s_wait_alu 0xfffe
	;; [unrolled: 18-line block ×3, first 2 shown]
	s_or_b32 exec_lo, exec_lo, s4
	v_or_b32_e32 v35, 0x400, v73
	s_delay_alu instid0(VALU_DEP_1)
	v_cmp_gt_u32_e64 s4, s21, v35
	s_and_saveexec_b32 s5, s4
	s_cbranch_execz .LBB186_14
; %bb.13:
	v_mul_lo_u32 v1, s22, v35
	v_mov_b32_e32 v2, 0
	s_delay_alu instid0(VALU_DEP_1) | instskip(NEXT) | instid1(VALU_DEP_1)
	v_lshlrev_b64_e32 v[1:2], 3, v[1:2]
	v_add_co_u32 v1, vcc_lo, s30, v1
	s_wait_alu 0xfffd
	s_delay_alu instid0(VALU_DEP_2)
	v_add_co_ci_u32_e64 v2, null, s31, v2, vcc_lo
	global_load_b64 v[9:10], v[1:2], off
.LBB186_14:
	s_wait_alu 0xfffe
	s_or_b32 exec_lo, exec_lo, s5
	v_add_nc_u32_e32 v36, 0x500, v73
	s_delay_alu instid0(VALU_DEP_1)
	v_cmp_gt_u32_e64 s5, s21, v36
	s_and_saveexec_b32 s6, s5
	s_cbranch_execz .LBB186_16
; %bb.15:
	v_mul_lo_u32 v1, s22, v36
	v_mov_b32_e32 v2, 0
	s_delay_alu instid0(VALU_DEP_1) | instskip(NEXT) | instid1(VALU_DEP_1)
	v_lshlrev_b64_e32 v[1:2], 3, v[1:2]
	v_add_co_u32 v1, vcc_lo, s30, v1
	s_wait_alu 0xfffd
	s_delay_alu instid0(VALU_DEP_2)
	v_add_co_ci_u32_e64 v2, null, s31, v2, vcc_lo
	global_load_b64 v[11:12], v[1:2], off
.LBB186_16:
	s_wait_alu 0xfffe
	s_or_b32 exec_lo, exec_lo, s6
	v_add_nc_u32_e32 v37, 0x600, v73
	s_delay_alu instid0(VALU_DEP_1)
	v_cmp_gt_u32_e64 s6, s21, v37
	s_and_saveexec_b32 s7, s6
	s_cbranch_execz .LBB186_18
; %bb.17:
	v_mul_lo_u32 v1, s22, v37
	v_mov_b32_e32 v2, 0
	s_delay_alu instid0(VALU_DEP_1) | instskip(NEXT) | instid1(VALU_DEP_1)
	v_lshlrev_b64_e32 v[1:2], 3, v[1:2]
	v_add_co_u32 v1, vcc_lo, s30, v1
	s_wait_alu 0xfffd
	s_delay_alu instid0(VALU_DEP_2)
	v_add_co_ci_u32_e64 v2, null, s31, v2, vcc_lo
	global_load_b64 v[13:14], v[1:2], off
.LBB186_18:
	s_wait_alu 0xfffe
	s_or_b32 exec_lo, exec_lo, s7
	s_clause 0x1
	s_load_b32 s10, s[34:35], 0x6c
	s_load_b64 s[8:9], s[34:35], 0x0
	v_add_nc_u32_e32 v38, 0x700, v73
	s_delay_alu instid0(VALU_DEP_1)
	v_cmp_gt_u32_e64 s7, s21, v38
	s_and_saveexec_b32 s11, s7
	s_cbranch_execz .LBB186_20
; %bb.19:
	v_mul_lo_u32 v1, s22, v38
	v_mov_b32_e32 v2, 0
	s_delay_alu instid0(VALU_DEP_1) | instskip(NEXT) | instid1(VALU_DEP_1)
	v_lshlrev_b64_e32 v[1:2], 3, v[1:2]
	v_add_co_u32 v1, vcc_lo, s30, v1
	s_wait_alu 0xfffd
	s_delay_alu instid0(VALU_DEP_2)
	v_add_co_ci_u32_e64 v2, null, s31, v2, vcc_lo
	global_load_b64 v[15:16], v[1:2], off
.LBB186_20:
	s_wait_alu 0xfffe
	s_or_b32 exec_lo, exec_lo, s11
	v_lshrrev_b32_e32 v2, 2, v33
	v_dual_mov_b32 v69, 0 :: v_dual_lshlrev_b32 v72, 3, v73
	v_lshrrev_b32_e32 v1, 2, v32
	v_lshrrev_b32_e32 v19, 2, v34
	s_delay_alu instid0(VALU_DEP_4) | instskip(SKIP_1) | instid1(VALU_DEP_4)
	v_and_b32_e32 v2, 0x1f8, v2
	v_lshrrev_b32_e32 v48, 5, v73
	v_dual_mov_b32 v70, v69 :: v_dual_and_b32 v1, 0x1f8, v1
	s_delay_alu instid0(VALU_DEP_4) | instskip(NEXT) | instid1(VALU_DEP_4)
	v_and_b32_e32 v19, 0x1f8, v19
	v_add_nc_u32_e32 v108, v2, v72
	v_lshrrev_b32_e32 v2, 2, v36
	v_lshl_add_u32 v106, v48, 3, v72
	v_add_nc_u32_e32 v107, v1, v72
	v_lshrrev_b32_e32 v1, 2, v35
	v_lshrrev_b32_e32 v20, 2, v38
	v_and_b32_e32 v2, 0x3f8, v2
	s_wait_kmcnt 0x0
	s_mul_i32 s10, s10, s23
	v_mul_lo_u32 v68, s28, v73
	v_and_b32_e32 v1, 0x1f8, v1
	s_mov_b32 s11, 0
	v_dual_mov_b32 v2, v69 :: v_dual_add_nc_u32 v111, v2, v72
	v_add_nc_u32_e32 v109, v19, v72
	v_lshrrev_b32_e32 v19, 2, v37
	s_wait_loadcnt 0x0
	ds_store_b64 v106, v[17:18]
	ds_store_b64 v107, v[3:4] offset:2048
	ds_store_b64 v108, v[5:6] offset:4096
	;; [unrolled: 1-line block ×3, first 2 shown]
	v_dual_mov_b32 v7, v69 :: v_dual_and_b32 v4, 0x3f8, v20
	v_lshlrev_b32_e32 v5, 1, v73
	v_dual_mov_b32 v8, v69 :: v_dual_and_b32 v3, 0x3f8, v19
	v_mov_b32_e32 v6, v69
	v_add_nc_u32_e32 v110, v1, v72
	v_add_nc_u32_e32 v113, v4, v72
	s_delay_alu instid0(VALU_DEP_4)
	v_add_nc_u32_e32 v112, v3, v72
	ds_store_b64 v110, v[9:10] offset:8192
	ds_store_b64 v111, v[11:12] offset:10240
	ds_store_b64 v112, v[13:14] offset:12288
	ds_store_b64 v113, v[15:16] offset:14336
	v_dual_mov_b32 v10, v69 :: v_dual_and_b32 v1, 0x7f8, v5
	s_wait_dscnt 0x0
	s_barrier_signal -1
	s_barrier_wait -1
	global_inv scope:SCOPE_SE
	v_lshl_add_u32 v114, v73, 6, v1
	ds_load_2addr_b64 v[28:31], v114 offset1:1
	ds_load_2addr_b64 v[24:27], v114 offset0:2 offset1:3
	ds_load_2addr_b64 v[20:23], v114 offset0:4 offset1:5
	ds_load_2addr_b64 v[16:19], v114 offset0:6 offset1:7
	s_wait_alu 0xfffe
	s_add_co_i32 s10, s10, s27
	v_mov_b32_e32 v11, 0
	v_mov_b32_e32 v1, v69
	v_dual_mov_b32 v3, v69 :: v_dual_mov_b32 v4, v69
	v_mov_b32_e32 v5, v69
	v_mov_b32_e32 v9, v69
	v_dual_mov_b32 v13, v69 :: v_dual_mov_b32 v12, 0
	v_mov_b32_e32 v14, v69
	s_wait_alu 0xfffe
	s_lshl_b64 s[10:11], s[10:11], 3
	s_wait_loadcnt_dscnt 0x0
	s_wait_alu 0xfffe
	s_add_nc_u64 s[34:35], s[8:9], s[10:11]
	s_barrier_signal -1
	s_barrier_wait -1
	global_inv scope:SCOPE_SE
	s_and_saveexec_b32 s8, s0
	s_cbranch_execnz .LBB186_56
; %bb.21:
	s_wait_alu 0xfffe
	s_or_b32 exec_lo, exec_lo, s8
	s_and_saveexec_b32 s8, s1
	s_cbranch_execnz .LBB186_57
.LBB186_22:
	s_wait_alu 0xfffe
	s_or_b32 exec_lo, exec_lo, s8
	s_and_saveexec_b32 s8, s2
	s_cbranch_execnz .LBB186_58
.LBB186_23:
	s_wait_alu 0xfffe
	s_or_b32 exec_lo, exec_lo, s8
	s_and_saveexec_b32 s8, s3
	s_cbranch_execnz .LBB186_59
.LBB186_24:
	s_wait_alu 0xfffe
	s_or_b32 exec_lo, exec_lo, s8
	s_and_saveexec_b32 s8, s4
	s_cbranch_execnz .LBB186_60
.LBB186_25:
	s_wait_alu 0xfffe
	s_or_b32 exec_lo, exec_lo, s8
	s_and_saveexec_b32 s8, s5
	s_cbranch_execnz .LBB186_61
.LBB186_26:
	s_wait_alu 0xfffe
	s_or_b32 exec_lo, exec_lo, s8
	s_and_saveexec_b32 s8, s6
	s_cbranch_execnz .LBB186_62
.LBB186_27:
	s_wait_alu 0xfffe
	s_or_b32 exec_lo, exec_lo, s8
	s_xor_b32 s8, s20, -1
	s_and_saveexec_b32 s9, s7
	s_cbranch_execz .LBB186_29
.LBB186_28:
	v_mul_lo_u32 v13, s28, v38
	v_mov_b32_e32 v14, 0
	s_delay_alu instid0(VALU_DEP_1) | instskip(NEXT) | instid1(VALU_DEP_1)
	v_lshlrev_b64_e32 v[13:14], 3, v[13:14]
	v_add_co_u32 v13, vcc_lo, s34, v13
	s_wait_alu 0xfffd
	s_delay_alu instid0(VALU_DEP_2)
	v_add_co_ci_u32_e64 v14, null, s35, v14, vcc_lo
	global_load_b64 v[13:14], v[13:14], off
.LBB186_29:
	s_wait_alu 0xfffe
	s_or_b32 exec_lo, exec_lo, s9
	s_wait_loadcnt 0x0
	ds_store_b64 v106, v[11:12]
	ds_store_b64 v107, v[69:70] offset:2048
	ds_store_b64 v108, v[1:2] offset:4096
	;; [unrolled: 1-line block ×7, first 2 shown]
	s_wait_dscnt 0x0
	s_barrier_signal -1
	s_barrier_wait -1
	global_inv scope:SCOPE_SE
	ds_load_2addr_b64 v[44:47], v114 offset1:1
	ds_load_2addr_b64 v[40:43], v114 offset0:2 offset1:3
	ds_load_2addr_b64 v[36:39], v114 offset0:4 offset1:5
	;; [unrolled: 1-line block ×3, first 2 shown]
	s_and_b32 vcc_lo, exec_lo, s8
	v_bfe_u32 v120, v0, 10, 10
	v_bfe_u32 v121, v0, 20, 10
	v_ashrrev_i32_e32 v129, 31, v29
	v_ashrrev_i32_e32 v128, 31, v31
	;; [unrolled: 1-line block ×8, first 2 shown]
	v_mbcnt_lo_u32_b32 v118, -1, 0
	v_and_b32_e32 v119, 0x3e0, v73
	v_lshlrev_b32_e32 v115, 2, v72
	v_cmp_gt_u32_e64 s8, 8, v73
	v_cmp_lt_u32_e64 s9, 31, v73
	v_cmp_eq_u32_e64 s10, 0, v73
	v_lshlrev_b32_e32 v116, 2, v48
	v_mul_i32_i24_e32 v117, 0xffffffe4, v73
	s_wait_loadcnt_dscnt 0x0
	s_barrier_signal -1
	s_barrier_wait -1
	global_inv scope:SCOPE_SE
	s_wait_alu 0xfffe
	s_cbranch_vccz .LBB186_63
; %bb.30:
	v_cmp_lt_i64_e32 vcc_lo, -1, v[28:29]
	v_or_b32_e32 v14, v118, v119
	s_mov_b32 s36, 0
	s_getpc_b64 s[12:13]
	s_wait_alu 0xfffe
	s_sext_i32_i16 s13, s13
	s_add_co_u32 s12, s12, _ZN7rocprim17ROCPRIM_400000_NS16block_radix_sortIdLj256ELj8ElLj1ELj1ELj0ELNS0_26block_radix_rank_algorithmE1ELNS0_18block_padding_hintE2ELNS0_4arch9wavefront6targetE0EE19radix_bits_per_passE@rel32@lo+12
	s_wait_alu 0xfffe
	s_add_co_ci_u32 s13, s13, _ZN7rocprim17ROCPRIM_400000_NS16block_radix_sortIdLj256ELj8ElLj1ELj1ELj0ELNS0_26block_radix_rank_algorithmE1ELNS0_18block_padding_hintE2ELNS0_4arch9wavefront6targetE0EE19radix_bits_per_passE@rel32@hi+24
	s_mov_b32 s37, s36
	s_mov_b32 s38, s36
	s_wait_alu 0xfffd
	v_cndmask_b32_e64 v0, -1, 0x80000000, vcc_lo
	v_cmp_lt_i64_e32 vcc_lo, -1, v[30:31]
	v_lshlrev_b32_e32 v48, 6, v14
	s_mov_b32 s39, s36
	v_and_b32_e32 v69, 16, v118
	v_xor_b32_e32 v1, v0, v29
	v_xor_b32_e32 v0, v129, v28
	s_wait_alu 0xfffd
	v_cndmask_b32_e64 v2, -1, 0x80000000, vcc_lo
	v_cmp_lt_i64_e32 vcc_lo, -1, v[24:25]
	v_and_or_b32 v49, 0x1f00, v72, v118
	s_load_b32 s23, s[12:13], 0x0
	v_cmp_eq_u32_e64 s16, 0, v69
	v_xor_b32_e32 v3, v2, v31
	v_xor_b32_e32 v2, v128, v30
	v_cndmask_b32_e64 v4, -1, 0x80000000, vcc_lo
	v_cmp_lt_i64_e32 vcc_lo, -1, v[26:27]
	v_mov_b32_e32 v69, 0
	v_xor_b32_e32 v14, v122, v18
	v_add_nc_u32_e32 v132, -4, v116
	v_xor_b32_e32 v5, v4, v25
	v_xor_b32_e32 v4, v127, v24
	s_wait_alu 0xfffd
	v_cndmask_b32_e64 v6, -1, 0x80000000, vcc_lo
	v_cmp_lt_i64_e32 vcc_lo, -1, v[20:21]
	v_add_nc_u32_e32 v134, v115, v117
	s_mov_b32 s26, -1
	s_brev_b32 s27, -2
	v_xor_b32_e32 v7, v6, v27
	v_xor_b32_e32 v6, v126, v26
	s_wait_alu 0xfffd
	v_cndmask_b32_e64 v8, -1, 0x80000000, vcc_lo
	v_cmp_lt_i64_e32 vcc_lo, -1, v[22:23]
	ds_store_b128 v48, v[0:3]
	ds_store_b128 v48, v[4:7] offset:16
	v_sub_co_u32 v3, s12, v118, 1
	v_xor_b32_e32 v9, v8, v21
	s_wait_alu 0xfffd
	v_cndmask_b32_e64 v10, -1, 0x80000000, vcc_lo
	v_cmp_lt_i64_e32 vcc_lo, -1, v[16:17]
	v_xor_b32_e32 v8, v125, v20
	v_and_b32_e32 v2, 15, v118
	s_mov_b32 s29, 64
	v_xor_b32_e32 v11, v10, v23
	v_xor_b32_e32 v10, v124, v22
	s_wait_alu 0xfffd
	v_cndmask_b32_e64 v12, -1, 0x80000000, vcc_lo
	v_cmp_lt_i64_e32 vcc_lo, -1, v[18:19]
	v_cmp_lt_u32_e64 s13, 1, v2
	v_cmp_lt_u32_e64 s15, 7, v2
	v_mov_b32_e32 v70, 0
	v_xor_b32_e32 v13, v12, v17
	v_xor_b32_e32 v12, v123, v16
	s_wait_alu 0xfffd
	v_cndmask_b32_e64 v15, -1, 0x80000000, vcc_lo
	v_cmp_gt_i32_e32 vcc_lo, 0, v3
	v_lshlrev_b32_e32 v130, 3, v49
	s_delay_alu instid0(VALU_DEP_3)
	v_xor_b32_e32 v15, v15, v19
	ds_store_b128 v48, v[8:11] offset:32
	ds_store_b128 v48, v[12:15] offset:48
	; wave barrier
	s_wait_alu 0xfffd
	v_cndmask_b32_e32 v3, v3, v118, vcc_lo
	ds_load_2addr_b64 v[4:7], v130 offset1:32
	ds_load_2addr_b64 v[8:11], v130 offset0:64 offset1:96
	ds_load_2addr_b64 v[12:15], v130 offset0:128 offset1:160
	;; [unrolled: 1-line block ×3, first 2 shown]
	; wave barrier
	ds_store_b128 v48, v[44:47]
	ds_store_b128 v48, v[40:43] offset:16
	ds_store_b128 v48, v[36:39] offset:32
	;; [unrolled: 1-line block ×3, first 2 shown]
	; wave barrier
	ds_load_2addr_b64 v[48:51], v130 offset1:32
	ds_load_2addr_b64 v[52:55], v130 offset0:64 offset1:96
	ds_load_2addr_b64 v[56:59], v130 offset0:128 offset1:160
	;; [unrolled: 1-line block ×3, first 2 shown]
	s_wait_loadcnt_dscnt 0x0
	s_barrier_signal -1
	s_barrier_wait -1
	global_inv scope:SCOPE_SE
	s_load_b32 s11, s[24:25], 0xc
	v_lshlrev_b32_e32 v131, 2, v3
	s_wait_kmcnt 0x0
	s_lshr_b32 s14, s11, 16
	s_and_b32 s11, s11, 0xffff
	s_wait_alu 0xfffe
	v_mad_u32_u24 v0, v121, s14, v120
	v_cmp_lt_u32_e64 s14, 3, v2
	s_delay_alu instid0(VALU_DEP_2) | instskip(SKIP_3) | instid1(VALU_DEP_3)
	v_mad_co_u64_u32 v[0:1], null, v0, s11, v[73:74]
	v_min_u32_e32 v1, 0xe0, v119
	v_cmp_eq_u32_e64 s11, 0, v2
	v_and_b32_e32 v2, 7, v118
	v_or_b32_e32 v1, 31, v1
	v_lshrrev_b32_e32 v0, 3, v0
	s_delay_alu instid0(VALU_DEP_3)
	v_cmp_eq_u32_e64 s18, 0, v2
	v_cmp_lt_u32_e64 s19, 1, v2
	v_cmp_lt_u32_e64 s20, 3, v2
	v_cmp_eq_u32_e64 s17, v73, v1
	v_dual_mov_b32 v0, s36 :: v_dual_and_b32 v133, 0x1ffffffc, v0
	v_dual_mov_b32 v1, s37 :: v_dual_mov_b32 v2, s38
	v_mov_b32_e32 v3, s39
	s_branch .LBB186_32
.LBB186_31:                             ;   in Loop: Header=BB186_32 Depth=1
	s_wait_alu 0xfffe
	s_and_not1_b32 vcc_lo, exec_lo, s21
	s_wait_alu 0xfffe
	s_cbranch_vccz .LBB186_64
.LBB186_32:                             ; =>This Inner Loop Header: Depth=1
	v_dual_mov_b32 v75, v5 :: v_dual_mov_b32 v74, v4
	s_min_u32 s21, s23, s29
	v_mov_b32_e32 v79, v65
	s_wait_alu 0xfffe
	s_lshl_b32 s21, -1, s21
	ds_store_b128 v115, v[0:3] offset:32
	ds_store_b128 v115, v[0:3] offset:48
	v_cmp_ne_u64_e32 vcc_lo, s[26:27], v[74:75]
	s_wait_alu 0xfffe
	s_not_b32 s33, s21
	s_wait_loadcnt_dscnt 0x0
	s_barrier_signal -1
	s_barrier_wait -1
	s_wait_alu 0xfffd
	v_dual_mov_b32 v77, v67 :: v_dual_cndmask_b32 v4, 0, v74
	v_dual_cndmask_b32 v5, 0x80000000, v75 :: v_dual_mov_b32 v76, v66
	global_inv scope:SCOPE_SE
	; wave barrier
	v_lshrrev_b64 v[4:5], v69, v[4:5]
	v_dual_mov_b32 v78, v64 :: v_dual_mov_b32 v99, v13
	v_mov_b32_e32 v101, v11
	v_mov_b32_e32 v103, v9
	;; [unrolled: 1-line block ×3, first 2 shown]
	s_wait_alu 0xfffe
	v_and_b32_e32 v5, s33, v4
	v_dual_mov_b32 v81, v15 :: v_dual_mov_b32 v80, v14
	v_mov_b32_e32 v98, v12
	s_delay_alu instid0(VALU_DEP_3)
	v_dual_mov_b32 v100, v10 :: v_dual_lshlrev_b32 v67, 26, v5
	v_and_b32_e32 v4, 1, v5
	v_lshlrev_b32_e32 v14, 30, v5
	v_lshlrev_b32_e32 v15, 29, v5
	;; [unrolled: 1-line block ×4, first 2 shown]
	v_add_co_u32 v4, s21, v4, -1
	s_wait_alu 0xf1ff
	v_cndmask_b32_e64 v65, 0, 1, s21
	v_not_b32_e32 v83, v14
	v_cmp_gt_i32_e64 s21, 0, v14
	v_not_b32_e32 v14, v15
	v_lshlrev_b32_e32 v82, 25, v5
	v_cmp_ne_u32_e32 vcc_lo, 0, v65
	v_ashrrev_i32_e32 v83, 31, v83
	v_dual_mov_b32 v102, v8 :: v_dual_lshlrev_b32 v65, 24, v5
	v_ashrrev_i32_e32 v14, 31, v14
	s_wait_alu 0xfffd
	v_xor_b32_e32 v4, vcc_lo, v4
	v_cmp_gt_i32_e32 vcc_lo, 0, v15
	v_not_b32_e32 v15, v64
	s_wait_alu 0xf1ff
	v_xor_b32_e32 v83, s21, v83
	v_cmp_gt_i32_e64 s21, 0, v64
	v_and_b32_e32 v4, exec_lo, v4
	v_not_b32_e32 v64, v66
	v_ashrrev_i32_e32 v15, 31, v15
	s_wait_alu 0xfffd
	v_xor_b32_e32 v14, vcc_lo, v14
	v_cmp_gt_i32_e32 vcc_lo, 0, v66
	v_dual_mov_b32 v85, v61 :: v_dual_and_b32 v4, v4, v83
	v_not_b32_e32 v66, v67
	v_ashrrev_i32_e32 v64, 31, v64
	s_wait_alu 0xf1ff
	v_xor_b32_e32 v15, s21, v15
	v_dual_mov_b32 v87, v59 :: v_dual_and_b32 v4, v4, v14
	v_cmp_gt_i32_e64 s21, 0, v67
	v_not_b32_e32 v14, v82
	v_ashrrev_i32_e32 v66, 31, v66
	s_wait_alu 0xfffd
	v_xor_b32_e32 v64, vcc_lo, v64
	v_dual_mov_b32 v89, v57 :: v_dual_and_b32 v4, v4, v15
	v_cmp_gt_i32_e32 vcc_lo, 0, v82
	v_not_b32_e32 v15, v65
	v_ashrrev_i32_e32 v14, 31, v14
	s_wait_alu 0xf1ff
	v_xor_b32_e32 v66, s21, v66
	v_dual_mov_b32 v91, v55 :: v_dual_and_b32 v4, v4, v64
	v_cmp_gt_i32_e64 s21, 0, v65
	v_ashrrev_i32_e32 v12, 31, v15
	s_wait_alu 0xfffd
	v_xor_b32_e32 v13, vcc_lo, v14
	v_dual_mov_b32 v93, v53 :: v_dual_and_b32 v4, v4, v66
	v_dual_mov_b32 v104, v6 :: v_dual_mov_b32 v95, v51
	s_wait_alu 0xf1ff
	v_xor_b32_e32 v6, s21, v12
	s_delay_alu instid0(VALU_DEP_3) | instskip(SKIP_2) | instid1(VALU_DEP_3)
	v_dual_mov_b32 v97, v49 :: v_dual_and_b32 v4, v4, v13
	v_dual_mov_b32 v83, v63 :: v_dual_mov_b32 v82, v62
	v_lshlrev_b32_e32 v5, 5, v5
	v_and_b32_e32 v4, v4, v6
	v_mov_b32_e32 v84, v60
	v_mov_b32_e32 v86, v58
	;; [unrolled: 1-line block ×4, first 2 shown]
	v_mbcnt_lo_u32_b32 v12, v4, 0
	v_cmp_ne_u32_e64 s21, 0, v4
	v_mov_b32_e32 v92, v52
	v_mov_b32_e32 v94, v50
	v_mov_b32_e32 v96, v48
	v_cmp_eq_u32_e32 vcc_lo, 0, v12
	v_add_nc_u32_e32 v13, v133, v5
	s_and_b32 s36, s21, vcc_lo
	s_wait_alu 0xfffe
	s_and_saveexec_b32 s21, s36
; %bb.33:                               ;   in Loop: Header=BB186_32 Depth=1
	v_bcnt_u32_b32 v4, v4, 0
	ds_store_b32 v13, v4 offset:32
; %bb.34:                               ;   in Loop: Header=BB186_32 Depth=1
	s_wait_alu 0xfffe
	s_or_b32 exec_lo, exec_lo, s21
	v_cmp_ne_u64_e32 vcc_lo, s[26:27], v[104:105]
	; wave barrier
	s_wait_alu 0xfffd
	v_cndmask_b32_e32 v5, 0x80000000, v105, vcc_lo
	v_cndmask_b32_e32 v4, 0, v104, vcc_lo
	s_delay_alu instid0(VALU_DEP_1) | instskip(NEXT) | instid1(VALU_DEP_1)
	v_lshrrev_b64 v[4:5], v69, v[4:5]
	v_and_b32_e32 v4, s33, v4
	s_delay_alu instid0(VALU_DEP_1)
	v_and_b32_e32 v5, 1, v4
	v_lshlrev_b32_e32 v6, 30, v4
	v_lshlrev_b32_e32 v7, 29, v4
	;; [unrolled: 1-line block ×4, first 2 shown]
	v_add_co_u32 v5, s21, v5, -1
	s_wait_alu 0xf1ff
	v_cndmask_b32_e64 v9, 0, 1, s21
	v_not_b32_e32 v15, v6
	v_cmp_gt_i32_e64 s21, 0, v6
	v_not_b32_e32 v6, v7
	v_lshlrev_b32_e32 v11, 26, v4
	v_cmp_ne_u32_e32 vcc_lo, 0, v9
	v_ashrrev_i32_e32 v15, 31, v15
	v_lshlrev_b32_e32 v14, 25, v4
	v_ashrrev_i32_e32 v6, 31, v6
	v_lshlrev_b32_e32 v9, 24, v4
	s_wait_alu 0xfffd
	v_xor_b32_e32 v5, vcc_lo, v5
	v_cmp_gt_i32_e32 vcc_lo, 0, v7
	v_not_b32_e32 v7, v8
	s_wait_alu 0xf1ff
	v_xor_b32_e32 v15, s21, v15
	v_cmp_gt_i32_e64 s21, 0, v8
	v_and_b32_e32 v5, exec_lo, v5
	v_not_b32_e32 v8, v10
	v_ashrrev_i32_e32 v7, 31, v7
	s_wait_alu 0xfffd
	v_xor_b32_e32 v6, vcc_lo, v6
	v_cmp_gt_i32_e32 vcc_lo, 0, v10
	v_and_b32_e32 v5, v5, v15
	v_not_b32_e32 v10, v11
	v_ashrrev_i32_e32 v8, 31, v8
	s_wait_alu 0xf1ff
	v_xor_b32_e32 v7, s21, v7
	v_cmp_gt_i32_e64 s21, 0, v11
	v_and_b32_e32 v5, v5, v6
	v_not_b32_e32 v6, v14
	v_ashrrev_i32_e32 v10, 31, v10
	s_wait_alu 0xfffd
	v_xor_b32_e32 v8, vcc_lo, v8
	v_cmp_gt_i32_e32 vcc_lo, 0, v14
	v_and_b32_e32 v5, v5, v7
	v_not_b32_e32 v7, v9
	v_ashrrev_i32_e32 v6, 31, v6
	s_wait_alu 0xf1ff
	v_xor_b32_e32 v10, s21, v10
	v_lshlrev_b32_e32 v4, 5, v4
	v_and_b32_e32 v5, v5, v8
	v_cmp_gt_i32_e64 s21, 0, v9
	v_ashrrev_i32_e32 v7, 31, v7
	s_wait_alu 0xfffd
	v_xor_b32_e32 v6, vcc_lo, v6
	v_add_nc_u32_e32 v48, v133, v4
	v_and_b32_e32 v5, v5, v10
	s_wait_alu 0xf1ff
	v_xor_b32_e32 v4, s21, v7
	ds_load_b32 v14, v48 offset:32
	v_and_b32_e32 v5, v5, v6
	; wave barrier
	s_delay_alu instid0(VALU_DEP_1) | instskip(NEXT) | instid1(VALU_DEP_1)
	v_and_b32_e32 v4, v5, v4
	v_mbcnt_lo_u32_b32 v15, v4, 0
	v_cmp_ne_u32_e64 s21, 0, v4
	s_delay_alu instid0(VALU_DEP_2)
	v_cmp_eq_u32_e32 vcc_lo, 0, v15
	s_and_b32 s36, s21, vcc_lo
	s_wait_alu 0xfffe
	s_and_saveexec_b32 s21, s36
	s_cbranch_execz .LBB186_36
; %bb.35:                               ;   in Loop: Header=BB186_32 Depth=1
	s_wait_dscnt 0x0
	v_bcnt_u32_b32 v4, v4, v14
	ds_store_b32 v48, v4 offset:32
.LBB186_36:                             ;   in Loop: Header=BB186_32 Depth=1
	s_wait_alu 0xfffe
	s_or_b32 exec_lo, exec_lo, s21
	v_cmp_ne_u64_e32 vcc_lo, s[26:27], v[102:103]
	; wave barrier
	s_wait_alu 0xfffd
	v_cndmask_b32_e32 v5, 0x80000000, v103, vcc_lo
	v_cndmask_b32_e32 v4, 0, v102, vcc_lo
	s_delay_alu instid0(VALU_DEP_1) | instskip(NEXT) | instid1(VALU_DEP_1)
	v_lshrrev_b64 v[4:5], v69, v[4:5]
	v_and_b32_e32 v4, s33, v4
	s_delay_alu instid0(VALU_DEP_1)
	v_and_b32_e32 v5, 1, v4
	v_lshlrev_b32_e32 v6, 30, v4
	v_lshlrev_b32_e32 v7, 29, v4
	;; [unrolled: 1-line block ×4, first 2 shown]
	v_add_co_u32 v5, s21, v5, -1
	s_wait_alu 0xf1ff
	v_cndmask_b32_e64 v9, 0, 1, s21
	v_not_b32_e32 v50, v6
	v_cmp_gt_i32_e64 s21, 0, v6
	v_not_b32_e32 v6, v7
	v_lshlrev_b32_e32 v11, 26, v4
	v_cmp_ne_u32_e32 vcc_lo, 0, v9
	v_ashrrev_i32_e32 v50, 31, v50
	v_lshlrev_b32_e32 v49, 25, v4
	v_ashrrev_i32_e32 v6, 31, v6
	v_lshlrev_b32_e32 v9, 24, v4
	s_wait_alu 0xfffd
	v_xor_b32_e32 v5, vcc_lo, v5
	v_cmp_gt_i32_e32 vcc_lo, 0, v7
	v_not_b32_e32 v7, v8
	s_wait_alu 0xf1ff
	v_xor_b32_e32 v50, s21, v50
	v_cmp_gt_i32_e64 s21, 0, v8
	v_and_b32_e32 v5, exec_lo, v5
	v_not_b32_e32 v8, v10
	v_ashrrev_i32_e32 v7, 31, v7
	s_wait_alu 0xfffd
	v_xor_b32_e32 v6, vcc_lo, v6
	v_cmp_gt_i32_e32 vcc_lo, 0, v10
	v_and_b32_e32 v5, v5, v50
	v_not_b32_e32 v10, v11
	v_ashrrev_i32_e32 v8, 31, v8
	s_wait_alu 0xf1ff
	v_xor_b32_e32 v7, s21, v7
	v_cmp_gt_i32_e64 s21, 0, v11
	v_and_b32_e32 v5, v5, v6
	v_not_b32_e32 v6, v49
	v_ashrrev_i32_e32 v10, 31, v10
	s_wait_alu 0xfffd
	v_xor_b32_e32 v8, vcc_lo, v8
	v_cmp_gt_i32_e32 vcc_lo, 0, v49
	v_and_b32_e32 v5, v5, v7
	v_not_b32_e32 v7, v9
	v_ashrrev_i32_e32 v6, 31, v6
	s_wait_alu 0xf1ff
	v_xor_b32_e32 v10, s21, v10
	v_lshlrev_b32_e32 v4, 5, v4
	v_and_b32_e32 v5, v5, v8
	v_cmp_gt_i32_e64 s21, 0, v9
	v_ashrrev_i32_e32 v7, 31, v7
	s_wait_alu 0xfffd
	v_xor_b32_e32 v6, vcc_lo, v6
	v_add_nc_u32_e32 v51, v133, v4
	v_and_b32_e32 v5, v5, v10
	s_wait_alu 0xf1ff
	v_xor_b32_e32 v4, s21, v7
	ds_load_b32 v49, v51 offset:32
	v_and_b32_e32 v5, v5, v6
	; wave barrier
	s_delay_alu instid0(VALU_DEP_1) | instskip(NEXT) | instid1(VALU_DEP_1)
	v_and_b32_e32 v4, v5, v4
	v_mbcnt_lo_u32_b32 v50, v4, 0
	v_cmp_ne_u32_e64 s21, 0, v4
	s_delay_alu instid0(VALU_DEP_2)
	v_cmp_eq_u32_e32 vcc_lo, 0, v50
	s_and_b32 s36, s21, vcc_lo
	s_wait_alu 0xfffe
	s_and_saveexec_b32 s21, s36
	s_cbranch_execz .LBB186_38
; %bb.37:                               ;   in Loop: Header=BB186_32 Depth=1
	s_wait_dscnt 0x0
	v_bcnt_u32_b32 v4, v4, v49
	ds_store_b32 v51, v4 offset:32
.LBB186_38:                             ;   in Loop: Header=BB186_32 Depth=1
	s_wait_alu 0xfffe
	s_or_b32 exec_lo, exec_lo, s21
	v_cmp_ne_u64_e32 vcc_lo, s[26:27], v[100:101]
	; wave barrier
	s_wait_alu 0xfffd
	v_cndmask_b32_e32 v5, 0x80000000, v101, vcc_lo
	v_cndmask_b32_e32 v4, 0, v100, vcc_lo
	s_delay_alu instid0(VALU_DEP_1) | instskip(NEXT) | instid1(VALU_DEP_1)
	v_lshrrev_b64 v[4:5], v69, v[4:5]
	v_and_b32_e32 v4, s33, v4
	s_delay_alu instid0(VALU_DEP_1)
	v_and_b32_e32 v5, 1, v4
	v_lshlrev_b32_e32 v6, 30, v4
	v_lshlrev_b32_e32 v7, 29, v4
	;; [unrolled: 1-line block ×4, first 2 shown]
	v_add_co_u32 v5, s21, v5, -1
	s_wait_alu 0xf1ff
	v_cndmask_b32_e64 v9, 0, 1, s21
	v_not_b32_e32 v53, v6
	v_cmp_gt_i32_e64 s21, 0, v6
	v_not_b32_e32 v6, v7
	v_lshlrev_b32_e32 v11, 26, v4
	v_cmp_ne_u32_e32 vcc_lo, 0, v9
	v_ashrrev_i32_e32 v53, 31, v53
	v_lshlrev_b32_e32 v52, 25, v4
	v_ashrrev_i32_e32 v6, 31, v6
	v_lshlrev_b32_e32 v9, 24, v4
	s_wait_alu 0xfffd
	v_xor_b32_e32 v5, vcc_lo, v5
	v_cmp_gt_i32_e32 vcc_lo, 0, v7
	v_not_b32_e32 v7, v8
	s_wait_alu 0xf1ff
	v_xor_b32_e32 v53, s21, v53
	v_cmp_gt_i32_e64 s21, 0, v8
	v_and_b32_e32 v5, exec_lo, v5
	v_not_b32_e32 v8, v10
	v_ashrrev_i32_e32 v7, 31, v7
	s_wait_alu 0xfffd
	v_xor_b32_e32 v6, vcc_lo, v6
	v_cmp_gt_i32_e32 vcc_lo, 0, v10
	v_and_b32_e32 v5, v5, v53
	v_not_b32_e32 v10, v11
	v_ashrrev_i32_e32 v8, 31, v8
	s_wait_alu 0xf1ff
	v_xor_b32_e32 v7, s21, v7
	v_cmp_gt_i32_e64 s21, 0, v11
	v_and_b32_e32 v5, v5, v6
	v_not_b32_e32 v6, v52
	v_ashrrev_i32_e32 v10, 31, v10
	s_wait_alu 0xfffd
	v_xor_b32_e32 v8, vcc_lo, v8
	v_cmp_gt_i32_e32 vcc_lo, 0, v52
	v_and_b32_e32 v5, v5, v7
	v_not_b32_e32 v7, v9
	v_ashrrev_i32_e32 v6, 31, v6
	s_wait_alu 0xf1ff
	v_xor_b32_e32 v10, s21, v10
	v_lshlrev_b32_e32 v4, 5, v4
	v_and_b32_e32 v5, v5, v8
	v_cmp_gt_i32_e64 s21, 0, v9
	v_ashrrev_i32_e32 v7, 31, v7
	s_wait_alu 0xfffd
	v_xor_b32_e32 v6, vcc_lo, v6
	v_add_nc_u32_e32 v54, v133, v4
	v_and_b32_e32 v5, v5, v10
	s_wait_alu 0xf1ff
	v_xor_b32_e32 v4, s21, v7
	ds_load_b32 v52, v54 offset:32
	v_and_b32_e32 v5, v5, v6
	; wave barrier
	s_delay_alu instid0(VALU_DEP_1) | instskip(NEXT) | instid1(VALU_DEP_1)
	v_and_b32_e32 v4, v5, v4
	v_mbcnt_lo_u32_b32 v53, v4, 0
	v_cmp_ne_u32_e64 s21, 0, v4
	s_delay_alu instid0(VALU_DEP_2)
	v_cmp_eq_u32_e32 vcc_lo, 0, v53
	s_and_b32 s36, s21, vcc_lo
	s_wait_alu 0xfffe
	s_and_saveexec_b32 s21, s36
	s_cbranch_execz .LBB186_40
; %bb.39:                               ;   in Loop: Header=BB186_32 Depth=1
	s_wait_dscnt 0x0
	v_bcnt_u32_b32 v4, v4, v52
	ds_store_b32 v54, v4 offset:32
.LBB186_40:                             ;   in Loop: Header=BB186_32 Depth=1
	s_wait_alu 0xfffe
	s_or_b32 exec_lo, exec_lo, s21
	v_cmp_ne_u64_e32 vcc_lo, s[26:27], v[98:99]
	; wave barrier
	s_wait_alu 0xfffd
	v_cndmask_b32_e32 v5, 0x80000000, v99, vcc_lo
	v_cndmask_b32_e32 v4, 0, v98, vcc_lo
	s_delay_alu instid0(VALU_DEP_1) | instskip(NEXT) | instid1(VALU_DEP_1)
	v_lshrrev_b64 v[4:5], v69, v[4:5]
	v_and_b32_e32 v4, s33, v4
	s_delay_alu instid0(VALU_DEP_1)
	v_and_b32_e32 v5, 1, v4
	v_lshlrev_b32_e32 v6, 30, v4
	v_lshlrev_b32_e32 v7, 29, v4
	;; [unrolled: 1-line block ×4, first 2 shown]
	v_add_co_u32 v5, s21, v5, -1
	s_wait_alu 0xf1ff
	v_cndmask_b32_e64 v9, 0, 1, s21
	v_not_b32_e32 v56, v6
	v_cmp_gt_i32_e64 s21, 0, v6
	v_not_b32_e32 v6, v7
	v_lshlrev_b32_e32 v11, 26, v4
	v_cmp_ne_u32_e32 vcc_lo, 0, v9
	v_ashrrev_i32_e32 v56, 31, v56
	v_lshlrev_b32_e32 v55, 25, v4
	v_ashrrev_i32_e32 v6, 31, v6
	v_lshlrev_b32_e32 v9, 24, v4
	s_wait_alu 0xfffd
	v_xor_b32_e32 v5, vcc_lo, v5
	v_cmp_gt_i32_e32 vcc_lo, 0, v7
	v_not_b32_e32 v7, v8
	s_wait_alu 0xf1ff
	v_xor_b32_e32 v56, s21, v56
	v_cmp_gt_i32_e64 s21, 0, v8
	v_and_b32_e32 v5, exec_lo, v5
	v_not_b32_e32 v8, v10
	v_ashrrev_i32_e32 v7, 31, v7
	s_wait_alu 0xfffd
	v_xor_b32_e32 v6, vcc_lo, v6
	v_cmp_gt_i32_e32 vcc_lo, 0, v10
	v_and_b32_e32 v5, v5, v56
	v_not_b32_e32 v10, v11
	v_ashrrev_i32_e32 v8, 31, v8
	s_wait_alu 0xf1ff
	v_xor_b32_e32 v7, s21, v7
	v_cmp_gt_i32_e64 s21, 0, v11
	v_and_b32_e32 v5, v5, v6
	v_not_b32_e32 v6, v55
	v_ashrrev_i32_e32 v10, 31, v10
	s_wait_alu 0xfffd
	v_xor_b32_e32 v8, vcc_lo, v8
	v_cmp_gt_i32_e32 vcc_lo, 0, v55
	v_and_b32_e32 v5, v5, v7
	v_not_b32_e32 v7, v9
	v_ashrrev_i32_e32 v6, 31, v6
	s_wait_alu 0xf1ff
	v_xor_b32_e32 v10, s21, v10
	v_lshlrev_b32_e32 v4, 5, v4
	v_and_b32_e32 v5, v5, v8
	v_cmp_gt_i32_e64 s21, 0, v9
	v_ashrrev_i32_e32 v7, 31, v7
	s_wait_alu 0xfffd
	v_xor_b32_e32 v6, vcc_lo, v6
	v_add_nc_u32_e32 v57, v133, v4
	v_and_b32_e32 v5, v5, v10
	s_wait_alu 0xf1ff
	v_xor_b32_e32 v4, s21, v7
	ds_load_b32 v55, v57 offset:32
	v_and_b32_e32 v5, v5, v6
	; wave barrier
	s_delay_alu instid0(VALU_DEP_1) | instskip(NEXT) | instid1(VALU_DEP_1)
	v_and_b32_e32 v4, v5, v4
	v_mbcnt_lo_u32_b32 v56, v4, 0
	v_cmp_ne_u32_e64 s21, 0, v4
	s_delay_alu instid0(VALU_DEP_2)
	v_cmp_eq_u32_e32 vcc_lo, 0, v56
	s_and_b32 s36, s21, vcc_lo
	s_wait_alu 0xfffe
	s_and_saveexec_b32 s21, s36
	s_cbranch_execz .LBB186_42
; %bb.41:                               ;   in Loop: Header=BB186_32 Depth=1
	s_wait_dscnt 0x0
	v_bcnt_u32_b32 v4, v4, v55
	ds_store_b32 v57, v4 offset:32
.LBB186_42:                             ;   in Loop: Header=BB186_32 Depth=1
	s_wait_alu 0xfffe
	s_or_b32 exec_lo, exec_lo, s21
	v_cmp_ne_u64_e32 vcc_lo, s[26:27], v[80:81]
	; wave barrier
	s_wait_alu 0xfffd
	v_cndmask_b32_e32 v5, 0x80000000, v81, vcc_lo
	v_cndmask_b32_e32 v4, 0, v80, vcc_lo
	s_delay_alu instid0(VALU_DEP_1) | instskip(NEXT) | instid1(VALU_DEP_1)
	v_lshrrev_b64 v[4:5], v69, v[4:5]
	v_and_b32_e32 v4, s33, v4
	s_delay_alu instid0(VALU_DEP_1)
	v_and_b32_e32 v5, 1, v4
	v_lshlrev_b32_e32 v6, 30, v4
	v_lshlrev_b32_e32 v7, 29, v4
	;; [unrolled: 1-line block ×4, first 2 shown]
	v_add_co_u32 v5, s21, v5, -1
	s_wait_alu 0xf1ff
	v_cndmask_b32_e64 v9, 0, 1, s21
	v_not_b32_e32 v59, v6
	v_cmp_gt_i32_e64 s21, 0, v6
	v_not_b32_e32 v6, v7
	v_lshlrev_b32_e32 v11, 26, v4
	v_cmp_ne_u32_e32 vcc_lo, 0, v9
	v_ashrrev_i32_e32 v59, 31, v59
	v_lshlrev_b32_e32 v58, 25, v4
	v_ashrrev_i32_e32 v6, 31, v6
	v_lshlrev_b32_e32 v9, 24, v4
	s_wait_alu 0xfffd
	v_xor_b32_e32 v5, vcc_lo, v5
	v_cmp_gt_i32_e32 vcc_lo, 0, v7
	v_not_b32_e32 v7, v8
	s_wait_alu 0xf1ff
	v_xor_b32_e32 v59, s21, v59
	v_cmp_gt_i32_e64 s21, 0, v8
	v_and_b32_e32 v5, exec_lo, v5
	v_not_b32_e32 v8, v10
	v_ashrrev_i32_e32 v7, 31, v7
	s_wait_alu 0xfffd
	v_xor_b32_e32 v6, vcc_lo, v6
	v_cmp_gt_i32_e32 vcc_lo, 0, v10
	v_and_b32_e32 v5, v5, v59
	v_not_b32_e32 v10, v11
	v_ashrrev_i32_e32 v8, 31, v8
	s_wait_alu 0xf1ff
	v_xor_b32_e32 v7, s21, v7
	v_cmp_gt_i32_e64 s21, 0, v11
	v_and_b32_e32 v5, v5, v6
	v_not_b32_e32 v6, v58
	v_ashrrev_i32_e32 v10, 31, v10
	s_wait_alu 0xfffd
	v_xor_b32_e32 v8, vcc_lo, v8
	v_cmp_gt_i32_e32 vcc_lo, 0, v58
	v_and_b32_e32 v5, v5, v7
	v_not_b32_e32 v7, v9
	v_ashrrev_i32_e32 v6, 31, v6
	s_wait_alu 0xf1ff
	v_xor_b32_e32 v10, s21, v10
	v_lshlrev_b32_e32 v4, 5, v4
	v_and_b32_e32 v5, v5, v8
	v_cmp_gt_i32_e64 s21, 0, v9
	v_ashrrev_i32_e32 v7, 31, v7
	s_wait_alu 0xfffd
	v_xor_b32_e32 v6, vcc_lo, v6
	v_add_nc_u32_e32 v60, v133, v4
	v_and_b32_e32 v5, v5, v10
	s_wait_alu 0xf1ff
	v_xor_b32_e32 v4, s21, v7
	ds_load_b32 v58, v60 offset:32
	v_and_b32_e32 v5, v5, v6
	; wave barrier
	s_delay_alu instid0(VALU_DEP_1) | instskip(NEXT) | instid1(VALU_DEP_1)
	v_and_b32_e32 v4, v5, v4
	v_mbcnt_lo_u32_b32 v59, v4, 0
	v_cmp_ne_u32_e64 s21, 0, v4
	s_delay_alu instid0(VALU_DEP_2)
	v_cmp_eq_u32_e32 vcc_lo, 0, v59
	s_and_b32 s36, s21, vcc_lo
	s_wait_alu 0xfffe
	s_and_saveexec_b32 s21, s36
	s_cbranch_execz .LBB186_44
; %bb.43:                               ;   in Loop: Header=BB186_32 Depth=1
	s_wait_dscnt 0x0
	v_bcnt_u32_b32 v4, v4, v58
	ds_store_b32 v60, v4 offset:32
.LBB186_44:                             ;   in Loop: Header=BB186_32 Depth=1
	s_wait_alu 0xfffe
	s_or_b32 exec_lo, exec_lo, s21
	v_cmp_ne_u64_e32 vcc_lo, s[26:27], v[78:79]
	; wave barrier
	s_wait_alu 0xfffd
	v_cndmask_b32_e32 v5, 0x80000000, v79, vcc_lo
	v_cndmask_b32_e32 v4, 0, v78, vcc_lo
	s_delay_alu instid0(VALU_DEP_1) | instskip(NEXT) | instid1(VALU_DEP_1)
	v_lshrrev_b64 v[4:5], v69, v[4:5]
	v_and_b32_e32 v4, s33, v4
	s_delay_alu instid0(VALU_DEP_1)
	v_and_b32_e32 v5, 1, v4
	v_lshlrev_b32_e32 v6, 30, v4
	v_lshlrev_b32_e32 v7, 29, v4
	;; [unrolled: 1-line block ×4, first 2 shown]
	v_add_co_u32 v5, s21, v5, -1
	s_wait_alu 0xf1ff
	v_cndmask_b32_e64 v9, 0, 1, s21
	v_not_b32_e32 v62, v6
	v_cmp_gt_i32_e64 s21, 0, v6
	v_not_b32_e32 v6, v7
	v_lshlrev_b32_e32 v11, 26, v4
	v_cmp_ne_u32_e32 vcc_lo, 0, v9
	v_ashrrev_i32_e32 v62, 31, v62
	v_lshlrev_b32_e32 v61, 25, v4
	v_ashrrev_i32_e32 v6, 31, v6
	v_lshlrev_b32_e32 v9, 24, v4
	s_wait_alu 0xfffd
	v_xor_b32_e32 v5, vcc_lo, v5
	v_cmp_gt_i32_e32 vcc_lo, 0, v7
	v_not_b32_e32 v7, v8
	s_wait_alu 0xf1ff
	v_xor_b32_e32 v62, s21, v62
	v_cmp_gt_i32_e64 s21, 0, v8
	v_and_b32_e32 v5, exec_lo, v5
	v_not_b32_e32 v8, v10
	v_ashrrev_i32_e32 v7, 31, v7
	s_wait_alu 0xfffd
	v_xor_b32_e32 v6, vcc_lo, v6
	v_cmp_gt_i32_e32 vcc_lo, 0, v10
	v_and_b32_e32 v5, v5, v62
	v_not_b32_e32 v10, v11
	v_ashrrev_i32_e32 v8, 31, v8
	s_wait_alu 0xf1ff
	v_xor_b32_e32 v7, s21, v7
	v_cmp_gt_i32_e64 s21, 0, v11
	v_and_b32_e32 v5, v5, v6
	v_not_b32_e32 v6, v61
	v_ashrrev_i32_e32 v10, 31, v10
	s_wait_alu 0xfffd
	v_xor_b32_e32 v8, vcc_lo, v8
	v_cmp_gt_i32_e32 vcc_lo, 0, v61
	v_and_b32_e32 v5, v5, v7
	v_not_b32_e32 v7, v9
	v_ashrrev_i32_e32 v6, 31, v6
	s_wait_alu 0xf1ff
	v_xor_b32_e32 v10, s21, v10
	v_lshlrev_b32_e32 v4, 5, v4
	v_and_b32_e32 v5, v5, v8
	v_cmp_gt_i32_e64 s21, 0, v9
	v_ashrrev_i32_e32 v7, 31, v7
	s_wait_alu 0xfffd
	v_xor_b32_e32 v6, vcc_lo, v6
	v_add_nc_u32_e32 v63, v133, v4
	v_and_b32_e32 v5, v5, v10
	s_wait_alu 0xf1ff
	v_xor_b32_e32 v4, s21, v7
	ds_load_b32 v61, v63 offset:32
	v_and_b32_e32 v5, v5, v6
	; wave barrier
	s_delay_alu instid0(VALU_DEP_1) | instskip(NEXT) | instid1(VALU_DEP_1)
	v_and_b32_e32 v4, v5, v4
	v_mbcnt_lo_u32_b32 v62, v4, 0
	v_cmp_ne_u32_e64 s21, 0, v4
	s_delay_alu instid0(VALU_DEP_2)
	v_cmp_eq_u32_e32 vcc_lo, 0, v62
	s_and_b32 s36, s21, vcc_lo
	s_wait_alu 0xfffe
	s_and_saveexec_b32 s21, s36
	s_cbranch_execz .LBB186_46
; %bb.45:                               ;   in Loop: Header=BB186_32 Depth=1
	s_wait_dscnt 0x0
	v_bcnt_u32_b32 v4, v4, v61
	ds_store_b32 v63, v4 offset:32
.LBB186_46:                             ;   in Loop: Header=BB186_32 Depth=1
	s_wait_alu 0xfffe
	s_or_b32 exec_lo, exec_lo, s21
	v_cmp_ne_u64_e32 vcc_lo, s[26:27], v[76:77]
	; wave barrier
	s_wait_alu 0xfffd
	v_cndmask_b32_e32 v5, 0x80000000, v77, vcc_lo
	v_cndmask_b32_e32 v4, 0, v76, vcc_lo
	s_delay_alu instid0(VALU_DEP_1) | instskip(NEXT) | instid1(VALU_DEP_1)
	v_lshrrev_b64 v[4:5], v69, v[4:5]
	v_and_b32_e32 v4, s33, v4
	s_delay_alu instid0(VALU_DEP_1)
	v_and_b32_e32 v5, 1, v4
	v_lshlrev_b32_e32 v6, 30, v4
	v_lshlrev_b32_e32 v7, 29, v4
	;; [unrolled: 1-line block ×4, first 2 shown]
	v_add_co_u32 v5, s21, v5, -1
	s_wait_alu 0xf1ff
	v_cndmask_b32_e64 v9, 0, 1, s21
	v_not_b32_e32 v65, v6
	v_cmp_gt_i32_e64 s21, 0, v6
	v_not_b32_e32 v6, v7
	v_lshlrev_b32_e32 v11, 26, v4
	v_cmp_ne_u32_e32 vcc_lo, 0, v9
	v_ashrrev_i32_e32 v65, 31, v65
	v_lshlrev_b32_e32 v64, 25, v4
	v_ashrrev_i32_e32 v6, 31, v6
	v_lshlrev_b32_e32 v9, 24, v4
	s_wait_alu 0xfffd
	v_xor_b32_e32 v5, vcc_lo, v5
	v_cmp_gt_i32_e32 vcc_lo, 0, v7
	v_not_b32_e32 v7, v8
	s_wait_alu 0xf1ff
	v_xor_b32_e32 v65, s21, v65
	v_cmp_gt_i32_e64 s21, 0, v8
	v_and_b32_e32 v5, exec_lo, v5
	v_not_b32_e32 v8, v10
	v_ashrrev_i32_e32 v7, 31, v7
	s_wait_alu 0xfffd
	v_xor_b32_e32 v6, vcc_lo, v6
	v_cmp_gt_i32_e32 vcc_lo, 0, v10
	v_and_b32_e32 v5, v5, v65
	v_not_b32_e32 v10, v11
	v_ashrrev_i32_e32 v8, 31, v8
	s_wait_alu 0xf1ff
	v_xor_b32_e32 v7, s21, v7
	v_cmp_gt_i32_e64 s21, 0, v11
	v_and_b32_e32 v5, v5, v6
	v_not_b32_e32 v6, v64
	v_ashrrev_i32_e32 v10, 31, v10
	s_wait_alu 0xfffd
	v_xor_b32_e32 v8, vcc_lo, v8
	v_cmp_gt_i32_e32 vcc_lo, 0, v64
	v_and_b32_e32 v5, v5, v7
	v_not_b32_e32 v7, v9
	v_ashrrev_i32_e32 v6, 31, v6
	s_wait_alu 0xf1ff
	v_xor_b32_e32 v10, s21, v10
	v_lshlrev_b32_e32 v4, 5, v4
	v_and_b32_e32 v5, v5, v8
	v_cmp_gt_i32_e64 s21, 0, v9
	v_ashrrev_i32_e32 v7, 31, v7
	s_wait_alu 0xfffd
	v_xor_b32_e32 v6, vcc_lo, v6
	v_add_nc_u32_e32 v66, v133, v4
	v_and_b32_e32 v5, v5, v10
	s_wait_alu 0xf1ff
	v_xor_b32_e32 v4, s21, v7
	ds_load_b32 v64, v66 offset:32
	v_and_b32_e32 v5, v5, v6
	; wave barrier
	s_delay_alu instid0(VALU_DEP_1) | instskip(NEXT) | instid1(VALU_DEP_1)
	v_and_b32_e32 v4, v5, v4
	v_mbcnt_lo_u32_b32 v65, v4, 0
	v_cmp_ne_u32_e64 s21, 0, v4
	s_delay_alu instid0(VALU_DEP_2)
	v_cmp_eq_u32_e32 vcc_lo, 0, v65
	s_and_b32 s33, s21, vcc_lo
	s_wait_alu 0xfffe
	s_and_saveexec_b32 s21, s33
	s_cbranch_execz .LBB186_48
; %bb.47:                               ;   in Loop: Header=BB186_32 Depth=1
	s_wait_dscnt 0x0
	v_bcnt_u32_b32 v4, v4, v64
	ds_store_b32 v66, v4 offset:32
.LBB186_48:                             ;   in Loop: Header=BB186_32 Depth=1
	s_wait_alu 0xfffe
	s_or_b32 exec_lo, exec_lo, s21
	; wave barrier
	s_wait_loadcnt_dscnt 0x0
	s_barrier_signal -1
	s_barrier_wait -1
	global_inv scope:SCOPE_SE
	ds_load_b128 v[8:11], v115 offset:32
	ds_load_b128 v[4:7], v115 offset:48
	s_wait_dscnt 0x1
	v_add_nc_u32_e32 v67, v9, v8
	s_delay_alu instid0(VALU_DEP_1) | instskip(SKIP_1) | instid1(VALU_DEP_1)
	v_add3_u32 v67, v67, v10, v11
	s_wait_dscnt 0x0
	v_add3_u32 v67, v67, v4, v5
	s_delay_alu instid0(VALU_DEP_1) | instskip(NEXT) | instid1(VALU_DEP_1)
	v_add3_u32 v7, v67, v6, v7
	v_mov_b32_dpp v67, v7 row_shr:1 row_mask:0xf bank_mask:0xf
	s_delay_alu instid0(VALU_DEP_1) | instskip(NEXT) | instid1(VALU_DEP_1)
	v_cndmask_b32_e64 v67, v67, 0, s11
	v_add_nc_u32_e32 v7, v67, v7
	s_delay_alu instid0(VALU_DEP_1) | instskip(NEXT) | instid1(VALU_DEP_1)
	v_mov_b32_dpp v67, v7 row_shr:2 row_mask:0xf bank_mask:0xf
	v_cndmask_b32_e64 v67, 0, v67, s13
	s_delay_alu instid0(VALU_DEP_1) | instskip(NEXT) | instid1(VALU_DEP_1)
	v_add_nc_u32_e32 v7, v7, v67
	v_mov_b32_dpp v67, v7 row_shr:4 row_mask:0xf bank_mask:0xf
	s_delay_alu instid0(VALU_DEP_1) | instskip(NEXT) | instid1(VALU_DEP_1)
	v_cndmask_b32_e64 v67, 0, v67, s14
	v_add_nc_u32_e32 v7, v7, v67
	s_delay_alu instid0(VALU_DEP_1) | instskip(NEXT) | instid1(VALU_DEP_1)
	v_mov_b32_dpp v67, v7 row_shr:8 row_mask:0xf bank_mask:0xf
	v_cndmask_b32_e64 v67, 0, v67, s15
	s_delay_alu instid0(VALU_DEP_1) | instskip(SKIP_3) | instid1(VALU_DEP_1)
	v_add_nc_u32_e32 v7, v7, v67
	ds_swizzle_b32 v67, v7 offset:swizzle(BROADCAST,32,15)
	s_wait_dscnt 0x0
	v_cndmask_b32_e64 v67, v67, 0, s16
	v_add_nc_u32_e32 v7, v7, v67
	s_and_saveexec_b32 s21, s17
; %bb.49:                               ;   in Loop: Header=BB186_32 Depth=1
	ds_store_b32 v116, v7
; %bb.50:                               ;   in Loop: Header=BB186_32 Depth=1
	s_wait_alu 0xfffe
	s_or_b32 exec_lo, exec_lo, s21
	s_wait_loadcnt_dscnt 0x0
	s_barrier_signal -1
	s_barrier_wait -1
	global_inv scope:SCOPE_SE
	s_and_saveexec_b32 s21, s8
	s_cbranch_execz .LBB186_52
; %bb.51:                               ;   in Loop: Header=BB186_32 Depth=1
	ds_load_b32 v67, v134
	s_wait_dscnt 0x0
	v_mov_b32_dpp v135, v67 row_shr:1 row_mask:0xf bank_mask:0xf
	s_delay_alu instid0(VALU_DEP_1) | instskip(NEXT) | instid1(VALU_DEP_1)
	v_cndmask_b32_e64 v135, v135, 0, s18
	v_add_nc_u32_e32 v67, v135, v67
	s_delay_alu instid0(VALU_DEP_1) | instskip(NEXT) | instid1(VALU_DEP_1)
	v_mov_b32_dpp v135, v67 row_shr:2 row_mask:0xf bank_mask:0xf
	v_cndmask_b32_e64 v135, 0, v135, s19
	s_delay_alu instid0(VALU_DEP_1) | instskip(NEXT) | instid1(VALU_DEP_1)
	v_add_nc_u32_e32 v67, v67, v135
	v_mov_b32_dpp v135, v67 row_shr:4 row_mask:0xf bank_mask:0xf
	s_delay_alu instid0(VALU_DEP_1) | instskip(NEXT) | instid1(VALU_DEP_1)
	v_cndmask_b32_e64 v135, 0, v135, s20
	v_add_nc_u32_e32 v67, v67, v135
	ds_store_b32 v134, v67
.LBB186_52:                             ;   in Loop: Header=BB186_32 Depth=1
	s_wait_alu 0xfffe
	s_or_b32 exec_lo, exec_lo, s21
	v_mov_b32_e32 v67, 0
	s_wait_loadcnt_dscnt 0x0
	s_barrier_signal -1
	s_barrier_wait -1
	global_inv scope:SCOPE_SE
	s_and_saveexec_b32 s21, s9
; %bb.53:                               ;   in Loop: Header=BB186_32 Depth=1
	ds_load_b32 v67, v132
; %bb.54:                               ;   in Loop: Header=BB186_32 Depth=1
	s_wait_alu 0xfffe
	s_or_b32 exec_lo, exec_lo, s21
	s_wait_dscnt 0x0
	v_add_nc_u32_e32 v7, v67, v7
	v_cmp_lt_u32_e32 vcc_lo, 55, v69
	s_mov_b32 s21, -1
	ds_bpermute_b32 v7, v131, v7
	s_and_b32 vcc_lo, exec_lo, vcc_lo
	s_wait_dscnt 0x0
	v_cndmask_b32_e64 v7, v7, v67, s12
	s_delay_alu instid0(VALU_DEP_1) | instskip(NEXT) | instid1(VALU_DEP_1)
	v_cndmask_b32_e64 v7, v7, 0, s10
	v_add_nc_u32_e32 v8, v7, v8
	s_delay_alu instid0(VALU_DEP_1) | instskip(NEXT) | instid1(VALU_DEP_1)
	v_add_nc_u32_e32 v9, v8, v9
	v_add_nc_u32_e32 v10, v9, v10
	s_delay_alu instid0(VALU_DEP_1) | instskip(NEXT) | instid1(VALU_DEP_1)
	v_add_nc_u32_e32 v135, v10, v11
	;; [unrolled: 3-line block ×3, first 2 shown]
	v_add_nc_u32_e32 v138, v137, v6
	ds_store_b128 v115, v[7:10] offset:32
	ds_store_b128 v115, v[135:138] offset:48
	s_wait_loadcnt_dscnt 0x0
	s_barrier_signal -1
	s_barrier_wait -1
	global_inv scope:SCOPE_SE
	ds_load_b32 v4, v13 offset:32
	ds_load_b32 v5, v48 offset:32
	;; [unrolled: 1-line block ×8, first 2 shown]
	s_wait_dscnt 0x7
	v_add_nc_u32_e32 v142, v4, v12
	s_wait_dscnt 0x6
	v_add3_u32 v141, v15, v14, v5
	s_wait_dscnt 0x5
	v_add3_u32 v140, v50, v49, v6
	;; [unrolled: 2-line block ×7, first 2 shown]
                                        ; implicit-def: $vgpr66_vgpr67
                                        ; implicit-def: $vgpr14_vgpr15
                                        ; implicit-def: $vgpr10_vgpr11
                                        ; implicit-def: $vgpr6_vgpr7
                                        ; implicit-def: $vgpr62_vgpr63
                                        ; implicit-def: $vgpr58_vgpr59
                                        ; implicit-def: $vgpr54_vgpr55
                                        ; implicit-def: $vgpr50_vgpr51
	s_wait_alu 0xfffe
	s_cbranch_vccnz .LBB186_31
; %bb.55:                               ;   in Loop: Header=BB186_32 Depth=1
	v_lshlrev_b32_e32 v48, 3, v142
	v_lshlrev_b32_e32 v51, 3, v139
	;; [unrolled: 1-line block ×8, first 2 shown]
	s_wait_loadcnt 0x0
	s_barrier_signal -1
	s_barrier_wait -1
	global_inv scope:SCOPE_SE
	ds_store_b64 v48, v[74:75]
	ds_store_b64 v49, v[104:105]
	;; [unrolled: 1-line block ×8, first 2 shown]
	s_wait_loadcnt_dscnt 0x0
	s_barrier_signal -1
	s_barrier_wait -1
	global_inv scope:SCOPE_SE
	ds_load_2addr_b64 v[4:7], v130 offset1:32
	ds_load_2addr_b64 v[8:11], v130 offset0:64 offset1:96
	ds_load_2addr_b64 v[12:15], v130 offset0:128 offset1:160
	;; [unrolled: 1-line block ×3, first 2 shown]
	s_wait_loadcnt_dscnt 0x0
	s_barrier_signal -1
	s_barrier_wait -1
	global_inv scope:SCOPE_SE
	ds_store_b64 v48, v[96:97]
	ds_store_b64 v49, v[94:95]
	;; [unrolled: 1-line block ×8, first 2 shown]
	s_wait_loadcnt_dscnt 0x0
	s_barrier_signal -1
	s_barrier_wait -1
	global_inv scope:SCOPE_SE
	ds_load_2addr_b64 v[48:51], v130 offset1:32
	ds_load_2addr_b64 v[52:55], v130 offset0:64 offset1:96
	ds_load_2addr_b64 v[56:59], v130 offset0:128 offset1:160
	ds_load_2addr_b64 v[60:63], v130 offset0:192 offset1:224
	v_add_co_u32 v69, vcc_lo, v69, 8
	s_wait_alu 0xfffd
	v_add_co_ci_u32_e64 v70, null, 0, v70, vcc_lo
	s_add_co_i32 s29, s29, -8
	s_mov_b32 s21, 0
	s_wait_loadcnt_dscnt 0x0
	s_barrier_signal -1
	s_barrier_wait -1
	global_inv scope:SCOPE_SE
	s_branch .LBB186_31
.LBB186_56:
	v_lshlrev_b64_e32 v[1:2], 3, v[68:69]
	v_mov_b32_e32 v70, v69
	v_dual_mov_b32 v4, v69 :: v_dual_mov_b32 v5, v69
	v_dual_mov_b32 v6, v69 :: v_dual_mov_b32 v7, v69
	s_delay_alu instid0(VALU_DEP_4)
	v_add_co_u32 v1, vcc_lo, s34, v1
	s_wait_alu 0xfffd
	v_add_co_ci_u32_e64 v2, null, s35, v2, vcc_lo
	v_dual_mov_b32 v8, v69 :: v_dual_mov_b32 v9, v69
	v_dual_mov_b32 v10, v69 :: v_dual_mov_b32 v13, v69
	global_load_b64 v[11:12], v[1:2], off
	v_dual_mov_b32 v1, v69 :: v_dual_mov_b32 v2, v69
	v_dual_mov_b32 v3, v69 :: v_dual_mov_b32 v14, v69
	s_wait_alu 0xfffe
	s_or_b32 exec_lo, exec_lo, s8
	s_and_saveexec_b32 s8, s1
	s_cbranch_execz .LBB186_22
.LBB186_57:
	v_mul_lo_u32 v39, s28, v32
	v_mov_b32_e32 v40, 0
	s_delay_alu instid0(VALU_DEP_1) | instskip(NEXT) | instid1(VALU_DEP_1)
	v_lshlrev_b64_e32 v[39:40], 3, v[39:40]
	v_add_co_u32 v39, vcc_lo, s34, v39
	s_wait_alu 0xfffd
	s_delay_alu instid0(VALU_DEP_2)
	v_add_co_ci_u32_e64 v40, null, s35, v40, vcc_lo
	global_load_b64 v[69:70], v[39:40], off
	s_wait_alu 0xfffe
	s_or_b32 exec_lo, exec_lo, s8
	s_and_saveexec_b32 s8, s2
	s_cbranch_execz .LBB186_23
.LBB186_58:
	v_mul_lo_u32 v1, s28, v33
	v_mov_b32_e32 v2, 0
	s_delay_alu instid0(VALU_DEP_1) | instskip(NEXT) | instid1(VALU_DEP_1)
	v_lshlrev_b64_e32 v[1:2], 3, v[1:2]
	v_add_co_u32 v1, vcc_lo, s34, v1
	s_wait_alu 0xfffd
	s_delay_alu instid0(VALU_DEP_2)
	v_add_co_ci_u32_e64 v2, null, s35, v2, vcc_lo
	global_load_b64 v[1:2], v[1:2], off
	s_wait_alu 0xfffe
	s_or_b32 exec_lo, exec_lo, s8
	s_and_saveexec_b32 s8, s3
	s_cbranch_execz .LBB186_24
.LBB186_59:
	v_mul_lo_u32 v3, s28, v34
	v_mov_b32_e32 v4, 0
	s_delay_alu instid0(VALU_DEP_1) | instskip(NEXT) | instid1(VALU_DEP_1)
	v_lshlrev_b64_e32 v[3:4], 3, v[3:4]
	v_add_co_u32 v3, vcc_lo, s34, v3
	s_wait_alu 0xfffd
	s_delay_alu instid0(VALU_DEP_2)
	v_add_co_ci_u32_e64 v4, null, s35, v4, vcc_lo
	global_load_b64 v[3:4], v[3:4], off
	s_wait_alu 0xfffe
	s_or_b32 exec_lo, exec_lo, s8
	s_and_saveexec_b32 s8, s4
	s_cbranch_execz .LBB186_25
.LBB186_60:
	v_mul_lo_u32 v5, s28, v35
	v_mov_b32_e32 v6, 0
	s_delay_alu instid0(VALU_DEP_1) | instskip(NEXT) | instid1(VALU_DEP_1)
	v_lshlrev_b64_e32 v[5:6], 3, v[5:6]
	v_add_co_u32 v5, vcc_lo, s34, v5
	s_wait_alu 0xfffd
	s_delay_alu instid0(VALU_DEP_2)
	v_add_co_ci_u32_e64 v6, null, s35, v6, vcc_lo
	global_load_b64 v[5:6], v[5:6], off
	s_wait_alu 0xfffe
	s_or_b32 exec_lo, exec_lo, s8
	s_and_saveexec_b32 s8, s5
	s_cbranch_execz .LBB186_26
.LBB186_61:
	v_mul_lo_u32 v7, s28, v36
	v_mov_b32_e32 v8, 0
	s_delay_alu instid0(VALU_DEP_1) | instskip(NEXT) | instid1(VALU_DEP_1)
	v_lshlrev_b64_e32 v[7:8], 3, v[7:8]
	v_add_co_u32 v7, vcc_lo, s34, v7
	s_wait_alu 0xfffd
	s_delay_alu instid0(VALU_DEP_2)
	v_add_co_ci_u32_e64 v8, null, s35, v8, vcc_lo
	global_load_b64 v[7:8], v[7:8], off
	s_wait_alu 0xfffe
	s_or_b32 exec_lo, exec_lo, s8
	s_and_saveexec_b32 s8, s6
	s_cbranch_execz .LBB186_27
.LBB186_62:
	v_mul_lo_u32 v9, s28, v37
	v_mov_b32_e32 v10, 0
	s_delay_alu instid0(VALU_DEP_1) | instskip(NEXT) | instid1(VALU_DEP_1)
	v_lshlrev_b64_e32 v[9:10], 3, v[9:10]
	v_add_co_u32 v9, vcc_lo, s34, v9
	s_wait_alu 0xfffd
	s_delay_alu instid0(VALU_DEP_2)
	v_add_co_ci_u32_e64 v10, null, s35, v10, vcc_lo
	global_load_b64 v[9:10], v[9:10], off
	s_wait_alu 0xfffe
	s_or_b32 exec_lo, exec_lo, s8
	s_xor_b32 s8, s20, -1
	s_and_saveexec_b32 s9, s7
	s_cbranch_execnz .LBB186_28
	s_branch .LBB186_29
.LBB186_63:
                                        ; implicit-def: $vgpr58_vgpr59
                                        ; implicit-def: $vgpr62_vgpr63
                                        ; implicit-def: $vgpr50_vgpr51
                                        ; implicit-def: $vgpr54_vgpr55
                                        ; implicit-def: $vgpr0_vgpr1_vgpr2_vgpr3_vgpr4_vgpr5_vgpr6_vgpr7_vgpr8_vgpr9_vgpr10_vgpr11_vgpr12_vgpr13_vgpr14_vgpr15
	s_cbranch_execnz .LBB186_65
	s_branch .LBB186_92
.LBB186_64:
	v_lshlrev_b32_e32 v48, 3, v142
	v_lshlrev_b32_e32 v51, 3, v139
	;; [unrolled: 1-line block ×9, first 2 shown]
	s_wait_loadcnt 0x0
	s_barrier_signal -1
	s_barrier_wait -1
	global_inv scope:SCOPE_SE
	ds_store_b64 v48, v[74:75]
	ds_store_b64 v49, v[104:105]
	;; [unrolled: 1-line block ×8, first 2 shown]
	s_wait_loadcnt_dscnt 0x0
	s_barrier_signal -1
	s_barrier_wait -1
	global_inv scope:SCOPE_SE
	ds_load_b128 v[0:3], v56
	ds_load_b128 v[4:7], v56 offset:16
	ds_load_b128 v[8:11], v56 offset:32
	;; [unrolled: 1-line block ×3, first 2 shown]
	s_wait_loadcnt_dscnt 0x0
	s_barrier_signal -1
	s_barrier_wait -1
	global_inv scope:SCOPE_SE
	ds_store_b64 v48, v[96:97]
	ds_store_b64 v49, v[94:95]
	;; [unrolled: 1-line block ×8, first 2 shown]
	s_wait_loadcnt_dscnt 0x0
	s_barrier_signal -1
	s_barrier_wait -1
	global_inv scope:SCOPE_SE
	ds_load_b128 v[52:55], v56
	ds_load_b128 v[48:51], v56 offset:16
	v_cmp_lt_i64_e32 vcc_lo, -1, v[0:1]
	v_ashrrev_i32_e32 v66, 31, v3
	v_ashrrev_i32_e32 v57, 31, v1
	s_wait_alu 0xfffd
	v_cndmask_b32_e64 v64, 0x80000000, -1, vcc_lo
	v_cmp_lt_i64_e32 vcc_lo, -1, v[2:3]
	v_not_b32_e32 v66, v66
	v_not_b32_e32 v65, v57
	ds_load_b128 v[60:63], v56 offset:32
	ds_load_b128 v[56:59], v56 offset:48
	v_xor_b32_e32 v1, v64, v1
	v_ashrrev_i32_e32 v64, 31, v5
	s_wait_alu 0xfffd
	v_cndmask_b32_e64 v67, 0x80000000, -1, vcc_lo
	v_cmp_lt_i64_e32 vcc_lo, -1, v[4:5]
	v_xor_b32_e32 v2, v66, v2
	v_xor_b32_e32 v0, v65, v0
	v_ashrrev_i32_e32 v65, 31, v7
	v_xor_b32_e32 v3, v67, v3
	v_not_b32_e32 v64, v64
	s_wait_alu 0xfffd
	v_cndmask_b32_e64 v66, 0x80000000, -1, vcc_lo
	v_cmp_lt_i64_e32 vcc_lo, -1, v[6:7]
	v_not_b32_e32 v65, v65
	v_xor_b32_e32 v4, v64, v4
	v_ashrrev_i32_e32 v64, 31, v9
	v_xor_b32_e32 v5, v66, v5
	s_wait_alu 0xfffd
	v_cndmask_b32_e64 v67, 0x80000000, -1, vcc_lo
	v_cmp_lt_i64_e32 vcc_lo, -1, v[8:9]
	v_xor_b32_e32 v6, v65, v6
	v_not_b32_e32 v64, v64
	v_ashrrev_i32_e32 v66, 31, v11
	v_xor_b32_e32 v7, v67, v7
	s_wait_alu 0xfffd
	v_cndmask_b32_e64 v65, 0x80000000, -1, vcc_lo
	v_cmp_lt_i64_e32 vcc_lo, -1, v[10:11]
	v_xor_b32_e32 v8, v64, v8
	v_not_b32_e32 v64, v66
	v_ashrrev_i32_e32 v66, 31, v15
	v_xor_b32_e32 v9, v65, v9
	v_ashrrev_i32_e32 v65, 31, v13
	s_wait_alu 0xfffd
	v_cndmask_b32_e64 v67, 0x80000000, -1, vcc_lo
	v_cmp_lt_i64_e32 vcc_lo, -1, v[12:13]
	v_not_b32_e32 v66, v66
	v_xor_b32_e32 v10, v64, v10
	v_not_b32_e32 v65, v65
	v_xor_b32_e32 v11, v67, v11
	s_wait_alu 0xfffd
	v_cndmask_b32_e64 v67, 0x80000000, -1, vcc_lo
	v_cmp_lt_i64_e32 vcc_lo, -1, v[14:15]
	v_xor_b32_e32 v12, v65, v12
	v_xor_b32_e32 v14, v66, v14
	s_delay_alu instid0(VALU_DEP_4) | instskip(SKIP_2) | instid1(VALU_DEP_1)
	v_xor_b32_e32 v13, v67, v13
	s_wait_alu 0xfffd
	v_cndmask_b32_e64 v69, 0x80000000, -1, vcc_lo
	v_xor_b32_e32 v15, v69, v15
	s_branch .LBB186_92
.LBB186_65:
	v_cmp_gt_i64_e32 vcc_lo, 0, v[28:29]
	v_not_b32_e32 v12, v124
	v_not_b32_e32 v8, v126
	;; [unrolled: 1-line block ×4, first 2 shown]
	v_or_b32_e32 v14, v118, v119
	s_wait_alu 0xfffd
	v_cndmask_b32_e64 v0, 0x7fffffff, 0, vcc_lo
	v_cmp_gt_i64_e32 vcc_lo, 0, v[30:31]
	s_getpc_b64 s[8:9]
	s_wait_alu 0xfffe
	s_sext_i32_i16 s9, s9
	s_add_co_u32 s8, s8, _ZN7rocprim17ROCPRIM_400000_NS16block_radix_sortIdLj256ELj8ElLj1ELj1ELj0ELNS0_26block_radix_rank_algorithmE1ELNS0_18block_padding_hintE2ELNS0_4arch9wavefront6targetE0EE19radix_bits_per_passE@rel32@lo+12
	s_wait_alu 0xfffe
	s_add_co_ci_u32 s9, s9, _ZN7rocprim17ROCPRIM_400000_NS16block_radix_sortIdLj256ELj8ElLj1ELj1ELj0ELNS0_26block_radix_rank_algorithmE1ELNS0_18block_padding_hintE2ELNS0_4arch9wavefront6targetE0EE19radix_bits_per_passE@rel32@hi+24
	v_cmp_gt_u32_e64 s15, 8, v73
	s_load_b32 s23, s[8:9], 0x0
	v_xor_b32_e32 v1, v0, v29
	v_xor_b32_e32 v0, v2, v28
	v_cndmask_b32_e64 v3, 0x7fffffff, 0, vcc_lo
	v_cmp_gt_i64_e32 vcc_lo, 0, v[24:25]
	v_xor_b32_e32 v2, v4, v30
	v_not_b32_e32 v4, v127
	v_cmp_lt_u32_e64 s16, 31, v73
	v_xor_b32_e32 v3, v3, v31
	v_cmp_eq_u32_e64 s17, 0, v73
	s_wait_alu 0xfffd
	v_cndmask_b32_e64 v5, 0x7fffffff, 0, vcc_lo
	v_cmp_gt_i64_e32 vcc_lo, 0, v[26:27]
	v_xor_b32_e32 v4, v4, v24
	v_add_nc_u32_e32 v77, v115, v117
	s_delay_alu instid0(VALU_DEP_4) | instskip(SKIP_3) | instid1(VALU_DEP_2)
	v_xor_b32_e32 v5, v5, v25
	s_wait_alu 0xfffd
	v_cndmask_b32_e64 v6, 0x7fffffff, 0, vcc_lo
	v_cmp_gt_i64_e32 vcc_lo, 0, v[20:21]
	v_xor_b32_e32 v7, v6, v27
	v_xor_b32_e32 v6, v8, v26
	s_wait_alu 0xfffd
	v_cndmask_b32_e64 v9, 0x7fffffff, 0, vcc_lo
	v_cmp_gt_i64_e32 vcc_lo, 0, v[22:23]
	v_not_b32_e32 v8, v125
	s_delay_alu instid0(VALU_DEP_3)
	v_xor_b32_e32 v9, v9, v21
	s_wait_alu 0xfffd
	v_cndmask_b32_e64 v10, 0x7fffffff, 0, vcc_lo
	v_cmp_gt_i64_e32 vcc_lo, 0, v[16:17]
	v_xor_b32_e32 v8, v8, v20
	v_lshlrev_b32_e32 v20, 6, v14
	ds_store_b128 v20, v[0:3]
	ds_store_b128 v20, v[4:7] offset:16
	s_wait_alu 0xfffd
	v_cndmask_b32_e64 v13, 0x7fffffff, 0, vcc_lo
	v_xor_b32_e32 v11, v10, v23
	v_xor_b32_e32 v10, v12, v22
	v_not_b32_e32 v12, v123
	v_cmp_gt_i64_e32 vcc_lo, 0, v[18:19]
	v_xor_b32_e32 v13, v13, v17
	v_not_b32_e32 v17, v122
	v_and_b32_e32 v3, 16, v118
	v_xor_b32_e32 v12, v12, v16
	v_and_or_b32 v16, 0x1f00, v72, v118
	s_wait_alu 0xfffd
	v_cndmask_b32_e64 v15, 0x7fffffff, 0, vcc_lo
	v_xor_b32_e32 v14, v17, v18
	s_delay_alu instid0(VALU_DEP_3) | instskip(NEXT) | instid1(VALU_DEP_3)
	v_lshlrev_b32_e32 v74, 3, v16
	v_xor_b32_e32 v15, v15, v19
	ds_store_b128 v20, v[8:11] offset:32
	ds_store_b128 v20, v[12:15] offset:48
	; wave barrier
	ds_load_2addr_b64 v[4:7], v74 offset1:32
	ds_load_2addr_b64 v[8:11], v74 offset0:64 offset1:96
	ds_load_2addr_b64 v[12:15], v74 offset0:128 offset1:160
	s_wait_dscnt 0x9
	ds_load_2addr_b64 v[48:51], v74 offset0:192 offset1:224
	; wave barrier
	ds_store_b128 v20, v[44:47]
	ds_store_b128 v20, v[40:43] offset:16
	ds_store_b128 v20, v[36:39] offset:32
	;; [unrolled: 1-line block ×3, first 2 shown]
	; wave barrier
	ds_load_2addr_b64 v[16:19], v74 offset1:32
	ds_load_2addr_b64 v[20:23], v74 offset0:64 offset1:96
	ds_load_2addr_b64 v[24:27], v74 offset0:128 offset1:160
	;; [unrolled: 1-line block ×3, first 2 shown]
	s_wait_loadcnt_dscnt 0x0
	s_barrier_signal -1
	s_barrier_wait -1
	global_inv scope:SCOPE_SE
	s_load_b32 s10, s[24:25], 0xc
	s_mov_b32 s24, 0
	s_delay_alu instid0(SALU_CYCLE_1) | instskip(SKIP_3) | instid1(VALU_DEP_1)
	s_mov_b32 s25, s24
	s_mov_b32 s26, s24
	;; [unrolled: 1-line block ×3, first 2 shown]
	v_and_b32_e32 v2, 15, v118
	v_cmp_lt_u32_e64 s9, 1, v2
	v_cmp_lt_u32_e64 s12, 7, v2
	s_wait_kmcnt 0x0
	s_lshr_b32 s11, s10, 16
	s_and_b32 s8, s10, 0xffff
	s_wait_alu 0xfffe
	v_mad_u32_u24 v0, v121, s11, v120
	v_sub_co_u32 v32, s10, v118, 1
	v_cmp_lt_u32_e64 s11, 3, v2
	s_delay_alu instid0(VALU_DEP_3) | instskip(SKIP_1) | instid1(VALU_DEP_4)
	v_mad_co_u64_u32 v[0:1], null, v0, s8, v[73:74]
	v_min_u32_e32 v1, 0xe0, v119
	v_cmp_gt_i32_e32 vcc_lo, 0, v32
	v_cmp_eq_u32_e64 s8, 0, v2
	s_delay_alu instid0(VALU_DEP_3)
	v_or_b32_e32 v1, 31, v1
	s_wait_alu 0xfffd
	v_cndmask_b32_e32 v2, v32, v118, vcc_lo
	v_lshrrev_b32_e32 v0, 3, v0
	v_mov_b32_e32 v32, 0
	v_cmp_eq_u32_e64 s13, 0, v3
	v_cmp_eq_u32_e64 s14, v73, v1
	v_and_b32_e32 v1, 7, v118
	v_add_nc_u32_e32 v73, -4, v116
	v_lshlrev_b32_e32 v75, 2, v2
	v_dual_mov_b32 v33, 0 :: v_dual_and_b32 v76, 0x1ffffffc, v0
	s_delay_alu instid0(VALU_DEP_4)
	v_cmp_eq_u32_e64 s18, 0, v1
	v_cmp_lt_u32_e64 s19, 1, v1
	v_cmp_lt_u32_e64 s20, 3, v1
	v_dual_mov_b32 v0, s24 :: v_dual_mov_b32 v1, s25
	v_dual_mov_b32 v2, s26 :: v_dual_mov_b32 v3, s27
	s_mov_b32 s26, 64
	s_brev_b32 s25, 1
	s_branch .LBB186_67
.LBB186_66:                             ;   in Loop: Header=BB186_67 Depth=1
	s_wait_alu 0xfffe
	s_and_not1_b32 vcc_lo, exec_lo, s21
	s_wait_alu 0xfffe
	s_cbranch_vccz .LBB186_91
.LBB186_67:                             ; =>This Inner Loop Header: Depth=1
	v_dual_mov_b32 v35, v5 :: v_dual_mov_b32 v34, v4
	s_wait_alu 0xfffe
	s_min_u32 s21, s23, s26
	v_dual_mov_b32 v70, v7 :: v_dual_mov_b32 v59, v19
	s_wait_alu 0xfffe
	s_lshl_b32 s21, -1, s21
	v_cmp_ne_u64_e32 vcc_lo, s[24:25], v[34:35]
	s_wait_alu 0xfffe
	s_not_b32 s27, s21
	v_mov_b32_e32 v58, v18
	ds_store_b128 v115, v[0:3] offset:32
	ds_store_b128 v115, v[0:3] offset:48
	s_wait_loadcnt_dscnt 0x0
	s_wait_alu 0xfffd
	v_dual_mov_b32 v36, v50 :: v_dual_cndmask_b32 v5, 0x7fffffff, v35
	v_dual_cndmask_b32 v4, -1, v34 :: v_dual_mov_b32 v37, v51
	s_barrier_signal -1
	s_barrier_wait -1
	global_inv scope:SCOPE_SE
	v_lshrrev_b64 v[4:5], v32, v[4:5]
	; wave barrier
	v_dual_mov_b32 v38, v48 :: v_dual_mov_b32 v39, v49
	v_mov_b32_e32 v63, v13
	s_wait_alu 0xfffe
	s_delay_alu instid0(VALU_DEP_3) | instskip(SKIP_2) | instid1(VALU_DEP_3)
	v_and_b32_e32 v5, s27, v4
	v_dual_mov_b32 v41, v15 :: v_dual_mov_b32 v40, v14
	v_dual_mov_b32 v65, v11 :: v_dual_mov_b32 v62, v12
	v_lshlrev_b32_e32 v15, 29, v5
	v_and_b32_e32 v4, 1, v5
	v_lshlrev_b32_e32 v14, 30, v5
	v_lshlrev_b32_e32 v42, 28, v5
	v_dual_mov_b32 v67, v9 :: v_dual_lshlrev_b32 v44, 27, v5
	s_delay_alu instid0(VALU_DEP_4)
	v_add_co_u32 v4, s21, v4, -1
	s_wait_alu 0xf1ff
	v_cndmask_b32_e64 v43, 0, 1, s21
	v_not_b32_e32 v47, v14
	v_cmp_gt_i32_e64 s21, 0, v14
	v_not_b32_e32 v14, v15
	v_dual_mov_b32 v64, v10 :: v_dual_lshlrev_b32 v45, 26, v5
	v_cmp_ne_u32_e32 vcc_lo, 0, v43
	v_ashrrev_i32_e32 v47, 31, v47
	s_delay_alu instid0(VALU_DEP_4)
	v_ashrrev_i32_e32 v14, 31, v14
	v_dual_mov_b32 v69, v6 :: v_dual_lshlrev_b32 v46, 25, v5
	s_wait_alu 0xfffd
	v_xor_b32_e32 v4, vcc_lo, v4
	v_cmp_gt_i32_e32 vcc_lo, 0, v15
	v_not_b32_e32 v15, v42
	s_wait_alu 0xf1ff
	v_xor_b32_e32 v47, s21, v47
	v_cmp_gt_i32_e64 s21, 0, v42
	v_and_b32_e32 v4, exec_lo, v4
	v_not_b32_e32 v42, v44
	v_ashrrev_i32_e32 v15, 31, v15
	s_wait_alu 0xfffd
	v_xor_b32_e32 v14, vcc_lo, v14
	v_cmp_gt_i32_e32 vcc_lo, 0, v44
	v_and_b32_e32 v4, v4, v47
	v_not_b32_e32 v44, v45
	v_ashrrev_i32_e32 v42, 31, v42
	s_wait_alu 0xf1ff
	v_xor_b32_e32 v15, s21, v15
	v_dual_mov_b32 v66, v8 :: v_dual_lshlrev_b32 v43, 24, v5
	v_and_b32_e32 v4, v4, v14
	v_cmp_gt_i32_e64 s21, 0, v45
	v_not_b32_e32 v14, v46
	v_ashrrev_i32_e32 v44, 31, v44
	s_wait_alu 0xfffd
	v_xor_b32_e32 v42, vcc_lo, v42
	v_cmp_gt_i32_e32 vcc_lo, 0, v46
	v_dual_mov_b32 v47, v27 :: v_dual_and_b32 v4, v4, v15
	v_mov_b32_e32 v53, v25
	v_not_b32_e32 v15, v43
	v_ashrrev_i32_e32 v14, 31, v14
	s_wait_alu 0xf1ff
	v_xor_b32_e32 v44, s21, v44
	v_dual_mov_b32 v55, v23 :: v_dual_and_b32 v4, v4, v42
	v_cmp_gt_i32_e64 s21, 0, v43
	v_ashrrev_i32_e32 v12, 31, v15
	s_wait_alu 0xfffd
	v_xor_b32_e32 v13, vcc_lo, v14
	v_dual_mov_b32 v57, v21 :: v_dual_and_b32 v4, v4, v44
	v_mov_b32_e32 v61, v17
	s_wait_alu 0xf1ff
	v_xor_b32_e32 v6, s21, v12
	s_delay_alu instid0(VALU_DEP_3) | instskip(SKIP_2) | instid1(VALU_DEP_3)
	v_dual_mov_b32 v43, v31 :: v_dual_and_b32 v4, v4, v13
	v_dual_mov_b32 v42, v30 :: v_dual_lshlrev_b32 v5, 5, v5
	v_dual_mov_b32 v45, v29 :: v_dual_mov_b32 v44, v28
	v_and_b32_e32 v4, v4, v6
	s_delay_alu instid0(VALU_DEP_3) | instskip(SKIP_2) | instid1(VALU_DEP_4)
	v_dual_mov_b32 v46, v26 :: v_dual_add_nc_u32 v13, v76, v5
	v_mov_b32_e32 v52, v24
	v_mov_b32_e32 v54, v22
	v_mbcnt_lo_u32_b32 v12, v4, 0
	v_cmp_ne_u32_e64 s21, 0, v4
	v_mov_b32_e32 v56, v20
	v_mov_b32_e32 v60, v16
	s_delay_alu instid0(VALU_DEP_4)
	v_cmp_eq_u32_e32 vcc_lo, 0, v12
	s_and_b32 s29, s21, vcc_lo
	s_wait_alu 0xfffe
	s_and_saveexec_b32 s21, s29
; %bb.68:                               ;   in Loop: Header=BB186_67 Depth=1
	v_bcnt_u32_b32 v4, v4, 0
	ds_store_b32 v13, v4 offset:32
; %bb.69:                               ;   in Loop: Header=BB186_67 Depth=1
	s_wait_alu 0xfffe
	s_or_b32 exec_lo, exec_lo, s21
	v_cmp_ne_u64_e32 vcc_lo, s[24:25], v[69:70]
	; wave barrier
	s_wait_alu 0xfffd
	v_cndmask_b32_e32 v5, 0x7fffffff, v70, vcc_lo
	v_cndmask_b32_e32 v4, -1, v69, vcc_lo
	s_delay_alu instid0(VALU_DEP_1) | instskip(NEXT) | instid1(VALU_DEP_1)
	v_lshrrev_b64 v[4:5], v32, v[4:5]
	v_and_b32_e32 v4, s27, v4
	s_delay_alu instid0(VALU_DEP_1)
	v_and_b32_e32 v5, 1, v4
	v_lshlrev_b32_e32 v6, 30, v4
	v_lshlrev_b32_e32 v7, 29, v4
	;; [unrolled: 1-line block ×4, first 2 shown]
	v_add_co_u32 v5, s21, v5, -1
	s_wait_alu 0xf1ff
	v_cndmask_b32_e64 v9, 0, 1, s21
	v_not_b32_e32 v15, v6
	v_cmp_gt_i32_e64 s21, 0, v6
	v_not_b32_e32 v6, v7
	v_lshlrev_b32_e32 v11, 26, v4
	v_cmp_ne_u32_e32 vcc_lo, 0, v9
	v_ashrrev_i32_e32 v15, 31, v15
	v_lshlrev_b32_e32 v14, 25, v4
	v_ashrrev_i32_e32 v6, 31, v6
	v_lshlrev_b32_e32 v9, 24, v4
	s_wait_alu 0xfffd
	v_xor_b32_e32 v5, vcc_lo, v5
	v_cmp_gt_i32_e32 vcc_lo, 0, v7
	v_not_b32_e32 v7, v8
	s_wait_alu 0xf1ff
	v_xor_b32_e32 v15, s21, v15
	v_cmp_gt_i32_e64 s21, 0, v8
	v_and_b32_e32 v5, exec_lo, v5
	v_not_b32_e32 v8, v10
	v_ashrrev_i32_e32 v7, 31, v7
	s_wait_alu 0xfffd
	v_xor_b32_e32 v6, vcc_lo, v6
	v_cmp_gt_i32_e32 vcc_lo, 0, v10
	v_and_b32_e32 v5, v5, v15
	v_not_b32_e32 v10, v11
	v_ashrrev_i32_e32 v8, 31, v8
	s_wait_alu 0xf1ff
	v_xor_b32_e32 v7, s21, v7
	v_cmp_gt_i32_e64 s21, 0, v11
	v_and_b32_e32 v5, v5, v6
	v_not_b32_e32 v6, v14
	v_ashrrev_i32_e32 v10, 31, v10
	s_wait_alu 0xfffd
	v_xor_b32_e32 v8, vcc_lo, v8
	v_cmp_gt_i32_e32 vcc_lo, 0, v14
	v_and_b32_e32 v5, v5, v7
	v_not_b32_e32 v7, v9
	v_ashrrev_i32_e32 v6, 31, v6
	s_wait_alu 0xf1ff
	v_xor_b32_e32 v10, s21, v10
	v_lshlrev_b32_e32 v4, 5, v4
	v_and_b32_e32 v5, v5, v8
	v_cmp_gt_i32_e64 s21, 0, v9
	v_ashrrev_i32_e32 v7, 31, v7
	s_wait_alu 0xfffd
	v_xor_b32_e32 v6, vcc_lo, v6
	v_add_nc_u32_e32 v16, v76, v4
	v_and_b32_e32 v5, v5, v10
	s_wait_alu 0xf1ff
	v_xor_b32_e32 v4, s21, v7
	ds_load_b32 v14, v16 offset:32
	v_and_b32_e32 v5, v5, v6
	; wave barrier
	s_delay_alu instid0(VALU_DEP_1) | instskip(NEXT) | instid1(VALU_DEP_1)
	v_and_b32_e32 v4, v5, v4
	v_mbcnt_lo_u32_b32 v15, v4, 0
	v_cmp_ne_u32_e64 s21, 0, v4
	s_delay_alu instid0(VALU_DEP_2)
	v_cmp_eq_u32_e32 vcc_lo, 0, v15
	s_and_b32 s29, s21, vcc_lo
	s_wait_alu 0xfffe
	s_and_saveexec_b32 s21, s29
	s_cbranch_execz .LBB186_71
; %bb.70:                               ;   in Loop: Header=BB186_67 Depth=1
	s_wait_dscnt 0x0
	v_bcnt_u32_b32 v4, v4, v14
	ds_store_b32 v16, v4 offset:32
.LBB186_71:                             ;   in Loop: Header=BB186_67 Depth=1
	s_wait_alu 0xfffe
	s_or_b32 exec_lo, exec_lo, s21
	v_cmp_ne_u64_e32 vcc_lo, s[24:25], v[66:67]
	; wave barrier
	s_wait_alu 0xfffd
	v_cndmask_b32_e32 v5, 0x7fffffff, v67, vcc_lo
	v_cndmask_b32_e32 v4, -1, v66, vcc_lo
	s_delay_alu instid0(VALU_DEP_1) | instskip(NEXT) | instid1(VALU_DEP_1)
	v_lshrrev_b64 v[4:5], v32, v[4:5]
	v_and_b32_e32 v4, s27, v4
	s_delay_alu instid0(VALU_DEP_1)
	v_and_b32_e32 v5, 1, v4
	v_lshlrev_b32_e32 v6, 30, v4
	v_lshlrev_b32_e32 v7, 29, v4
	;; [unrolled: 1-line block ×4, first 2 shown]
	v_add_co_u32 v5, s21, v5, -1
	s_wait_alu 0xf1ff
	v_cndmask_b32_e64 v9, 0, 1, s21
	v_not_b32_e32 v18, v6
	v_cmp_gt_i32_e64 s21, 0, v6
	v_not_b32_e32 v6, v7
	v_lshlrev_b32_e32 v11, 26, v4
	v_cmp_ne_u32_e32 vcc_lo, 0, v9
	v_ashrrev_i32_e32 v18, 31, v18
	v_lshlrev_b32_e32 v17, 25, v4
	v_ashrrev_i32_e32 v6, 31, v6
	v_lshlrev_b32_e32 v9, 24, v4
	s_wait_alu 0xfffd
	v_xor_b32_e32 v5, vcc_lo, v5
	v_cmp_gt_i32_e32 vcc_lo, 0, v7
	v_not_b32_e32 v7, v8
	s_wait_alu 0xf1ff
	v_xor_b32_e32 v18, s21, v18
	v_cmp_gt_i32_e64 s21, 0, v8
	v_and_b32_e32 v5, exec_lo, v5
	v_not_b32_e32 v8, v10
	v_ashrrev_i32_e32 v7, 31, v7
	s_wait_alu 0xfffd
	v_xor_b32_e32 v6, vcc_lo, v6
	v_cmp_gt_i32_e32 vcc_lo, 0, v10
	v_and_b32_e32 v5, v5, v18
	v_not_b32_e32 v10, v11
	v_ashrrev_i32_e32 v8, 31, v8
	s_wait_alu 0xf1ff
	v_xor_b32_e32 v7, s21, v7
	v_cmp_gt_i32_e64 s21, 0, v11
	v_and_b32_e32 v5, v5, v6
	v_not_b32_e32 v6, v17
	v_ashrrev_i32_e32 v10, 31, v10
	s_wait_alu 0xfffd
	v_xor_b32_e32 v8, vcc_lo, v8
	v_cmp_gt_i32_e32 vcc_lo, 0, v17
	v_and_b32_e32 v5, v5, v7
	v_not_b32_e32 v7, v9
	v_ashrrev_i32_e32 v6, 31, v6
	s_wait_alu 0xf1ff
	v_xor_b32_e32 v10, s21, v10
	v_lshlrev_b32_e32 v4, 5, v4
	v_and_b32_e32 v5, v5, v8
	v_cmp_gt_i32_e64 s21, 0, v9
	v_ashrrev_i32_e32 v7, 31, v7
	s_wait_alu 0xfffd
	v_xor_b32_e32 v6, vcc_lo, v6
	v_add_nc_u32_e32 v19, v76, v4
	v_and_b32_e32 v5, v5, v10
	s_wait_alu 0xf1ff
	v_xor_b32_e32 v4, s21, v7
	ds_load_b32 v17, v19 offset:32
	v_and_b32_e32 v5, v5, v6
	; wave barrier
	s_delay_alu instid0(VALU_DEP_1) | instskip(NEXT) | instid1(VALU_DEP_1)
	v_and_b32_e32 v4, v5, v4
	v_mbcnt_lo_u32_b32 v18, v4, 0
	v_cmp_ne_u32_e64 s21, 0, v4
	s_delay_alu instid0(VALU_DEP_2)
	v_cmp_eq_u32_e32 vcc_lo, 0, v18
	s_and_b32 s29, s21, vcc_lo
	s_wait_alu 0xfffe
	s_and_saveexec_b32 s21, s29
	s_cbranch_execz .LBB186_73
; %bb.72:                               ;   in Loop: Header=BB186_67 Depth=1
	s_wait_dscnt 0x0
	v_bcnt_u32_b32 v4, v4, v17
	ds_store_b32 v19, v4 offset:32
.LBB186_73:                             ;   in Loop: Header=BB186_67 Depth=1
	s_wait_alu 0xfffe
	s_or_b32 exec_lo, exec_lo, s21
	v_cmp_ne_u64_e32 vcc_lo, s[24:25], v[64:65]
	; wave barrier
	s_wait_alu 0xfffd
	v_cndmask_b32_e32 v5, 0x7fffffff, v65, vcc_lo
	v_cndmask_b32_e32 v4, -1, v64, vcc_lo
	s_delay_alu instid0(VALU_DEP_1) | instskip(NEXT) | instid1(VALU_DEP_1)
	v_lshrrev_b64 v[4:5], v32, v[4:5]
	v_and_b32_e32 v4, s27, v4
	s_delay_alu instid0(VALU_DEP_1)
	v_and_b32_e32 v5, 1, v4
	v_lshlrev_b32_e32 v6, 30, v4
	v_lshlrev_b32_e32 v7, 29, v4
	;; [unrolled: 1-line block ×4, first 2 shown]
	v_add_co_u32 v5, s21, v5, -1
	s_wait_alu 0xf1ff
	v_cndmask_b32_e64 v9, 0, 1, s21
	v_not_b32_e32 v21, v6
	v_cmp_gt_i32_e64 s21, 0, v6
	v_not_b32_e32 v6, v7
	v_lshlrev_b32_e32 v11, 26, v4
	v_cmp_ne_u32_e32 vcc_lo, 0, v9
	v_ashrrev_i32_e32 v21, 31, v21
	v_lshlrev_b32_e32 v20, 25, v4
	v_ashrrev_i32_e32 v6, 31, v6
	v_lshlrev_b32_e32 v9, 24, v4
	s_wait_alu 0xfffd
	v_xor_b32_e32 v5, vcc_lo, v5
	v_cmp_gt_i32_e32 vcc_lo, 0, v7
	v_not_b32_e32 v7, v8
	s_wait_alu 0xf1ff
	v_xor_b32_e32 v21, s21, v21
	v_cmp_gt_i32_e64 s21, 0, v8
	v_and_b32_e32 v5, exec_lo, v5
	v_not_b32_e32 v8, v10
	v_ashrrev_i32_e32 v7, 31, v7
	s_wait_alu 0xfffd
	v_xor_b32_e32 v6, vcc_lo, v6
	v_cmp_gt_i32_e32 vcc_lo, 0, v10
	v_and_b32_e32 v5, v5, v21
	v_not_b32_e32 v10, v11
	v_ashrrev_i32_e32 v8, 31, v8
	s_wait_alu 0xf1ff
	v_xor_b32_e32 v7, s21, v7
	v_cmp_gt_i32_e64 s21, 0, v11
	v_and_b32_e32 v5, v5, v6
	v_not_b32_e32 v6, v20
	v_ashrrev_i32_e32 v10, 31, v10
	s_wait_alu 0xfffd
	v_xor_b32_e32 v8, vcc_lo, v8
	v_cmp_gt_i32_e32 vcc_lo, 0, v20
	v_and_b32_e32 v5, v5, v7
	v_not_b32_e32 v7, v9
	v_ashrrev_i32_e32 v6, 31, v6
	s_wait_alu 0xf1ff
	v_xor_b32_e32 v10, s21, v10
	v_lshlrev_b32_e32 v4, 5, v4
	v_and_b32_e32 v5, v5, v8
	v_cmp_gt_i32_e64 s21, 0, v9
	v_ashrrev_i32_e32 v7, 31, v7
	s_wait_alu 0xfffd
	v_xor_b32_e32 v6, vcc_lo, v6
	v_add_nc_u32_e32 v22, v76, v4
	v_and_b32_e32 v5, v5, v10
	s_wait_alu 0xf1ff
	v_xor_b32_e32 v4, s21, v7
	ds_load_b32 v20, v22 offset:32
	v_and_b32_e32 v5, v5, v6
	; wave barrier
	s_delay_alu instid0(VALU_DEP_1) | instskip(NEXT) | instid1(VALU_DEP_1)
	v_and_b32_e32 v4, v5, v4
	v_mbcnt_lo_u32_b32 v21, v4, 0
	v_cmp_ne_u32_e64 s21, 0, v4
	s_delay_alu instid0(VALU_DEP_2)
	v_cmp_eq_u32_e32 vcc_lo, 0, v21
	s_and_b32 s29, s21, vcc_lo
	s_wait_alu 0xfffe
	s_and_saveexec_b32 s21, s29
	s_cbranch_execz .LBB186_75
; %bb.74:                               ;   in Loop: Header=BB186_67 Depth=1
	s_wait_dscnt 0x0
	v_bcnt_u32_b32 v4, v4, v20
	ds_store_b32 v22, v4 offset:32
.LBB186_75:                             ;   in Loop: Header=BB186_67 Depth=1
	s_wait_alu 0xfffe
	s_or_b32 exec_lo, exec_lo, s21
	v_cmp_ne_u64_e32 vcc_lo, s[24:25], v[62:63]
	; wave barrier
	s_wait_alu 0xfffd
	v_cndmask_b32_e32 v5, 0x7fffffff, v63, vcc_lo
	v_cndmask_b32_e32 v4, -1, v62, vcc_lo
	s_delay_alu instid0(VALU_DEP_1) | instskip(NEXT) | instid1(VALU_DEP_1)
	v_lshrrev_b64 v[4:5], v32, v[4:5]
	v_and_b32_e32 v4, s27, v4
	s_delay_alu instid0(VALU_DEP_1)
	v_and_b32_e32 v5, 1, v4
	v_lshlrev_b32_e32 v6, 30, v4
	v_lshlrev_b32_e32 v7, 29, v4
	;; [unrolled: 1-line block ×4, first 2 shown]
	v_add_co_u32 v5, s21, v5, -1
	s_wait_alu 0xf1ff
	v_cndmask_b32_e64 v9, 0, 1, s21
	v_not_b32_e32 v24, v6
	v_cmp_gt_i32_e64 s21, 0, v6
	v_not_b32_e32 v6, v7
	v_lshlrev_b32_e32 v11, 26, v4
	v_cmp_ne_u32_e32 vcc_lo, 0, v9
	v_ashrrev_i32_e32 v24, 31, v24
	v_lshlrev_b32_e32 v23, 25, v4
	v_ashrrev_i32_e32 v6, 31, v6
	v_lshlrev_b32_e32 v9, 24, v4
	s_wait_alu 0xfffd
	v_xor_b32_e32 v5, vcc_lo, v5
	v_cmp_gt_i32_e32 vcc_lo, 0, v7
	v_not_b32_e32 v7, v8
	s_wait_alu 0xf1ff
	v_xor_b32_e32 v24, s21, v24
	v_cmp_gt_i32_e64 s21, 0, v8
	v_and_b32_e32 v5, exec_lo, v5
	v_not_b32_e32 v8, v10
	v_ashrrev_i32_e32 v7, 31, v7
	s_wait_alu 0xfffd
	v_xor_b32_e32 v6, vcc_lo, v6
	v_cmp_gt_i32_e32 vcc_lo, 0, v10
	v_and_b32_e32 v5, v5, v24
	v_not_b32_e32 v10, v11
	v_ashrrev_i32_e32 v8, 31, v8
	s_wait_alu 0xf1ff
	v_xor_b32_e32 v7, s21, v7
	v_cmp_gt_i32_e64 s21, 0, v11
	v_and_b32_e32 v5, v5, v6
	v_not_b32_e32 v6, v23
	v_ashrrev_i32_e32 v10, 31, v10
	s_wait_alu 0xfffd
	v_xor_b32_e32 v8, vcc_lo, v8
	v_cmp_gt_i32_e32 vcc_lo, 0, v23
	v_and_b32_e32 v5, v5, v7
	v_not_b32_e32 v7, v9
	v_ashrrev_i32_e32 v6, 31, v6
	s_wait_alu 0xf1ff
	v_xor_b32_e32 v10, s21, v10
	v_lshlrev_b32_e32 v4, 5, v4
	v_and_b32_e32 v5, v5, v8
	v_cmp_gt_i32_e64 s21, 0, v9
	v_ashrrev_i32_e32 v7, 31, v7
	s_wait_alu 0xfffd
	v_xor_b32_e32 v6, vcc_lo, v6
	v_add_nc_u32_e32 v25, v76, v4
	v_and_b32_e32 v5, v5, v10
	s_wait_alu 0xf1ff
	v_xor_b32_e32 v4, s21, v7
	ds_load_b32 v23, v25 offset:32
	v_and_b32_e32 v5, v5, v6
	; wave barrier
	s_delay_alu instid0(VALU_DEP_1) | instskip(NEXT) | instid1(VALU_DEP_1)
	v_and_b32_e32 v4, v5, v4
	v_mbcnt_lo_u32_b32 v24, v4, 0
	v_cmp_ne_u32_e64 s21, 0, v4
	s_delay_alu instid0(VALU_DEP_2)
	v_cmp_eq_u32_e32 vcc_lo, 0, v24
	s_and_b32 s29, s21, vcc_lo
	s_wait_alu 0xfffe
	s_and_saveexec_b32 s21, s29
	s_cbranch_execz .LBB186_77
; %bb.76:                               ;   in Loop: Header=BB186_67 Depth=1
	s_wait_dscnt 0x0
	v_bcnt_u32_b32 v4, v4, v23
	ds_store_b32 v25, v4 offset:32
.LBB186_77:                             ;   in Loop: Header=BB186_67 Depth=1
	s_wait_alu 0xfffe
	s_or_b32 exec_lo, exec_lo, s21
	v_cmp_ne_u64_e32 vcc_lo, s[24:25], v[40:41]
	; wave barrier
	s_wait_alu 0xfffd
	v_cndmask_b32_e32 v5, 0x7fffffff, v41, vcc_lo
	v_cndmask_b32_e32 v4, -1, v40, vcc_lo
	s_delay_alu instid0(VALU_DEP_1) | instskip(NEXT) | instid1(VALU_DEP_1)
	v_lshrrev_b64 v[4:5], v32, v[4:5]
	v_and_b32_e32 v4, s27, v4
	s_delay_alu instid0(VALU_DEP_1)
	v_and_b32_e32 v5, 1, v4
	v_lshlrev_b32_e32 v6, 30, v4
	v_lshlrev_b32_e32 v7, 29, v4
	;; [unrolled: 1-line block ×4, first 2 shown]
	v_add_co_u32 v5, s21, v5, -1
	s_wait_alu 0xf1ff
	v_cndmask_b32_e64 v9, 0, 1, s21
	v_not_b32_e32 v27, v6
	v_cmp_gt_i32_e64 s21, 0, v6
	v_not_b32_e32 v6, v7
	v_lshlrev_b32_e32 v11, 26, v4
	v_cmp_ne_u32_e32 vcc_lo, 0, v9
	v_ashrrev_i32_e32 v27, 31, v27
	v_lshlrev_b32_e32 v26, 25, v4
	v_ashrrev_i32_e32 v6, 31, v6
	v_lshlrev_b32_e32 v9, 24, v4
	s_wait_alu 0xfffd
	v_xor_b32_e32 v5, vcc_lo, v5
	v_cmp_gt_i32_e32 vcc_lo, 0, v7
	v_not_b32_e32 v7, v8
	s_wait_alu 0xf1ff
	v_xor_b32_e32 v27, s21, v27
	v_cmp_gt_i32_e64 s21, 0, v8
	v_and_b32_e32 v5, exec_lo, v5
	v_not_b32_e32 v8, v10
	v_ashrrev_i32_e32 v7, 31, v7
	s_wait_alu 0xfffd
	v_xor_b32_e32 v6, vcc_lo, v6
	v_cmp_gt_i32_e32 vcc_lo, 0, v10
	v_and_b32_e32 v5, v5, v27
	v_not_b32_e32 v10, v11
	v_ashrrev_i32_e32 v8, 31, v8
	s_wait_alu 0xf1ff
	v_xor_b32_e32 v7, s21, v7
	v_cmp_gt_i32_e64 s21, 0, v11
	v_and_b32_e32 v5, v5, v6
	v_not_b32_e32 v6, v26
	v_ashrrev_i32_e32 v10, 31, v10
	s_wait_alu 0xfffd
	v_xor_b32_e32 v8, vcc_lo, v8
	v_cmp_gt_i32_e32 vcc_lo, 0, v26
	v_and_b32_e32 v5, v5, v7
	v_not_b32_e32 v7, v9
	v_ashrrev_i32_e32 v6, 31, v6
	s_wait_alu 0xf1ff
	v_xor_b32_e32 v10, s21, v10
	v_lshlrev_b32_e32 v4, 5, v4
	v_and_b32_e32 v5, v5, v8
	v_cmp_gt_i32_e64 s21, 0, v9
	v_ashrrev_i32_e32 v7, 31, v7
	s_wait_alu 0xfffd
	v_xor_b32_e32 v6, vcc_lo, v6
	v_add_nc_u32_e32 v28, v76, v4
	v_and_b32_e32 v5, v5, v10
	s_wait_alu 0xf1ff
	v_xor_b32_e32 v4, s21, v7
	ds_load_b32 v26, v28 offset:32
	v_and_b32_e32 v5, v5, v6
	; wave barrier
	s_delay_alu instid0(VALU_DEP_1) | instskip(NEXT) | instid1(VALU_DEP_1)
	v_and_b32_e32 v4, v5, v4
	v_mbcnt_lo_u32_b32 v27, v4, 0
	v_cmp_ne_u32_e64 s21, 0, v4
	s_delay_alu instid0(VALU_DEP_2)
	v_cmp_eq_u32_e32 vcc_lo, 0, v27
	s_and_b32 s29, s21, vcc_lo
	s_wait_alu 0xfffe
	s_and_saveexec_b32 s21, s29
	s_cbranch_execz .LBB186_79
; %bb.78:                               ;   in Loop: Header=BB186_67 Depth=1
	s_wait_dscnt 0x0
	v_bcnt_u32_b32 v4, v4, v26
	ds_store_b32 v28, v4 offset:32
.LBB186_79:                             ;   in Loop: Header=BB186_67 Depth=1
	s_wait_alu 0xfffe
	s_or_b32 exec_lo, exec_lo, s21
	v_cmp_ne_u64_e32 vcc_lo, s[24:25], v[38:39]
	; wave barrier
	s_wait_alu 0xfffd
	v_cndmask_b32_e32 v5, 0x7fffffff, v39, vcc_lo
	v_cndmask_b32_e32 v4, -1, v38, vcc_lo
	s_delay_alu instid0(VALU_DEP_1) | instskip(NEXT) | instid1(VALU_DEP_1)
	v_lshrrev_b64 v[4:5], v32, v[4:5]
	v_and_b32_e32 v4, s27, v4
	s_delay_alu instid0(VALU_DEP_1)
	v_and_b32_e32 v5, 1, v4
	v_lshlrev_b32_e32 v6, 30, v4
	v_lshlrev_b32_e32 v7, 29, v4
	v_lshlrev_b32_e32 v8, 28, v4
	v_lshlrev_b32_e32 v10, 27, v4
	v_add_co_u32 v5, s21, v5, -1
	s_wait_alu 0xf1ff
	v_cndmask_b32_e64 v9, 0, 1, s21
	v_not_b32_e32 v30, v6
	v_cmp_gt_i32_e64 s21, 0, v6
	v_not_b32_e32 v6, v7
	v_lshlrev_b32_e32 v11, 26, v4
	v_cmp_ne_u32_e32 vcc_lo, 0, v9
	v_ashrrev_i32_e32 v30, 31, v30
	v_lshlrev_b32_e32 v29, 25, v4
	v_ashrrev_i32_e32 v6, 31, v6
	v_lshlrev_b32_e32 v9, 24, v4
	s_wait_alu 0xfffd
	v_xor_b32_e32 v5, vcc_lo, v5
	v_cmp_gt_i32_e32 vcc_lo, 0, v7
	v_not_b32_e32 v7, v8
	s_wait_alu 0xf1ff
	v_xor_b32_e32 v30, s21, v30
	v_cmp_gt_i32_e64 s21, 0, v8
	v_and_b32_e32 v5, exec_lo, v5
	v_not_b32_e32 v8, v10
	v_ashrrev_i32_e32 v7, 31, v7
	s_wait_alu 0xfffd
	v_xor_b32_e32 v6, vcc_lo, v6
	v_cmp_gt_i32_e32 vcc_lo, 0, v10
	v_and_b32_e32 v5, v5, v30
	v_not_b32_e32 v10, v11
	v_ashrrev_i32_e32 v8, 31, v8
	s_wait_alu 0xf1ff
	v_xor_b32_e32 v7, s21, v7
	v_cmp_gt_i32_e64 s21, 0, v11
	v_and_b32_e32 v5, v5, v6
	v_not_b32_e32 v6, v29
	v_ashrrev_i32_e32 v10, 31, v10
	s_wait_alu 0xfffd
	v_xor_b32_e32 v8, vcc_lo, v8
	v_cmp_gt_i32_e32 vcc_lo, 0, v29
	v_and_b32_e32 v5, v5, v7
	v_not_b32_e32 v7, v9
	v_ashrrev_i32_e32 v6, 31, v6
	s_wait_alu 0xf1ff
	v_xor_b32_e32 v10, s21, v10
	v_lshlrev_b32_e32 v4, 5, v4
	v_and_b32_e32 v5, v5, v8
	v_cmp_gt_i32_e64 s21, 0, v9
	v_ashrrev_i32_e32 v7, 31, v7
	s_wait_alu 0xfffd
	v_xor_b32_e32 v6, vcc_lo, v6
	v_add_nc_u32_e32 v31, v76, v4
	v_and_b32_e32 v5, v5, v10
	s_wait_alu 0xf1ff
	v_xor_b32_e32 v4, s21, v7
	ds_load_b32 v29, v31 offset:32
	v_and_b32_e32 v5, v5, v6
	; wave barrier
	s_delay_alu instid0(VALU_DEP_1) | instskip(NEXT) | instid1(VALU_DEP_1)
	v_and_b32_e32 v4, v5, v4
	v_mbcnt_lo_u32_b32 v30, v4, 0
	v_cmp_ne_u32_e64 s21, 0, v4
	s_delay_alu instid0(VALU_DEP_2)
	v_cmp_eq_u32_e32 vcc_lo, 0, v30
	s_and_b32 s29, s21, vcc_lo
	s_wait_alu 0xfffe
	s_and_saveexec_b32 s21, s29
	s_cbranch_execz .LBB186_81
; %bb.80:                               ;   in Loop: Header=BB186_67 Depth=1
	s_wait_dscnt 0x0
	v_bcnt_u32_b32 v4, v4, v29
	ds_store_b32 v31, v4 offset:32
.LBB186_81:                             ;   in Loop: Header=BB186_67 Depth=1
	s_wait_alu 0xfffe
	s_or_b32 exec_lo, exec_lo, s21
	v_cmp_ne_u64_e32 vcc_lo, s[24:25], v[36:37]
	; wave barrier
	s_wait_alu 0xfffd
	v_cndmask_b32_e32 v5, 0x7fffffff, v37, vcc_lo
	v_cndmask_b32_e32 v4, -1, v36, vcc_lo
	s_delay_alu instid0(VALU_DEP_1) | instskip(NEXT) | instid1(VALU_DEP_1)
	v_lshrrev_b64 v[4:5], v32, v[4:5]
	v_and_b32_e32 v4, s27, v4
	s_delay_alu instid0(VALU_DEP_1)
	v_and_b32_e32 v5, 1, v4
	v_lshlrev_b32_e32 v6, 30, v4
	v_lshlrev_b32_e32 v7, 29, v4
	;; [unrolled: 1-line block ×4, first 2 shown]
	v_add_co_u32 v5, s21, v5, -1
	s_wait_alu 0xf1ff
	v_cndmask_b32_e64 v9, 0, 1, s21
	v_not_b32_e32 v49, v6
	v_cmp_gt_i32_e64 s21, 0, v6
	v_not_b32_e32 v6, v7
	v_lshlrev_b32_e32 v11, 26, v4
	v_cmp_ne_u32_e32 vcc_lo, 0, v9
	v_ashrrev_i32_e32 v49, 31, v49
	v_lshlrev_b32_e32 v48, 25, v4
	v_ashrrev_i32_e32 v6, 31, v6
	v_lshlrev_b32_e32 v9, 24, v4
	s_wait_alu 0xfffd
	v_xor_b32_e32 v5, vcc_lo, v5
	v_cmp_gt_i32_e32 vcc_lo, 0, v7
	v_not_b32_e32 v7, v8
	s_wait_alu 0xf1ff
	v_xor_b32_e32 v49, s21, v49
	v_cmp_gt_i32_e64 s21, 0, v8
	v_and_b32_e32 v5, exec_lo, v5
	v_not_b32_e32 v8, v10
	v_ashrrev_i32_e32 v7, 31, v7
	s_wait_alu 0xfffd
	v_xor_b32_e32 v6, vcc_lo, v6
	v_cmp_gt_i32_e32 vcc_lo, 0, v10
	v_and_b32_e32 v5, v5, v49
	v_not_b32_e32 v10, v11
	v_ashrrev_i32_e32 v8, 31, v8
	s_wait_alu 0xf1ff
	v_xor_b32_e32 v7, s21, v7
	v_cmp_gt_i32_e64 s21, 0, v11
	v_and_b32_e32 v5, v5, v6
	v_not_b32_e32 v6, v48
	v_ashrrev_i32_e32 v10, 31, v10
	s_wait_alu 0xfffd
	v_xor_b32_e32 v8, vcc_lo, v8
	v_cmp_gt_i32_e32 vcc_lo, 0, v48
	v_and_b32_e32 v5, v5, v7
	v_not_b32_e32 v7, v9
	v_ashrrev_i32_e32 v6, 31, v6
	s_wait_alu 0xf1ff
	v_xor_b32_e32 v10, s21, v10
	v_lshlrev_b32_e32 v4, 5, v4
	v_and_b32_e32 v5, v5, v8
	v_cmp_gt_i32_e64 s21, 0, v9
	v_ashrrev_i32_e32 v7, 31, v7
	s_wait_alu 0xfffd
	v_xor_b32_e32 v6, vcc_lo, v6
	v_add_nc_u32_e32 v50, v76, v4
	v_and_b32_e32 v5, v5, v10
	s_wait_alu 0xf1ff
	v_xor_b32_e32 v4, s21, v7
	ds_load_b32 v48, v50 offset:32
	v_and_b32_e32 v5, v5, v6
	; wave barrier
	s_delay_alu instid0(VALU_DEP_1) | instskip(NEXT) | instid1(VALU_DEP_1)
	v_and_b32_e32 v4, v5, v4
	v_mbcnt_lo_u32_b32 v49, v4, 0
	v_cmp_ne_u32_e64 s21, 0, v4
	s_delay_alu instid0(VALU_DEP_2)
	v_cmp_eq_u32_e32 vcc_lo, 0, v49
	s_and_b32 s27, s21, vcc_lo
	s_wait_alu 0xfffe
	s_and_saveexec_b32 s21, s27
	s_cbranch_execz .LBB186_83
; %bb.82:                               ;   in Loop: Header=BB186_67 Depth=1
	s_wait_dscnt 0x0
	v_bcnt_u32_b32 v4, v4, v48
	ds_store_b32 v50, v4 offset:32
.LBB186_83:                             ;   in Loop: Header=BB186_67 Depth=1
	s_wait_alu 0xfffe
	s_or_b32 exec_lo, exec_lo, s21
	; wave barrier
	s_wait_loadcnt_dscnt 0x0
	s_barrier_signal -1
	s_barrier_wait -1
	global_inv scope:SCOPE_SE
	ds_load_b128 v[8:11], v115 offset:32
	ds_load_b128 v[4:7], v115 offset:48
	s_wait_dscnt 0x1
	v_add_nc_u32_e32 v51, v9, v8
	s_delay_alu instid0(VALU_DEP_1) | instskip(SKIP_1) | instid1(VALU_DEP_1)
	v_add3_u32 v51, v51, v10, v11
	s_wait_dscnt 0x0
	v_add3_u32 v51, v51, v4, v5
	s_delay_alu instid0(VALU_DEP_1) | instskip(NEXT) | instid1(VALU_DEP_1)
	v_add3_u32 v7, v51, v6, v7
	v_mov_b32_dpp v51, v7 row_shr:1 row_mask:0xf bank_mask:0xf
	s_delay_alu instid0(VALU_DEP_1) | instskip(NEXT) | instid1(VALU_DEP_1)
	v_cndmask_b32_e64 v51, v51, 0, s8
	v_add_nc_u32_e32 v7, v51, v7
	s_delay_alu instid0(VALU_DEP_1) | instskip(NEXT) | instid1(VALU_DEP_1)
	v_mov_b32_dpp v51, v7 row_shr:2 row_mask:0xf bank_mask:0xf
	v_cndmask_b32_e64 v51, 0, v51, s9
	s_delay_alu instid0(VALU_DEP_1) | instskip(NEXT) | instid1(VALU_DEP_1)
	v_add_nc_u32_e32 v7, v7, v51
	v_mov_b32_dpp v51, v7 row_shr:4 row_mask:0xf bank_mask:0xf
	s_delay_alu instid0(VALU_DEP_1) | instskip(NEXT) | instid1(VALU_DEP_1)
	v_cndmask_b32_e64 v51, 0, v51, s11
	v_add_nc_u32_e32 v7, v7, v51
	s_delay_alu instid0(VALU_DEP_1) | instskip(NEXT) | instid1(VALU_DEP_1)
	v_mov_b32_dpp v51, v7 row_shr:8 row_mask:0xf bank_mask:0xf
	v_cndmask_b32_e64 v51, 0, v51, s12
	s_delay_alu instid0(VALU_DEP_1) | instskip(SKIP_3) | instid1(VALU_DEP_1)
	v_add_nc_u32_e32 v7, v7, v51
	ds_swizzle_b32 v51, v7 offset:swizzle(BROADCAST,32,15)
	s_wait_dscnt 0x0
	v_cndmask_b32_e64 v51, v51, 0, s13
	v_add_nc_u32_e32 v7, v7, v51
	s_and_saveexec_b32 s21, s14
; %bb.84:                               ;   in Loop: Header=BB186_67 Depth=1
	ds_store_b32 v116, v7
; %bb.85:                               ;   in Loop: Header=BB186_67 Depth=1
	s_wait_alu 0xfffe
	s_or_b32 exec_lo, exec_lo, s21
	s_wait_loadcnt_dscnt 0x0
	s_barrier_signal -1
	s_barrier_wait -1
	global_inv scope:SCOPE_SE
	s_and_saveexec_b32 s21, s15
	s_cbranch_execz .LBB186_87
; %bb.86:                               ;   in Loop: Header=BB186_67 Depth=1
	ds_load_b32 v51, v77
	s_wait_dscnt 0x0
	v_mov_b32_dpp v78, v51 row_shr:1 row_mask:0xf bank_mask:0xf
	s_delay_alu instid0(VALU_DEP_1) | instskip(NEXT) | instid1(VALU_DEP_1)
	v_cndmask_b32_e64 v78, v78, 0, s18
	v_add_nc_u32_e32 v51, v78, v51
	s_delay_alu instid0(VALU_DEP_1) | instskip(NEXT) | instid1(VALU_DEP_1)
	v_mov_b32_dpp v78, v51 row_shr:2 row_mask:0xf bank_mask:0xf
	v_cndmask_b32_e64 v78, 0, v78, s19
	s_delay_alu instid0(VALU_DEP_1) | instskip(NEXT) | instid1(VALU_DEP_1)
	v_add_nc_u32_e32 v51, v51, v78
	v_mov_b32_dpp v78, v51 row_shr:4 row_mask:0xf bank_mask:0xf
	s_delay_alu instid0(VALU_DEP_1) | instskip(NEXT) | instid1(VALU_DEP_1)
	v_cndmask_b32_e64 v78, 0, v78, s20
	v_add_nc_u32_e32 v51, v51, v78
	ds_store_b32 v77, v51
.LBB186_87:                             ;   in Loop: Header=BB186_67 Depth=1
	s_wait_alu 0xfffe
	s_or_b32 exec_lo, exec_lo, s21
	v_mov_b32_e32 v51, 0
	s_wait_loadcnt_dscnt 0x0
	s_barrier_signal -1
	s_barrier_wait -1
	global_inv scope:SCOPE_SE
	s_and_saveexec_b32 s21, s16
; %bb.88:                               ;   in Loop: Header=BB186_67 Depth=1
	ds_load_b32 v51, v73
; %bb.89:                               ;   in Loop: Header=BB186_67 Depth=1
	s_wait_alu 0xfffe
	s_or_b32 exec_lo, exec_lo, s21
	s_wait_dscnt 0x0
	v_add_nc_u32_e32 v7, v51, v7
	v_cmp_lt_u32_e32 vcc_lo, 55, v32
	s_mov_b32 s21, -1
	ds_bpermute_b32 v7, v75, v7
	s_and_b32 vcc_lo, exec_lo, vcc_lo
	s_wait_dscnt 0x0
	v_cndmask_b32_e64 v7, v7, v51, s10
	s_delay_alu instid0(VALU_DEP_1) | instskip(NEXT) | instid1(VALU_DEP_1)
	v_cndmask_b32_e64 v7, v7, 0, s17
	v_add_nc_u32_e32 v8, v7, v8
	s_delay_alu instid0(VALU_DEP_1) | instskip(NEXT) | instid1(VALU_DEP_1)
	v_add_nc_u32_e32 v9, v8, v9
	v_add_nc_u32_e32 v10, v9, v10
	s_delay_alu instid0(VALU_DEP_1) | instskip(NEXT) | instid1(VALU_DEP_1)
	v_add_nc_u32_e32 v78, v10, v11
	;; [unrolled: 3-line block ×3, first 2 shown]
	v_add_nc_u32_e32 v81, v80, v6
	ds_store_b128 v115, v[7:10] offset:32
	ds_store_b128 v115, v[78:81] offset:48
	s_wait_loadcnt_dscnt 0x0
	s_barrier_signal -1
	s_barrier_wait -1
	global_inv scope:SCOPE_SE
	ds_load_b32 v4, v13 offset:32
	ds_load_b32 v5, v16 offset:32
	;; [unrolled: 1-line block ×8, first 2 shown]
	s_wait_dscnt 0x7
	v_add_nc_u32_e32 v85, v4, v12
	s_wait_dscnt 0x6
	v_add3_u32 v84, v15, v14, v5
	s_wait_dscnt 0x5
	v_add3_u32 v83, v18, v17, v6
	;; [unrolled: 2-line block ×7, first 2 shown]
                                        ; implicit-def: $vgpr50_vgpr51
                                        ; implicit-def: $vgpr14_vgpr15
                                        ; implicit-def: $vgpr10_vgpr11
                                        ; implicit-def: $vgpr6_vgpr7
                                        ; implicit-def: $vgpr30_vgpr31
                                        ; implicit-def: $vgpr26_vgpr27
                                        ; implicit-def: $vgpr22_vgpr23
                                        ; implicit-def: $vgpr18_vgpr19
	s_wait_alu 0xfffe
	s_cbranch_vccnz .LBB186_66
; %bb.90:                               ;   in Loop: Header=BB186_67 Depth=1
	v_lshlrev_b32_e32 v16, 3, v85
	v_lshlrev_b32_e32 v19, 3, v82
	;; [unrolled: 1-line block ×8, first 2 shown]
	s_wait_loadcnt 0x0
	s_barrier_signal -1
	s_barrier_wait -1
	global_inv scope:SCOPE_SE
	ds_store_b64 v16, v[34:35]
	ds_store_b64 v17, v[69:70]
	;; [unrolled: 1-line block ×8, first 2 shown]
	s_wait_loadcnt_dscnt 0x0
	s_barrier_signal -1
	s_barrier_wait -1
	global_inv scope:SCOPE_SE
	ds_load_2addr_b64 v[4:7], v74 offset1:32
	ds_load_2addr_b64 v[8:11], v74 offset0:64 offset1:96
	ds_load_2addr_b64 v[12:15], v74 offset0:128 offset1:160
	;; [unrolled: 1-line block ×3, first 2 shown]
	s_wait_loadcnt_dscnt 0x0
	s_barrier_signal -1
	s_barrier_wait -1
	global_inv scope:SCOPE_SE
	ds_store_b64 v16, v[60:61]
	ds_store_b64 v17, v[58:59]
	;; [unrolled: 1-line block ×8, first 2 shown]
	s_wait_loadcnt_dscnt 0x0
	s_barrier_signal -1
	s_barrier_wait -1
	global_inv scope:SCOPE_SE
	ds_load_2addr_b64 v[16:19], v74 offset1:32
	ds_load_2addr_b64 v[20:23], v74 offset0:64 offset1:96
	ds_load_2addr_b64 v[24:27], v74 offset0:128 offset1:160
	;; [unrolled: 1-line block ×3, first 2 shown]
	v_add_co_u32 v32, vcc_lo, v32, 8
	s_wait_alu 0xfffd
	v_add_co_ci_u32_e64 v33, null, 0, v33, vcc_lo
	s_add_co_i32 s26, s26, -8
	s_mov_b32 s21, 0
	s_wait_loadcnt_dscnt 0x0
	s_barrier_signal -1
	s_barrier_wait -1
	global_inv scope:SCOPE_SE
	s_branch .LBB186_66
.LBB186_91:
	v_lshlrev_b32_e32 v16, 3, v85
	v_lshlrev_b32_e32 v19, 3, v82
	;; [unrolled: 1-line block ×9, first 2 shown]
	s_wait_loadcnt 0x0
	s_barrier_signal -1
	s_barrier_wait -1
	global_inv scope:SCOPE_SE
	ds_store_b64 v16, v[34:35]
	ds_store_b64 v17, v[69:70]
	;; [unrolled: 1-line block ×8, first 2 shown]
	s_wait_loadcnt_dscnt 0x0
	s_barrier_signal -1
	s_barrier_wait -1
	global_inv scope:SCOPE_SE
	ds_load_b128 v[0:3], v24
	ds_load_b128 v[4:7], v24 offset:16
	ds_load_b128 v[8:11], v24 offset:32
	;; [unrolled: 1-line block ×3, first 2 shown]
	s_wait_loadcnt_dscnt 0x0
	s_barrier_signal -1
	s_barrier_wait -1
	global_inv scope:SCOPE_SE
	ds_store_b64 v16, v[60:61]
	ds_store_b64 v17, v[58:59]
	;; [unrolled: 1-line block ×8, first 2 shown]
	s_wait_loadcnt_dscnt 0x0
	s_barrier_signal -1
	s_barrier_wait -1
	global_inv scope:SCOPE_SE
	ds_load_b128 v[52:55], v24
	ds_load_b128 v[48:51], v24 offset:16
	ds_load_b128 v[60:63], v24 offset:32
	;; [unrolled: 1-line block ×3, first 2 shown]
	v_cmp_gt_i64_e32 vcc_lo, 0, v[0:1]
	v_ashrrev_i32_e32 v18, 31, v3
	v_ashrrev_i32_e32 v16, 31, v1
	s_wait_alu 0xfffd
	v_cndmask_b32_e64 v17, 0x7fffffff, 0, vcc_lo
	v_cmp_gt_i64_e32 vcc_lo, 0, v[2:3]
	v_not_b32_e32 v18, v18
	v_not_b32_e32 v16, v16
	s_delay_alu instid0(VALU_DEP_4)
	v_xor_b32_e32 v1, v17, v1
	v_ashrrev_i32_e32 v17, 31, v7
	s_wait_alu 0xfffd
	v_cndmask_b32_e64 v19, 0x7fffffff, 0, vcc_lo
	v_cmp_gt_i64_e32 vcc_lo, 0, v[4:5]
	v_xor_b32_e32 v2, v18, v2
	v_xor_b32_e32 v0, v16, v0
	v_ashrrev_i32_e32 v16, 31, v5
	v_xor_b32_e32 v3, v19, v3
	v_not_b32_e32 v17, v17
	s_wait_alu 0xfffd
	v_cndmask_b32_e64 v18, 0x7fffffff, 0, vcc_lo
	v_cmp_gt_i64_e32 vcc_lo, 0, v[6:7]
	v_not_b32_e32 v16, v16
	v_xor_b32_e32 v6, v17, v6
	s_delay_alu instid0(VALU_DEP_4)
	v_xor_b32_e32 v5, v18, v5
	v_ashrrev_i32_e32 v18, 31, v11
	s_wait_alu 0xfffd
	v_cndmask_b32_e64 v19, 0x7fffffff, 0, vcc_lo
	v_cmp_gt_i64_e32 vcc_lo, 0, v[8:9]
	v_xor_b32_e32 v4, v16, v4
	v_ashrrev_i32_e32 v16, 31, v9
	s_delay_alu instid0(VALU_DEP_4) | instskip(SKIP_4) | instid1(VALU_DEP_3)
	v_xor_b32_e32 v7, v19, v7
	s_wait_alu 0xfffd
	v_cndmask_b32_e64 v17, 0x7fffffff, 0, vcc_lo
	v_cmp_gt_i64_e32 vcc_lo, 0, v[10:11]
	v_not_b32_e32 v16, v16
	v_xor_b32_e32 v9, v17, v9
	v_ashrrev_i32_e32 v17, 31, v13
	s_wait_alu 0xfffd
	v_cndmask_b32_e64 v19, 0x7fffffff, 0, vcc_lo
	v_cmp_gt_i64_e32 vcc_lo, 0, v[12:13]
	v_xor_b32_e32 v8, v16, v8
	v_not_b32_e32 v16, v18
	v_ashrrev_i32_e32 v18, 31, v15
	v_xor_b32_e32 v11, v19, v11
	v_not_b32_e32 v17, v17
	s_wait_alu 0xfffd
	v_cndmask_b32_e64 v19, 0x7fffffff, 0, vcc_lo
	v_cmp_gt_i64_e32 vcc_lo, 0, v[14:15]
	v_not_b32_e32 v18, v18
	v_xor_b32_e32 v10, v16, v10
	v_xor_b32_e32 v12, v17, v12
	;; [unrolled: 1-line block ×3, first 2 shown]
	s_wait_alu 0xfffd
	v_cndmask_b32_e64 v20, 0x7fffffff, 0, vcc_lo
	v_xor_b32_e32 v14, v18, v14
	s_delay_alu instid0(VALU_DEP_2)
	v_xor_b32_e32 v15, v20, v15
.LBB186_92:
	s_wait_loadcnt_dscnt 0x0
	s_barrier_signal -1
	s_barrier_wait -1
	global_inv scope:SCOPE_SE
	ds_store_2addr_b64 v114, v[0:1], v[2:3] offset1:1
	ds_store_2addr_b64 v114, v[4:5], v[6:7] offset0:2 offset1:3
	ds_store_2addr_b64 v114, v[8:9], v[10:11] offset0:4 offset1:5
	;; [unrolled: 1-line block ×3, first 2 shown]
	s_wait_loadcnt_dscnt 0x0
	s_barrier_signal -1
	s_barrier_wait -1
	global_inv scope:SCOPE_SE
	ds_load_b64 v[14:15], v107 offset:2048
	ds_load_b64 v[12:13], v108 offset:4096
	;; [unrolled: 1-line block ×7, first 2 shown]
	v_mov_b32_e32 v72, 0
	s_delay_alu instid0(VALU_DEP_1) | instskip(NEXT) | instid1(VALU_DEP_1)
	v_lshlrev_b64_e32 v[2:3], 3, v[71:72]
	v_add_co_u32 v2, vcc_lo, s30, v2
	s_wait_alu 0xfffd
	s_delay_alu instid0(VALU_DEP_2)
	v_add_co_ci_u32_e64 v3, null, s31, v3, vcc_lo
	s_and_saveexec_b32 s8, s0
	s_cbranch_execnz .LBB186_111
; %bb.93:
	s_wait_alu 0xfffe
	s_or_b32 exec_lo, exec_lo, s8
	s_and_saveexec_b32 s8, s1
	s_cbranch_execnz .LBB186_112
.LBB186_94:
	s_wait_alu 0xfffe
	s_or_b32 exec_lo, exec_lo, s8
	s_and_saveexec_b32 s8, s2
	s_cbranch_execnz .LBB186_113
.LBB186_95:
	s_wait_alu 0xfffe
	s_or_b32 exec_lo, exec_lo, s8
	s_and_saveexec_b32 s8, s3
	s_cbranch_execnz .LBB186_114
.LBB186_96:
	s_wait_alu 0xfffe
	s_or_b32 exec_lo, exec_lo, s8
	s_and_saveexec_b32 s8, s4
	s_cbranch_execnz .LBB186_115
.LBB186_97:
	s_wait_alu 0xfffe
	s_or_b32 exec_lo, exec_lo, s8
	s_and_saveexec_b32 s8, s5
	s_cbranch_execnz .LBB186_116
.LBB186_98:
	s_wait_alu 0xfffe
	s_or_b32 exec_lo, exec_lo, s8
	s_and_saveexec_b32 s8, s6
	s_cbranch_execnz .LBB186_117
.LBB186_99:
	s_wait_alu 0xfffe
	s_or_b32 exec_lo, exec_lo, s8
	s_and_saveexec_b32 s8, s7
	s_cbranch_execz .LBB186_101
.LBB186_100:
	s_mul_i32 s10, s22, 0x700
	s_mov_b32 s11, 0
	s_wait_alu 0xfffe
	s_lshl_b64 s[10:11], s[10:11], 3
	s_wait_alu 0xfffe
	v_add_co_u32 v2, vcc_lo, v2, s10
	s_wait_alu 0xfffd
	v_add_co_ci_u32_e64 v3, null, s11, v3, vcc_lo
	s_wait_dscnt 0x0
	global_store_b64 v[2:3], v[0:1], off
.LBB186_101:
	s_wait_alu 0xfffe
	s_or_b32 exec_lo, exec_lo, s8
	s_wait_storecnt 0x0
	s_wait_loadcnt_dscnt 0x0
	s_barrier_signal -1
	s_barrier_wait -1
	global_inv scope:SCOPE_SE
	ds_store_2addr_b64 v114, v[52:53], v[54:55] offset1:1
	ds_store_2addr_b64 v114, v[48:49], v[50:51] offset0:2 offset1:3
	ds_store_2addr_b64 v114, v[60:61], v[62:63] offset0:4 offset1:5
	ds_store_2addr_b64 v114, v[56:57], v[58:59] offset0:6 offset1:7
	s_wait_loadcnt_dscnt 0x0
	s_barrier_signal -1
	s_barrier_wait -1
	global_inv scope:SCOPE_SE
	ds_load_b64 v[14:15], v107 offset:2048
	ds_load_b64 v[12:13], v108 offset:4096
	;; [unrolled: 1-line block ×7, first 2 shown]
	v_mov_b32_e32 v69, 0
	s_delay_alu instid0(VALU_DEP_1) | instskip(NEXT) | instid1(VALU_DEP_1)
	v_lshlrev_b64_e32 v[2:3], 3, v[68:69]
	v_add_co_u32 v2, vcc_lo, s34, v2
	s_wait_alu 0xfffd
	s_delay_alu instid0(VALU_DEP_2)
	v_add_co_ci_u32_e64 v3, null, s35, v3, vcc_lo
	s_and_saveexec_b32 s8, s0
	s_cbranch_execnz .LBB186_118
; %bb.102:
	s_wait_alu 0xfffe
	s_or_b32 exec_lo, exec_lo, s8
	s_and_saveexec_b32 s0, s1
	s_cbranch_execnz .LBB186_119
.LBB186_103:
	s_or_b32 exec_lo, exec_lo, s0
	s_and_saveexec_b32 s0, s2
	s_cbranch_execnz .LBB186_120
.LBB186_104:
	s_or_b32 exec_lo, exec_lo, s0
	s_and_saveexec_b32 s0, s3
	s_cbranch_execnz .LBB186_121
.LBB186_105:
	s_or_b32 exec_lo, exec_lo, s0
	s_and_saveexec_b32 s0, s4
	s_cbranch_execnz .LBB186_122
.LBB186_106:
	s_or_b32 exec_lo, exec_lo, s0
	s_and_saveexec_b32 s0, s5
	s_cbranch_execnz .LBB186_123
.LBB186_107:
	s_or_b32 exec_lo, exec_lo, s0
	s_and_saveexec_b32 s0, s6
	s_cbranch_execnz .LBB186_124
.LBB186_108:
	s_or_b32 exec_lo, exec_lo, s0
	s_and_saveexec_b32 s0, s7
	s_cbranch_execz .LBB186_110
.LBB186_109:
	s_mul_i32 s0, s28, 0x700
	s_mov_b32 s1, 0
	s_delay_alu instid0(SALU_CYCLE_1) | instskip(NEXT) | instid1(SALU_CYCLE_1)
	s_lshl_b64 s[0:1], s[0:1], 3
	v_add_co_u32 v2, vcc_lo, v2, s0
	s_wait_alu 0xfffd
	v_add_co_ci_u32_e64 v3, null, s1, v3, vcc_lo
	s_wait_dscnt 0x0
	global_store_b64 v[2:3], v[0:1], off
.LBB186_110:
	s_nop 0
	s_sendmsg sendmsg(MSG_DEALLOC_VGPRS)
	s_endpgm
.LBB186_111:
	ds_load_b64 v[16:17], v106
	s_wait_dscnt 0x0
	global_store_b64 v[2:3], v[16:17], off
	s_wait_alu 0xfffe
	s_or_b32 exec_lo, exec_lo, s8
	s_and_saveexec_b32 s8, s1
	s_cbranch_execz .LBB186_94
.LBB186_112:
	s_lshl_b32 s10, s22, 8
	s_mov_b32 s11, 0
	s_wait_alu 0xfffe
	s_lshl_b64 s[10:11], s[10:11], 3
	s_wait_alu 0xfffe
	v_add_co_u32 v16, vcc_lo, v2, s10
	s_wait_alu 0xfffd
	v_add_co_ci_u32_e64 v17, null, s11, v3, vcc_lo
	s_wait_dscnt 0x6
	global_store_b64 v[16:17], v[14:15], off
	s_or_b32 exec_lo, exec_lo, s8
	s_and_saveexec_b32 s8, s2
	s_cbranch_execz .LBB186_95
.LBB186_113:
	s_lshl_b32 s10, s22, 9
	s_mov_b32 s11, 0
	s_wait_alu 0xfffe
	s_lshl_b64 s[10:11], s[10:11], 3
	s_wait_dscnt 0x6
	s_wait_alu 0xfffe
	v_add_co_u32 v14, vcc_lo, v2, s10
	s_wait_alu 0xfffd
	v_add_co_ci_u32_e64 v15, null, s11, v3, vcc_lo
	s_wait_dscnt 0x5
	global_store_b64 v[14:15], v[12:13], off
	s_or_b32 exec_lo, exec_lo, s8
	s_and_saveexec_b32 s8, s3
	s_cbranch_execz .LBB186_96
.LBB186_114:
	s_mul_i32 s10, s22, 0x300
	s_mov_b32 s11, 0
	s_wait_alu 0xfffe
	s_lshl_b64 s[10:11], s[10:11], 3
	s_wait_dscnt 0x5
	s_wait_alu 0xfffe
	v_add_co_u32 v12, vcc_lo, v2, s10
	s_wait_alu 0xfffd
	v_add_co_ci_u32_e64 v13, null, s11, v3, vcc_lo
	s_wait_dscnt 0x4
	global_store_b64 v[12:13], v[10:11], off
	s_or_b32 exec_lo, exec_lo, s8
	s_and_saveexec_b32 s8, s4
	s_cbranch_execz .LBB186_97
.LBB186_115:
	s_lshl_b32 s10, s22, 10
	s_mov_b32 s11, 0
	s_wait_alu 0xfffe
	s_lshl_b64 s[10:11], s[10:11], 3
	s_wait_dscnt 0x4
	s_wait_alu 0xfffe
	v_add_co_u32 v10, vcc_lo, v2, s10
	s_wait_alu 0xfffd
	v_add_co_ci_u32_e64 v11, null, s11, v3, vcc_lo
	s_wait_dscnt 0x3
	global_store_b64 v[10:11], v[8:9], off
	s_or_b32 exec_lo, exec_lo, s8
	s_and_saveexec_b32 s8, s5
	s_cbranch_execz .LBB186_98
.LBB186_116:
	s_mul_i32 s10, s22, 0x500
	s_mov_b32 s11, 0
	s_wait_alu 0xfffe
	s_lshl_b64 s[10:11], s[10:11], 3
	s_wait_dscnt 0x3
	s_wait_alu 0xfffe
	v_add_co_u32 v8, vcc_lo, v2, s10
	s_wait_alu 0xfffd
	v_add_co_ci_u32_e64 v9, null, s11, v3, vcc_lo
	s_wait_dscnt 0x2
	global_store_b64 v[8:9], v[6:7], off
	s_or_b32 exec_lo, exec_lo, s8
	s_and_saveexec_b32 s8, s6
	s_cbranch_execz .LBB186_99
.LBB186_117:
	s_mul_i32 s10, s22, 0x600
	s_mov_b32 s11, 0
	s_wait_alu 0xfffe
	s_lshl_b64 s[10:11], s[10:11], 3
	s_wait_dscnt 0x2
	s_wait_alu 0xfffe
	v_add_co_u32 v6, vcc_lo, v2, s10
	s_wait_alu 0xfffd
	v_add_co_ci_u32_e64 v7, null, s11, v3, vcc_lo
	s_wait_dscnt 0x1
	global_store_b64 v[6:7], v[4:5], off
	s_or_b32 exec_lo, exec_lo, s8
	s_and_saveexec_b32 s8, s7
	s_cbranch_execnz .LBB186_100
	s_branch .LBB186_101
.LBB186_118:
	ds_load_b64 v[16:17], v106
	s_wait_dscnt 0x0
	global_store_b64 v[2:3], v[16:17], off
	s_wait_alu 0xfffe
	s_or_b32 exec_lo, exec_lo, s8
	s_and_saveexec_b32 s0, s1
	s_cbranch_execz .LBB186_103
.LBB186_119:
	s_lshl_b32 s8, s28, 8
	s_mov_b32 s9, 0
	s_wait_alu 0xfffe
	s_lshl_b64 s[8:9], s[8:9], 3
	s_wait_alu 0xfffe
	v_add_co_u32 v16, vcc_lo, v2, s8
	s_wait_alu 0xfffd
	v_add_co_ci_u32_e64 v17, null, s9, v3, vcc_lo
	s_wait_dscnt 0x6
	global_store_b64 v[16:17], v[14:15], off
	s_or_b32 exec_lo, exec_lo, s0
	s_and_saveexec_b32 s0, s2
	s_cbranch_execz .LBB186_104
.LBB186_120:
	s_lshl_b32 s8, s28, 9
	s_mov_b32 s9, 0
	s_wait_alu 0xfffe
	s_lshl_b64 s[8:9], s[8:9], 3
	s_wait_dscnt 0x6
	s_wait_alu 0xfffe
	v_add_co_u32 v14, vcc_lo, v2, s8
	s_wait_alu 0xfffd
	v_add_co_ci_u32_e64 v15, null, s9, v3, vcc_lo
	s_wait_dscnt 0x5
	global_store_b64 v[14:15], v[12:13], off
	s_or_b32 exec_lo, exec_lo, s0
	s_and_saveexec_b32 s0, s3
	s_cbranch_execz .LBB186_105
.LBB186_121:
	s_mul_i32 s2, s28, 0x300
	s_mov_b32 s3, 0
	s_wait_alu 0xfffe
	s_lshl_b64 s[2:3], s[2:3], 3
	s_wait_dscnt 0x5
	s_wait_alu 0xfffe
	v_add_co_u32 v12, vcc_lo, v2, s2
	s_wait_alu 0xfffd
	v_add_co_ci_u32_e64 v13, null, s3, v3, vcc_lo
	s_wait_dscnt 0x4
	global_store_b64 v[12:13], v[10:11], off
	s_or_b32 exec_lo, exec_lo, s0
	s_and_saveexec_b32 s0, s4
	s_cbranch_execz .LBB186_106
.LBB186_122:
	s_lshl_b32 s2, s28, 10
	s_mov_b32 s3, 0
	s_wait_alu 0xfffe
	s_lshl_b64 s[2:3], s[2:3], 3
	s_wait_dscnt 0x4
	s_wait_alu 0xfffe
	v_add_co_u32 v10, vcc_lo, v2, s2
	s_wait_alu 0xfffd
	v_add_co_ci_u32_e64 v11, null, s3, v3, vcc_lo
	s_wait_dscnt 0x3
	global_store_b64 v[10:11], v[8:9], off
	s_or_b32 exec_lo, exec_lo, s0
	s_and_saveexec_b32 s0, s5
	s_cbranch_execz .LBB186_107
.LBB186_123:
	s_mul_i32 s2, s28, 0x500
	s_mov_b32 s3, 0
	s_wait_alu 0xfffe
	s_lshl_b64 s[2:3], s[2:3], 3
	s_wait_dscnt 0x3
	s_wait_alu 0xfffe
	v_add_co_u32 v8, vcc_lo, v2, s2
	s_wait_alu 0xfffd
	v_add_co_ci_u32_e64 v9, null, s3, v3, vcc_lo
	s_wait_dscnt 0x2
	global_store_b64 v[8:9], v[6:7], off
	s_or_b32 exec_lo, exec_lo, s0
	s_and_saveexec_b32 s0, s6
	s_cbranch_execz .LBB186_108
.LBB186_124:
	s_mul_i32 s2, s28, 0x600
	s_mov_b32 s3, 0
	s_wait_alu 0xfffe
	s_lshl_b64 s[2:3], s[2:3], 3
	s_wait_dscnt 0x2
	s_wait_alu 0xfffe
	v_add_co_u32 v6, vcc_lo, v2, s2
	s_wait_alu 0xfffd
	v_add_co_ci_u32_e64 v7, null, s3, v3, vcc_lo
	s_wait_dscnt 0x1
	global_store_b64 v[6:7], v[4:5], off
	s_or_b32 exec_lo, exec_lo, s0
	s_and_saveexec_b32 s0, s7
	s_cbranch_execnz .LBB186_109
	s_branch .LBB186_110
	.section	.rodata,"a",@progbits
	.p2align	6, 0x0
	.amdhsa_kernel _ZN2at6native18radixSortKVInPlaceILi2ELin1ELi256ELi8EdljEEvNS_4cuda6detail10TensorInfoIT3_T5_EES6_S6_S6_NS4_IT4_S6_EES6_b
		.amdhsa_group_segment_fixed_size 16896
		.amdhsa_private_segment_fixed_size 0
		.amdhsa_kernarg_size 712
		.amdhsa_user_sgpr_count 2
		.amdhsa_user_sgpr_dispatch_ptr 0
		.amdhsa_user_sgpr_queue_ptr 0
		.amdhsa_user_sgpr_kernarg_segment_ptr 1
		.amdhsa_user_sgpr_dispatch_id 0
		.amdhsa_user_sgpr_private_segment_size 0
		.amdhsa_wavefront_size32 1
		.amdhsa_uses_dynamic_stack 0
		.amdhsa_enable_private_segment 0
		.amdhsa_system_sgpr_workgroup_id_x 1
		.amdhsa_system_sgpr_workgroup_id_y 1
		.amdhsa_system_sgpr_workgroup_id_z 1
		.amdhsa_system_sgpr_workgroup_info 0
		.amdhsa_system_vgpr_workitem_id 2
		.amdhsa_next_free_vgpr 143
		.amdhsa_next_free_sgpr 40
		.amdhsa_reserve_vcc 1
		.amdhsa_float_round_mode_32 0
		.amdhsa_float_round_mode_16_64 0
		.amdhsa_float_denorm_mode_32 3
		.amdhsa_float_denorm_mode_16_64 3
		.amdhsa_fp16_overflow 0
		.amdhsa_workgroup_processor_mode 1
		.amdhsa_memory_ordered 1
		.amdhsa_forward_progress 1
		.amdhsa_inst_pref_size 125
		.amdhsa_round_robin_scheduling 0
		.amdhsa_exception_fp_ieee_invalid_op 0
		.amdhsa_exception_fp_denorm_src 0
		.amdhsa_exception_fp_ieee_div_zero 0
		.amdhsa_exception_fp_ieee_overflow 0
		.amdhsa_exception_fp_ieee_underflow 0
		.amdhsa_exception_fp_ieee_inexact 0
		.amdhsa_exception_int_div_zero 0
	.end_amdhsa_kernel
	.section	.text._ZN2at6native18radixSortKVInPlaceILi2ELin1ELi256ELi8EdljEEvNS_4cuda6detail10TensorInfoIT3_T5_EES6_S6_S6_NS4_IT4_S6_EES6_b,"axG",@progbits,_ZN2at6native18radixSortKVInPlaceILi2ELin1ELi256ELi8EdljEEvNS_4cuda6detail10TensorInfoIT3_T5_EES6_S6_S6_NS4_IT4_S6_EES6_b,comdat
.Lfunc_end186:
	.size	_ZN2at6native18radixSortKVInPlaceILi2ELin1ELi256ELi8EdljEEvNS_4cuda6detail10TensorInfoIT3_T5_EES6_S6_S6_NS4_IT4_S6_EES6_b, .Lfunc_end186-_ZN2at6native18radixSortKVInPlaceILi2ELin1ELi256ELi8EdljEEvNS_4cuda6detail10TensorInfoIT3_T5_EES6_S6_S6_NS4_IT4_S6_EES6_b
                                        ; -- End function
	.set _ZN2at6native18radixSortKVInPlaceILi2ELin1ELi256ELi8EdljEEvNS_4cuda6detail10TensorInfoIT3_T5_EES6_S6_S6_NS4_IT4_S6_EES6_b.num_vgpr, 143
	.set _ZN2at6native18radixSortKVInPlaceILi2ELin1ELi256ELi8EdljEEvNS_4cuda6detail10TensorInfoIT3_T5_EES6_S6_S6_NS4_IT4_S6_EES6_b.num_agpr, 0
	.set _ZN2at6native18radixSortKVInPlaceILi2ELin1ELi256ELi8EdljEEvNS_4cuda6detail10TensorInfoIT3_T5_EES6_S6_S6_NS4_IT4_S6_EES6_b.numbered_sgpr, 40
	.set _ZN2at6native18radixSortKVInPlaceILi2ELin1ELi256ELi8EdljEEvNS_4cuda6detail10TensorInfoIT3_T5_EES6_S6_S6_NS4_IT4_S6_EES6_b.num_named_barrier, 0
	.set _ZN2at6native18radixSortKVInPlaceILi2ELin1ELi256ELi8EdljEEvNS_4cuda6detail10TensorInfoIT3_T5_EES6_S6_S6_NS4_IT4_S6_EES6_b.private_seg_size, 0
	.set _ZN2at6native18radixSortKVInPlaceILi2ELin1ELi256ELi8EdljEEvNS_4cuda6detail10TensorInfoIT3_T5_EES6_S6_S6_NS4_IT4_S6_EES6_b.uses_vcc, 1
	.set _ZN2at6native18radixSortKVInPlaceILi2ELin1ELi256ELi8EdljEEvNS_4cuda6detail10TensorInfoIT3_T5_EES6_S6_S6_NS4_IT4_S6_EES6_b.uses_flat_scratch, 0
	.set _ZN2at6native18radixSortKVInPlaceILi2ELin1ELi256ELi8EdljEEvNS_4cuda6detail10TensorInfoIT3_T5_EES6_S6_S6_NS4_IT4_S6_EES6_b.has_dyn_sized_stack, 0
	.set _ZN2at6native18radixSortKVInPlaceILi2ELin1ELi256ELi8EdljEEvNS_4cuda6detail10TensorInfoIT3_T5_EES6_S6_S6_NS4_IT4_S6_EES6_b.has_recursion, 0
	.set _ZN2at6native18radixSortKVInPlaceILi2ELin1ELi256ELi8EdljEEvNS_4cuda6detail10TensorInfoIT3_T5_EES6_S6_S6_NS4_IT4_S6_EES6_b.has_indirect_call, 0
	.section	.AMDGPU.csdata,"",@progbits
; Kernel info:
; codeLenInByte = 15956
; TotalNumSgprs: 42
; NumVgprs: 143
; ScratchSize: 0
; MemoryBound: 0
; FloatMode: 240
; IeeeMode: 1
; LDSByteSize: 16896 bytes/workgroup (compile time only)
; SGPRBlocks: 0
; VGPRBlocks: 17
; NumSGPRsForWavesPerEU: 42
; NumVGPRsForWavesPerEU: 143
; Occupancy: 10
; WaveLimiterHint : 1
; COMPUTE_PGM_RSRC2:SCRATCH_EN: 0
; COMPUTE_PGM_RSRC2:USER_SGPR: 2
; COMPUTE_PGM_RSRC2:TRAP_HANDLER: 0
; COMPUTE_PGM_RSRC2:TGID_X_EN: 1
; COMPUTE_PGM_RSRC2:TGID_Y_EN: 1
; COMPUTE_PGM_RSRC2:TGID_Z_EN: 1
; COMPUTE_PGM_RSRC2:TIDIG_COMP_CNT: 2
	.section	.text._ZN2at6native18radixSortKVInPlaceILi2ELin1ELi128ELi8EdljEEvNS_4cuda6detail10TensorInfoIT3_T5_EES6_S6_S6_NS4_IT4_S6_EES6_b,"axG",@progbits,_ZN2at6native18radixSortKVInPlaceILi2ELin1ELi128ELi8EdljEEvNS_4cuda6detail10TensorInfoIT3_T5_EES6_S6_S6_NS4_IT4_S6_EES6_b,comdat
	.protected	_ZN2at6native18radixSortKVInPlaceILi2ELin1ELi128ELi8EdljEEvNS_4cuda6detail10TensorInfoIT3_T5_EES6_S6_S6_NS4_IT4_S6_EES6_b ; -- Begin function _ZN2at6native18radixSortKVInPlaceILi2ELin1ELi128ELi8EdljEEvNS_4cuda6detail10TensorInfoIT3_T5_EES6_S6_S6_NS4_IT4_S6_EES6_b
	.globl	_ZN2at6native18radixSortKVInPlaceILi2ELin1ELi128ELi8EdljEEvNS_4cuda6detail10TensorInfoIT3_T5_EES6_S6_S6_NS4_IT4_S6_EES6_b
	.p2align	8
	.type	_ZN2at6native18radixSortKVInPlaceILi2ELin1ELi128ELi8EdljEEvNS_4cuda6detail10TensorInfoIT3_T5_EES6_S6_S6_NS4_IT4_S6_EES6_b,@function
_ZN2at6native18radixSortKVInPlaceILi2ELin1ELi128ELi8EdljEEvNS_4cuda6detail10TensorInfoIT3_T5_EES6_S6_S6_NS4_IT4_S6_EES6_b: ; @_ZN2at6native18radixSortKVInPlaceILi2ELin1ELi128ELi8EdljEEvNS_4cuda6detail10TensorInfoIT3_T5_EES6_S6_S6_NS4_IT4_S6_EES6_b
; %bb.0:
	s_clause 0x1
	s_load_b64 s[2:3], s[0:1], 0x1c8
	s_load_b96 s[20:22], s[0:1], 0xd8
	s_lshr_b32 s4, ttmp7, 16
	s_wait_kmcnt 0x0
	s_mul_i32 s3, s3, s4
	s_and_b32 s4, ttmp7, 0xffff
	s_delay_alu instid0(SALU_CYCLE_1) | instskip(NEXT) | instid1(SALU_CYCLE_1)
	s_add_co_i32 s3, s3, s4
	s_mul_i32 s2, s3, s2
	s_delay_alu instid0(SALU_CYCLE_1) | instskip(NEXT) | instid1(SALU_CYCLE_1)
	s_add_co_i32 s2, s2, ttmp9
	s_cmp_ge_u32 s2, s20
	s_cbranch_scc1 .LBB187_110
; %bb.1:
	s_clause 0x2
	s_load_b32 s10, s[0:1], 0xc
	s_load_b64 s[6:7], s[0:1], 0x6c
	s_load_b32 s8, s[0:1], 0x1b8
	s_add_nc_u64 s[34:35], s[0:1], 0xe8
	s_mov_b32 s23, s2
	s_wait_kmcnt 0x0
	s_cvt_f32_u32 s3, s10
	s_delay_alu instid0(SALU_CYCLE_3) | instskip(NEXT) | instid1(TRANS32_DEP_1)
	v_rcp_iflag_f32_e32 v1, s3
	v_readfirstlane_b32 s3, v1
	s_mul_f32 s3, s3, 0x4f7ffffe
	s_wait_alu 0xfffe
	s_delay_alu instid0(SALU_CYCLE_2) | instskip(SKIP_2) | instid1(SALU_CYCLE_1)
	s_cvt_u32_f32 s4, s3
	s_sub_co_i32 s3, 0, s10
	s_wait_alu 0xfffe
	s_mul_i32 s5, s3, s4
	s_mov_b32 s3, 0
	s_mul_hi_u32 s9, s4, s5
	s_wait_alu 0xfffe
	s_mov_b32 s5, s3
	s_add_co_i32 s4, s4, s9
	s_cmp_lt_i32 s8, 2
	s_mov_b32 s27, s3
	s_cbranch_scc1 .LBB187_4
; %bb.2:
	s_add_co_i32 s26, s8, -1
	s_mov_b32 s27, 0
	s_add_co_i32 s11, s8, 1
	s_lshl_b64 s[12:13], s[26:27], 2
	s_mov_b32 s23, s2
	s_add_nc_u64 s[12:13], s[34:35], s[12:13]
	s_delay_alu instid0(SALU_CYCLE_1)
	s_add_nc_u64 s[8:9], s[12:13], 8
.LBB187_3:                              ; =>This Inner Loop Header: Depth=1
	s_clause 0x1
	s_load_b32 s12, s[8:9], 0x0
	s_load_b32 s13, s[8:9], 0x64
	s_mov_b32 s16, s23
	s_add_nc_u64 s[8:9], s[8:9], -4
	s_wait_kmcnt 0x0
	s_cvt_f32_u32 s14, s12
	s_sub_co_i32 s15, 0, s12
	s_wait_alu 0xfffe
	s_delay_alu instid0(SALU_CYCLE_1) | instskip(NEXT) | instid1(TRANS32_DEP_1)
	v_rcp_iflag_f32_e32 v1, s14
	v_readfirstlane_b32 s14, v1
	s_mul_f32 s14, s14, 0x4f7ffffe
	s_wait_alu 0xfffe
	s_delay_alu instid0(SALU_CYCLE_2) | instskip(SKIP_1) | instid1(SALU_CYCLE_2)
	s_cvt_u32_f32 s14, s14
	s_wait_alu 0xfffe
	s_mul_i32 s15, s15, s14
	s_wait_alu 0xfffe
	s_mul_hi_u32 s15, s14, s15
	s_wait_alu 0xfffe
	s_add_co_i32 s14, s14, s15
	s_wait_alu 0xfffe
	s_mul_hi_u32 s14, s23, s14
	s_wait_alu 0xfffe
	s_mul_i32 s15, s14, s12
	s_add_co_i32 s17, s14, 1
	s_wait_alu 0xfffe
	s_sub_co_i32 s15, s23, s15
	s_wait_alu 0xfffe
	s_sub_co_i32 s18, s15, s12
	s_cmp_ge_u32 s15, s12
	s_cselect_b32 s14, s17, s14
	s_cselect_b32 s15, s18, s15
	s_wait_alu 0xfffe
	s_add_co_i32 s17, s14, 1
	s_cmp_ge_u32 s15, s12
	s_cselect_b32 s23, s17, s14
	s_add_co_i32 s11, s11, -1
	s_mul_i32 s12, s23, s12
	s_delay_alu instid0(SALU_CYCLE_1) | instskip(NEXT) | instid1(SALU_CYCLE_1)
	s_sub_co_i32 s12, s16, s12
	s_mul_i32 s12, s13, s12
	s_delay_alu instid0(SALU_CYCLE_1)
	s_add_co_i32 s27, s12, s27
	s_cmp_gt_u32 s11, 2
	s_cbranch_scc1 .LBB187_3
.LBB187_4:
	s_mul_u64 s[4:5], s[2:3], s[4:5]
	s_clause 0x1
	s_load_b64 s[30:31], s[0:1], 0x0
	s_load_b64 s[28:29], s[0:1], 0x1c0
	s_mul_i32 s3, s5, s10
	s_add_nc_u64 s[24:25], s[0:1], 0x1c8
	s_wait_alu 0xfffe
	s_sub_co_i32 s0, s2, s3
	s_add_co_i32 s1, s5, 1
	s_sub_co_i32 s3, s0, s10
	s_cmp_ge_u32 s0, s10
	s_mov_b32 s4, -1
	s_cselect_b32 s1, s1, s5
	s_wait_alu 0xfffe
	s_cselect_b32 s0, s3, s0
	s_add_co_i32 s3, s1, 1
	s_cmp_ge_u32 s0, s10
	s_mov_b32 s8, s4
	s_wait_alu 0xfffe
	s_cselect_b32 s0, s3, s1
	s_mov_b32 s1, 0
	s_mul_i32 s3, s0, s10
	s_mul_i32 s0, s0, s6
	s_wait_alu 0xfffe
	s_sub_co_i32 s2, s2, s3
	s_mov_b32 s6, s4
	s_wait_alu 0xfffe
	s_mul_i32 s2, s2, s7
	s_mov_b32 s10, s4
	s_wait_alu 0xfffe
	s_add_co_i32 s0, s0, s2
	s_wait_kmcnt 0x0
	s_bitcmp1_b32 s29, 0
	s_mov_b32 s12, s4
	s_cselect_b32 s20, -1, 0
	s_lshl_b64 s[2:3], s[0:1], 3
	s_and_b32 s0, s20, exec_lo
	s_cselect_b32 s5, -1, 0x7fffffff
	s_mov_b32 s14, s4
	s_mov_b32 s7, s5
	;; [unrolled: 1-line block ×10, first 2 shown]
	v_and_b32_e32 v73, 0x3ff, v0
	v_dual_mov_b32 v1, s4 :: v_dual_mov_b32 v4, s7
	v_dual_mov_b32 v2, s5 :: v_dual_mov_b32 v15, s18
	v_mov_b32_e32 v18, s5
	s_delay_alu instid0(VALU_DEP_4)
	v_mul_lo_u32 v71, s22, v73
	v_cmp_gt_u32_e64 s0, s21, v73
	v_dual_mov_b32 v3, s6 :: v_dual_mov_b32 v6, s9
	v_dual_mov_b32 v5, s8 :: v_dual_mov_b32 v8, s11
	;; [unrolled: 1-line block ×3, first 2 shown]
	s_wait_alu 0xfffe
	v_dual_mov_b32 v9, s12 :: v_dual_mov_b32 v12, s15
	v_dual_mov_b32 v11, s14 :: v_dual_mov_b32 v14, s17
	;; [unrolled: 1-line block ×3, first 2 shown]
	v_mov_b32_e32 v17, s4
	s_add_nc_u64 s[30:31], s[30:31], s[2:3]
	s_and_saveexec_b32 s1, s0
	s_cbranch_execz .LBB187_6
; %bb.5:
	v_mov_b32_e32 v72, 0
	s_delay_alu instid0(VALU_DEP_1) | instskip(NEXT) | instid1(VALU_DEP_1)
	v_lshlrev_b64_e32 v[1:2], 3, v[71:72]
	v_add_co_u32 v1, vcc_lo, s30, v1
	s_delay_alu instid0(VALU_DEP_1)
	v_add_co_ci_u32_e64 v2, null, s31, v2, vcc_lo
	global_load_b64 v[17:18], v[1:2], off
	v_dual_mov_b32 v1, s4 :: v_dual_mov_b32 v2, s5
	v_dual_mov_b32 v3, s6 :: v_dual_mov_b32 v4, s7
	;; [unrolled: 1-line block ×8, first 2 shown]
.LBB187_6:
	s_or_b32 exec_lo, exec_lo, s1
	v_add_nc_u32_e32 v32, 0x80, v73
	s_delay_alu instid0(VALU_DEP_1)
	v_cmp_gt_u32_e64 s1, s21, v32
	s_and_saveexec_b32 s2, s1
	s_cbranch_execz .LBB187_8
; %bb.7:
	v_mul_lo_u32 v1, s22, v32
	v_mov_b32_e32 v2, 0
	s_delay_alu instid0(VALU_DEP_1) | instskip(NEXT) | instid1(VALU_DEP_1)
	v_lshlrev_b64_e32 v[1:2], 3, v[1:2]
	v_add_co_u32 v1, vcc_lo, s30, v1
	s_wait_alu 0xfffd
	s_delay_alu instid0(VALU_DEP_2)
	v_add_co_ci_u32_e64 v2, null, s31, v2, vcc_lo
	global_load_b64 v[3:4], v[1:2], off
.LBB187_8:
	s_wait_alu 0xfffe
	s_or_b32 exec_lo, exec_lo, s2
	v_add_nc_u32_e32 v33, 0x100, v73
	s_delay_alu instid0(VALU_DEP_1)
	v_cmp_gt_u32_e64 s2, s21, v33
	s_and_saveexec_b32 s3, s2
	s_cbranch_execz .LBB187_10
; %bb.9:
	v_mul_lo_u32 v1, s22, v33
	v_mov_b32_e32 v2, 0
	s_delay_alu instid0(VALU_DEP_1) | instskip(NEXT) | instid1(VALU_DEP_1)
	v_lshlrev_b64_e32 v[1:2], 3, v[1:2]
	v_add_co_u32 v1, vcc_lo, s30, v1
	s_wait_alu 0xfffd
	s_delay_alu instid0(VALU_DEP_2)
	v_add_co_ci_u32_e64 v2, null, s31, v2, vcc_lo
	global_load_b64 v[5:6], v[1:2], off
.LBB187_10:
	s_wait_alu 0xfffe
	;; [unrolled: 18-line block ×6, first 2 shown]
	s_or_b32 exec_lo, exec_lo, s7
	s_clause 0x1
	s_load_b32 s10, s[34:35], 0x6c
	s_load_b64 s[8:9], s[34:35], 0x0
	v_add_nc_u32_e32 v38, 0x380, v73
	s_delay_alu instid0(VALU_DEP_1)
	v_cmp_gt_u32_e64 s7, s21, v38
	s_and_saveexec_b32 s11, s7
	s_cbranch_execz .LBB187_20
; %bb.19:
	v_mul_lo_u32 v1, s22, v38
	v_mov_b32_e32 v2, 0
	s_delay_alu instid0(VALU_DEP_1) | instskip(NEXT) | instid1(VALU_DEP_1)
	v_lshlrev_b64_e32 v[1:2], 3, v[1:2]
	v_add_co_u32 v1, vcc_lo, s30, v1
	s_wait_alu 0xfffd
	s_delay_alu instid0(VALU_DEP_2)
	v_add_co_ci_u32_e64 v2, null, s31, v2, vcc_lo
	global_load_b64 v[15:16], v[1:2], off
.LBB187_20:
	s_wait_alu 0xfffe
	s_or_b32 exec_lo, exec_lo, s11
	v_lshrrev_b32_e32 v2, 2, v33
	v_dual_mov_b32 v69, 0 :: v_dual_lshlrev_b32 v72, 3, v73
	v_lshrrev_b32_e32 v1, 2, v32
	v_lshrrev_b32_e32 v19, 2, v34
	s_delay_alu instid0(VALU_DEP_4) | instskip(SKIP_1) | instid1(VALU_DEP_4)
	v_and_b32_e32 v2, 0x1f8, v2
	v_lshrrev_b32_e32 v48, 5, v73
	v_dual_mov_b32 v70, v69 :: v_dual_and_b32 v1, 0x1f8, v1
	s_delay_alu instid0(VALU_DEP_4) | instskip(NEXT) | instid1(VALU_DEP_4)
	v_and_b32_e32 v19, 0x1f8, v19
	v_add_nc_u32_e32 v108, v2, v72
	v_lshrrev_b32_e32 v2, 2, v36
	v_lshl_add_u32 v106, v48, 3, v72
	v_add_nc_u32_e32 v107, v1, v72
	v_lshrrev_b32_e32 v1, 2, v35
	v_lshrrev_b32_e32 v20, 2, v38
	v_and_b32_e32 v2, 0x1f8, v2
	s_wait_kmcnt 0x0
	s_mul_i32 s10, s10, s23
	v_mul_lo_u32 v68, s28, v73
	v_and_b32_e32 v1, 0x1f8, v1
	s_mov_b32 s11, 0
	v_dual_mov_b32 v2, v69 :: v_dual_add_nc_u32 v111, v2, v72
	v_add_nc_u32_e32 v109, v19, v72
	v_lshrrev_b32_e32 v19, 2, v37
	s_wait_loadcnt 0x0
	ds_store_b64 v106, v[17:18]
	ds_store_b64 v107, v[3:4] offset:1024
	ds_store_b64 v108, v[5:6] offset:2048
	;; [unrolled: 1-line block ×3, first 2 shown]
	v_dual_mov_b32 v7, v69 :: v_dual_and_b32 v4, 0x1f8, v20
	v_lshlrev_b32_e32 v5, 1, v73
	v_dual_mov_b32 v8, v69 :: v_dual_and_b32 v3, 0x1f8, v19
	v_mov_b32_e32 v6, v69
	v_add_nc_u32_e32 v110, v1, v72
	v_add_nc_u32_e32 v113, v4, v72
	s_delay_alu instid0(VALU_DEP_4)
	v_add_nc_u32_e32 v112, v3, v72
	ds_store_b64 v110, v[9:10] offset:4096
	ds_store_b64 v111, v[11:12] offset:5120
	;; [unrolled: 1-line block ×4, first 2 shown]
	v_dual_mov_b32 v10, v69 :: v_dual_and_b32 v1, 0x7f8, v5
	s_wait_dscnt 0x0
	s_barrier_signal -1
	s_barrier_wait -1
	global_inv scope:SCOPE_SE
	v_lshl_add_u32 v114, v73, 6, v1
	ds_load_2addr_b64 v[28:31], v114 offset1:1
	ds_load_2addr_b64 v[24:27], v114 offset0:2 offset1:3
	ds_load_2addr_b64 v[20:23], v114 offset0:4 offset1:5
	ds_load_2addr_b64 v[16:19], v114 offset0:6 offset1:7
	s_wait_alu 0xfffe
	s_add_co_i32 s10, s10, s27
	v_mov_b32_e32 v11, 0
	v_mov_b32_e32 v1, v69
	v_dual_mov_b32 v3, v69 :: v_dual_mov_b32 v4, v69
	v_mov_b32_e32 v5, v69
	v_mov_b32_e32 v9, v69
	v_dual_mov_b32 v13, v69 :: v_dual_mov_b32 v12, 0
	v_mov_b32_e32 v14, v69
	s_wait_alu 0xfffe
	s_lshl_b64 s[10:11], s[10:11], 3
	s_wait_loadcnt_dscnt 0x0
	s_wait_alu 0xfffe
	s_add_nc_u64 s[34:35], s[8:9], s[10:11]
	s_barrier_signal -1
	s_barrier_wait -1
	global_inv scope:SCOPE_SE
	s_and_saveexec_b32 s8, s0
	s_cbranch_execnz .LBB187_56
; %bb.21:
	s_wait_alu 0xfffe
	s_or_b32 exec_lo, exec_lo, s8
	s_and_saveexec_b32 s8, s1
	s_cbranch_execnz .LBB187_57
.LBB187_22:
	s_wait_alu 0xfffe
	s_or_b32 exec_lo, exec_lo, s8
	s_and_saveexec_b32 s8, s2
	s_cbranch_execnz .LBB187_58
.LBB187_23:
	s_wait_alu 0xfffe
	s_or_b32 exec_lo, exec_lo, s8
	s_and_saveexec_b32 s8, s3
	s_cbranch_execnz .LBB187_59
.LBB187_24:
	s_wait_alu 0xfffe
	s_or_b32 exec_lo, exec_lo, s8
	s_and_saveexec_b32 s8, s4
	s_cbranch_execnz .LBB187_60
.LBB187_25:
	s_wait_alu 0xfffe
	s_or_b32 exec_lo, exec_lo, s8
	s_and_saveexec_b32 s8, s5
	s_cbranch_execnz .LBB187_61
.LBB187_26:
	s_wait_alu 0xfffe
	s_or_b32 exec_lo, exec_lo, s8
	s_and_saveexec_b32 s8, s6
	s_cbranch_execnz .LBB187_62
.LBB187_27:
	s_wait_alu 0xfffe
	s_or_b32 exec_lo, exec_lo, s8
	s_xor_b32 s8, s20, -1
	s_and_saveexec_b32 s9, s7
	s_cbranch_execz .LBB187_29
.LBB187_28:
	v_mul_lo_u32 v13, s28, v38
	v_mov_b32_e32 v14, 0
	s_delay_alu instid0(VALU_DEP_1) | instskip(NEXT) | instid1(VALU_DEP_1)
	v_lshlrev_b64_e32 v[13:14], 3, v[13:14]
	v_add_co_u32 v13, vcc_lo, s34, v13
	s_wait_alu 0xfffd
	s_delay_alu instid0(VALU_DEP_2)
	v_add_co_ci_u32_e64 v14, null, s35, v14, vcc_lo
	global_load_b64 v[13:14], v[13:14], off
.LBB187_29:
	s_wait_alu 0xfffe
	s_or_b32 exec_lo, exec_lo, s9
	s_wait_loadcnt 0x0
	ds_store_b64 v106, v[11:12]
	ds_store_b64 v107, v[69:70] offset:1024
	ds_store_b64 v108, v[1:2] offset:2048
	;; [unrolled: 1-line block ×7, first 2 shown]
	s_wait_dscnt 0x0
	s_barrier_signal -1
	s_barrier_wait -1
	global_inv scope:SCOPE_SE
	ds_load_2addr_b64 v[44:47], v114 offset1:1
	ds_load_2addr_b64 v[40:43], v114 offset0:2 offset1:3
	ds_load_2addr_b64 v[36:39], v114 offset0:4 offset1:5
	;; [unrolled: 1-line block ×3, first 2 shown]
	s_and_b32 vcc_lo, exec_lo, s8
	v_bfe_u32 v120, v0, 10, 10
	v_bfe_u32 v121, v0, 20, 10
	v_ashrrev_i32_e32 v129, 31, v29
	v_ashrrev_i32_e32 v128, 31, v31
	;; [unrolled: 1-line block ×8, first 2 shown]
	v_mbcnt_lo_u32_b32 v118, -1, 0
	v_and_b32_e32 v119, 0x3e0, v73
	v_lshlrev_b32_e32 v115, 2, v72
	v_cmp_gt_u32_e64 s8, 4, v73
	v_cmp_lt_u32_e64 s9, 31, v73
	v_cmp_eq_u32_e64 s10, 0, v73
	v_lshlrev_b32_e32 v116, 2, v48
	v_mul_i32_i24_e32 v117, 0xffffffe4, v73
	s_wait_loadcnt_dscnt 0x0
	s_barrier_signal -1
	s_barrier_wait -1
	global_inv scope:SCOPE_SE
	s_wait_alu 0xfffe
	s_cbranch_vccz .LBB187_63
; %bb.30:
	v_cmp_lt_i64_e32 vcc_lo, -1, v[28:29]
	v_or_b32_e32 v14, v118, v119
	s_mov_b32 s36, 0
	s_getpc_b64 s[12:13]
	s_wait_alu 0xfffe
	s_sext_i32_i16 s13, s13
	s_add_co_u32 s12, s12, _ZN7rocprim17ROCPRIM_400000_NS16block_radix_sortIdLj128ELj8ElLj1ELj1ELj0ELNS0_26block_radix_rank_algorithmE1ELNS0_18block_padding_hintE2ELNS0_4arch9wavefront6targetE0EE19radix_bits_per_passE@rel32@lo+12
	s_wait_alu 0xfffe
	s_add_co_ci_u32 s13, s13, _ZN7rocprim17ROCPRIM_400000_NS16block_radix_sortIdLj128ELj8ElLj1ELj1ELj0ELNS0_26block_radix_rank_algorithmE1ELNS0_18block_padding_hintE2ELNS0_4arch9wavefront6targetE0EE19radix_bits_per_passE@rel32@hi+24
	s_mov_b32 s37, s36
	s_mov_b32 s38, s36
	s_wait_alu 0xfffd
	v_cndmask_b32_e64 v0, -1, 0x80000000, vcc_lo
	v_cmp_lt_i64_e32 vcc_lo, -1, v[30:31]
	v_lshlrev_b32_e32 v48, 6, v14
	s_mov_b32 s39, s36
	v_and_b32_e32 v69, 3, v118
	v_xor_b32_e32 v1, v0, v29
	v_xor_b32_e32 v0, v129, v28
	s_wait_alu 0xfffd
	v_cndmask_b32_e64 v2, -1, 0x80000000, vcc_lo
	v_cmp_lt_i64_e32 vcc_lo, -1, v[24:25]
	v_and_or_b32 v49, 0x1f00, v72, v118
	s_load_b32 s21, s[12:13], 0x0
	v_cmp_eq_u32_e64 s18, 0, v69
	v_xor_b32_e32 v3, v2, v31
	v_xor_b32_e32 v2, v128, v30
	v_cndmask_b32_e64 v4, -1, 0x80000000, vcc_lo
	v_cmp_lt_i64_e32 vcc_lo, -1, v[26:27]
	v_cmp_lt_u32_e64 s19, 1, v69
	v_mov_b32_e32 v69, 0
	v_xor_b32_e32 v14, v122, v18
	v_xor_b32_e32 v5, v4, v25
	;; [unrolled: 1-line block ×3, first 2 shown]
	s_wait_alu 0xfffd
	v_cndmask_b32_e64 v6, -1, 0x80000000, vcc_lo
	v_cmp_lt_i64_e32 vcc_lo, -1, v[20:21]
	v_add_nc_u32_e32 v132, -4, v116
	v_add_nc_u32_e32 v134, v115, v117
	s_mov_b32 s26, -1
	v_xor_b32_e32 v7, v6, v27
	v_xor_b32_e32 v6, v126, v26
	s_wait_alu 0xfffd
	v_cndmask_b32_e64 v8, -1, 0x80000000, vcc_lo
	v_cmp_lt_i64_e32 vcc_lo, -1, v[22:23]
	ds_store_b128 v48, v[0:3]
	ds_store_b128 v48, v[4:7] offset:16
	v_sub_co_u32 v3, s13, v118, 1
	v_xor_b32_e32 v9, v8, v21
	s_wait_alu 0xfffd
	v_cndmask_b32_e64 v10, -1, 0x80000000, vcc_lo
	v_cmp_lt_i64_e32 vcc_lo, -1, v[16:17]
	v_xor_b32_e32 v8, v125, v20
	v_and_b32_e32 v2, 15, v118
	s_brev_b32 s27, -2
	v_xor_b32_e32 v11, v10, v23
	v_xor_b32_e32 v10, v124, v22
	s_wait_alu 0xfffd
	v_cndmask_b32_e64 v12, -1, 0x80000000, vcc_lo
	v_cmp_lt_i64_e32 vcc_lo, -1, v[18:19]
	v_cmp_lt_u32_e64 s12, 1, v2
	v_cmp_lt_u32_e64 s15, 7, v2
	s_mov_b32 s23, 64
	v_xor_b32_e32 v13, v12, v17
	v_xor_b32_e32 v12, v123, v16
	s_wait_alu 0xfffd
	v_cndmask_b32_e64 v15, -1, 0x80000000, vcc_lo
	v_cmp_gt_i32_e32 vcc_lo, 0, v3
	v_lshlrev_b32_e32 v130, 3, v49
	v_mov_b32_e32 v70, 0
	s_delay_alu instid0(VALU_DEP_4)
	v_xor_b32_e32 v15, v15, v19
	ds_store_b128 v48, v[8:11] offset:32
	ds_store_b128 v48, v[12:15] offset:48
	; wave barrier
	s_wait_alu 0xfffd
	v_cndmask_b32_e32 v3, v3, v118, vcc_lo
	ds_load_2addr_b64 v[4:7], v130 offset1:32
	ds_load_2addr_b64 v[8:11], v130 offset0:64 offset1:96
	ds_load_2addr_b64 v[12:15], v130 offset0:128 offset1:160
	;; [unrolled: 1-line block ×3, first 2 shown]
	; wave barrier
	ds_store_b128 v48, v[44:47]
	ds_store_b128 v48, v[40:43] offset:16
	ds_store_b128 v48, v[36:39] offset:32
	;; [unrolled: 1-line block ×3, first 2 shown]
	; wave barrier
	ds_load_2addr_b64 v[48:51], v130 offset1:32
	ds_load_2addr_b64 v[52:55], v130 offset0:64 offset1:96
	ds_load_2addr_b64 v[56:59], v130 offset0:128 offset1:160
	;; [unrolled: 1-line block ×3, first 2 shown]
	s_wait_loadcnt_dscnt 0x0
	s_barrier_signal -1
	s_barrier_wait -1
	global_inv scope:SCOPE_SE
	s_load_b32 s11, s[24:25], 0xc
	v_lshlrev_b32_e32 v131, 2, v3
	s_wait_kmcnt 0x0
	s_lshr_b32 s14, s11, 16
	s_and_b32 s11, s11, 0xffff
	s_wait_alu 0xfffe
	v_mad_u32_u24 v0, v121, s14, v120
	v_cmp_lt_u32_e64 s14, 3, v2
	s_delay_alu instid0(VALU_DEP_2) | instskip(SKIP_3) | instid1(VALU_DEP_3)
	v_mad_co_u64_u32 v[0:1], null, v0, s11, v[73:74]
	v_min_u32_e32 v1, 0x60, v119
	v_cmp_eq_u32_e64 s11, 0, v2
	v_and_b32_e32 v2, 16, v118
	v_or_b32_e32 v1, 31, v1
	v_lshrrev_b32_e32 v0, 3, v0
	s_delay_alu instid0(VALU_DEP_3) | instskip(NEXT) | instid1(VALU_DEP_3)
	v_cmp_eq_u32_e64 s16, 0, v2
	v_cmp_eq_u32_e64 s17, v73, v1
	s_delay_alu instid0(VALU_DEP_3)
	v_dual_mov_b32 v0, s36 :: v_dual_and_b32 v133, 0x1ffffffc, v0
	v_dual_mov_b32 v1, s37 :: v_dual_mov_b32 v2, s38
	v_mov_b32_e32 v3, s39
	s_branch .LBB187_32
.LBB187_31:                             ;   in Loop: Header=BB187_32 Depth=1
	s_wait_alu 0xfffe
	s_and_not1_b32 vcc_lo, exec_lo, s20
	s_wait_alu 0xfffe
	s_cbranch_vccz .LBB187_64
.LBB187_32:                             ; =>This Inner Loop Header: Depth=1
	v_dual_mov_b32 v75, v5 :: v_dual_mov_b32 v74, v4
	s_min_u32 s20, s21, s23
	v_mov_b32_e32 v79, v65
	s_wait_alu 0xfffe
	s_lshl_b32 s20, -1, s20
	ds_store_b128 v115, v[0:3] offset:16
	ds_store_b128 v115, v[0:3] offset:32
	v_cmp_ne_u64_e32 vcc_lo, s[26:27], v[74:75]
	s_wait_alu 0xfffe
	s_not_b32 s29, s20
	s_wait_loadcnt_dscnt 0x0
	s_barrier_signal -1
	s_barrier_wait -1
	s_wait_alu 0xfffd
	v_dual_mov_b32 v77, v67 :: v_dual_cndmask_b32 v4, 0, v74
	v_dual_cndmask_b32 v5, 0x80000000, v75 :: v_dual_mov_b32 v76, v66
	global_inv scope:SCOPE_SE
	; wave barrier
	v_lshrrev_b64 v[4:5], v69, v[4:5]
	v_dual_mov_b32 v78, v64 :: v_dual_mov_b32 v99, v13
	v_mov_b32_e32 v101, v11
	v_mov_b32_e32 v103, v9
	;; [unrolled: 1-line block ×3, first 2 shown]
	s_wait_alu 0xfffe
	v_and_b32_e32 v5, s29, v4
	v_dual_mov_b32 v81, v15 :: v_dual_mov_b32 v80, v14
	v_mov_b32_e32 v98, v12
	s_delay_alu instid0(VALU_DEP_3)
	v_dual_mov_b32 v100, v10 :: v_dual_lshlrev_b32 v67, 26, v5
	v_and_b32_e32 v4, 1, v5
	v_lshlrev_b32_e32 v14, 30, v5
	v_lshlrev_b32_e32 v15, 29, v5
	;; [unrolled: 1-line block ×4, first 2 shown]
	v_add_co_u32 v4, s20, v4, -1
	s_wait_alu 0xf1ff
	v_cndmask_b32_e64 v65, 0, 1, s20
	v_not_b32_e32 v83, v14
	v_cmp_gt_i32_e64 s20, 0, v14
	v_not_b32_e32 v14, v15
	v_lshlrev_b32_e32 v82, 25, v5
	v_cmp_ne_u32_e32 vcc_lo, 0, v65
	v_ashrrev_i32_e32 v83, 31, v83
	v_dual_mov_b32 v102, v8 :: v_dual_lshlrev_b32 v65, 24, v5
	v_ashrrev_i32_e32 v14, 31, v14
	s_wait_alu 0xfffd
	v_xor_b32_e32 v4, vcc_lo, v4
	v_cmp_gt_i32_e32 vcc_lo, 0, v15
	v_not_b32_e32 v15, v64
	s_wait_alu 0xf1ff
	v_xor_b32_e32 v83, s20, v83
	v_cmp_gt_i32_e64 s20, 0, v64
	v_and_b32_e32 v4, exec_lo, v4
	v_not_b32_e32 v64, v66
	v_ashrrev_i32_e32 v15, 31, v15
	s_wait_alu 0xfffd
	v_xor_b32_e32 v14, vcc_lo, v14
	v_cmp_gt_i32_e32 vcc_lo, 0, v66
	v_dual_mov_b32 v85, v61 :: v_dual_and_b32 v4, v4, v83
	v_not_b32_e32 v66, v67
	v_ashrrev_i32_e32 v64, 31, v64
	s_wait_alu 0xf1ff
	v_xor_b32_e32 v15, s20, v15
	v_dual_mov_b32 v87, v59 :: v_dual_and_b32 v4, v4, v14
	v_cmp_gt_i32_e64 s20, 0, v67
	v_not_b32_e32 v14, v82
	v_ashrrev_i32_e32 v66, 31, v66
	s_wait_alu 0xfffd
	v_xor_b32_e32 v64, vcc_lo, v64
	v_dual_mov_b32 v89, v57 :: v_dual_and_b32 v4, v4, v15
	v_cmp_gt_i32_e32 vcc_lo, 0, v82
	v_not_b32_e32 v15, v65
	v_ashrrev_i32_e32 v14, 31, v14
	s_wait_alu 0xf1ff
	v_xor_b32_e32 v66, s20, v66
	v_dual_mov_b32 v91, v55 :: v_dual_and_b32 v4, v4, v64
	v_cmp_gt_i32_e64 s20, 0, v65
	v_ashrrev_i32_e32 v12, 31, v15
	s_wait_alu 0xfffd
	v_xor_b32_e32 v13, vcc_lo, v14
	v_dual_mov_b32 v93, v53 :: v_dual_and_b32 v4, v4, v66
	v_dual_mov_b32 v104, v6 :: v_dual_mov_b32 v95, v51
	s_wait_alu 0xf1ff
	v_xor_b32_e32 v6, s20, v12
	s_delay_alu instid0(VALU_DEP_3) | instskip(SKIP_2) | instid1(VALU_DEP_3)
	v_dual_mov_b32 v97, v49 :: v_dual_and_b32 v4, v4, v13
	v_dual_mov_b32 v83, v63 :: v_dual_mov_b32 v82, v62
	v_lshlrev_b32_e32 v5, 4, v5
	v_and_b32_e32 v4, v4, v6
	v_mov_b32_e32 v84, v60
	v_mov_b32_e32 v86, v58
	;; [unrolled: 1-line block ×4, first 2 shown]
	v_mbcnt_lo_u32_b32 v12, v4, 0
	v_cmp_ne_u32_e64 s20, 0, v4
	v_mov_b32_e32 v92, v52
	v_mov_b32_e32 v94, v50
	;; [unrolled: 1-line block ×3, first 2 shown]
	v_cmp_eq_u32_e32 vcc_lo, 0, v12
	v_add_nc_u32_e32 v13, v133, v5
	s_and_b32 s33, s20, vcc_lo
	s_delay_alu instid0(SALU_CYCLE_1)
	s_and_saveexec_b32 s20, s33
; %bb.33:                               ;   in Loop: Header=BB187_32 Depth=1
	v_bcnt_u32_b32 v4, v4, 0
	ds_store_b32 v13, v4 offset:16
; %bb.34:                               ;   in Loop: Header=BB187_32 Depth=1
	s_wait_alu 0xfffe
	s_or_b32 exec_lo, exec_lo, s20
	v_cmp_ne_u64_e32 vcc_lo, s[26:27], v[104:105]
	; wave barrier
	s_wait_alu 0xfffd
	v_cndmask_b32_e32 v5, 0x80000000, v105, vcc_lo
	v_cndmask_b32_e32 v4, 0, v104, vcc_lo
	s_delay_alu instid0(VALU_DEP_1) | instskip(NEXT) | instid1(VALU_DEP_1)
	v_lshrrev_b64 v[4:5], v69, v[4:5]
	v_and_b32_e32 v4, s29, v4
	s_delay_alu instid0(VALU_DEP_1)
	v_and_b32_e32 v5, 1, v4
	v_lshlrev_b32_e32 v6, 30, v4
	v_lshlrev_b32_e32 v7, 29, v4
	;; [unrolled: 1-line block ×4, first 2 shown]
	v_add_co_u32 v5, s20, v5, -1
	s_wait_alu 0xf1ff
	v_cndmask_b32_e64 v9, 0, 1, s20
	v_not_b32_e32 v15, v6
	v_cmp_gt_i32_e64 s20, 0, v6
	v_not_b32_e32 v6, v7
	v_lshlrev_b32_e32 v11, 26, v4
	v_cmp_ne_u32_e32 vcc_lo, 0, v9
	v_ashrrev_i32_e32 v15, 31, v15
	v_lshlrev_b32_e32 v14, 25, v4
	v_ashrrev_i32_e32 v6, 31, v6
	v_lshlrev_b32_e32 v9, 24, v4
	s_wait_alu 0xfffd
	v_xor_b32_e32 v5, vcc_lo, v5
	v_cmp_gt_i32_e32 vcc_lo, 0, v7
	v_not_b32_e32 v7, v8
	s_wait_alu 0xf1ff
	v_xor_b32_e32 v15, s20, v15
	v_cmp_gt_i32_e64 s20, 0, v8
	v_and_b32_e32 v5, exec_lo, v5
	v_not_b32_e32 v8, v10
	v_ashrrev_i32_e32 v7, 31, v7
	s_wait_alu 0xfffd
	v_xor_b32_e32 v6, vcc_lo, v6
	v_cmp_gt_i32_e32 vcc_lo, 0, v10
	v_and_b32_e32 v5, v5, v15
	v_not_b32_e32 v10, v11
	v_ashrrev_i32_e32 v8, 31, v8
	s_wait_alu 0xf1ff
	v_xor_b32_e32 v7, s20, v7
	v_cmp_gt_i32_e64 s20, 0, v11
	v_and_b32_e32 v5, v5, v6
	v_not_b32_e32 v6, v14
	v_ashrrev_i32_e32 v10, 31, v10
	s_wait_alu 0xfffd
	v_xor_b32_e32 v8, vcc_lo, v8
	v_cmp_gt_i32_e32 vcc_lo, 0, v14
	v_and_b32_e32 v5, v5, v7
	v_not_b32_e32 v7, v9
	v_ashrrev_i32_e32 v6, 31, v6
	s_wait_alu 0xf1ff
	v_xor_b32_e32 v10, s20, v10
	v_lshlrev_b32_e32 v4, 4, v4
	v_and_b32_e32 v5, v5, v8
	v_cmp_gt_i32_e64 s20, 0, v9
	v_ashrrev_i32_e32 v7, 31, v7
	s_wait_alu 0xfffd
	v_xor_b32_e32 v6, vcc_lo, v6
	v_add_nc_u32_e32 v48, v133, v4
	v_and_b32_e32 v5, v5, v10
	s_wait_alu 0xf1ff
	v_xor_b32_e32 v4, s20, v7
	ds_load_b32 v14, v48 offset:16
	v_and_b32_e32 v5, v5, v6
	; wave barrier
	s_delay_alu instid0(VALU_DEP_1) | instskip(NEXT) | instid1(VALU_DEP_1)
	v_and_b32_e32 v4, v5, v4
	v_mbcnt_lo_u32_b32 v15, v4, 0
	v_cmp_ne_u32_e64 s20, 0, v4
	s_delay_alu instid0(VALU_DEP_2) | instskip(SKIP_1) | instid1(SALU_CYCLE_1)
	v_cmp_eq_u32_e32 vcc_lo, 0, v15
	s_and_b32 s33, s20, vcc_lo
	s_and_saveexec_b32 s20, s33
	s_cbranch_execz .LBB187_36
; %bb.35:                               ;   in Loop: Header=BB187_32 Depth=1
	s_wait_dscnt 0x0
	v_bcnt_u32_b32 v4, v4, v14
	ds_store_b32 v48, v4 offset:16
.LBB187_36:                             ;   in Loop: Header=BB187_32 Depth=1
	s_wait_alu 0xfffe
	s_or_b32 exec_lo, exec_lo, s20
	v_cmp_ne_u64_e32 vcc_lo, s[26:27], v[102:103]
	; wave barrier
	s_wait_alu 0xfffd
	v_cndmask_b32_e32 v5, 0x80000000, v103, vcc_lo
	v_cndmask_b32_e32 v4, 0, v102, vcc_lo
	s_delay_alu instid0(VALU_DEP_1) | instskip(NEXT) | instid1(VALU_DEP_1)
	v_lshrrev_b64 v[4:5], v69, v[4:5]
	v_and_b32_e32 v4, s29, v4
	s_delay_alu instid0(VALU_DEP_1)
	v_and_b32_e32 v5, 1, v4
	v_lshlrev_b32_e32 v6, 30, v4
	v_lshlrev_b32_e32 v7, 29, v4
	;; [unrolled: 1-line block ×4, first 2 shown]
	v_add_co_u32 v5, s20, v5, -1
	s_wait_alu 0xf1ff
	v_cndmask_b32_e64 v9, 0, 1, s20
	v_not_b32_e32 v50, v6
	v_cmp_gt_i32_e64 s20, 0, v6
	v_not_b32_e32 v6, v7
	v_lshlrev_b32_e32 v11, 26, v4
	v_cmp_ne_u32_e32 vcc_lo, 0, v9
	v_ashrrev_i32_e32 v50, 31, v50
	v_lshlrev_b32_e32 v49, 25, v4
	v_ashrrev_i32_e32 v6, 31, v6
	v_lshlrev_b32_e32 v9, 24, v4
	s_wait_alu 0xfffd
	v_xor_b32_e32 v5, vcc_lo, v5
	v_cmp_gt_i32_e32 vcc_lo, 0, v7
	v_not_b32_e32 v7, v8
	s_wait_alu 0xf1ff
	v_xor_b32_e32 v50, s20, v50
	v_cmp_gt_i32_e64 s20, 0, v8
	v_and_b32_e32 v5, exec_lo, v5
	v_not_b32_e32 v8, v10
	v_ashrrev_i32_e32 v7, 31, v7
	s_wait_alu 0xfffd
	v_xor_b32_e32 v6, vcc_lo, v6
	v_cmp_gt_i32_e32 vcc_lo, 0, v10
	v_and_b32_e32 v5, v5, v50
	v_not_b32_e32 v10, v11
	v_ashrrev_i32_e32 v8, 31, v8
	s_wait_alu 0xf1ff
	v_xor_b32_e32 v7, s20, v7
	v_cmp_gt_i32_e64 s20, 0, v11
	v_and_b32_e32 v5, v5, v6
	v_not_b32_e32 v6, v49
	v_ashrrev_i32_e32 v10, 31, v10
	s_wait_alu 0xfffd
	v_xor_b32_e32 v8, vcc_lo, v8
	v_cmp_gt_i32_e32 vcc_lo, 0, v49
	v_and_b32_e32 v5, v5, v7
	v_not_b32_e32 v7, v9
	v_ashrrev_i32_e32 v6, 31, v6
	s_wait_alu 0xf1ff
	v_xor_b32_e32 v10, s20, v10
	v_lshlrev_b32_e32 v4, 4, v4
	v_and_b32_e32 v5, v5, v8
	v_cmp_gt_i32_e64 s20, 0, v9
	v_ashrrev_i32_e32 v7, 31, v7
	s_wait_alu 0xfffd
	v_xor_b32_e32 v6, vcc_lo, v6
	v_add_nc_u32_e32 v51, v133, v4
	v_and_b32_e32 v5, v5, v10
	s_wait_alu 0xf1ff
	v_xor_b32_e32 v4, s20, v7
	ds_load_b32 v49, v51 offset:16
	v_and_b32_e32 v5, v5, v6
	; wave barrier
	s_delay_alu instid0(VALU_DEP_1) | instskip(NEXT) | instid1(VALU_DEP_1)
	v_and_b32_e32 v4, v5, v4
	v_mbcnt_lo_u32_b32 v50, v4, 0
	v_cmp_ne_u32_e64 s20, 0, v4
	s_delay_alu instid0(VALU_DEP_2) | instskip(SKIP_1) | instid1(SALU_CYCLE_1)
	v_cmp_eq_u32_e32 vcc_lo, 0, v50
	s_and_b32 s33, s20, vcc_lo
	s_and_saveexec_b32 s20, s33
	s_cbranch_execz .LBB187_38
; %bb.37:                               ;   in Loop: Header=BB187_32 Depth=1
	s_wait_dscnt 0x0
	v_bcnt_u32_b32 v4, v4, v49
	ds_store_b32 v51, v4 offset:16
.LBB187_38:                             ;   in Loop: Header=BB187_32 Depth=1
	s_wait_alu 0xfffe
	s_or_b32 exec_lo, exec_lo, s20
	v_cmp_ne_u64_e32 vcc_lo, s[26:27], v[100:101]
	; wave barrier
	s_wait_alu 0xfffd
	v_cndmask_b32_e32 v5, 0x80000000, v101, vcc_lo
	v_cndmask_b32_e32 v4, 0, v100, vcc_lo
	s_delay_alu instid0(VALU_DEP_1) | instskip(NEXT) | instid1(VALU_DEP_1)
	v_lshrrev_b64 v[4:5], v69, v[4:5]
	v_and_b32_e32 v4, s29, v4
	s_delay_alu instid0(VALU_DEP_1)
	v_and_b32_e32 v5, 1, v4
	v_lshlrev_b32_e32 v6, 30, v4
	v_lshlrev_b32_e32 v7, 29, v4
	;; [unrolled: 1-line block ×4, first 2 shown]
	v_add_co_u32 v5, s20, v5, -1
	s_wait_alu 0xf1ff
	v_cndmask_b32_e64 v9, 0, 1, s20
	v_not_b32_e32 v53, v6
	v_cmp_gt_i32_e64 s20, 0, v6
	v_not_b32_e32 v6, v7
	v_lshlrev_b32_e32 v11, 26, v4
	v_cmp_ne_u32_e32 vcc_lo, 0, v9
	v_ashrrev_i32_e32 v53, 31, v53
	v_lshlrev_b32_e32 v52, 25, v4
	v_ashrrev_i32_e32 v6, 31, v6
	v_lshlrev_b32_e32 v9, 24, v4
	s_wait_alu 0xfffd
	v_xor_b32_e32 v5, vcc_lo, v5
	v_cmp_gt_i32_e32 vcc_lo, 0, v7
	v_not_b32_e32 v7, v8
	s_wait_alu 0xf1ff
	v_xor_b32_e32 v53, s20, v53
	v_cmp_gt_i32_e64 s20, 0, v8
	v_and_b32_e32 v5, exec_lo, v5
	v_not_b32_e32 v8, v10
	v_ashrrev_i32_e32 v7, 31, v7
	s_wait_alu 0xfffd
	v_xor_b32_e32 v6, vcc_lo, v6
	v_cmp_gt_i32_e32 vcc_lo, 0, v10
	v_and_b32_e32 v5, v5, v53
	v_not_b32_e32 v10, v11
	v_ashrrev_i32_e32 v8, 31, v8
	s_wait_alu 0xf1ff
	v_xor_b32_e32 v7, s20, v7
	v_cmp_gt_i32_e64 s20, 0, v11
	v_and_b32_e32 v5, v5, v6
	v_not_b32_e32 v6, v52
	v_ashrrev_i32_e32 v10, 31, v10
	s_wait_alu 0xfffd
	v_xor_b32_e32 v8, vcc_lo, v8
	v_cmp_gt_i32_e32 vcc_lo, 0, v52
	v_and_b32_e32 v5, v5, v7
	v_not_b32_e32 v7, v9
	v_ashrrev_i32_e32 v6, 31, v6
	s_wait_alu 0xf1ff
	v_xor_b32_e32 v10, s20, v10
	v_lshlrev_b32_e32 v4, 4, v4
	v_and_b32_e32 v5, v5, v8
	v_cmp_gt_i32_e64 s20, 0, v9
	v_ashrrev_i32_e32 v7, 31, v7
	s_wait_alu 0xfffd
	v_xor_b32_e32 v6, vcc_lo, v6
	v_add_nc_u32_e32 v54, v133, v4
	v_and_b32_e32 v5, v5, v10
	s_wait_alu 0xf1ff
	v_xor_b32_e32 v4, s20, v7
	ds_load_b32 v52, v54 offset:16
	v_and_b32_e32 v5, v5, v6
	; wave barrier
	s_delay_alu instid0(VALU_DEP_1) | instskip(NEXT) | instid1(VALU_DEP_1)
	v_and_b32_e32 v4, v5, v4
	v_mbcnt_lo_u32_b32 v53, v4, 0
	v_cmp_ne_u32_e64 s20, 0, v4
	s_delay_alu instid0(VALU_DEP_2) | instskip(SKIP_1) | instid1(SALU_CYCLE_1)
	v_cmp_eq_u32_e32 vcc_lo, 0, v53
	s_and_b32 s33, s20, vcc_lo
	s_and_saveexec_b32 s20, s33
	s_cbranch_execz .LBB187_40
; %bb.39:                               ;   in Loop: Header=BB187_32 Depth=1
	s_wait_dscnt 0x0
	v_bcnt_u32_b32 v4, v4, v52
	ds_store_b32 v54, v4 offset:16
.LBB187_40:                             ;   in Loop: Header=BB187_32 Depth=1
	s_wait_alu 0xfffe
	s_or_b32 exec_lo, exec_lo, s20
	v_cmp_ne_u64_e32 vcc_lo, s[26:27], v[98:99]
	; wave barrier
	s_wait_alu 0xfffd
	v_cndmask_b32_e32 v5, 0x80000000, v99, vcc_lo
	v_cndmask_b32_e32 v4, 0, v98, vcc_lo
	s_delay_alu instid0(VALU_DEP_1) | instskip(NEXT) | instid1(VALU_DEP_1)
	v_lshrrev_b64 v[4:5], v69, v[4:5]
	v_and_b32_e32 v4, s29, v4
	s_delay_alu instid0(VALU_DEP_1)
	v_and_b32_e32 v5, 1, v4
	v_lshlrev_b32_e32 v6, 30, v4
	v_lshlrev_b32_e32 v7, 29, v4
	;; [unrolled: 1-line block ×4, first 2 shown]
	v_add_co_u32 v5, s20, v5, -1
	s_wait_alu 0xf1ff
	v_cndmask_b32_e64 v9, 0, 1, s20
	v_not_b32_e32 v56, v6
	v_cmp_gt_i32_e64 s20, 0, v6
	v_not_b32_e32 v6, v7
	v_lshlrev_b32_e32 v11, 26, v4
	v_cmp_ne_u32_e32 vcc_lo, 0, v9
	v_ashrrev_i32_e32 v56, 31, v56
	v_lshlrev_b32_e32 v55, 25, v4
	v_ashrrev_i32_e32 v6, 31, v6
	v_lshlrev_b32_e32 v9, 24, v4
	s_wait_alu 0xfffd
	v_xor_b32_e32 v5, vcc_lo, v5
	v_cmp_gt_i32_e32 vcc_lo, 0, v7
	v_not_b32_e32 v7, v8
	s_wait_alu 0xf1ff
	v_xor_b32_e32 v56, s20, v56
	v_cmp_gt_i32_e64 s20, 0, v8
	v_and_b32_e32 v5, exec_lo, v5
	v_not_b32_e32 v8, v10
	v_ashrrev_i32_e32 v7, 31, v7
	s_wait_alu 0xfffd
	v_xor_b32_e32 v6, vcc_lo, v6
	v_cmp_gt_i32_e32 vcc_lo, 0, v10
	v_and_b32_e32 v5, v5, v56
	v_not_b32_e32 v10, v11
	v_ashrrev_i32_e32 v8, 31, v8
	s_wait_alu 0xf1ff
	v_xor_b32_e32 v7, s20, v7
	v_cmp_gt_i32_e64 s20, 0, v11
	v_and_b32_e32 v5, v5, v6
	v_not_b32_e32 v6, v55
	v_ashrrev_i32_e32 v10, 31, v10
	s_wait_alu 0xfffd
	v_xor_b32_e32 v8, vcc_lo, v8
	v_cmp_gt_i32_e32 vcc_lo, 0, v55
	v_and_b32_e32 v5, v5, v7
	v_not_b32_e32 v7, v9
	v_ashrrev_i32_e32 v6, 31, v6
	s_wait_alu 0xf1ff
	v_xor_b32_e32 v10, s20, v10
	v_lshlrev_b32_e32 v4, 4, v4
	v_and_b32_e32 v5, v5, v8
	v_cmp_gt_i32_e64 s20, 0, v9
	v_ashrrev_i32_e32 v7, 31, v7
	s_wait_alu 0xfffd
	v_xor_b32_e32 v6, vcc_lo, v6
	v_add_nc_u32_e32 v57, v133, v4
	v_and_b32_e32 v5, v5, v10
	s_wait_alu 0xf1ff
	v_xor_b32_e32 v4, s20, v7
	ds_load_b32 v55, v57 offset:16
	v_and_b32_e32 v5, v5, v6
	; wave barrier
	s_delay_alu instid0(VALU_DEP_1) | instskip(NEXT) | instid1(VALU_DEP_1)
	v_and_b32_e32 v4, v5, v4
	v_mbcnt_lo_u32_b32 v56, v4, 0
	v_cmp_ne_u32_e64 s20, 0, v4
	s_delay_alu instid0(VALU_DEP_2) | instskip(SKIP_1) | instid1(SALU_CYCLE_1)
	v_cmp_eq_u32_e32 vcc_lo, 0, v56
	s_and_b32 s33, s20, vcc_lo
	s_and_saveexec_b32 s20, s33
	s_cbranch_execz .LBB187_42
; %bb.41:                               ;   in Loop: Header=BB187_32 Depth=1
	s_wait_dscnt 0x0
	v_bcnt_u32_b32 v4, v4, v55
	ds_store_b32 v57, v4 offset:16
.LBB187_42:                             ;   in Loop: Header=BB187_32 Depth=1
	s_wait_alu 0xfffe
	s_or_b32 exec_lo, exec_lo, s20
	v_cmp_ne_u64_e32 vcc_lo, s[26:27], v[80:81]
	; wave barrier
	s_wait_alu 0xfffd
	v_cndmask_b32_e32 v5, 0x80000000, v81, vcc_lo
	v_cndmask_b32_e32 v4, 0, v80, vcc_lo
	s_delay_alu instid0(VALU_DEP_1) | instskip(NEXT) | instid1(VALU_DEP_1)
	v_lshrrev_b64 v[4:5], v69, v[4:5]
	v_and_b32_e32 v4, s29, v4
	s_delay_alu instid0(VALU_DEP_1)
	v_and_b32_e32 v5, 1, v4
	v_lshlrev_b32_e32 v6, 30, v4
	v_lshlrev_b32_e32 v7, 29, v4
	;; [unrolled: 1-line block ×4, first 2 shown]
	v_add_co_u32 v5, s20, v5, -1
	s_wait_alu 0xf1ff
	v_cndmask_b32_e64 v9, 0, 1, s20
	v_not_b32_e32 v59, v6
	v_cmp_gt_i32_e64 s20, 0, v6
	v_not_b32_e32 v6, v7
	v_lshlrev_b32_e32 v11, 26, v4
	v_cmp_ne_u32_e32 vcc_lo, 0, v9
	v_ashrrev_i32_e32 v59, 31, v59
	v_lshlrev_b32_e32 v58, 25, v4
	v_ashrrev_i32_e32 v6, 31, v6
	v_lshlrev_b32_e32 v9, 24, v4
	s_wait_alu 0xfffd
	v_xor_b32_e32 v5, vcc_lo, v5
	v_cmp_gt_i32_e32 vcc_lo, 0, v7
	v_not_b32_e32 v7, v8
	s_wait_alu 0xf1ff
	v_xor_b32_e32 v59, s20, v59
	v_cmp_gt_i32_e64 s20, 0, v8
	v_and_b32_e32 v5, exec_lo, v5
	v_not_b32_e32 v8, v10
	v_ashrrev_i32_e32 v7, 31, v7
	s_wait_alu 0xfffd
	v_xor_b32_e32 v6, vcc_lo, v6
	v_cmp_gt_i32_e32 vcc_lo, 0, v10
	v_and_b32_e32 v5, v5, v59
	v_not_b32_e32 v10, v11
	v_ashrrev_i32_e32 v8, 31, v8
	s_wait_alu 0xf1ff
	v_xor_b32_e32 v7, s20, v7
	v_cmp_gt_i32_e64 s20, 0, v11
	v_and_b32_e32 v5, v5, v6
	v_not_b32_e32 v6, v58
	v_ashrrev_i32_e32 v10, 31, v10
	s_wait_alu 0xfffd
	v_xor_b32_e32 v8, vcc_lo, v8
	v_cmp_gt_i32_e32 vcc_lo, 0, v58
	v_and_b32_e32 v5, v5, v7
	v_not_b32_e32 v7, v9
	v_ashrrev_i32_e32 v6, 31, v6
	s_wait_alu 0xf1ff
	v_xor_b32_e32 v10, s20, v10
	v_lshlrev_b32_e32 v4, 4, v4
	v_and_b32_e32 v5, v5, v8
	v_cmp_gt_i32_e64 s20, 0, v9
	v_ashrrev_i32_e32 v7, 31, v7
	s_wait_alu 0xfffd
	v_xor_b32_e32 v6, vcc_lo, v6
	v_add_nc_u32_e32 v60, v133, v4
	v_and_b32_e32 v5, v5, v10
	s_wait_alu 0xf1ff
	v_xor_b32_e32 v4, s20, v7
	ds_load_b32 v58, v60 offset:16
	v_and_b32_e32 v5, v5, v6
	; wave barrier
	s_delay_alu instid0(VALU_DEP_1) | instskip(NEXT) | instid1(VALU_DEP_1)
	v_and_b32_e32 v4, v5, v4
	v_mbcnt_lo_u32_b32 v59, v4, 0
	v_cmp_ne_u32_e64 s20, 0, v4
	s_delay_alu instid0(VALU_DEP_2) | instskip(SKIP_1) | instid1(SALU_CYCLE_1)
	v_cmp_eq_u32_e32 vcc_lo, 0, v59
	s_and_b32 s33, s20, vcc_lo
	s_and_saveexec_b32 s20, s33
	s_cbranch_execz .LBB187_44
; %bb.43:                               ;   in Loop: Header=BB187_32 Depth=1
	s_wait_dscnt 0x0
	v_bcnt_u32_b32 v4, v4, v58
	ds_store_b32 v60, v4 offset:16
.LBB187_44:                             ;   in Loop: Header=BB187_32 Depth=1
	s_wait_alu 0xfffe
	s_or_b32 exec_lo, exec_lo, s20
	v_cmp_ne_u64_e32 vcc_lo, s[26:27], v[78:79]
	; wave barrier
	s_wait_alu 0xfffd
	v_cndmask_b32_e32 v5, 0x80000000, v79, vcc_lo
	v_cndmask_b32_e32 v4, 0, v78, vcc_lo
	s_delay_alu instid0(VALU_DEP_1) | instskip(NEXT) | instid1(VALU_DEP_1)
	v_lshrrev_b64 v[4:5], v69, v[4:5]
	v_and_b32_e32 v4, s29, v4
	s_delay_alu instid0(VALU_DEP_1)
	v_and_b32_e32 v5, 1, v4
	v_lshlrev_b32_e32 v6, 30, v4
	v_lshlrev_b32_e32 v7, 29, v4
	;; [unrolled: 1-line block ×4, first 2 shown]
	v_add_co_u32 v5, s20, v5, -1
	s_wait_alu 0xf1ff
	v_cndmask_b32_e64 v9, 0, 1, s20
	v_not_b32_e32 v62, v6
	v_cmp_gt_i32_e64 s20, 0, v6
	v_not_b32_e32 v6, v7
	v_lshlrev_b32_e32 v11, 26, v4
	v_cmp_ne_u32_e32 vcc_lo, 0, v9
	v_ashrrev_i32_e32 v62, 31, v62
	v_lshlrev_b32_e32 v61, 25, v4
	v_ashrrev_i32_e32 v6, 31, v6
	v_lshlrev_b32_e32 v9, 24, v4
	s_wait_alu 0xfffd
	v_xor_b32_e32 v5, vcc_lo, v5
	v_cmp_gt_i32_e32 vcc_lo, 0, v7
	v_not_b32_e32 v7, v8
	s_wait_alu 0xf1ff
	v_xor_b32_e32 v62, s20, v62
	v_cmp_gt_i32_e64 s20, 0, v8
	v_and_b32_e32 v5, exec_lo, v5
	v_not_b32_e32 v8, v10
	v_ashrrev_i32_e32 v7, 31, v7
	s_wait_alu 0xfffd
	v_xor_b32_e32 v6, vcc_lo, v6
	v_cmp_gt_i32_e32 vcc_lo, 0, v10
	v_and_b32_e32 v5, v5, v62
	v_not_b32_e32 v10, v11
	v_ashrrev_i32_e32 v8, 31, v8
	s_wait_alu 0xf1ff
	v_xor_b32_e32 v7, s20, v7
	v_cmp_gt_i32_e64 s20, 0, v11
	v_and_b32_e32 v5, v5, v6
	v_not_b32_e32 v6, v61
	v_ashrrev_i32_e32 v10, 31, v10
	s_wait_alu 0xfffd
	v_xor_b32_e32 v8, vcc_lo, v8
	v_cmp_gt_i32_e32 vcc_lo, 0, v61
	v_and_b32_e32 v5, v5, v7
	v_not_b32_e32 v7, v9
	v_ashrrev_i32_e32 v6, 31, v6
	s_wait_alu 0xf1ff
	v_xor_b32_e32 v10, s20, v10
	v_lshlrev_b32_e32 v4, 4, v4
	v_and_b32_e32 v5, v5, v8
	v_cmp_gt_i32_e64 s20, 0, v9
	v_ashrrev_i32_e32 v7, 31, v7
	s_wait_alu 0xfffd
	v_xor_b32_e32 v6, vcc_lo, v6
	v_add_nc_u32_e32 v63, v133, v4
	v_and_b32_e32 v5, v5, v10
	s_wait_alu 0xf1ff
	v_xor_b32_e32 v4, s20, v7
	ds_load_b32 v61, v63 offset:16
	v_and_b32_e32 v5, v5, v6
	; wave barrier
	s_delay_alu instid0(VALU_DEP_1) | instskip(NEXT) | instid1(VALU_DEP_1)
	v_and_b32_e32 v4, v5, v4
	v_mbcnt_lo_u32_b32 v62, v4, 0
	v_cmp_ne_u32_e64 s20, 0, v4
	s_delay_alu instid0(VALU_DEP_2) | instskip(SKIP_1) | instid1(SALU_CYCLE_1)
	v_cmp_eq_u32_e32 vcc_lo, 0, v62
	s_and_b32 s33, s20, vcc_lo
	s_and_saveexec_b32 s20, s33
	s_cbranch_execz .LBB187_46
; %bb.45:                               ;   in Loop: Header=BB187_32 Depth=1
	s_wait_dscnt 0x0
	v_bcnt_u32_b32 v4, v4, v61
	ds_store_b32 v63, v4 offset:16
.LBB187_46:                             ;   in Loop: Header=BB187_32 Depth=1
	s_wait_alu 0xfffe
	s_or_b32 exec_lo, exec_lo, s20
	v_cmp_ne_u64_e32 vcc_lo, s[26:27], v[76:77]
	; wave barrier
	s_wait_alu 0xfffd
	v_cndmask_b32_e32 v5, 0x80000000, v77, vcc_lo
	v_cndmask_b32_e32 v4, 0, v76, vcc_lo
	s_delay_alu instid0(VALU_DEP_1) | instskip(NEXT) | instid1(VALU_DEP_1)
	v_lshrrev_b64 v[4:5], v69, v[4:5]
	v_and_b32_e32 v4, s29, v4
	s_delay_alu instid0(VALU_DEP_1)
	v_and_b32_e32 v5, 1, v4
	v_lshlrev_b32_e32 v6, 30, v4
	v_lshlrev_b32_e32 v7, 29, v4
	;; [unrolled: 1-line block ×4, first 2 shown]
	v_add_co_u32 v5, s20, v5, -1
	s_wait_alu 0xf1ff
	v_cndmask_b32_e64 v9, 0, 1, s20
	v_not_b32_e32 v65, v6
	v_cmp_gt_i32_e64 s20, 0, v6
	v_not_b32_e32 v6, v7
	v_lshlrev_b32_e32 v11, 26, v4
	v_cmp_ne_u32_e32 vcc_lo, 0, v9
	v_ashrrev_i32_e32 v65, 31, v65
	v_lshlrev_b32_e32 v64, 25, v4
	v_ashrrev_i32_e32 v6, 31, v6
	v_lshlrev_b32_e32 v9, 24, v4
	s_wait_alu 0xfffd
	v_xor_b32_e32 v5, vcc_lo, v5
	v_cmp_gt_i32_e32 vcc_lo, 0, v7
	v_not_b32_e32 v7, v8
	s_wait_alu 0xf1ff
	v_xor_b32_e32 v65, s20, v65
	v_cmp_gt_i32_e64 s20, 0, v8
	v_and_b32_e32 v5, exec_lo, v5
	v_not_b32_e32 v8, v10
	v_ashrrev_i32_e32 v7, 31, v7
	s_wait_alu 0xfffd
	v_xor_b32_e32 v6, vcc_lo, v6
	v_cmp_gt_i32_e32 vcc_lo, 0, v10
	v_and_b32_e32 v5, v5, v65
	v_not_b32_e32 v10, v11
	v_ashrrev_i32_e32 v8, 31, v8
	s_wait_alu 0xf1ff
	v_xor_b32_e32 v7, s20, v7
	v_cmp_gt_i32_e64 s20, 0, v11
	v_and_b32_e32 v5, v5, v6
	v_not_b32_e32 v6, v64
	v_ashrrev_i32_e32 v10, 31, v10
	s_wait_alu 0xfffd
	v_xor_b32_e32 v8, vcc_lo, v8
	v_cmp_gt_i32_e32 vcc_lo, 0, v64
	v_and_b32_e32 v5, v5, v7
	v_not_b32_e32 v7, v9
	v_ashrrev_i32_e32 v6, 31, v6
	s_wait_alu 0xf1ff
	v_xor_b32_e32 v10, s20, v10
	v_lshlrev_b32_e32 v4, 4, v4
	v_and_b32_e32 v5, v5, v8
	v_cmp_gt_i32_e64 s20, 0, v9
	v_ashrrev_i32_e32 v7, 31, v7
	s_wait_alu 0xfffd
	v_xor_b32_e32 v6, vcc_lo, v6
	v_add_nc_u32_e32 v66, v133, v4
	v_and_b32_e32 v5, v5, v10
	s_wait_alu 0xf1ff
	v_xor_b32_e32 v4, s20, v7
	ds_load_b32 v64, v66 offset:16
	v_and_b32_e32 v5, v5, v6
	; wave barrier
	s_delay_alu instid0(VALU_DEP_1) | instskip(NEXT) | instid1(VALU_DEP_1)
	v_and_b32_e32 v4, v5, v4
	v_mbcnt_lo_u32_b32 v65, v4, 0
	v_cmp_ne_u32_e64 s20, 0, v4
	s_delay_alu instid0(VALU_DEP_2)
	v_cmp_eq_u32_e32 vcc_lo, 0, v65
	s_and_b32 s29, s20, vcc_lo
	s_wait_alu 0xfffe
	s_and_saveexec_b32 s20, s29
	s_cbranch_execz .LBB187_48
; %bb.47:                               ;   in Loop: Header=BB187_32 Depth=1
	s_wait_dscnt 0x0
	v_bcnt_u32_b32 v4, v4, v64
	ds_store_b32 v66, v4 offset:16
.LBB187_48:                             ;   in Loop: Header=BB187_32 Depth=1
	s_wait_alu 0xfffe
	s_or_b32 exec_lo, exec_lo, s20
	; wave barrier
	s_wait_loadcnt_dscnt 0x0
	s_barrier_signal -1
	s_barrier_wait -1
	global_inv scope:SCOPE_SE
	ds_load_b128 v[8:11], v115 offset:16
	ds_load_b128 v[4:7], v115 offset:32
	s_wait_dscnt 0x1
	v_add_nc_u32_e32 v67, v9, v8
	s_delay_alu instid0(VALU_DEP_1) | instskip(SKIP_1) | instid1(VALU_DEP_1)
	v_add3_u32 v67, v67, v10, v11
	s_wait_dscnt 0x0
	v_add3_u32 v67, v67, v4, v5
	s_delay_alu instid0(VALU_DEP_1) | instskip(NEXT) | instid1(VALU_DEP_1)
	v_add3_u32 v7, v67, v6, v7
	v_mov_b32_dpp v67, v7 row_shr:1 row_mask:0xf bank_mask:0xf
	s_delay_alu instid0(VALU_DEP_1) | instskip(NEXT) | instid1(VALU_DEP_1)
	v_cndmask_b32_e64 v67, v67, 0, s11
	v_add_nc_u32_e32 v7, v67, v7
	s_delay_alu instid0(VALU_DEP_1) | instskip(NEXT) | instid1(VALU_DEP_1)
	v_mov_b32_dpp v67, v7 row_shr:2 row_mask:0xf bank_mask:0xf
	v_cndmask_b32_e64 v67, 0, v67, s12
	s_delay_alu instid0(VALU_DEP_1) | instskip(NEXT) | instid1(VALU_DEP_1)
	v_add_nc_u32_e32 v7, v7, v67
	v_mov_b32_dpp v67, v7 row_shr:4 row_mask:0xf bank_mask:0xf
	s_delay_alu instid0(VALU_DEP_1) | instskip(NEXT) | instid1(VALU_DEP_1)
	v_cndmask_b32_e64 v67, 0, v67, s14
	v_add_nc_u32_e32 v7, v7, v67
	s_delay_alu instid0(VALU_DEP_1) | instskip(NEXT) | instid1(VALU_DEP_1)
	v_mov_b32_dpp v67, v7 row_shr:8 row_mask:0xf bank_mask:0xf
	v_cndmask_b32_e64 v67, 0, v67, s15
	s_delay_alu instid0(VALU_DEP_1) | instskip(SKIP_3) | instid1(VALU_DEP_1)
	v_add_nc_u32_e32 v7, v7, v67
	ds_swizzle_b32 v67, v7 offset:swizzle(BROADCAST,32,15)
	s_wait_dscnt 0x0
	v_cndmask_b32_e64 v67, v67, 0, s16
	v_add_nc_u32_e32 v7, v7, v67
	s_and_saveexec_b32 s20, s17
; %bb.49:                               ;   in Loop: Header=BB187_32 Depth=1
	ds_store_b32 v116, v7
; %bb.50:                               ;   in Loop: Header=BB187_32 Depth=1
	s_wait_alu 0xfffe
	s_or_b32 exec_lo, exec_lo, s20
	s_wait_loadcnt_dscnt 0x0
	s_barrier_signal -1
	s_barrier_wait -1
	global_inv scope:SCOPE_SE
	s_and_saveexec_b32 s20, s8
	s_cbranch_execz .LBB187_52
; %bb.51:                               ;   in Loop: Header=BB187_32 Depth=1
	ds_load_b32 v67, v134
	s_wait_dscnt 0x0
	v_mov_b32_dpp v135, v67 row_shr:1 row_mask:0xf bank_mask:0xf
	s_delay_alu instid0(VALU_DEP_1) | instskip(NEXT) | instid1(VALU_DEP_1)
	v_cndmask_b32_e64 v135, v135, 0, s18
	v_add_nc_u32_e32 v67, v135, v67
	s_delay_alu instid0(VALU_DEP_1) | instskip(NEXT) | instid1(VALU_DEP_1)
	v_mov_b32_dpp v135, v67 row_shr:2 row_mask:0xf bank_mask:0xf
	v_cndmask_b32_e64 v135, 0, v135, s19
	s_delay_alu instid0(VALU_DEP_1)
	v_add_nc_u32_e32 v67, v67, v135
	ds_store_b32 v134, v67
.LBB187_52:                             ;   in Loop: Header=BB187_32 Depth=1
	s_wait_alu 0xfffe
	s_or_b32 exec_lo, exec_lo, s20
	v_mov_b32_e32 v67, 0
	s_wait_loadcnt_dscnt 0x0
	s_barrier_signal -1
	s_barrier_wait -1
	global_inv scope:SCOPE_SE
	s_and_saveexec_b32 s20, s9
; %bb.53:                               ;   in Loop: Header=BB187_32 Depth=1
	ds_load_b32 v67, v132
; %bb.54:                               ;   in Loop: Header=BB187_32 Depth=1
	s_wait_alu 0xfffe
	s_or_b32 exec_lo, exec_lo, s20
	s_wait_dscnt 0x0
	v_add_nc_u32_e32 v7, v67, v7
	v_cmp_lt_u32_e32 vcc_lo, 55, v69
	s_mov_b32 s20, -1
	ds_bpermute_b32 v7, v131, v7
	s_and_b32 vcc_lo, exec_lo, vcc_lo
	s_wait_dscnt 0x0
	v_cndmask_b32_e64 v7, v7, v67, s13
	s_delay_alu instid0(VALU_DEP_1) | instskip(NEXT) | instid1(VALU_DEP_1)
	v_cndmask_b32_e64 v7, v7, 0, s10
	v_add_nc_u32_e32 v8, v7, v8
	s_delay_alu instid0(VALU_DEP_1) | instskip(NEXT) | instid1(VALU_DEP_1)
	v_add_nc_u32_e32 v9, v8, v9
	v_add_nc_u32_e32 v10, v9, v10
	s_delay_alu instid0(VALU_DEP_1) | instskip(NEXT) | instid1(VALU_DEP_1)
	v_add_nc_u32_e32 v135, v10, v11
	;; [unrolled: 3-line block ×3, first 2 shown]
	v_add_nc_u32_e32 v138, v137, v6
	ds_store_b128 v115, v[7:10] offset:16
	ds_store_b128 v115, v[135:138] offset:32
	s_wait_loadcnt_dscnt 0x0
	s_barrier_signal -1
	s_barrier_wait -1
	global_inv scope:SCOPE_SE
	ds_load_b32 v4, v13 offset:16
	ds_load_b32 v5, v48 offset:16
	;; [unrolled: 1-line block ×8, first 2 shown]
	s_wait_dscnt 0x7
	v_add_nc_u32_e32 v142, v4, v12
	s_wait_dscnt 0x6
	v_add3_u32 v141, v15, v14, v5
	s_wait_dscnt 0x5
	v_add3_u32 v140, v50, v49, v6
	;; [unrolled: 2-line block ×7, first 2 shown]
                                        ; implicit-def: $vgpr66_vgpr67
                                        ; implicit-def: $vgpr14_vgpr15
                                        ; implicit-def: $vgpr10_vgpr11
                                        ; implicit-def: $vgpr6_vgpr7
                                        ; implicit-def: $vgpr62_vgpr63
                                        ; implicit-def: $vgpr58_vgpr59
                                        ; implicit-def: $vgpr54_vgpr55
                                        ; implicit-def: $vgpr50_vgpr51
	s_wait_alu 0xfffe
	s_cbranch_vccnz .LBB187_31
; %bb.55:                               ;   in Loop: Header=BB187_32 Depth=1
	v_lshlrev_b32_e32 v48, 3, v142
	v_lshlrev_b32_e32 v51, 3, v139
	;; [unrolled: 1-line block ×8, first 2 shown]
	s_wait_loadcnt 0x0
	s_barrier_signal -1
	s_barrier_wait -1
	global_inv scope:SCOPE_SE
	ds_store_b64 v48, v[74:75]
	ds_store_b64 v49, v[104:105]
	ds_store_b64 v50, v[102:103]
	ds_store_b64 v51, v[100:101]
	ds_store_b64 v52, v[98:99]
	ds_store_b64 v53, v[80:81]
	ds_store_b64 v54, v[78:79]
	ds_store_b64 v55, v[76:77]
	s_wait_loadcnt_dscnt 0x0
	s_barrier_signal -1
	s_barrier_wait -1
	global_inv scope:SCOPE_SE
	ds_load_2addr_b64 v[4:7], v130 offset1:32
	ds_load_2addr_b64 v[8:11], v130 offset0:64 offset1:96
	ds_load_2addr_b64 v[12:15], v130 offset0:128 offset1:160
	;; [unrolled: 1-line block ×3, first 2 shown]
	s_wait_loadcnt_dscnt 0x0
	s_barrier_signal -1
	s_barrier_wait -1
	global_inv scope:SCOPE_SE
	ds_store_b64 v48, v[96:97]
	ds_store_b64 v49, v[94:95]
	;; [unrolled: 1-line block ×8, first 2 shown]
	s_wait_loadcnt_dscnt 0x0
	s_barrier_signal -1
	s_barrier_wait -1
	global_inv scope:SCOPE_SE
	ds_load_2addr_b64 v[48:51], v130 offset1:32
	ds_load_2addr_b64 v[52:55], v130 offset0:64 offset1:96
	ds_load_2addr_b64 v[56:59], v130 offset0:128 offset1:160
	;; [unrolled: 1-line block ×3, first 2 shown]
	v_add_co_u32 v69, vcc_lo, v69, 8
	s_wait_alu 0xfffd
	v_add_co_ci_u32_e64 v70, null, 0, v70, vcc_lo
	s_add_co_i32 s23, s23, -8
	s_mov_b32 s20, 0
	s_wait_loadcnt_dscnt 0x0
	s_barrier_signal -1
	s_barrier_wait -1
	global_inv scope:SCOPE_SE
	s_branch .LBB187_31
.LBB187_56:
	v_lshlrev_b64_e32 v[1:2], 3, v[68:69]
	v_mov_b32_e32 v70, v69
	v_dual_mov_b32 v4, v69 :: v_dual_mov_b32 v5, v69
	v_dual_mov_b32 v6, v69 :: v_dual_mov_b32 v7, v69
	s_delay_alu instid0(VALU_DEP_4)
	v_add_co_u32 v1, vcc_lo, s34, v1
	s_wait_alu 0xfffd
	v_add_co_ci_u32_e64 v2, null, s35, v2, vcc_lo
	v_dual_mov_b32 v8, v69 :: v_dual_mov_b32 v9, v69
	v_dual_mov_b32 v10, v69 :: v_dual_mov_b32 v13, v69
	global_load_b64 v[11:12], v[1:2], off
	v_dual_mov_b32 v1, v69 :: v_dual_mov_b32 v2, v69
	v_dual_mov_b32 v3, v69 :: v_dual_mov_b32 v14, v69
	s_wait_alu 0xfffe
	s_or_b32 exec_lo, exec_lo, s8
	s_and_saveexec_b32 s8, s1
	s_cbranch_execz .LBB187_22
.LBB187_57:
	v_mul_lo_u32 v39, s28, v32
	v_mov_b32_e32 v40, 0
	s_delay_alu instid0(VALU_DEP_1) | instskip(NEXT) | instid1(VALU_DEP_1)
	v_lshlrev_b64_e32 v[39:40], 3, v[39:40]
	v_add_co_u32 v39, vcc_lo, s34, v39
	s_wait_alu 0xfffd
	s_delay_alu instid0(VALU_DEP_2)
	v_add_co_ci_u32_e64 v40, null, s35, v40, vcc_lo
	global_load_b64 v[69:70], v[39:40], off
	s_wait_alu 0xfffe
	s_or_b32 exec_lo, exec_lo, s8
	s_and_saveexec_b32 s8, s2
	s_cbranch_execz .LBB187_23
.LBB187_58:
	v_mul_lo_u32 v1, s28, v33
	v_mov_b32_e32 v2, 0
	s_delay_alu instid0(VALU_DEP_1) | instskip(NEXT) | instid1(VALU_DEP_1)
	v_lshlrev_b64_e32 v[1:2], 3, v[1:2]
	v_add_co_u32 v1, vcc_lo, s34, v1
	s_wait_alu 0xfffd
	s_delay_alu instid0(VALU_DEP_2)
	v_add_co_ci_u32_e64 v2, null, s35, v2, vcc_lo
	global_load_b64 v[1:2], v[1:2], off
	s_wait_alu 0xfffe
	s_or_b32 exec_lo, exec_lo, s8
	s_and_saveexec_b32 s8, s3
	s_cbranch_execz .LBB187_24
.LBB187_59:
	v_mul_lo_u32 v3, s28, v34
	v_mov_b32_e32 v4, 0
	s_delay_alu instid0(VALU_DEP_1) | instskip(NEXT) | instid1(VALU_DEP_1)
	v_lshlrev_b64_e32 v[3:4], 3, v[3:4]
	v_add_co_u32 v3, vcc_lo, s34, v3
	s_wait_alu 0xfffd
	s_delay_alu instid0(VALU_DEP_2)
	v_add_co_ci_u32_e64 v4, null, s35, v4, vcc_lo
	global_load_b64 v[3:4], v[3:4], off
	s_wait_alu 0xfffe
	s_or_b32 exec_lo, exec_lo, s8
	s_and_saveexec_b32 s8, s4
	s_cbranch_execz .LBB187_25
.LBB187_60:
	v_mul_lo_u32 v5, s28, v35
	v_mov_b32_e32 v6, 0
	s_delay_alu instid0(VALU_DEP_1) | instskip(NEXT) | instid1(VALU_DEP_1)
	v_lshlrev_b64_e32 v[5:6], 3, v[5:6]
	v_add_co_u32 v5, vcc_lo, s34, v5
	s_wait_alu 0xfffd
	s_delay_alu instid0(VALU_DEP_2)
	v_add_co_ci_u32_e64 v6, null, s35, v6, vcc_lo
	global_load_b64 v[5:6], v[5:6], off
	s_wait_alu 0xfffe
	s_or_b32 exec_lo, exec_lo, s8
	s_and_saveexec_b32 s8, s5
	s_cbranch_execz .LBB187_26
.LBB187_61:
	v_mul_lo_u32 v7, s28, v36
	v_mov_b32_e32 v8, 0
	s_delay_alu instid0(VALU_DEP_1) | instskip(NEXT) | instid1(VALU_DEP_1)
	v_lshlrev_b64_e32 v[7:8], 3, v[7:8]
	v_add_co_u32 v7, vcc_lo, s34, v7
	s_wait_alu 0xfffd
	s_delay_alu instid0(VALU_DEP_2)
	v_add_co_ci_u32_e64 v8, null, s35, v8, vcc_lo
	global_load_b64 v[7:8], v[7:8], off
	s_wait_alu 0xfffe
	s_or_b32 exec_lo, exec_lo, s8
	s_and_saveexec_b32 s8, s6
	s_cbranch_execz .LBB187_27
.LBB187_62:
	v_mul_lo_u32 v9, s28, v37
	v_mov_b32_e32 v10, 0
	s_delay_alu instid0(VALU_DEP_1) | instskip(NEXT) | instid1(VALU_DEP_1)
	v_lshlrev_b64_e32 v[9:10], 3, v[9:10]
	v_add_co_u32 v9, vcc_lo, s34, v9
	s_wait_alu 0xfffd
	s_delay_alu instid0(VALU_DEP_2)
	v_add_co_ci_u32_e64 v10, null, s35, v10, vcc_lo
	global_load_b64 v[9:10], v[9:10], off
	s_wait_alu 0xfffe
	s_or_b32 exec_lo, exec_lo, s8
	s_xor_b32 s8, s20, -1
	s_and_saveexec_b32 s9, s7
	s_cbranch_execnz .LBB187_28
	s_branch .LBB187_29
.LBB187_63:
                                        ; implicit-def: $vgpr58_vgpr59
                                        ; implicit-def: $vgpr62_vgpr63
                                        ; implicit-def: $vgpr50_vgpr51
                                        ; implicit-def: $vgpr54_vgpr55
                                        ; implicit-def: $vgpr0_vgpr1_vgpr2_vgpr3_vgpr4_vgpr5_vgpr6_vgpr7_vgpr8_vgpr9_vgpr10_vgpr11_vgpr12_vgpr13_vgpr14_vgpr15
	s_cbranch_execnz .LBB187_65
	s_branch .LBB187_92
.LBB187_64:
	v_lshlrev_b32_e32 v48, 3, v142
	v_lshlrev_b32_e32 v51, 3, v139
	;; [unrolled: 1-line block ×9, first 2 shown]
	s_wait_loadcnt 0x0
	s_barrier_signal -1
	s_barrier_wait -1
	global_inv scope:SCOPE_SE
	ds_store_b64 v48, v[74:75]
	ds_store_b64 v49, v[104:105]
	;; [unrolled: 1-line block ×8, first 2 shown]
	s_wait_loadcnt_dscnt 0x0
	s_barrier_signal -1
	s_barrier_wait -1
	global_inv scope:SCOPE_SE
	ds_load_b128 v[0:3], v56
	ds_load_b128 v[4:7], v56 offset:16
	ds_load_b128 v[8:11], v56 offset:32
	;; [unrolled: 1-line block ×3, first 2 shown]
	s_wait_loadcnt_dscnt 0x0
	s_barrier_signal -1
	s_barrier_wait -1
	global_inv scope:SCOPE_SE
	ds_store_b64 v48, v[96:97]
	ds_store_b64 v49, v[94:95]
	;; [unrolled: 1-line block ×8, first 2 shown]
	s_wait_loadcnt_dscnt 0x0
	s_barrier_signal -1
	s_barrier_wait -1
	global_inv scope:SCOPE_SE
	ds_load_b128 v[52:55], v56
	ds_load_b128 v[48:51], v56 offset:16
	v_cmp_lt_i64_e32 vcc_lo, -1, v[0:1]
	v_ashrrev_i32_e32 v66, 31, v3
	v_ashrrev_i32_e32 v57, 31, v1
	s_wait_alu 0xfffd
	v_cndmask_b32_e64 v64, 0x80000000, -1, vcc_lo
	v_cmp_lt_i64_e32 vcc_lo, -1, v[2:3]
	v_not_b32_e32 v66, v66
	v_not_b32_e32 v65, v57
	ds_load_b128 v[60:63], v56 offset:32
	ds_load_b128 v[56:59], v56 offset:48
	v_xor_b32_e32 v1, v64, v1
	v_ashrrev_i32_e32 v64, 31, v5
	s_wait_alu 0xfffd
	v_cndmask_b32_e64 v67, 0x80000000, -1, vcc_lo
	v_cmp_lt_i64_e32 vcc_lo, -1, v[4:5]
	v_xor_b32_e32 v2, v66, v2
	v_xor_b32_e32 v0, v65, v0
	v_ashrrev_i32_e32 v65, 31, v7
	v_xor_b32_e32 v3, v67, v3
	v_not_b32_e32 v64, v64
	s_wait_alu 0xfffd
	v_cndmask_b32_e64 v66, 0x80000000, -1, vcc_lo
	v_cmp_lt_i64_e32 vcc_lo, -1, v[6:7]
	v_not_b32_e32 v65, v65
	v_xor_b32_e32 v4, v64, v4
	v_ashrrev_i32_e32 v64, 31, v9
	v_xor_b32_e32 v5, v66, v5
	s_wait_alu 0xfffd
	v_cndmask_b32_e64 v67, 0x80000000, -1, vcc_lo
	v_cmp_lt_i64_e32 vcc_lo, -1, v[8:9]
	v_xor_b32_e32 v6, v65, v6
	v_not_b32_e32 v64, v64
	v_ashrrev_i32_e32 v66, 31, v11
	v_xor_b32_e32 v7, v67, v7
	s_wait_alu 0xfffd
	v_cndmask_b32_e64 v65, 0x80000000, -1, vcc_lo
	v_cmp_lt_i64_e32 vcc_lo, -1, v[10:11]
	v_xor_b32_e32 v8, v64, v8
	v_not_b32_e32 v64, v66
	v_ashrrev_i32_e32 v66, 31, v15
	v_xor_b32_e32 v9, v65, v9
	v_ashrrev_i32_e32 v65, 31, v13
	s_wait_alu 0xfffd
	v_cndmask_b32_e64 v67, 0x80000000, -1, vcc_lo
	v_cmp_lt_i64_e32 vcc_lo, -1, v[12:13]
	v_not_b32_e32 v66, v66
	v_xor_b32_e32 v10, v64, v10
	v_not_b32_e32 v65, v65
	v_xor_b32_e32 v11, v67, v11
	s_wait_alu 0xfffd
	v_cndmask_b32_e64 v67, 0x80000000, -1, vcc_lo
	v_cmp_lt_i64_e32 vcc_lo, -1, v[14:15]
	v_xor_b32_e32 v12, v65, v12
	v_xor_b32_e32 v14, v66, v14
	s_delay_alu instid0(VALU_DEP_4) | instskip(SKIP_2) | instid1(VALU_DEP_1)
	v_xor_b32_e32 v13, v67, v13
	s_wait_alu 0xfffd
	v_cndmask_b32_e64 v69, 0x80000000, -1, vcc_lo
	v_xor_b32_e32 v15, v69, v15
	s_branch .LBB187_92
.LBB187_65:
	v_cmp_gt_i64_e32 vcc_lo, 0, v[28:29]
	v_not_b32_e32 v12, v124
	v_not_b32_e32 v8, v126
	v_not_b32_e32 v2, v129
	v_not_b32_e32 v4, v128
	v_or_b32_e32 v14, v118, v119
	s_wait_alu 0xfffd
	v_cndmask_b32_e64 v0, 0x7fffffff, 0, vcc_lo
	v_cmp_gt_i64_e32 vcc_lo, 0, v[30:31]
	s_getpc_b64 s[8:9]
	s_wait_alu 0xfffe
	s_sext_i32_i16 s9, s9
	s_add_co_u32 s8, s8, _ZN7rocprim17ROCPRIM_400000_NS16block_radix_sortIdLj128ELj8ElLj1ELj1ELj0ELNS0_26block_radix_rank_algorithmE1ELNS0_18block_padding_hintE2ELNS0_4arch9wavefront6targetE0EE19radix_bits_per_passE@rel32@lo+12
	s_wait_alu 0xfffe
	s_add_co_ci_u32 s9, s9, _ZN7rocprim17ROCPRIM_400000_NS16block_radix_sortIdLj128ELj8ElLj1ELj1ELj0ELNS0_26block_radix_rank_algorithmE1ELNS0_18block_padding_hintE2ELNS0_4arch9wavefront6targetE0EE19radix_bits_per_passE@rel32@hi+24
	v_cmp_gt_u32_e64 s15, 4, v73
	s_load_b32 s21, s[8:9], 0x0
	v_xor_b32_e32 v1, v0, v29
	v_xor_b32_e32 v0, v2, v28
	v_cndmask_b32_e64 v3, 0x7fffffff, 0, vcc_lo
	v_cmp_gt_i64_e32 vcc_lo, 0, v[24:25]
	v_xor_b32_e32 v2, v4, v30
	v_not_b32_e32 v4, v127
	v_cmp_lt_u32_e64 s16, 31, v73
	v_xor_b32_e32 v3, v3, v31
	v_cmp_eq_u32_e64 s17, 0, v73
	s_wait_alu 0xfffd
	v_cndmask_b32_e64 v5, 0x7fffffff, 0, vcc_lo
	v_cmp_gt_i64_e32 vcc_lo, 0, v[26:27]
	v_xor_b32_e32 v4, v4, v24
	v_add_nc_u32_e32 v77, v115, v117
	s_mov_b32 s23, 64
	v_xor_b32_e32 v5, v5, v25
	s_wait_alu 0xfffd
	v_cndmask_b32_e64 v6, 0x7fffffff, 0, vcc_lo
	v_cmp_gt_i64_e32 vcc_lo, 0, v[20:21]
	s_delay_alu instid0(VALU_DEP_2)
	v_xor_b32_e32 v7, v6, v27
	v_xor_b32_e32 v6, v8, v26
	s_wait_alu 0xfffd
	v_cndmask_b32_e64 v9, 0x7fffffff, 0, vcc_lo
	v_cmp_gt_i64_e32 vcc_lo, 0, v[22:23]
	v_not_b32_e32 v8, v125
	s_delay_alu instid0(VALU_DEP_3)
	v_xor_b32_e32 v9, v9, v21
	s_wait_alu 0xfffd
	v_cndmask_b32_e64 v10, 0x7fffffff, 0, vcc_lo
	v_cmp_gt_i64_e32 vcc_lo, 0, v[16:17]
	v_xor_b32_e32 v8, v8, v20
	v_lshlrev_b32_e32 v20, 6, v14
	ds_store_b128 v20, v[0:3]
	ds_store_b128 v20, v[4:7] offset:16
	s_wait_alu 0xfffd
	v_cndmask_b32_e64 v13, 0x7fffffff, 0, vcc_lo
	v_xor_b32_e32 v11, v10, v23
	v_xor_b32_e32 v10, v12, v22
	v_not_b32_e32 v12, v123
	v_cmp_gt_i64_e32 vcc_lo, 0, v[18:19]
	v_xor_b32_e32 v13, v13, v17
	v_not_b32_e32 v17, v122
	v_and_b32_e32 v3, 16, v118
	v_xor_b32_e32 v12, v12, v16
	v_and_or_b32 v16, 0x1f00, v72, v118
	s_wait_alu 0xfffd
	v_cndmask_b32_e64 v15, 0x7fffffff, 0, vcc_lo
	v_xor_b32_e32 v14, v17, v18
	s_delay_alu instid0(VALU_DEP_3) | instskip(NEXT) | instid1(VALU_DEP_3)
	v_lshlrev_b32_e32 v74, 3, v16
	v_xor_b32_e32 v15, v15, v19
	ds_store_b128 v20, v[8:11] offset:32
	ds_store_b128 v20, v[12:15] offset:48
	; wave barrier
	ds_load_2addr_b64 v[4:7], v74 offset1:32
	ds_load_2addr_b64 v[8:11], v74 offset0:64 offset1:96
	ds_load_2addr_b64 v[12:15], v74 offset0:128 offset1:160
	s_wait_dscnt 0x9
	ds_load_2addr_b64 v[48:51], v74 offset0:192 offset1:224
	; wave barrier
	ds_store_b128 v20, v[44:47]
	ds_store_b128 v20, v[40:43] offset:16
	ds_store_b128 v20, v[36:39] offset:32
	;; [unrolled: 1-line block ×3, first 2 shown]
	; wave barrier
	ds_load_2addr_b64 v[16:19], v74 offset1:32
	ds_load_2addr_b64 v[20:23], v74 offset0:64 offset1:96
	ds_load_2addr_b64 v[24:27], v74 offset0:128 offset1:160
	;; [unrolled: 1-line block ×3, first 2 shown]
	s_wait_loadcnt_dscnt 0x0
	s_barrier_signal -1
	s_barrier_wait -1
	global_inv scope:SCOPE_SE
	s_load_b32 s10, s[24:25], 0xc
	s_mov_b32 s24, 0
	s_delay_alu instid0(SALU_CYCLE_1) | instskip(SKIP_3) | instid1(VALU_DEP_1)
	s_mov_b32 s25, s24
	s_mov_b32 s26, s24
	;; [unrolled: 1-line block ×3, first 2 shown]
	v_and_b32_e32 v2, 15, v118
	v_cmp_lt_u32_e64 s9, 1, v2
	v_cmp_lt_u32_e64 s12, 7, v2
	s_wait_kmcnt 0x0
	s_lshr_b32 s11, s10, 16
	s_and_b32 s8, s10, 0xffff
	s_wait_alu 0xfffe
	v_mad_u32_u24 v0, v121, s11, v120
	v_sub_co_u32 v32, s10, v118, 1
	v_cmp_lt_u32_e64 s11, 3, v2
	s_delay_alu instid0(VALU_DEP_3) | instskip(SKIP_1) | instid1(VALU_DEP_4)
	v_mad_co_u64_u32 v[0:1], null, v0, s8, v[73:74]
	v_min_u32_e32 v1, 0x60, v119
	v_cmp_gt_i32_e32 vcc_lo, 0, v32
	v_cmp_eq_u32_e64 s8, 0, v2
	s_delay_alu instid0(VALU_DEP_3)
	v_or_b32_e32 v1, 31, v1
	s_wait_alu 0xfffd
	v_cndmask_b32_e32 v2, v32, v118, vcc_lo
	v_lshrrev_b32_e32 v0, 3, v0
	v_mov_b32_e32 v32, 0
	v_cmp_eq_u32_e64 s13, 0, v3
	v_cmp_eq_u32_e64 s14, v73, v1
	v_and_b32_e32 v1, 3, v118
	v_add_nc_u32_e32 v73, -4, v116
	v_lshlrev_b32_e32 v75, 2, v2
	v_dual_mov_b32 v33, 0 :: v_dual_and_b32 v76, 0x1ffffffc, v0
	s_delay_alu instid0(VALU_DEP_4)
	v_cmp_eq_u32_e64 s18, 0, v1
	v_cmp_lt_u32_e64 s19, 1, v1
	v_dual_mov_b32 v0, s24 :: v_dual_mov_b32 v1, s25
	v_dual_mov_b32 v2, s26 :: v_dual_mov_b32 v3, s27
	s_brev_b32 s25, 1
	s_branch .LBB187_67
.LBB187_66:                             ;   in Loop: Header=BB187_67 Depth=1
	s_wait_alu 0xfffe
	s_and_not1_b32 vcc_lo, exec_lo, s20
	s_wait_alu 0xfffe
	s_cbranch_vccz .LBB187_91
.LBB187_67:                             ; =>This Inner Loop Header: Depth=1
	v_dual_mov_b32 v35, v5 :: v_dual_mov_b32 v34, v4
	s_min_u32 s20, s21, s23
	v_dual_mov_b32 v70, v7 :: v_dual_mov_b32 v59, v19
	s_wait_alu 0xfffe
	s_lshl_b32 s20, -1, s20
	v_cmp_ne_u64_e32 vcc_lo, s[24:25], v[34:35]
	s_wait_alu 0xfffe
	s_not_b32 s26, s20
	v_mov_b32_e32 v58, v18
	ds_store_b128 v115, v[0:3] offset:16
	ds_store_b128 v115, v[0:3] offset:32
	s_wait_loadcnt_dscnt 0x0
	s_wait_alu 0xfffd
	v_dual_mov_b32 v36, v50 :: v_dual_cndmask_b32 v5, 0x7fffffff, v35
	v_dual_cndmask_b32 v4, -1, v34 :: v_dual_mov_b32 v37, v51
	s_barrier_signal -1
	s_barrier_wait -1
	global_inv scope:SCOPE_SE
	v_lshrrev_b64 v[4:5], v32, v[4:5]
	; wave barrier
	v_dual_mov_b32 v38, v48 :: v_dual_mov_b32 v39, v49
	v_mov_b32_e32 v63, v13
	s_wait_alu 0xfffe
	s_delay_alu instid0(VALU_DEP_3) | instskip(SKIP_2) | instid1(VALU_DEP_3)
	v_and_b32_e32 v5, s26, v4
	v_dual_mov_b32 v41, v15 :: v_dual_mov_b32 v40, v14
	v_dual_mov_b32 v65, v11 :: v_dual_mov_b32 v62, v12
	v_lshlrev_b32_e32 v15, 29, v5
	v_and_b32_e32 v4, 1, v5
	v_lshlrev_b32_e32 v14, 30, v5
	v_lshlrev_b32_e32 v42, 28, v5
	v_dual_mov_b32 v67, v9 :: v_dual_lshlrev_b32 v44, 27, v5
	s_delay_alu instid0(VALU_DEP_4)
	v_add_co_u32 v4, s20, v4, -1
	s_wait_alu 0xf1ff
	v_cndmask_b32_e64 v43, 0, 1, s20
	v_not_b32_e32 v47, v14
	v_cmp_gt_i32_e64 s20, 0, v14
	v_not_b32_e32 v14, v15
	v_dual_mov_b32 v64, v10 :: v_dual_lshlrev_b32 v45, 26, v5
	v_cmp_ne_u32_e32 vcc_lo, 0, v43
	v_ashrrev_i32_e32 v47, 31, v47
	s_delay_alu instid0(VALU_DEP_4)
	v_ashrrev_i32_e32 v14, 31, v14
	v_dual_mov_b32 v69, v6 :: v_dual_lshlrev_b32 v46, 25, v5
	s_wait_alu 0xfffd
	v_xor_b32_e32 v4, vcc_lo, v4
	v_cmp_gt_i32_e32 vcc_lo, 0, v15
	v_not_b32_e32 v15, v42
	s_wait_alu 0xf1ff
	v_xor_b32_e32 v47, s20, v47
	v_cmp_gt_i32_e64 s20, 0, v42
	v_and_b32_e32 v4, exec_lo, v4
	v_not_b32_e32 v42, v44
	v_ashrrev_i32_e32 v15, 31, v15
	s_wait_alu 0xfffd
	v_xor_b32_e32 v14, vcc_lo, v14
	v_cmp_gt_i32_e32 vcc_lo, 0, v44
	v_and_b32_e32 v4, v4, v47
	v_not_b32_e32 v44, v45
	v_ashrrev_i32_e32 v42, 31, v42
	s_wait_alu 0xf1ff
	v_xor_b32_e32 v15, s20, v15
	v_dual_mov_b32 v66, v8 :: v_dual_lshlrev_b32 v43, 24, v5
	v_and_b32_e32 v4, v4, v14
	v_cmp_gt_i32_e64 s20, 0, v45
	v_not_b32_e32 v14, v46
	v_ashrrev_i32_e32 v44, 31, v44
	s_wait_alu 0xfffd
	v_xor_b32_e32 v42, vcc_lo, v42
	v_cmp_gt_i32_e32 vcc_lo, 0, v46
	v_dual_mov_b32 v47, v27 :: v_dual_and_b32 v4, v4, v15
	v_mov_b32_e32 v53, v25
	v_not_b32_e32 v15, v43
	v_ashrrev_i32_e32 v14, 31, v14
	s_wait_alu 0xf1ff
	v_xor_b32_e32 v44, s20, v44
	v_dual_mov_b32 v55, v23 :: v_dual_and_b32 v4, v4, v42
	v_cmp_gt_i32_e64 s20, 0, v43
	v_ashrrev_i32_e32 v12, 31, v15
	s_wait_alu 0xfffd
	v_xor_b32_e32 v13, vcc_lo, v14
	v_dual_mov_b32 v57, v21 :: v_dual_and_b32 v4, v4, v44
	v_mov_b32_e32 v61, v17
	s_wait_alu 0xf1ff
	v_xor_b32_e32 v6, s20, v12
	s_delay_alu instid0(VALU_DEP_3) | instskip(SKIP_2) | instid1(VALU_DEP_3)
	v_dual_mov_b32 v43, v31 :: v_dual_and_b32 v4, v4, v13
	v_dual_mov_b32 v42, v30 :: v_dual_lshlrev_b32 v5, 4, v5
	v_dual_mov_b32 v45, v29 :: v_dual_mov_b32 v44, v28
	v_and_b32_e32 v4, v4, v6
	s_delay_alu instid0(VALU_DEP_3) | instskip(SKIP_2) | instid1(VALU_DEP_4)
	v_dual_mov_b32 v46, v26 :: v_dual_add_nc_u32 v13, v76, v5
	v_mov_b32_e32 v52, v24
	v_mov_b32_e32 v54, v22
	v_mbcnt_lo_u32_b32 v12, v4, 0
	v_cmp_ne_u32_e64 s20, 0, v4
	v_mov_b32_e32 v56, v20
	v_mov_b32_e32 v60, v16
	s_delay_alu instid0(VALU_DEP_4)
	v_cmp_eq_u32_e32 vcc_lo, 0, v12
	s_and_b32 s27, s20, vcc_lo
	s_wait_alu 0xfffe
	s_and_saveexec_b32 s20, s27
; %bb.68:                               ;   in Loop: Header=BB187_67 Depth=1
	v_bcnt_u32_b32 v4, v4, 0
	ds_store_b32 v13, v4 offset:16
; %bb.69:                               ;   in Loop: Header=BB187_67 Depth=1
	s_wait_alu 0xfffe
	s_or_b32 exec_lo, exec_lo, s20
	v_cmp_ne_u64_e32 vcc_lo, s[24:25], v[69:70]
	; wave barrier
	s_wait_alu 0xfffd
	v_cndmask_b32_e32 v5, 0x7fffffff, v70, vcc_lo
	v_cndmask_b32_e32 v4, -1, v69, vcc_lo
	s_delay_alu instid0(VALU_DEP_1) | instskip(NEXT) | instid1(VALU_DEP_1)
	v_lshrrev_b64 v[4:5], v32, v[4:5]
	v_and_b32_e32 v4, s26, v4
	s_delay_alu instid0(VALU_DEP_1)
	v_and_b32_e32 v5, 1, v4
	v_lshlrev_b32_e32 v6, 30, v4
	v_lshlrev_b32_e32 v7, 29, v4
	;; [unrolled: 1-line block ×4, first 2 shown]
	v_add_co_u32 v5, s20, v5, -1
	s_wait_alu 0xf1ff
	v_cndmask_b32_e64 v9, 0, 1, s20
	v_not_b32_e32 v15, v6
	v_cmp_gt_i32_e64 s20, 0, v6
	v_not_b32_e32 v6, v7
	v_lshlrev_b32_e32 v11, 26, v4
	v_cmp_ne_u32_e32 vcc_lo, 0, v9
	v_ashrrev_i32_e32 v15, 31, v15
	v_lshlrev_b32_e32 v14, 25, v4
	v_ashrrev_i32_e32 v6, 31, v6
	v_lshlrev_b32_e32 v9, 24, v4
	s_wait_alu 0xfffd
	v_xor_b32_e32 v5, vcc_lo, v5
	v_cmp_gt_i32_e32 vcc_lo, 0, v7
	v_not_b32_e32 v7, v8
	s_wait_alu 0xf1ff
	v_xor_b32_e32 v15, s20, v15
	v_cmp_gt_i32_e64 s20, 0, v8
	v_and_b32_e32 v5, exec_lo, v5
	v_not_b32_e32 v8, v10
	v_ashrrev_i32_e32 v7, 31, v7
	s_wait_alu 0xfffd
	v_xor_b32_e32 v6, vcc_lo, v6
	v_cmp_gt_i32_e32 vcc_lo, 0, v10
	v_and_b32_e32 v5, v5, v15
	v_not_b32_e32 v10, v11
	v_ashrrev_i32_e32 v8, 31, v8
	s_wait_alu 0xf1ff
	v_xor_b32_e32 v7, s20, v7
	v_cmp_gt_i32_e64 s20, 0, v11
	v_and_b32_e32 v5, v5, v6
	v_not_b32_e32 v6, v14
	v_ashrrev_i32_e32 v10, 31, v10
	s_wait_alu 0xfffd
	v_xor_b32_e32 v8, vcc_lo, v8
	v_cmp_gt_i32_e32 vcc_lo, 0, v14
	v_and_b32_e32 v5, v5, v7
	v_not_b32_e32 v7, v9
	v_ashrrev_i32_e32 v6, 31, v6
	s_wait_alu 0xf1ff
	v_xor_b32_e32 v10, s20, v10
	v_lshlrev_b32_e32 v4, 4, v4
	v_and_b32_e32 v5, v5, v8
	v_cmp_gt_i32_e64 s20, 0, v9
	v_ashrrev_i32_e32 v7, 31, v7
	s_wait_alu 0xfffd
	v_xor_b32_e32 v6, vcc_lo, v6
	v_add_nc_u32_e32 v16, v76, v4
	v_and_b32_e32 v5, v5, v10
	s_wait_alu 0xf1ff
	v_xor_b32_e32 v4, s20, v7
	ds_load_b32 v14, v16 offset:16
	v_and_b32_e32 v5, v5, v6
	; wave barrier
	s_delay_alu instid0(VALU_DEP_1) | instskip(NEXT) | instid1(VALU_DEP_1)
	v_and_b32_e32 v4, v5, v4
	v_mbcnt_lo_u32_b32 v15, v4, 0
	v_cmp_ne_u32_e64 s20, 0, v4
	s_delay_alu instid0(VALU_DEP_2)
	v_cmp_eq_u32_e32 vcc_lo, 0, v15
	s_and_b32 s27, s20, vcc_lo
	s_wait_alu 0xfffe
	s_and_saveexec_b32 s20, s27
	s_cbranch_execz .LBB187_71
; %bb.70:                               ;   in Loop: Header=BB187_67 Depth=1
	s_wait_dscnt 0x0
	v_bcnt_u32_b32 v4, v4, v14
	ds_store_b32 v16, v4 offset:16
.LBB187_71:                             ;   in Loop: Header=BB187_67 Depth=1
	s_wait_alu 0xfffe
	s_or_b32 exec_lo, exec_lo, s20
	v_cmp_ne_u64_e32 vcc_lo, s[24:25], v[66:67]
	; wave barrier
	s_wait_alu 0xfffd
	v_cndmask_b32_e32 v5, 0x7fffffff, v67, vcc_lo
	v_cndmask_b32_e32 v4, -1, v66, vcc_lo
	s_delay_alu instid0(VALU_DEP_1) | instskip(NEXT) | instid1(VALU_DEP_1)
	v_lshrrev_b64 v[4:5], v32, v[4:5]
	v_and_b32_e32 v4, s26, v4
	s_delay_alu instid0(VALU_DEP_1)
	v_and_b32_e32 v5, 1, v4
	v_lshlrev_b32_e32 v6, 30, v4
	v_lshlrev_b32_e32 v7, 29, v4
	;; [unrolled: 1-line block ×4, first 2 shown]
	v_add_co_u32 v5, s20, v5, -1
	s_wait_alu 0xf1ff
	v_cndmask_b32_e64 v9, 0, 1, s20
	v_not_b32_e32 v18, v6
	v_cmp_gt_i32_e64 s20, 0, v6
	v_not_b32_e32 v6, v7
	v_lshlrev_b32_e32 v11, 26, v4
	v_cmp_ne_u32_e32 vcc_lo, 0, v9
	v_ashrrev_i32_e32 v18, 31, v18
	v_lshlrev_b32_e32 v17, 25, v4
	v_ashrrev_i32_e32 v6, 31, v6
	v_lshlrev_b32_e32 v9, 24, v4
	s_wait_alu 0xfffd
	v_xor_b32_e32 v5, vcc_lo, v5
	v_cmp_gt_i32_e32 vcc_lo, 0, v7
	v_not_b32_e32 v7, v8
	s_wait_alu 0xf1ff
	v_xor_b32_e32 v18, s20, v18
	v_cmp_gt_i32_e64 s20, 0, v8
	v_and_b32_e32 v5, exec_lo, v5
	v_not_b32_e32 v8, v10
	v_ashrrev_i32_e32 v7, 31, v7
	s_wait_alu 0xfffd
	v_xor_b32_e32 v6, vcc_lo, v6
	v_cmp_gt_i32_e32 vcc_lo, 0, v10
	v_and_b32_e32 v5, v5, v18
	v_not_b32_e32 v10, v11
	v_ashrrev_i32_e32 v8, 31, v8
	s_wait_alu 0xf1ff
	v_xor_b32_e32 v7, s20, v7
	v_cmp_gt_i32_e64 s20, 0, v11
	v_and_b32_e32 v5, v5, v6
	v_not_b32_e32 v6, v17
	v_ashrrev_i32_e32 v10, 31, v10
	s_wait_alu 0xfffd
	v_xor_b32_e32 v8, vcc_lo, v8
	v_cmp_gt_i32_e32 vcc_lo, 0, v17
	v_and_b32_e32 v5, v5, v7
	v_not_b32_e32 v7, v9
	v_ashrrev_i32_e32 v6, 31, v6
	s_wait_alu 0xf1ff
	v_xor_b32_e32 v10, s20, v10
	v_lshlrev_b32_e32 v4, 4, v4
	v_and_b32_e32 v5, v5, v8
	v_cmp_gt_i32_e64 s20, 0, v9
	v_ashrrev_i32_e32 v7, 31, v7
	s_wait_alu 0xfffd
	v_xor_b32_e32 v6, vcc_lo, v6
	v_add_nc_u32_e32 v19, v76, v4
	v_and_b32_e32 v5, v5, v10
	s_wait_alu 0xf1ff
	v_xor_b32_e32 v4, s20, v7
	ds_load_b32 v17, v19 offset:16
	v_and_b32_e32 v5, v5, v6
	; wave barrier
	s_delay_alu instid0(VALU_DEP_1) | instskip(NEXT) | instid1(VALU_DEP_1)
	v_and_b32_e32 v4, v5, v4
	v_mbcnt_lo_u32_b32 v18, v4, 0
	v_cmp_ne_u32_e64 s20, 0, v4
	s_delay_alu instid0(VALU_DEP_2)
	v_cmp_eq_u32_e32 vcc_lo, 0, v18
	s_and_b32 s27, s20, vcc_lo
	s_wait_alu 0xfffe
	s_and_saveexec_b32 s20, s27
	s_cbranch_execz .LBB187_73
; %bb.72:                               ;   in Loop: Header=BB187_67 Depth=1
	s_wait_dscnt 0x0
	v_bcnt_u32_b32 v4, v4, v17
	ds_store_b32 v19, v4 offset:16
.LBB187_73:                             ;   in Loop: Header=BB187_67 Depth=1
	s_wait_alu 0xfffe
	s_or_b32 exec_lo, exec_lo, s20
	v_cmp_ne_u64_e32 vcc_lo, s[24:25], v[64:65]
	; wave barrier
	s_wait_alu 0xfffd
	v_cndmask_b32_e32 v5, 0x7fffffff, v65, vcc_lo
	v_cndmask_b32_e32 v4, -1, v64, vcc_lo
	s_delay_alu instid0(VALU_DEP_1) | instskip(NEXT) | instid1(VALU_DEP_1)
	v_lshrrev_b64 v[4:5], v32, v[4:5]
	v_and_b32_e32 v4, s26, v4
	s_delay_alu instid0(VALU_DEP_1)
	v_and_b32_e32 v5, 1, v4
	v_lshlrev_b32_e32 v6, 30, v4
	v_lshlrev_b32_e32 v7, 29, v4
	;; [unrolled: 1-line block ×4, first 2 shown]
	v_add_co_u32 v5, s20, v5, -1
	s_wait_alu 0xf1ff
	v_cndmask_b32_e64 v9, 0, 1, s20
	v_not_b32_e32 v21, v6
	v_cmp_gt_i32_e64 s20, 0, v6
	v_not_b32_e32 v6, v7
	v_lshlrev_b32_e32 v11, 26, v4
	v_cmp_ne_u32_e32 vcc_lo, 0, v9
	v_ashrrev_i32_e32 v21, 31, v21
	v_lshlrev_b32_e32 v20, 25, v4
	v_ashrrev_i32_e32 v6, 31, v6
	v_lshlrev_b32_e32 v9, 24, v4
	s_wait_alu 0xfffd
	v_xor_b32_e32 v5, vcc_lo, v5
	v_cmp_gt_i32_e32 vcc_lo, 0, v7
	v_not_b32_e32 v7, v8
	s_wait_alu 0xf1ff
	v_xor_b32_e32 v21, s20, v21
	v_cmp_gt_i32_e64 s20, 0, v8
	v_and_b32_e32 v5, exec_lo, v5
	v_not_b32_e32 v8, v10
	v_ashrrev_i32_e32 v7, 31, v7
	s_wait_alu 0xfffd
	v_xor_b32_e32 v6, vcc_lo, v6
	v_cmp_gt_i32_e32 vcc_lo, 0, v10
	v_and_b32_e32 v5, v5, v21
	v_not_b32_e32 v10, v11
	v_ashrrev_i32_e32 v8, 31, v8
	s_wait_alu 0xf1ff
	v_xor_b32_e32 v7, s20, v7
	v_cmp_gt_i32_e64 s20, 0, v11
	v_and_b32_e32 v5, v5, v6
	v_not_b32_e32 v6, v20
	v_ashrrev_i32_e32 v10, 31, v10
	s_wait_alu 0xfffd
	v_xor_b32_e32 v8, vcc_lo, v8
	v_cmp_gt_i32_e32 vcc_lo, 0, v20
	v_and_b32_e32 v5, v5, v7
	v_not_b32_e32 v7, v9
	v_ashrrev_i32_e32 v6, 31, v6
	s_wait_alu 0xf1ff
	v_xor_b32_e32 v10, s20, v10
	v_lshlrev_b32_e32 v4, 4, v4
	v_and_b32_e32 v5, v5, v8
	v_cmp_gt_i32_e64 s20, 0, v9
	v_ashrrev_i32_e32 v7, 31, v7
	s_wait_alu 0xfffd
	v_xor_b32_e32 v6, vcc_lo, v6
	v_add_nc_u32_e32 v22, v76, v4
	v_and_b32_e32 v5, v5, v10
	s_wait_alu 0xf1ff
	v_xor_b32_e32 v4, s20, v7
	ds_load_b32 v20, v22 offset:16
	v_and_b32_e32 v5, v5, v6
	; wave barrier
	s_delay_alu instid0(VALU_DEP_1) | instskip(NEXT) | instid1(VALU_DEP_1)
	v_and_b32_e32 v4, v5, v4
	v_mbcnt_lo_u32_b32 v21, v4, 0
	v_cmp_ne_u32_e64 s20, 0, v4
	s_delay_alu instid0(VALU_DEP_2)
	v_cmp_eq_u32_e32 vcc_lo, 0, v21
	s_and_b32 s27, s20, vcc_lo
	s_wait_alu 0xfffe
	s_and_saveexec_b32 s20, s27
	s_cbranch_execz .LBB187_75
; %bb.74:                               ;   in Loop: Header=BB187_67 Depth=1
	s_wait_dscnt 0x0
	v_bcnt_u32_b32 v4, v4, v20
	ds_store_b32 v22, v4 offset:16
.LBB187_75:                             ;   in Loop: Header=BB187_67 Depth=1
	s_wait_alu 0xfffe
	s_or_b32 exec_lo, exec_lo, s20
	v_cmp_ne_u64_e32 vcc_lo, s[24:25], v[62:63]
	; wave barrier
	s_wait_alu 0xfffd
	v_cndmask_b32_e32 v5, 0x7fffffff, v63, vcc_lo
	v_cndmask_b32_e32 v4, -1, v62, vcc_lo
	s_delay_alu instid0(VALU_DEP_1) | instskip(NEXT) | instid1(VALU_DEP_1)
	v_lshrrev_b64 v[4:5], v32, v[4:5]
	v_and_b32_e32 v4, s26, v4
	s_delay_alu instid0(VALU_DEP_1)
	v_and_b32_e32 v5, 1, v4
	v_lshlrev_b32_e32 v6, 30, v4
	v_lshlrev_b32_e32 v7, 29, v4
	;; [unrolled: 1-line block ×4, first 2 shown]
	v_add_co_u32 v5, s20, v5, -1
	s_wait_alu 0xf1ff
	v_cndmask_b32_e64 v9, 0, 1, s20
	v_not_b32_e32 v24, v6
	v_cmp_gt_i32_e64 s20, 0, v6
	v_not_b32_e32 v6, v7
	v_lshlrev_b32_e32 v11, 26, v4
	v_cmp_ne_u32_e32 vcc_lo, 0, v9
	v_ashrrev_i32_e32 v24, 31, v24
	v_lshlrev_b32_e32 v23, 25, v4
	v_ashrrev_i32_e32 v6, 31, v6
	v_lshlrev_b32_e32 v9, 24, v4
	s_wait_alu 0xfffd
	v_xor_b32_e32 v5, vcc_lo, v5
	v_cmp_gt_i32_e32 vcc_lo, 0, v7
	v_not_b32_e32 v7, v8
	s_wait_alu 0xf1ff
	v_xor_b32_e32 v24, s20, v24
	v_cmp_gt_i32_e64 s20, 0, v8
	v_and_b32_e32 v5, exec_lo, v5
	v_not_b32_e32 v8, v10
	v_ashrrev_i32_e32 v7, 31, v7
	s_wait_alu 0xfffd
	v_xor_b32_e32 v6, vcc_lo, v6
	v_cmp_gt_i32_e32 vcc_lo, 0, v10
	v_and_b32_e32 v5, v5, v24
	v_not_b32_e32 v10, v11
	v_ashrrev_i32_e32 v8, 31, v8
	s_wait_alu 0xf1ff
	v_xor_b32_e32 v7, s20, v7
	v_cmp_gt_i32_e64 s20, 0, v11
	v_and_b32_e32 v5, v5, v6
	v_not_b32_e32 v6, v23
	v_ashrrev_i32_e32 v10, 31, v10
	s_wait_alu 0xfffd
	v_xor_b32_e32 v8, vcc_lo, v8
	v_cmp_gt_i32_e32 vcc_lo, 0, v23
	v_and_b32_e32 v5, v5, v7
	v_not_b32_e32 v7, v9
	v_ashrrev_i32_e32 v6, 31, v6
	s_wait_alu 0xf1ff
	v_xor_b32_e32 v10, s20, v10
	v_lshlrev_b32_e32 v4, 4, v4
	v_and_b32_e32 v5, v5, v8
	v_cmp_gt_i32_e64 s20, 0, v9
	v_ashrrev_i32_e32 v7, 31, v7
	s_wait_alu 0xfffd
	v_xor_b32_e32 v6, vcc_lo, v6
	v_add_nc_u32_e32 v25, v76, v4
	v_and_b32_e32 v5, v5, v10
	s_wait_alu 0xf1ff
	v_xor_b32_e32 v4, s20, v7
	ds_load_b32 v23, v25 offset:16
	v_and_b32_e32 v5, v5, v6
	; wave barrier
	s_delay_alu instid0(VALU_DEP_1) | instskip(NEXT) | instid1(VALU_DEP_1)
	v_and_b32_e32 v4, v5, v4
	v_mbcnt_lo_u32_b32 v24, v4, 0
	v_cmp_ne_u32_e64 s20, 0, v4
	s_delay_alu instid0(VALU_DEP_2)
	v_cmp_eq_u32_e32 vcc_lo, 0, v24
	s_and_b32 s27, s20, vcc_lo
	s_wait_alu 0xfffe
	s_and_saveexec_b32 s20, s27
	s_cbranch_execz .LBB187_77
; %bb.76:                               ;   in Loop: Header=BB187_67 Depth=1
	s_wait_dscnt 0x0
	v_bcnt_u32_b32 v4, v4, v23
	ds_store_b32 v25, v4 offset:16
.LBB187_77:                             ;   in Loop: Header=BB187_67 Depth=1
	s_wait_alu 0xfffe
	s_or_b32 exec_lo, exec_lo, s20
	v_cmp_ne_u64_e32 vcc_lo, s[24:25], v[40:41]
	; wave barrier
	s_wait_alu 0xfffd
	v_cndmask_b32_e32 v5, 0x7fffffff, v41, vcc_lo
	v_cndmask_b32_e32 v4, -1, v40, vcc_lo
	s_delay_alu instid0(VALU_DEP_1) | instskip(NEXT) | instid1(VALU_DEP_1)
	v_lshrrev_b64 v[4:5], v32, v[4:5]
	v_and_b32_e32 v4, s26, v4
	s_delay_alu instid0(VALU_DEP_1)
	v_and_b32_e32 v5, 1, v4
	v_lshlrev_b32_e32 v6, 30, v4
	v_lshlrev_b32_e32 v7, 29, v4
	;; [unrolled: 1-line block ×4, first 2 shown]
	v_add_co_u32 v5, s20, v5, -1
	s_wait_alu 0xf1ff
	v_cndmask_b32_e64 v9, 0, 1, s20
	v_not_b32_e32 v27, v6
	v_cmp_gt_i32_e64 s20, 0, v6
	v_not_b32_e32 v6, v7
	v_lshlrev_b32_e32 v11, 26, v4
	v_cmp_ne_u32_e32 vcc_lo, 0, v9
	v_ashrrev_i32_e32 v27, 31, v27
	v_lshlrev_b32_e32 v26, 25, v4
	v_ashrrev_i32_e32 v6, 31, v6
	v_lshlrev_b32_e32 v9, 24, v4
	s_wait_alu 0xfffd
	v_xor_b32_e32 v5, vcc_lo, v5
	v_cmp_gt_i32_e32 vcc_lo, 0, v7
	v_not_b32_e32 v7, v8
	s_wait_alu 0xf1ff
	v_xor_b32_e32 v27, s20, v27
	v_cmp_gt_i32_e64 s20, 0, v8
	v_and_b32_e32 v5, exec_lo, v5
	v_not_b32_e32 v8, v10
	v_ashrrev_i32_e32 v7, 31, v7
	s_wait_alu 0xfffd
	v_xor_b32_e32 v6, vcc_lo, v6
	v_cmp_gt_i32_e32 vcc_lo, 0, v10
	v_and_b32_e32 v5, v5, v27
	v_not_b32_e32 v10, v11
	v_ashrrev_i32_e32 v8, 31, v8
	s_wait_alu 0xf1ff
	v_xor_b32_e32 v7, s20, v7
	v_cmp_gt_i32_e64 s20, 0, v11
	v_and_b32_e32 v5, v5, v6
	v_not_b32_e32 v6, v26
	v_ashrrev_i32_e32 v10, 31, v10
	s_wait_alu 0xfffd
	v_xor_b32_e32 v8, vcc_lo, v8
	v_cmp_gt_i32_e32 vcc_lo, 0, v26
	v_and_b32_e32 v5, v5, v7
	v_not_b32_e32 v7, v9
	v_ashrrev_i32_e32 v6, 31, v6
	s_wait_alu 0xf1ff
	v_xor_b32_e32 v10, s20, v10
	v_lshlrev_b32_e32 v4, 4, v4
	v_and_b32_e32 v5, v5, v8
	v_cmp_gt_i32_e64 s20, 0, v9
	v_ashrrev_i32_e32 v7, 31, v7
	s_wait_alu 0xfffd
	v_xor_b32_e32 v6, vcc_lo, v6
	v_add_nc_u32_e32 v28, v76, v4
	v_and_b32_e32 v5, v5, v10
	s_wait_alu 0xf1ff
	v_xor_b32_e32 v4, s20, v7
	ds_load_b32 v26, v28 offset:16
	v_and_b32_e32 v5, v5, v6
	; wave barrier
	s_delay_alu instid0(VALU_DEP_1) | instskip(NEXT) | instid1(VALU_DEP_1)
	v_and_b32_e32 v4, v5, v4
	v_mbcnt_lo_u32_b32 v27, v4, 0
	v_cmp_ne_u32_e64 s20, 0, v4
	s_delay_alu instid0(VALU_DEP_2)
	v_cmp_eq_u32_e32 vcc_lo, 0, v27
	s_and_b32 s27, s20, vcc_lo
	s_wait_alu 0xfffe
	s_and_saveexec_b32 s20, s27
	s_cbranch_execz .LBB187_79
; %bb.78:                               ;   in Loop: Header=BB187_67 Depth=1
	s_wait_dscnt 0x0
	v_bcnt_u32_b32 v4, v4, v26
	ds_store_b32 v28, v4 offset:16
.LBB187_79:                             ;   in Loop: Header=BB187_67 Depth=1
	s_wait_alu 0xfffe
	s_or_b32 exec_lo, exec_lo, s20
	v_cmp_ne_u64_e32 vcc_lo, s[24:25], v[38:39]
	; wave barrier
	s_wait_alu 0xfffd
	v_cndmask_b32_e32 v5, 0x7fffffff, v39, vcc_lo
	v_cndmask_b32_e32 v4, -1, v38, vcc_lo
	s_delay_alu instid0(VALU_DEP_1) | instskip(NEXT) | instid1(VALU_DEP_1)
	v_lshrrev_b64 v[4:5], v32, v[4:5]
	v_and_b32_e32 v4, s26, v4
	s_delay_alu instid0(VALU_DEP_1)
	v_and_b32_e32 v5, 1, v4
	v_lshlrev_b32_e32 v6, 30, v4
	v_lshlrev_b32_e32 v7, 29, v4
	;; [unrolled: 1-line block ×4, first 2 shown]
	v_add_co_u32 v5, s20, v5, -1
	s_wait_alu 0xf1ff
	v_cndmask_b32_e64 v9, 0, 1, s20
	v_not_b32_e32 v30, v6
	v_cmp_gt_i32_e64 s20, 0, v6
	v_not_b32_e32 v6, v7
	v_lshlrev_b32_e32 v11, 26, v4
	v_cmp_ne_u32_e32 vcc_lo, 0, v9
	v_ashrrev_i32_e32 v30, 31, v30
	v_lshlrev_b32_e32 v29, 25, v4
	v_ashrrev_i32_e32 v6, 31, v6
	v_lshlrev_b32_e32 v9, 24, v4
	s_wait_alu 0xfffd
	v_xor_b32_e32 v5, vcc_lo, v5
	v_cmp_gt_i32_e32 vcc_lo, 0, v7
	v_not_b32_e32 v7, v8
	s_wait_alu 0xf1ff
	v_xor_b32_e32 v30, s20, v30
	v_cmp_gt_i32_e64 s20, 0, v8
	v_and_b32_e32 v5, exec_lo, v5
	v_not_b32_e32 v8, v10
	v_ashrrev_i32_e32 v7, 31, v7
	s_wait_alu 0xfffd
	v_xor_b32_e32 v6, vcc_lo, v6
	v_cmp_gt_i32_e32 vcc_lo, 0, v10
	v_and_b32_e32 v5, v5, v30
	v_not_b32_e32 v10, v11
	v_ashrrev_i32_e32 v8, 31, v8
	s_wait_alu 0xf1ff
	v_xor_b32_e32 v7, s20, v7
	v_cmp_gt_i32_e64 s20, 0, v11
	v_and_b32_e32 v5, v5, v6
	v_not_b32_e32 v6, v29
	v_ashrrev_i32_e32 v10, 31, v10
	s_wait_alu 0xfffd
	v_xor_b32_e32 v8, vcc_lo, v8
	v_cmp_gt_i32_e32 vcc_lo, 0, v29
	v_and_b32_e32 v5, v5, v7
	v_not_b32_e32 v7, v9
	v_ashrrev_i32_e32 v6, 31, v6
	s_wait_alu 0xf1ff
	v_xor_b32_e32 v10, s20, v10
	v_lshlrev_b32_e32 v4, 4, v4
	v_and_b32_e32 v5, v5, v8
	v_cmp_gt_i32_e64 s20, 0, v9
	v_ashrrev_i32_e32 v7, 31, v7
	s_wait_alu 0xfffd
	v_xor_b32_e32 v6, vcc_lo, v6
	v_add_nc_u32_e32 v31, v76, v4
	v_and_b32_e32 v5, v5, v10
	s_wait_alu 0xf1ff
	v_xor_b32_e32 v4, s20, v7
	ds_load_b32 v29, v31 offset:16
	v_and_b32_e32 v5, v5, v6
	; wave barrier
	s_delay_alu instid0(VALU_DEP_1) | instskip(NEXT) | instid1(VALU_DEP_1)
	v_and_b32_e32 v4, v5, v4
	v_mbcnt_lo_u32_b32 v30, v4, 0
	v_cmp_ne_u32_e64 s20, 0, v4
	s_delay_alu instid0(VALU_DEP_2)
	v_cmp_eq_u32_e32 vcc_lo, 0, v30
	s_and_b32 s27, s20, vcc_lo
	s_wait_alu 0xfffe
	s_and_saveexec_b32 s20, s27
	s_cbranch_execz .LBB187_81
; %bb.80:                               ;   in Loop: Header=BB187_67 Depth=1
	s_wait_dscnt 0x0
	v_bcnt_u32_b32 v4, v4, v29
	ds_store_b32 v31, v4 offset:16
.LBB187_81:                             ;   in Loop: Header=BB187_67 Depth=1
	s_wait_alu 0xfffe
	s_or_b32 exec_lo, exec_lo, s20
	v_cmp_ne_u64_e32 vcc_lo, s[24:25], v[36:37]
	; wave barrier
	s_wait_alu 0xfffd
	v_cndmask_b32_e32 v5, 0x7fffffff, v37, vcc_lo
	v_cndmask_b32_e32 v4, -1, v36, vcc_lo
	s_delay_alu instid0(VALU_DEP_1) | instskip(NEXT) | instid1(VALU_DEP_1)
	v_lshrrev_b64 v[4:5], v32, v[4:5]
	v_and_b32_e32 v4, s26, v4
	s_delay_alu instid0(VALU_DEP_1)
	v_and_b32_e32 v5, 1, v4
	v_lshlrev_b32_e32 v6, 30, v4
	v_lshlrev_b32_e32 v7, 29, v4
	;; [unrolled: 1-line block ×4, first 2 shown]
	v_add_co_u32 v5, s20, v5, -1
	s_wait_alu 0xf1ff
	v_cndmask_b32_e64 v9, 0, 1, s20
	v_not_b32_e32 v49, v6
	v_cmp_gt_i32_e64 s20, 0, v6
	v_not_b32_e32 v6, v7
	v_lshlrev_b32_e32 v11, 26, v4
	v_cmp_ne_u32_e32 vcc_lo, 0, v9
	v_ashrrev_i32_e32 v49, 31, v49
	v_lshlrev_b32_e32 v48, 25, v4
	v_ashrrev_i32_e32 v6, 31, v6
	v_lshlrev_b32_e32 v9, 24, v4
	s_wait_alu 0xfffd
	v_xor_b32_e32 v5, vcc_lo, v5
	v_cmp_gt_i32_e32 vcc_lo, 0, v7
	v_not_b32_e32 v7, v8
	s_wait_alu 0xf1ff
	v_xor_b32_e32 v49, s20, v49
	v_cmp_gt_i32_e64 s20, 0, v8
	v_and_b32_e32 v5, exec_lo, v5
	v_not_b32_e32 v8, v10
	v_ashrrev_i32_e32 v7, 31, v7
	s_wait_alu 0xfffd
	v_xor_b32_e32 v6, vcc_lo, v6
	v_cmp_gt_i32_e32 vcc_lo, 0, v10
	v_and_b32_e32 v5, v5, v49
	v_not_b32_e32 v10, v11
	v_ashrrev_i32_e32 v8, 31, v8
	s_wait_alu 0xf1ff
	v_xor_b32_e32 v7, s20, v7
	v_cmp_gt_i32_e64 s20, 0, v11
	v_and_b32_e32 v5, v5, v6
	v_not_b32_e32 v6, v48
	v_ashrrev_i32_e32 v10, 31, v10
	s_wait_alu 0xfffd
	v_xor_b32_e32 v8, vcc_lo, v8
	v_cmp_gt_i32_e32 vcc_lo, 0, v48
	v_and_b32_e32 v5, v5, v7
	v_not_b32_e32 v7, v9
	v_ashrrev_i32_e32 v6, 31, v6
	s_wait_alu 0xf1ff
	v_xor_b32_e32 v10, s20, v10
	v_lshlrev_b32_e32 v4, 4, v4
	v_and_b32_e32 v5, v5, v8
	v_cmp_gt_i32_e64 s20, 0, v9
	v_ashrrev_i32_e32 v7, 31, v7
	s_wait_alu 0xfffd
	v_xor_b32_e32 v6, vcc_lo, v6
	v_add_nc_u32_e32 v50, v76, v4
	v_and_b32_e32 v5, v5, v10
	s_wait_alu 0xf1ff
	v_xor_b32_e32 v4, s20, v7
	ds_load_b32 v48, v50 offset:16
	v_and_b32_e32 v5, v5, v6
	; wave barrier
	s_delay_alu instid0(VALU_DEP_1) | instskip(NEXT) | instid1(VALU_DEP_1)
	v_and_b32_e32 v4, v5, v4
	v_mbcnt_lo_u32_b32 v49, v4, 0
	v_cmp_ne_u32_e64 s20, 0, v4
	s_delay_alu instid0(VALU_DEP_2)
	v_cmp_eq_u32_e32 vcc_lo, 0, v49
	s_and_b32 s26, s20, vcc_lo
	s_wait_alu 0xfffe
	s_and_saveexec_b32 s20, s26
	s_cbranch_execz .LBB187_83
; %bb.82:                               ;   in Loop: Header=BB187_67 Depth=1
	s_wait_dscnt 0x0
	v_bcnt_u32_b32 v4, v4, v48
	ds_store_b32 v50, v4 offset:16
.LBB187_83:                             ;   in Loop: Header=BB187_67 Depth=1
	s_wait_alu 0xfffe
	s_or_b32 exec_lo, exec_lo, s20
	; wave barrier
	s_wait_loadcnt_dscnt 0x0
	s_barrier_signal -1
	s_barrier_wait -1
	global_inv scope:SCOPE_SE
	ds_load_b128 v[8:11], v115 offset:16
	ds_load_b128 v[4:7], v115 offset:32
	s_wait_dscnt 0x1
	v_add_nc_u32_e32 v51, v9, v8
	s_delay_alu instid0(VALU_DEP_1) | instskip(SKIP_1) | instid1(VALU_DEP_1)
	v_add3_u32 v51, v51, v10, v11
	s_wait_dscnt 0x0
	v_add3_u32 v51, v51, v4, v5
	s_delay_alu instid0(VALU_DEP_1) | instskip(NEXT) | instid1(VALU_DEP_1)
	v_add3_u32 v7, v51, v6, v7
	v_mov_b32_dpp v51, v7 row_shr:1 row_mask:0xf bank_mask:0xf
	s_delay_alu instid0(VALU_DEP_1) | instskip(NEXT) | instid1(VALU_DEP_1)
	v_cndmask_b32_e64 v51, v51, 0, s8
	v_add_nc_u32_e32 v7, v51, v7
	s_delay_alu instid0(VALU_DEP_1) | instskip(NEXT) | instid1(VALU_DEP_1)
	v_mov_b32_dpp v51, v7 row_shr:2 row_mask:0xf bank_mask:0xf
	v_cndmask_b32_e64 v51, 0, v51, s9
	s_delay_alu instid0(VALU_DEP_1) | instskip(NEXT) | instid1(VALU_DEP_1)
	v_add_nc_u32_e32 v7, v7, v51
	v_mov_b32_dpp v51, v7 row_shr:4 row_mask:0xf bank_mask:0xf
	s_delay_alu instid0(VALU_DEP_1) | instskip(NEXT) | instid1(VALU_DEP_1)
	v_cndmask_b32_e64 v51, 0, v51, s11
	v_add_nc_u32_e32 v7, v7, v51
	s_delay_alu instid0(VALU_DEP_1) | instskip(NEXT) | instid1(VALU_DEP_1)
	v_mov_b32_dpp v51, v7 row_shr:8 row_mask:0xf bank_mask:0xf
	v_cndmask_b32_e64 v51, 0, v51, s12
	s_delay_alu instid0(VALU_DEP_1) | instskip(SKIP_3) | instid1(VALU_DEP_1)
	v_add_nc_u32_e32 v7, v7, v51
	ds_swizzle_b32 v51, v7 offset:swizzle(BROADCAST,32,15)
	s_wait_dscnt 0x0
	v_cndmask_b32_e64 v51, v51, 0, s13
	v_add_nc_u32_e32 v7, v7, v51
	s_and_saveexec_b32 s20, s14
; %bb.84:                               ;   in Loop: Header=BB187_67 Depth=1
	ds_store_b32 v116, v7
; %bb.85:                               ;   in Loop: Header=BB187_67 Depth=1
	s_wait_alu 0xfffe
	s_or_b32 exec_lo, exec_lo, s20
	s_wait_loadcnt_dscnt 0x0
	s_barrier_signal -1
	s_barrier_wait -1
	global_inv scope:SCOPE_SE
	s_and_saveexec_b32 s20, s15
	s_cbranch_execz .LBB187_87
; %bb.86:                               ;   in Loop: Header=BB187_67 Depth=1
	ds_load_b32 v51, v77
	s_wait_dscnt 0x0
	v_mov_b32_dpp v78, v51 row_shr:1 row_mask:0xf bank_mask:0xf
	s_delay_alu instid0(VALU_DEP_1) | instskip(NEXT) | instid1(VALU_DEP_1)
	v_cndmask_b32_e64 v78, v78, 0, s18
	v_add_nc_u32_e32 v51, v78, v51
	s_delay_alu instid0(VALU_DEP_1) | instskip(NEXT) | instid1(VALU_DEP_1)
	v_mov_b32_dpp v78, v51 row_shr:2 row_mask:0xf bank_mask:0xf
	v_cndmask_b32_e64 v78, 0, v78, s19
	s_delay_alu instid0(VALU_DEP_1)
	v_add_nc_u32_e32 v51, v51, v78
	ds_store_b32 v77, v51
.LBB187_87:                             ;   in Loop: Header=BB187_67 Depth=1
	s_wait_alu 0xfffe
	s_or_b32 exec_lo, exec_lo, s20
	v_mov_b32_e32 v51, 0
	s_wait_loadcnt_dscnt 0x0
	s_barrier_signal -1
	s_barrier_wait -1
	global_inv scope:SCOPE_SE
	s_and_saveexec_b32 s20, s16
; %bb.88:                               ;   in Loop: Header=BB187_67 Depth=1
	ds_load_b32 v51, v73
; %bb.89:                               ;   in Loop: Header=BB187_67 Depth=1
	s_wait_alu 0xfffe
	s_or_b32 exec_lo, exec_lo, s20
	s_wait_dscnt 0x0
	v_add_nc_u32_e32 v7, v51, v7
	v_cmp_lt_u32_e32 vcc_lo, 55, v32
	s_mov_b32 s20, -1
	ds_bpermute_b32 v7, v75, v7
	s_and_b32 vcc_lo, exec_lo, vcc_lo
	s_wait_dscnt 0x0
	v_cndmask_b32_e64 v7, v7, v51, s10
	s_delay_alu instid0(VALU_DEP_1) | instskip(NEXT) | instid1(VALU_DEP_1)
	v_cndmask_b32_e64 v7, v7, 0, s17
	v_add_nc_u32_e32 v8, v7, v8
	s_delay_alu instid0(VALU_DEP_1) | instskip(NEXT) | instid1(VALU_DEP_1)
	v_add_nc_u32_e32 v9, v8, v9
	v_add_nc_u32_e32 v10, v9, v10
	s_delay_alu instid0(VALU_DEP_1) | instskip(NEXT) | instid1(VALU_DEP_1)
	v_add_nc_u32_e32 v78, v10, v11
	;; [unrolled: 3-line block ×3, first 2 shown]
	v_add_nc_u32_e32 v81, v80, v6
	ds_store_b128 v115, v[7:10] offset:16
	ds_store_b128 v115, v[78:81] offset:32
	s_wait_loadcnt_dscnt 0x0
	s_barrier_signal -1
	s_barrier_wait -1
	global_inv scope:SCOPE_SE
	ds_load_b32 v4, v13 offset:16
	ds_load_b32 v5, v16 offset:16
	;; [unrolled: 1-line block ×8, first 2 shown]
	s_wait_dscnt 0x7
	v_add_nc_u32_e32 v85, v4, v12
	s_wait_dscnt 0x6
	v_add3_u32 v84, v15, v14, v5
	s_wait_dscnt 0x5
	v_add3_u32 v83, v18, v17, v6
	s_wait_dscnt 0x4
	v_add3_u32 v82, v21, v20, v7
	s_wait_dscnt 0x3
	v_add3_u32 v81, v24, v23, v8
	s_wait_dscnt 0x2
	v_add3_u32 v80, v27, v26, v9
	s_wait_dscnt 0x1
	v_add3_u32 v79, v30, v29, v10
	s_wait_dscnt 0x0
	v_add3_u32 v78, v49, v48, v11
                                        ; implicit-def: $vgpr50_vgpr51
                                        ; implicit-def: $vgpr14_vgpr15
                                        ; implicit-def: $vgpr10_vgpr11
                                        ; implicit-def: $vgpr6_vgpr7
                                        ; implicit-def: $vgpr30_vgpr31
                                        ; implicit-def: $vgpr26_vgpr27
                                        ; implicit-def: $vgpr22_vgpr23
                                        ; implicit-def: $vgpr18_vgpr19
	s_wait_alu 0xfffe
	s_cbranch_vccnz .LBB187_66
; %bb.90:                               ;   in Loop: Header=BB187_67 Depth=1
	v_lshlrev_b32_e32 v16, 3, v85
	v_lshlrev_b32_e32 v19, 3, v82
	;; [unrolled: 1-line block ×8, first 2 shown]
	s_wait_loadcnt 0x0
	s_barrier_signal -1
	s_barrier_wait -1
	global_inv scope:SCOPE_SE
	ds_store_b64 v16, v[34:35]
	ds_store_b64 v17, v[69:70]
	;; [unrolled: 1-line block ×8, first 2 shown]
	s_wait_loadcnt_dscnt 0x0
	s_barrier_signal -1
	s_barrier_wait -1
	global_inv scope:SCOPE_SE
	ds_load_2addr_b64 v[4:7], v74 offset1:32
	ds_load_2addr_b64 v[8:11], v74 offset0:64 offset1:96
	ds_load_2addr_b64 v[12:15], v74 offset0:128 offset1:160
	;; [unrolled: 1-line block ×3, first 2 shown]
	s_wait_loadcnt_dscnt 0x0
	s_barrier_signal -1
	s_barrier_wait -1
	global_inv scope:SCOPE_SE
	ds_store_b64 v16, v[60:61]
	ds_store_b64 v17, v[58:59]
	;; [unrolled: 1-line block ×8, first 2 shown]
	s_wait_loadcnt_dscnt 0x0
	s_barrier_signal -1
	s_barrier_wait -1
	global_inv scope:SCOPE_SE
	ds_load_2addr_b64 v[16:19], v74 offset1:32
	ds_load_2addr_b64 v[20:23], v74 offset0:64 offset1:96
	ds_load_2addr_b64 v[24:27], v74 offset0:128 offset1:160
	;; [unrolled: 1-line block ×3, first 2 shown]
	v_add_co_u32 v32, vcc_lo, v32, 8
	s_wait_alu 0xfffd
	v_add_co_ci_u32_e64 v33, null, 0, v33, vcc_lo
	s_add_co_i32 s23, s23, -8
	s_mov_b32 s20, 0
	s_wait_loadcnt_dscnt 0x0
	s_barrier_signal -1
	s_barrier_wait -1
	global_inv scope:SCOPE_SE
	s_branch .LBB187_66
.LBB187_91:
	v_lshlrev_b32_e32 v16, 3, v85
	v_lshlrev_b32_e32 v19, 3, v82
	;; [unrolled: 1-line block ×9, first 2 shown]
	s_wait_loadcnt 0x0
	s_barrier_signal -1
	s_barrier_wait -1
	global_inv scope:SCOPE_SE
	ds_store_b64 v16, v[34:35]
	ds_store_b64 v17, v[69:70]
	;; [unrolled: 1-line block ×8, first 2 shown]
	s_wait_loadcnt_dscnt 0x0
	s_barrier_signal -1
	s_barrier_wait -1
	global_inv scope:SCOPE_SE
	ds_load_b128 v[0:3], v24
	ds_load_b128 v[4:7], v24 offset:16
	ds_load_b128 v[8:11], v24 offset:32
	;; [unrolled: 1-line block ×3, first 2 shown]
	s_wait_loadcnt_dscnt 0x0
	s_barrier_signal -1
	s_barrier_wait -1
	global_inv scope:SCOPE_SE
	ds_store_b64 v16, v[60:61]
	ds_store_b64 v17, v[58:59]
	;; [unrolled: 1-line block ×8, first 2 shown]
	s_wait_loadcnt_dscnt 0x0
	s_barrier_signal -1
	s_barrier_wait -1
	global_inv scope:SCOPE_SE
	ds_load_b128 v[52:55], v24
	ds_load_b128 v[48:51], v24 offset:16
	ds_load_b128 v[60:63], v24 offset:32
	ds_load_b128 v[56:59], v24 offset:48
	v_cmp_gt_i64_e32 vcc_lo, 0, v[0:1]
	v_ashrrev_i32_e32 v18, 31, v3
	v_ashrrev_i32_e32 v16, 31, v1
	s_wait_alu 0xfffd
	v_cndmask_b32_e64 v17, 0x7fffffff, 0, vcc_lo
	v_cmp_gt_i64_e32 vcc_lo, 0, v[2:3]
	v_not_b32_e32 v18, v18
	v_not_b32_e32 v16, v16
	s_delay_alu instid0(VALU_DEP_4)
	v_xor_b32_e32 v1, v17, v1
	v_ashrrev_i32_e32 v17, 31, v7
	s_wait_alu 0xfffd
	v_cndmask_b32_e64 v19, 0x7fffffff, 0, vcc_lo
	v_cmp_gt_i64_e32 vcc_lo, 0, v[4:5]
	v_xor_b32_e32 v2, v18, v2
	v_xor_b32_e32 v0, v16, v0
	v_ashrrev_i32_e32 v16, 31, v5
	v_xor_b32_e32 v3, v19, v3
	v_not_b32_e32 v17, v17
	s_wait_alu 0xfffd
	v_cndmask_b32_e64 v18, 0x7fffffff, 0, vcc_lo
	v_cmp_gt_i64_e32 vcc_lo, 0, v[6:7]
	v_not_b32_e32 v16, v16
	v_xor_b32_e32 v6, v17, v6
	s_delay_alu instid0(VALU_DEP_4)
	v_xor_b32_e32 v5, v18, v5
	v_ashrrev_i32_e32 v18, 31, v11
	s_wait_alu 0xfffd
	v_cndmask_b32_e64 v19, 0x7fffffff, 0, vcc_lo
	v_cmp_gt_i64_e32 vcc_lo, 0, v[8:9]
	v_xor_b32_e32 v4, v16, v4
	v_ashrrev_i32_e32 v16, 31, v9
	s_delay_alu instid0(VALU_DEP_4) | instskip(SKIP_4) | instid1(VALU_DEP_3)
	v_xor_b32_e32 v7, v19, v7
	s_wait_alu 0xfffd
	v_cndmask_b32_e64 v17, 0x7fffffff, 0, vcc_lo
	v_cmp_gt_i64_e32 vcc_lo, 0, v[10:11]
	v_not_b32_e32 v16, v16
	v_xor_b32_e32 v9, v17, v9
	v_ashrrev_i32_e32 v17, 31, v13
	s_wait_alu 0xfffd
	v_cndmask_b32_e64 v19, 0x7fffffff, 0, vcc_lo
	v_cmp_gt_i64_e32 vcc_lo, 0, v[12:13]
	v_xor_b32_e32 v8, v16, v8
	v_not_b32_e32 v16, v18
	v_ashrrev_i32_e32 v18, 31, v15
	v_xor_b32_e32 v11, v19, v11
	v_not_b32_e32 v17, v17
	s_wait_alu 0xfffd
	v_cndmask_b32_e64 v19, 0x7fffffff, 0, vcc_lo
	v_cmp_gt_i64_e32 vcc_lo, 0, v[14:15]
	v_not_b32_e32 v18, v18
	v_xor_b32_e32 v10, v16, v10
	v_xor_b32_e32 v12, v17, v12
	;; [unrolled: 1-line block ×3, first 2 shown]
	s_wait_alu 0xfffd
	v_cndmask_b32_e64 v20, 0x7fffffff, 0, vcc_lo
	v_xor_b32_e32 v14, v18, v14
	s_delay_alu instid0(VALU_DEP_2)
	v_xor_b32_e32 v15, v20, v15
.LBB187_92:
	s_wait_loadcnt_dscnt 0x0
	s_barrier_signal -1
	s_barrier_wait -1
	global_inv scope:SCOPE_SE
	ds_store_2addr_b64 v114, v[0:1], v[2:3] offset1:1
	ds_store_2addr_b64 v114, v[4:5], v[6:7] offset0:2 offset1:3
	ds_store_2addr_b64 v114, v[8:9], v[10:11] offset0:4 offset1:5
	;; [unrolled: 1-line block ×3, first 2 shown]
	s_wait_loadcnt_dscnt 0x0
	s_barrier_signal -1
	s_barrier_wait -1
	global_inv scope:SCOPE_SE
	ds_load_b64 v[14:15], v107 offset:1024
	ds_load_b64 v[12:13], v108 offset:2048
	;; [unrolled: 1-line block ×7, first 2 shown]
	v_mov_b32_e32 v72, 0
	s_delay_alu instid0(VALU_DEP_1) | instskip(NEXT) | instid1(VALU_DEP_1)
	v_lshlrev_b64_e32 v[2:3], 3, v[71:72]
	v_add_co_u32 v2, vcc_lo, s30, v2
	s_wait_alu 0xfffd
	s_delay_alu instid0(VALU_DEP_2)
	v_add_co_ci_u32_e64 v3, null, s31, v3, vcc_lo
	s_and_saveexec_b32 s8, s0
	s_cbranch_execnz .LBB187_111
; %bb.93:
	s_wait_alu 0xfffe
	s_or_b32 exec_lo, exec_lo, s8
	s_and_saveexec_b32 s8, s1
	s_cbranch_execnz .LBB187_112
.LBB187_94:
	s_wait_alu 0xfffe
	s_or_b32 exec_lo, exec_lo, s8
	s_and_saveexec_b32 s8, s2
	s_cbranch_execnz .LBB187_113
.LBB187_95:
	s_wait_alu 0xfffe
	s_or_b32 exec_lo, exec_lo, s8
	s_and_saveexec_b32 s8, s3
	s_cbranch_execnz .LBB187_114
.LBB187_96:
	s_wait_alu 0xfffe
	s_or_b32 exec_lo, exec_lo, s8
	s_and_saveexec_b32 s8, s4
	s_cbranch_execnz .LBB187_115
.LBB187_97:
	s_wait_alu 0xfffe
	s_or_b32 exec_lo, exec_lo, s8
	s_and_saveexec_b32 s8, s5
	s_cbranch_execnz .LBB187_116
.LBB187_98:
	s_wait_alu 0xfffe
	s_or_b32 exec_lo, exec_lo, s8
	s_and_saveexec_b32 s8, s6
	s_cbranch_execnz .LBB187_117
.LBB187_99:
	s_wait_alu 0xfffe
	s_or_b32 exec_lo, exec_lo, s8
	s_and_saveexec_b32 s8, s7
	s_cbranch_execz .LBB187_101
.LBB187_100:
	s_mul_i32 s10, s22, 0x380
	s_mov_b32 s11, 0
	s_wait_alu 0xfffe
	s_lshl_b64 s[10:11], s[10:11], 3
	s_wait_alu 0xfffe
	v_add_co_u32 v2, vcc_lo, v2, s10
	s_wait_alu 0xfffd
	v_add_co_ci_u32_e64 v3, null, s11, v3, vcc_lo
	s_wait_dscnt 0x0
	global_store_b64 v[2:3], v[0:1], off
.LBB187_101:
	s_wait_alu 0xfffe
	s_or_b32 exec_lo, exec_lo, s8
	s_wait_storecnt 0x0
	s_wait_loadcnt_dscnt 0x0
	s_barrier_signal -1
	s_barrier_wait -1
	global_inv scope:SCOPE_SE
	ds_store_2addr_b64 v114, v[52:53], v[54:55] offset1:1
	ds_store_2addr_b64 v114, v[48:49], v[50:51] offset0:2 offset1:3
	ds_store_2addr_b64 v114, v[60:61], v[62:63] offset0:4 offset1:5
	;; [unrolled: 1-line block ×3, first 2 shown]
	s_wait_loadcnt_dscnt 0x0
	s_barrier_signal -1
	s_barrier_wait -1
	global_inv scope:SCOPE_SE
	ds_load_b64 v[14:15], v107 offset:1024
	ds_load_b64 v[12:13], v108 offset:2048
	;; [unrolled: 1-line block ×7, first 2 shown]
	v_mov_b32_e32 v69, 0
	s_delay_alu instid0(VALU_DEP_1) | instskip(NEXT) | instid1(VALU_DEP_1)
	v_lshlrev_b64_e32 v[2:3], 3, v[68:69]
	v_add_co_u32 v2, vcc_lo, s34, v2
	s_wait_alu 0xfffd
	s_delay_alu instid0(VALU_DEP_2)
	v_add_co_ci_u32_e64 v3, null, s35, v3, vcc_lo
	s_and_saveexec_b32 s8, s0
	s_cbranch_execnz .LBB187_118
; %bb.102:
	s_wait_alu 0xfffe
	s_or_b32 exec_lo, exec_lo, s8
	s_and_saveexec_b32 s0, s1
	s_cbranch_execnz .LBB187_119
.LBB187_103:
	s_or_b32 exec_lo, exec_lo, s0
	s_and_saveexec_b32 s0, s2
	s_cbranch_execnz .LBB187_120
.LBB187_104:
	s_or_b32 exec_lo, exec_lo, s0
	s_and_saveexec_b32 s0, s3
	s_cbranch_execnz .LBB187_121
.LBB187_105:
	s_or_b32 exec_lo, exec_lo, s0
	s_and_saveexec_b32 s0, s4
	s_cbranch_execnz .LBB187_122
.LBB187_106:
	s_or_b32 exec_lo, exec_lo, s0
	s_and_saveexec_b32 s0, s5
	s_cbranch_execnz .LBB187_123
.LBB187_107:
	s_or_b32 exec_lo, exec_lo, s0
	s_and_saveexec_b32 s0, s6
	s_cbranch_execnz .LBB187_124
.LBB187_108:
	s_or_b32 exec_lo, exec_lo, s0
	s_and_saveexec_b32 s0, s7
	s_cbranch_execz .LBB187_110
.LBB187_109:
	s_mul_i32 s0, s28, 0x380
	s_mov_b32 s1, 0
	s_delay_alu instid0(SALU_CYCLE_1) | instskip(NEXT) | instid1(SALU_CYCLE_1)
	s_lshl_b64 s[0:1], s[0:1], 3
	v_add_co_u32 v2, vcc_lo, v2, s0
	s_wait_alu 0xfffd
	v_add_co_ci_u32_e64 v3, null, s1, v3, vcc_lo
	s_wait_dscnt 0x0
	global_store_b64 v[2:3], v[0:1], off
.LBB187_110:
	s_nop 0
	s_sendmsg sendmsg(MSG_DEALLOC_VGPRS)
	s_endpgm
.LBB187_111:
	ds_load_b64 v[16:17], v106
	s_wait_dscnt 0x0
	global_store_b64 v[2:3], v[16:17], off
	s_wait_alu 0xfffe
	s_or_b32 exec_lo, exec_lo, s8
	s_and_saveexec_b32 s8, s1
	s_cbranch_execz .LBB187_94
.LBB187_112:
	s_lshl_b32 s10, s22, 7
	s_mov_b32 s11, 0
	s_wait_alu 0xfffe
	s_lshl_b64 s[10:11], s[10:11], 3
	s_wait_alu 0xfffe
	v_add_co_u32 v16, vcc_lo, v2, s10
	s_wait_alu 0xfffd
	v_add_co_ci_u32_e64 v17, null, s11, v3, vcc_lo
	s_wait_dscnt 0x6
	global_store_b64 v[16:17], v[14:15], off
	s_or_b32 exec_lo, exec_lo, s8
	s_and_saveexec_b32 s8, s2
	s_cbranch_execz .LBB187_95
.LBB187_113:
	s_lshl_b32 s10, s22, 8
	s_mov_b32 s11, 0
	s_wait_alu 0xfffe
	s_lshl_b64 s[10:11], s[10:11], 3
	s_wait_dscnt 0x6
	s_wait_alu 0xfffe
	v_add_co_u32 v14, vcc_lo, v2, s10
	s_wait_alu 0xfffd
	v_add_co_ci_u32_e64 v15, null, s11, v3, vcc_lo
	s_wait_dscnt 0x5
	global_store_b64 v[14:15], v[12:13], off
	s_or_b32 exec_lo, exec_lo, s8
	s_and_saveexec_b32 s8, s3
	s_cbranch_execz .LBB187_96
.LBB187_114:
	s_mul_i32 s10, s22, 0x180
	s_mov_b32 s11, 0
	s_wait_alu 0xfffe
	s_lshl_b64 s[10:11], s[10:11], 3
	s_wait_dscnt 0x5
	s_wait_alu 0xfffe
	v_add_co_u32 v12, vcc_lo, v2, s10
	s_wait_alu 0xfffd
	v_add_co_ci_u32_e64 v13, null, s11, v3, vcc_lo
	s_wait_dscnt 0x4
	global_store_b64 v[12:13], v[10:11], off
	s_or_b32 exec_lo, exec_lo, s8
	s_and_saveexec_b32 s8, s4
	s_cbranch_execz .LBB187_97
.LBB187_115:
	s_lshl_b32 s10, s22, 9
	s_mov_b32 s11, 0
	s_wait_alu 0xfffe
	s_lshl_b64 s[10:11], s[10:11], 3
	s_wait_dscnt 0x4
	s_wait_alu 0xfffe
	v_add_co_u32 v10, vcc_lo, v2, s10
	s_wait_alu 0xfffd
	v_add_co_ci_u32_e64 v11, null, s11, v3, vcc_lo
	s_wait_dscnt 0x3
	global_store_b64 v[10:11], v[8:9], off
	s_or_b32 exec_lo, exec_lo, s8
	s_and_saveexec_b32 s8, s5
	s_cbranch_execz .LBB187_98
.LBB187_116:
	s_mul_i32 s10, s22, 0x280
	s_mov_b32 s11, 0
	s_wait_alu 0xfffe
	s_lshl_b64 s[10:11], s[10:11], 3
	s_wait_dscnt 0x3
	s_wait_alu 0xfffe
	v_add_co_u32 v8, vcc_lo, v2, s10
	s_wait_alu 0xfffd
	v_add_co_ci_u32_e64 v9, null, s11, v3, vcc_lo
	s_wait_dscnt 0x2
	global_store_b64 v[8:9], v[6:7], off
	s_or_b32 exec_lo, exec_lo, s8
	s_and_saveexec_b32 s8, s6
	s_cbranch_execz .LBB187_99
.LBB187_117:
	s_mul_i32 s10, s22, 0x300
	s_mov_b32 s11, 0
	s_wait_alu 0xfffe
	s_lshl_b64 s[10:11], s[10:11], 3
	s_wait_dscnt 0x2
	s_wait_alu 0xfffe
	v_add_co_u32 v6, vcc_lo, v2, s10
	s_wait_alu 0xfffd
	v_add_co_ci_u32_e64 v7, null, s11, v3, vcc_lo
	s_wait_dscnt 0x1
	global_store_b64 v[6:7], v[4:5], off
	s_or_b32 exec_lo, exec_lo, s8
	s_and_saveexec_b32 s8, s7
	s_cbranch_execnz .LBB187_100
	s_branch .LBB187_101
.LBB187_118:
	ds_load_b64 v[16:17], v106
	s_wait_dscnt 0x0
	global_store_b64 v[2:3], v[16:17], off
	s_wait_alu 0xfffe
	s_or_b32 exec_lo, exec_lo, s8
	s_and_saveexec_b32 s0, s1
	s_cbranch_execz .LBB187_103
.LBB187_119:
	s_lshl_b32 s8, s28, 7
	s_mov_b32 s9, 0
	s_wait_alu 0xfffe
	s_lshl_b64 s[8:9], s[8:9], 3
	s_wait_alu 0xfffe
	v_add_co_u32 v16, vcc_lo, v2, s8
	s_wait_alu 0xfffd
	v_add_co_ci_u32_e64 v17, null, s9, v3, vcc_lo
	s_wait_dscnt 0x6
	global_store_b64 v[16:17], v[14:15], off
	s_or_b32 exec_lo, exec_lo, s0
	s_and_saveexec_b32 s0, s2
	s_cbranch_execz .LBB187_104
.LBB187_120:
	s_lshl_b32 s8, s28, 8
	s_mov_b32 s9, 0
	s_wait_alu 0xfffe
	s_lshl_b64 s[8:9], s[8:9], 3
	s_wait_dscnt 0x6
	s_wait_alu 0xfffe
	v_add_co_u32 v14, vcc_lo, v2, s8
	s_wait_alu 0xfffd
	v_add_co_ci_u32_e64 v15, null, s9, v3, vcc_lo
	s_wait_dscnt 0x5
	global_store_b64 v[14:15], v[12:13], off
	s_or_b32 exec_lo, exec_lo, s0
	s_and_saveexec_b32 s0, s3
	s_cbranch_execz .LBB187_105
.LBB187_121:
	s_mul_i32 s2, s28, 0x180
	s_mov_b32 s3, 0
	s_wait_alu 0xfffe
	s_lshl_b64 s[2:3], s[2:3], 3
	s_wait_dscnt 0x5
	s_wait_alu 0xfffe
	v_add_co_u32 v12, vcc_lo, v2, s2
	s_wait_alu 0xfffd
	v_add_co_ci_u32_e64 v13, null, s3, v3, vcc_lo
	s_wait_dscnt 0x4
	global_store_b64 v[12:13], v[10:11], off
	s_or_b32 exec_lo, exec_lo, s0
	s_and_saveexec_b32 s0, s4
	s_cbranch_execz .LBB187_106
.LBB187_122:
	s_lshl_b32 s2, s28, 9
	s_mov_b32 s3, 0
	s_wait_alu 0xfffe
	s_lshl_b64 s[2:3], s[2:3], 3
	s_wait_dscnt 0x4
	s_wait_alu 0xfffe
	v_add_co_u32 v10, vcc_lo, v2, s2
	s_wait_alu 0xfffd
	v_add_co_ci_u32_e64 v11, null, s3, v3, vcc_lo
	s_wait_dscnt 0x3
	global_store_b64 v[10:11], v[8:9], off
	s_or_b32 exec_lo, exec_lo, s0
	s_and_saveexec_b32 s0, s5
	s_cbranch_execz .LBB187_107
.LBB187_123:
	s_mul_i32 s2, s28, 0x280
	s_mov_b32 s3, 0
	s_wait_alu 0xfffe
	s_lshl_b64 s[2:3], s[2:3], 3
	s_wait_dscnt 0x3
	s_wait_alu 0xfffe
	v_add_co_u32 v8, vcc_lo, v2, s2
	s_wait_alu 0xfffd
	v_add_co_ci_u32_e64 v9, null, s3, v3, vcc_lo
	s_wait_dscnt 0x2
	global_store_b64 v[8:9], v[6:7], off
	s_or_b32 exec_lo, exec_lo, s0
	s_and_saveexec_b32 s0, s6
	s_cbranch_execz .LBB187_108
.LBB187_124:
	s_mul_i32 s2, s28, 0x300
	s_mov_b32 s3, 0
	s_wait_alu 0xfffe
	s_lshl_b64 s[2:3], s[2:3], 3
	s_wait_dscnt 0x2
	s_wait_alu 0xfffe
	v_add_co_u32 v6, vcc_lo, v2, s2
	s_wait_alu 0xfffd
	v_add_co_ci_u32_e64 v7, null, s3, v3, vcc_lo
	s_wait_dscnt 0x1
	global_store_b64 v[6:7], v[4:5], off
	s_or_b32 exec_lo, exec_lo, s0
	s_and_saveexec_b32 s0, s7
	s_cbranch_execnz .LBB187_109
	s_branch .LBB187_110
	.section	.rodata,"a",@progbits
	.p2align	6, 0x0
	.amdhsa_kernel _ZN2at6native18radixSortKVInPlaceILi2ELin1ELi128ELi8EdljEEvNS_4cuda6detail10TensorInfoIT3_T5_EES6_S6_S6_NS4_IT4_S6_EES6_b
		.amdhsa_group_segment_fixed_size 8448
		.amdhsa_private_segment_fixed_size 0
		.amdhsa_kernarg_size 712
		.amdhsa_user_sgpr_count 2
		.amdhsa_user_sgpr_dispatch_ptr 0
		.amdhsa_user_sgpr_queue_ptr 0
		.amdhsa_user_sgpr_kernarg_segment_ptr 1
		.amdhsa_user_sgpr_dispatch_id 0
		.amdhsa_user_sgpr_private_segment_size 0
		.amdhsa_wavefront_size32 1
		.amdhsa_uses_dynamic_stack 0
		.amdhsa_enable_private_segment 0
		.amdhsa_system_sgpr_workgroup_id_x 1
		.amdhsa_system_sgpr_workgroup_id_y 1
		.amdhsa_system_sgpr_workgroup_id_z 1
		.amdhsa_system_sgpr_workgroup_info 0
		.amdhsa_system_vgpr_workitem_id 2
		.amdhsa_next_free_vgpr 143
		.amdhsa_next_free_sgpr 40
		.amdhsa_reserve_vcc 1
		.amdhsa_float_round_mode_32 0
		.amdhsa_float_round_mode_16_64 0
		.amdhsa_float_denorm_mode_32 3
		.amdhsa_float_denorm_mode_16_64 3
		.amdhsa_fp16_overflow 0
		.amdhsa_workgroup_processor_mode 1
		.amdhsa_memory_ordered 1
		.amdhsa_forward_progress 1
		.amdhsa_inst_pref_size 124
		.amdhsa_round_robin_scheduling 0
		.amdhsa_exception_fp_ieee_invalid_op 0
		.amdhsa_exception_fp_denorm_src 0
		.amdhsa_exception_fp_ieee_div_zero 0
		.amdhsa_exception_fp_ieee_overflow 0
		.amdhsa_exception_fp_ieee_underflow 0
		.amdhsa_exception_fp_ieee_inexact 0
		.amdhsa_exception_int_div_zero 0
	.end_amdhsa_kernel
	.section	.text._ZN2at6native18radixSortKVInPlaceILi2ELin1ELi128ELi8EdljEEvNS_4cuda6detail10TensorInfoIT3_T5_EES6_S6_S6_NS4_IT4_S6_EES6_b,"axG",@progbits,_ZN2at6native18radixSortKVInPlaceILi2ELin1ELi128ELi8EdljEEvNS_4cuda6detail10TensorInfoIT3_T5_EES6_S6_S6_NS4_IT4_S6_EES6_b,comdat
.Lfunc_end187:
	.size	_ZN2at6native18radixSortKVInPlaceILi2ELin1ELi128ELi8EdljEEvNS_4cuda6detail10TensorInfoIT3_T5_EES6_S6_S6_NS4_IT4_S6_EES6_b, .Lfunc_end187-_ZN2at6native18radixSortKVInPlaceILi2ELin1ELi128ELi8EdljEEvNS_4cuda6detail10TensorInfoIT3_T5_EES6_S6_S6_NS4_IT4_S6_EES6_b
                                        ; -- End function
	.set _ZN2at6native18radixSortKVInPlaceILi2ELin1ELi128ELi8EdljEEvNS_4cuda6detail10TensorInfoIT3_T5_EES6_S6_S6_NS4_IT4_S6_EES6_b.num_vgpr, 143
	.set _ZN2at6native18radixSortKVInPlaceILi2ELin1ELi128ELi8EdljEEvNS_4cuda6detail10TensorInfoIT3_T5_EES6_S6_S6_NS4_IT4_S6_EES6_b.num_agpr, 0
	.set _ZN2at6native18radixSortKVInPlaceILi2ELin1ELi128ELi8EdljEEvNS_4cuda6detail10TensorInfoIT3_T5_EES6_S6_S6_NS4_IT4_S6_EES6_b.numbered_sgpr, 40
	.set _ZN2at6native18radixSortKVInPlaceILi2ELin1ELi128ELi8EdljEEvNS_4cuda6detail10TensorInfoIT3_T5_EES6_S6_S6_NS4_IT4_S6_EES6_b.num_named_barrier, 0
	.set _ZN2at6native18radixSortKVInPlaceILi2ELin1ELi128ELi8EdljEEvNS_4cuda6detail10TensorInfoIT3_T5_EES6_S6_S6_NS4_IT4_S6_EES6_b.private_seg_size, 0
	.set _ZN2at6native18radixSortKVInPlaceILi2ELin1ELi128ELi8EdljEEvNS_4cuda6detail10TensorInfoIT3_T5_EES6_S6_S6_NS4_IT4_S6_EES6_b.uses_vcc, 1
	.set _ZN2at6native18radixSortKVInPlaceILi2ELin1ELi128ELi8EdljEEvNS_4cuda6detail10TensorInfoIT3_T5_EES6_S6_S6_NS4_IT4_S6_EES6_b.uses_flat_scratch, 0
	.set _ZN2at6native18radixSortKVInPlaceILi2ELin1ELi128ELi8EdljEEvNS_4cuda6detail10TensorInfoIT3_T5_EES6_S6_S6_NS4_IT4_S6_EES6_b.has_dyn_sized_stack, 0
	.set _ZN2at6native18radixSortKVInPlaceILi2ELin1ELi128ELi8EdljEEvNS_4cuda6detail10TensorInfoIT3_T5_EES6_S6_S6_NS4_IT4_S6_EES6_b.has_recursion, 0
	.set _ZN2at6native18radixSortKVInPlaceILi2ELin1ELi128ELi8EdljEEvNS_4cuda6detail10TensorInfoIT3_T5_EES6_S6_S6_NS4_IT4_S6_EES6_b.has_indirect_call, 0
	.section	.AMDGPU.csdata,"",@progbits
; Kernel info:
; codeLenInByte = 15868
; TotalNumSgprs: 42
; NumVgprs: 143
; ScratchSize: 0
; MemoryBound: 0
; FloatMode: 240
; IeeeMode: 1
; LDSByteSize: 8448 bytes/workgroup (compile time only)
; SGPRBlocks: 0
; VGPRBlocks: 17
; NumSGPRsForWavesPerEU: 42
; NumVGPRsForWavesPerEU: 143
; Occupancy: 10
; WaveLimiterHint : 1
; COMPUTE_PGM_RSRC2:SCRATCH_EN: 0
; COMPUTE_PGM_RSRC2:USER_SGPR: 2
; COMPUTE_PGM_RSRC2:TRAP_HANDLER: 0
; COMPUTE_PGM_RSRC2:TGID_X_EN: 1
; COMPUTE_PGM_RSRC2:TGID_Y_EN: 1
; COMPUTE_PGM_RSRC2:TGID_Z_EN: 1
; COMPUTE_PGM_RSRC2:TIDIG_COMP_CNT: 2
	.section	.text._ZN2at6native18radixSortKVInPlaceILi2ELin1ELi32ELi4EdljEEvNS_4cuda6detail10TensorInfoIT3_T5_EES6_S6_S6_NS4_IT4_S6_EES6_b,"axG",@progbits,_ZN2at6native18radixSortKVInPlaceILi2ELin1ELi32ELi4EdljEEvNS_4cuda6detail10TensorInfoIT3_T5_EES6_S6_S6_NS4_IT4_S6_EES6_b,comdat
	.protected	_ZN2at6native18radixSortKVInPlaceILi2ELin1ELi32ELi4EdljEEvNS_4cuda6detail10TensorInfoIT3_T5_EES6_S6_S6_NS4_IT4_S6_EES6_b ; -- Begin function _ZN2at6native18radixSortKVInPlaceILi2ELin1ELi32ELi4EdljEEvNS_4cuda6detail10TensorInfoIT3_T5_EES6_S6_S6_NS4_IT4_S6_EES6_b
	.globl	_ZN2at6native18radixSortKVInPlaceILi2ELin1ELi32ELi4EdljEEvNS_4cuda6detail10TensorInfoIT3_T5_EES6_S6_S6_NS4_IT4_S6_EES6_b
	.p2align	8
	.type	_ZN2at6native18radixSortKVInPlaceILi2ELin1ELi32ELi4EdljEEvNS_4cuda6detail10TensorInfoIT3_T5_EES6_S6_S6_NS4_IT4_S6_EES6_b,@function
_ZN2at6native18radixSortKVInPlaceILi2ELin1ELi32ELi4EdljEEvNS_4cuda6detail10TensorInfoIT3_T5_EES6_S6_S6_NS4_IT4_S6_EES6_b: ; @_ZN2at6native18radixSortKVInPlaceILi2ELin1ELi32ELi4EdljEEvNS_4cuda6detail10TensorInfoIT3_T5_EES6_S6_S6_NS4_IT4_S6_EES6_b
; %bb.0:
	s_clause 0x1
	s_load_b64 s[2:3], s[0:1], 0x1c8
	s_load_b96 s[12:14], s[0:1], 0xd8
	s_lshr_b32 s4, ttmp7, 16
	s_wait_kmcnt 0x0
	s_mul_i32 s3, s3, s4
	s_and_b32 s4, ttmp7, 0xffff
	s_delay_alu instid0(SALU_CYCLE_1) | instskip(NEXT) | instid1(SALU_CYCLE_1)
	s_add_co_i32 s3, s3, s4
	s_mul_i32 s2, s3, s2
	s_delay_alu instid0(SALU_CYCLE_1) | instskip(NEXT) | instid1(SALU_CYCLE_1)
	s_add_co_i32 s2, s2, ttmp9
	s_cmp_ge_u32 s2, s12
	s_cbranch_scc1 .LBB188_62
; %bb.1:
	s_clause 0x2
	s_load_b32 s10, s[0:1], 0xc
	s_load_b64 s[6:7], s[0:1], 0x6c
	s_load_b32 s8, s[0:1], 0x1b8
	s_add_nc_u64 s[24:25], s[0:1], 0xe8
	s_mov_b32 s12, s2
	s_wait_kmcnt 0x0
	s_cvt_f32_u32 s3, s10
	s_delay_alu instid0(SALU_CYCLE_3) | instskip(NEXT) | instid1(TRANS32_DEP_1)
	v_rcp_iflag_f32_e32 v1, s3
	v_readfirstlane_b32 s3, v1
	s_mul_f32 s3, s3, 0x4f7ffffe
	s_wait_alu 0xfffe
	s_delay_alu instid0(SALU_CYCLE_2) | instskip(SKIP_2) | instid1(SALU_CYCLE_1)
	s_cvt_u32_f32 s4, s3
	s_sub_co_i32 s3, 0, s10
	s_wait_alu 0xfffe
	s_mul_i32 s5, s3, s4
	s_mov_b32 s3, 0
	s_mul_hi_u32 s9, s4, s5
	s_wait_alu 0xfffe
	s_mov_b32 s5, s3
	s_add_co_i32 s4, s4, s9
	s_cmp_lt_i32 s8, 2
	s_mov_b32 s23, s3
	s_cbranch_scc1 .LBB188_4
; %bb.2:
	s_add_co_i32 s22, s8, -1
	s_mov_b32 s23, 0
	s_add_co_i32 s11, s8, 1
	s_lshl_b64 s[16:17], s[22:23], 2
	s_mov_b32 s12, s2
	s_add_nc_u64 s[16:17], s[24:25], s[16:17]
	s_delay_alu instid0(SALU_CYCLE_1)
	s_add_nc_u64 s[8:9], s[16:17], 8
.LBB188_3:                              ; =>This Inner Loop Header: Depth=1
	s_clause 0x1
	s_load_b32 s15, s[8:9], 0x0
	s_load_b32 s16, s[8:9], 0x64
	s_mov_b32 s19, s12
	s_add_nc_u64 s[8:9], s[8:9], -4
	s_wait_kmcnt 0x0
	s_cvt_f32_u32 s17, s15
	s_sub_co_i32 s18, 0, s15
	s_wait_alu 0xfffe
	s_delay_alu instid0(SALU_CYCLE_1) | instskip(NEXT) | instid1(TRANS32_DEP_1)
	v_rcp_iflag_f32_e32 v1, s17
	v_readfirstlane_b32 s17, v1
	s_mul_f32 s17, s17, 0x4f7ffffe
	s_wait_alu 0xfffe
	s_delay_alu instid0(SALU_CYCLE_2) | instskip(SKIP_1) | instid1(SALU_CYCLE_2)
	s_cvt_u32_f32 s17, s17
	s_wait_alu 0xfffe
	s_mul_i32 s18, s18, s17
	s_delay_alu instid0(SALU_CYCLE_1) | instskip(NEXT) | instid1(SALU_CYCLE_1)
	s_mul_hi_u32 s18, s17, s18
	s_add_co_i32 s17, s17, s18
	s_wait_alu 0xfffe
	s_mul_hi_u32 s12, s12, s17
	s_delay_alu instid0(SALU_CYCLE_1)
	s_mul_i32 s17, s12, s15
	s_add_co_i32 s18, s12, 1
	s_wait_alu 0xfffe
	s_sub_co_i32 s17, s19, s17
	s_wait_alu 0xfffe
	s_sub_co_i32 s20, s17, s15
	s_cmp_ge_u32 s17, s15
	s_cselect_b32 s12, s18, s12
	s_cselect_b32 s17, s20, s17
	s_add_co_i32 s18, s12, 1
	s_wait_alu 0xfffe
	s_cmp_ge_u32 s17, s15
	s_cselect_b32 s12, s18, s12
	s_add_co_i32 s11, s11, -1
	s_mul_i32 s15, s12, s15
	s_delay_alu instid0(SALU_CYCLE_1) | instskip(NEXT) | instid1(SALU_CYCLE_1)
	s_sub_co_i32 s15, s19, s15
	s_mul_i32 s15, s16, s15
	s_delay_alu instid0(SALU_CYCLE_1)
	s_add_co_i32 s23, s15, s23
	s_cmp_gt_u32 s11, 2
	s_cbranch_scc1 .LBB188_3
.LBB188_4:
	s_mul_u64 s[4:5], s[2:3], s[4:5]
	s_clause 0x1
	s_load_b64 s[18:19], s[0:1], 0x0
	s_load_b64 s[16:17], s[0:1], 0x1c0
	s_mul_i32 s3, s5, s10
	s_add_nc_u64 s[20:21], s[0:1], 0x1c8
	s_wait_alu 0xfffe
	s_sub_co_i32 s0, s2, s3
	s_add_co_i32 s1, s5, 1
	s_sub_co_i32 s3, s0, s10
	s_cmp_ge_u32 s0, s10
	s_mov_b32 s4, -1
	s_cselect_b32 s1, s1, s5
	s_wait_alu 0xfffe
	s_cselect_b32 s0, s3, s0
	s_add_co_i32 s3, s1, 1
	s_cmp_ge_u32 s0, s10
	s_mov_b32 s8, s4
	s_wait_alu 0xfffe
	s_cselect_b32 s0, s3, s1
	s_mov_b32 s1, 0
	s_mul_i32 s3, s0, s10
	s_mul_i32 s0, s0, s6
	s_wait_alu 0xfffe
	s_sub_co_i32 s2, s2, s3
	s_mov_b32 s6, s4
	s_wait_alu 0xfffe
	s_mul_i32 s2, s2, s7
	s_mov_b32 s10, s4
	s_wait_alu 0xfffe
	s_add_co_i32 s0, s0, s2
	s_wait_kmcnt 0x0
	s_bitcmp1_b32 s17, 0
	s_cselect_b32 s15, -1, 0
	s_lshl_b64 s[2:3], s[0:1], 3
	s_and_b32 s0, s15, exec_lo
	s_cselect_b32 s5, -1, 0x7fffffff
	s_wait_alu 0xfffe
	s_add_nc_u64 s[18:19], s[18:19], s[2:3]
	s_mov_b32 s7, s5
	s_mov_b32 s9, s5
	;; [unrolled: 1-line block ×3, first 2 shown]
	v_dual_mov_b32 v1, s4 :: v_dual_and_b32 v36, 0x3ff, v0
	v_mov_b32_e32 v10, s5
	v_dual_mov_b32 v2, s5 :: v_dual_mov_b32 v3, s6
	s_delay_alu instid0(VALU_DEP_3)
	v_mul_lo_u32 v32, s14, v36
	v_cmp_gt_u32_e64 s0, s13, v36
	v_dual_mov_b32 v4, s7 :: v_dual_mov_b32 v5, s8
	v_dual_mov_b32 v6, s9 :: v_dual_mov_b32 v7, s10
	;; [unrolled: 1-line block ×3, first 2 shown]
	s_and_saveexec_b32 s1, s0
	s_cbranch_execz .LBB188_6
; %bb.5:
	v_mov_b32_e32 v33, 0
	s_delay_alu instid0(VALU_DEP_1) | instskip(NEXT) | instid1(VALU_DEP_1)
	v_lshlrev_b64_e32 v[1:2], 3, v[32:33]
	v_add_co_u32 v1, vcc_lo, s18, v1
	s_delay_alu instid0(VALU_DEP_1)
	v_add_co_ci_u32_e64 v2, null, s19, v2, vcc_lo
	global_load_b64 v[9:10], v[1:2], off
	v_dual_mov_b32 v1, s4 :: v_dual_mov_b32 v4, s7
	v_dual_mov_b32 v3, s6 :: v_dual_mov_b32 v6, s9
	;; [unrolled: 1-line block ×4, first 2 shown]
.LBB188_6:
	s_or_b32 exec_lo, exec_lo, s1
	v_add_nc_u32_e32 v11, 32, v36
	s_delay_alu instid0(VALU_DEP_1)
	v_cmp_gt_u32_e64 s1, s13, v11
	s_and_saveexec_b32 s2, s1
	s_cbranch_execz .LBB188_8
; %bb.7:
	v_mul_lo_u32 v1, s14, v11
	v_mov_b32_e32 v2, 0
	s_delay_alu instid0(VALU_DEP_1) | instskip(NEXT) | instid1(VALU_DEP_1)
	v_lshlrev_b64_e32 v[1:2], 3, v[1:2]
	v_add_co_u32 v1, vcc_lo, s18, v1
	s_wait_alu 0xfffd
	s_delay_alu instid0(VALU_DEP_2)
	v_add_co_ci_u32_e64 v2, null, s19, v2, vcc_lo
	global_load_b64 v[3:4], v[1:2], off
.LBB188_8:
	s_wait_alu 0xfffe
	s_or_b32 exec_lo, exec_lo, s2
	v_add_nc_u32_e32 v12, 64, v36
	s_delay_alu instid0(VALU_DEP_1)
	v_cmp_gt_u32_e64 s2, s13, v12
	s_and_saveexec_b32 s3, s2
	s_cbranch_execz .LBB188_10
; %bb.9:
	v_mul_lo_u32 v1, s14, v12
	v_mov_b32_e32 v2, 0
	s_delay_alu instid0(VALU_DEP_1) | instskip(NEXT) | instid1(VALU_DEP_1)
	v_lshlrev_b64_e32 v[1:2], 3, v[1:2]
	v_add_co_u32 v1, vcc_lo, s18, v1
	s_wait_alu 0xfffd
	s_delay_alu instid0(VALU_DEP_2)
	v_add_co_ci_u32_e64 v2, null, s19, v2, vcc_lo
	global_load_b64 v[5:6], v[1:2], off
.LBB188_10:
	s_wait_alu 0xfffe
	s_or_b32 exec_lo, exec_lo, s3
	s_clause 0x1
	s_load_b32 s6, s[24:25], 0x6c
	s_load_b64 s[4:5], s[24:25], 0x0
	v_add_nc_u32_e32 v13, 0x60, v36
	s_delay_alu instid0(VALU_DEP_1)
	v_cmp_gt_u32_e64 s3, s13, v13
	s_and_saveexec_b32 s7, s3
	s_cbranch_execz .LBB188_12
; %bb.11:
	v_mul_lo_u32 v1, s14, v13
	v_mov_b32_e32 v2, 0
	s_delay_alu instid0(VALU_DEP_1) | instskip(NEXT) | instid1(VALU_DEP_1)
	v_lshlrev_b64_e32 v[1:2], 3, v[1:2]
	v_add_co_u32 v1, vcc_lo, s18, v1
	s_wait_alu 0xfffd
	s_delay_alu instid0(VALU_DEP_2)
	v_add_co_ci_u32_e64 v2, null, s19, v2, vcc_lo
	global_load_b64 v[7:8], v[1:2], off
.LBB188_12:
	s_wait_alu 0xfffe
	s_or_b32 exec_lo, exec_lo, s7
	v_lshrrev_b32_e32 v1, 2, v36
	v_lshrrev_b32_e32 v2, 2, v11
	v_lshlrev_b32_e32 v14, 3, v36
	v_lshrrev_b32_e32 v15, 2, v12
	v_lshrrev_b32_e32 v16, 2, v13
	v_and_b32_e32 v1, 0xf8, v1
	v_and_b32_e32 v2, 0x1f8, v2
	s_wait_kmcnt 0x0
	s_mul_i32 s6, s6, s12
	v_and_b32_e32 v15, 0x1f8, v15
	v_and_b32_e32 v16, 0x1f8, v16
	v_add_nc_u32_e32 v55, v1, v14
	v_and_b32_e32 v1, 0x3f8, v36
	v_add_nc_u32_e32 v56, v2, v14
	v_mul_lo_u32 v34, s16, v36
	s_wait_alu 0xfffe
	s_add_co_i32 s6, s6, s23
	s_wait_loadcnt 0x0
	ds_store_b64 v55, v[9:10]
	ds_store_b64 v56, v[3:4] offset:256
	v_lshl_add_u32 v59, v36, 5, v1
	v_mov_b32_e32 v1, 0
	v_dual_mov_b32 v2, 0 :: v_dual_add_nc_u32 v57, v15, v14
	v_add_nc_u32_e32 v58, v16, v14
	ds_store_b64 v57, v[5:6] offset:512
	ds_store_b64 v58, v[7:8] offset:768
	s_wait_dscnt 0x0
	; wave barrier
	global_inv scope:SCOPE_SE
	ds_load_2addr_b64 v[20:23], v59 offset1:1
	ds_load_2addr_b64 v[16:19], v59 offset0:2 offset1:3
	s_mov_b32 s7, 0
	v_mov_b32_e32 v3, 0
	v_mov_b32_e32 v4, 0
	s_wait_alu 0xfffe
	s_lshl_b64 s[6:7], s[6:7], 3
	s_wait_loadcnt_dscnt 0x0
	s_wait_alu 0xfffe
	s_add_nc_u64 s[12:13], s[4:5], s[6:7]
	; wave barrier
	global_inv scope:SCOPE_SE
	s_and_saveexec_b32 s4, s0
	s_cbranch_execz .LBB188_14
; %bb.13:
	v_mov_b32_e32 v35, 0
	s_delay_alu instid0(VALU_DEP_1) | instskip(SKIP_1) | instid1(VALU_DEP_1)
	v_lshlrev_b64_e32 v[3:4], 3, v[34:35]
	s_wait_alu 0xfffe
	v_add_co_u32 v3, vcc_lo, s12, v3
	s_wait_alu 0xfffd
	s_delay_alu instid0(VALU_DEP_2)
	v_add_co_ci_u32_e64 v4, null, s13, v4, vcc_lo
	global_load_b64 v[3:4], v[3:4], off
.LBB188_14:
	s_wait_alu 0xfffe
	s_or_b32 exec_lo, exec_lo, s4
	s_and_saveexec_b32 s4, s1
	s_cbranch_execz .LBB188_16
; %bb.15:
	v_mul_lo_u32 v1, s16, v11
	v_mov_b32_e32 v2, 0
	s_delay_alu instid0(VALU_DEP_1) | instskip(NEXT) | instid1(VALU_DEP_1)
	v_lshlrev_b64_e32 v[1:2], 3, v[1:2]
	v_add_co_u32 v1, vcc_lo, s12, v1
	s_wait_alu 0xfffd
	s_delay_alu instid0(VALU_DEP_2)
	v_add_co_ci_u32_e64 v2, null, s13, v2, vcc_lo
	global_load_b64 v[1:2], v[1:2], off
.LBB188_16:
	s_wait_alu 0xfffe
	s_or_b32 exec_lo, exec_lo, s4
	v_mov_b32_e32 v5, 0
	v_dual_mov_b32 v6, 0 :: v_dual_mov_b32 v7, 0
	v_mov_b32_e32 v8, 0
	s_and_saveexec_b32 s4, s2
	s_cbranch_execz .LBB188_18
; %bb.17:
	v_mul_lo_u32 v7, s16, v12
	v_mov_b32_e32 v8, 0
	s_delay_alu instid0(VALU_DEP_1) | instskip(NEXT) | instid1(VALU_DEP_1)
	v_lshlrev_b64_e32 v[7:8], 3, v[7:8]
	v_add_co_u32 v7, vcc_lo, s12, v7
	s_wait_alu 0xfffd
	s_delay_alu instid0(VALU_DEP_2)
	v_add_co_ci_u32_e64 v8, null, s13, v8, vcc_lo
	global_load_b64 v[7:8], v[7:8], off
.LBB188_18:
	s_wait_alu 0xfffe
	s_or_b32 exec_lo, exec_lo, s4
	s_xor_b32 s4, s15, -1
	s_and_saveexec_b32 s5, s3
	s_cbranch_execz .LBB188_20
; %bb.19:
	v_mul_lo_u32 v5, s16, v13
	v_mov_b32_e32 v6, 0
	s_delay_alu instid0(VALU_DEP_1) | instskip(NEXT) | instid1(VALU_DEP_1)
	v_lshlrev_b64_e32 v[5:6], 3, v[5:6]
	v_add_co_u32 v5, vcc_lo, s12, v5
	s_wait_alu 0xfffd
	s_delay_alu instid0(VALU_DEP_2)
	v_add_co_ci_u32_e64 v6, null, s13, v6, vcc_lo
	global_load_b64 v[5:6], v[5:6], off
.LBB188_20:
	s_wait_alu 0xfffe
	s_or_b32 exec_lo, exec_lo, s5
	s_wait_loadcnt 0x0
	ds_store_b64 v55, v[3:4]
	ds_store_b64 v56, v[1:2] offset:256
	ds_store_b64 v57, v[7:8] offset:512
	;; [unrolled: 1-line block ×3, first 2 shown]
	s_wait_dscnt 0x0
	; wave barrier
	global_inv scope:SCOPE_SE
	ds_load_2addr_b64 v[12:15], v59 offset1:1
	ds_load_2addr_b64 v[8:11], v59 offset0:2 offset1:3
	v_mbcnt_lo_u32_b32 v35, -1, 0
	v_lshlrev_b32_e32 v33, 2, v36
	s_and_b32 vcc_lo, exec_lo, s4
	v_bfe_u32 v64, v0, 10, 10
	v_bfe_u32 v65, v0, 20, 10
	v_and_b32_e32 v67, 3, v35
	v_and_b32_e32 v66, 28, v35
	v_ashrrev_i32_e32 v71, 31, v21
	v_ashrrev_i32_e32 v70, 31, v23
	;; [unrolled: 1-line block ×4, first 2 shown]
	v_cmp_eq_u32_e64 s8, 0, v67
	v_cmp_eq_u32_e64 s7, 1, v67
	;; [unrolled: 1-line block ×4, first 2 shown]
	v_lshlrev_b32_e32 v60, 5, v36
	v_and_b32_e32 v62, 15, v35
	v_and_b32_e32 v63, 16, v35
	v_cmp_eq_u32_e64 s4, 31, v36
	v_cmp_eq_u32_e64 s10, 0, v36
	v_and_or_b32 v61, 0xf80, v33, v35
	s_mov_b32 s9, -1
	; wave barrier
	s_wait_loadcnt_dscnt 0x0
	global_inv scope:SCOPE_SE
	s_wait_alu 0xfffe
	s_cbranch_vccz .LBB188_35
; %bb.21:
	v_cmp_lt_i64_e32 vcc_lo, -1, v[20:21]
	v_xor_b32_e32 v2, v71, v20
	v_xor_b32_e32 v4, v70, v22
	;; [unrolled: 1-line block ×4, first 2 shown]
	ds_bpermute_b32 v47, v66, v14 offset:96
	s_wait_alu 0xfffd
	v_cndmask_b32_e64 v0, -1, 0x80000000, vcc_lo
	v_cmp_lt_i64_e32 vcc_lo, -1, v[22:23]
	ds_bpermute_b32 v3, v66, v2
	ds_bpermute_b32 v7, v66, v4
	;; [unrolled: 1-line block ×3, first 2 shown]
	v_xor_b32_e32 v0, v0, v21
	ds_bpermute_b32 v31, v66, v2 offset:32
	s_wait_alu 0xfffd
	v_cndmask_b32_e64 v1, -1, 0x80000000, vcc_lo
	v_cmp_lt_i64_e32 vcc_lo, -1, v[16:17]
	ds_bpermute_b32 v37, v66, v4 offset:32
	ds_bpermute_b32 v28, v66, v0 offset:32
	;; [unrolled: 1-line block ×3, first 2 shown]
	v_xor_b32_e32 v5, v1, v23
	ds_bpermute_b32 v1, v66, v0
	s_wait_alu 0xfffd
	v_cndmask_b32_e64 v24, -1, 0x80000000, vcc_lo
	v_cmp_lt_i64_e32 vcc_lo, -1, v[18:19]
	ds_bpermute_b32 v43, v66, v4 offset:64
	ds_bpermute_b32 v26, v66, v5
	ds_bpermute_b32 v38, v66, v5 offset:32
	v_xor_b32_e32 v24, v24, v17
	ds_bpermute_b32 v42, v66, v5 offset:64
	s_wait_alu 0xfffd
	v_cndmask_b32_e64 v27, -1, 0x80000000, vcc_lo
	s_wait_dscnt 0xb
	s_wait_alu 0xf1ff
	v_cndmask_b32_e64 v3, 0, v3, s8
	ds_bpermute_b32 v46, v66, v6 offset:64
	ds_bpermute_b32 v30, v66, v24
	ds_bpermute_b32 v40, v66, v24 offset:32
	v_xor_b32_e32 v27, v27, v19
	s_wait_dscnt 0xd
	v_cndmask_b32_e64 v3, v3, v7, s7
	ds_bpermute_b32 v7, v66, v2 offset:64
	s_wait_dscnt 0xc
	v_cndmask_b32_e64 v31, 0, v31, s8
	s_wait_dscnt 0xa
	v_cndmask_b32_e64 v28, 0, v28, s8
	ds_bpermute_b32 v39, v66, v27
	v_cndmask_b32_e64 v3, v3, v25, s6
	s_wait_dscnt 0x9
	v_cndmask_b32_e64 v1, 0, v1, s8
	ds_bpermute_b32 v25, v66, v29
	ds_bpermute_b32 v44, v66, v27 offset:32
	ds_bpermute_b32 v4, v66, v4 offset:96
	;; [unrolled: 1-line block ×3, first 2 shown]
	s_wait_dscnt 0xb
	v_cndmask_b32_e64 v1, v1, v26, s7
	ds_bpermute_b32 v26, v66, v6 offset:32
	s_wait_dscnt 0xb
	v_cndmask_b32_e64 v28, v28, v38, s7
	ds_bpermute_b32 v38, v66, v27 offset:64
	ds_bpermute_b32 v27, v66, v27 offset:96
	;; [unrolled: 1-line block ×3, first 2 shown]
	s_wait_dscnt 0xb
	v_cndmask_b32_e64 v1, v1, v30, s6
	ds_bpermute_b32 v30, v66, v24 offset:64
	s_wait_dscnt 0xb
	v_cndmask_b32_e64 v28, v28, v40, s6
	ds_bpermute_b32 v40, v66, v5 offset:96
	ds_bpermute_b32 v24, v66, v24 offset:96
	s_wait_dscnt 0xc
	v_cndmask_b32_e64 v7, 0, v7, s8
	ds_bpermute_b32 v48, v66, v15 offset:96
	s_wait_dscnt 0xc
	v_cndmask_b32_e64 v1, v1, v39, s5
	ds_bpermute_b32 v39, v66, v0 offset:96
	v_cndmask_b32_e64 v0, v31, v37, s7
	v_cndmask_b32_e64 v31, 0, v41, s8
	ds_bpermute_b32 v37, v66, v2 offset:96
	v_cndmask_b32_e64 v7, v7, v43, s7
	ds_bpermute_b32 v43, v66, v15 offset:32
	ds_bpermute_b32 v41, v66, v12 offset:32
	s_wait_dscnt 0xb
	v_cndmask_b32_e64 v2, v0, v26, s6
	v_cndmask_b32_e64 v5, v31, v42, s7
	ds_bpermute_b32 v26, v66, v13
	v_cndmask_b32_e64 v0, v3, v25, s5
	v_cndmask_b32_e64 v3, v28, v44, s5
	ds_bpermute_b32 v25, v66, v29 offset:64
	s_wait_dscnt 0x9
	v_cndmask_b32_e64 v5, v5, v30, s6
	ds_bpermute_b32 v30, v66, v12
	ds_bpermute_b32 v31, v66, v15
	ds_bpermute_b32 v29, v66, v29 offset:96
	ds_bpermute_b32 v42, v66, v8
	v_cndmask_b32_e64 v5, v5, v38, s5
	ds_bpermute_b32 v38, v66, v14
	s_wait_dscnt 0xa
	v_cndmask_b32_e64 v28, 0, v39, s8
	ds_bpermute_b32 v39, v66, v13 offset:32
	ds_bpermute_b32 v44, v66, v11
	s_wait_dscnt 0xb
	v_cndmask_b32_e64 v37, 0, v37, s8
	v_cndmask_b32_e64 v7, v7, v46, s6
	;; [unrolled: 1-line block ×3, first 2 shown]
	ds_bpermute_b32 v40, v66, v9
	v_cndmask_b32_e64 v2, v2, v45, s5
	v_cndmask_b32_e64 v37, v37, v4, s7
	s_wait_dscnt 0x9
	v_cndmask_b32_e64 v26, 0, v26, s8
	v_cndmask_b32_e64 v24, v28, v24, s6
	ds_bpermute_b32 v28, v66, v9 offset:32
	ds_bpermute_b32 v45, v66, v14 offset:32
	s_wait_dscnt 0xa
	v_cndmask_b32_e64 v4, v7, v25, s5
	s_wait_dscnt 0x9
	v_cndmask_b32_e64 v25, 0, v30, s8
	v_cndmask_b32_e64 v7, v24, v27, s5
	s_wait_dscnt 0x8
	v_cndmask_b32_e64 v24, v26, v31, s7
	v_cndmask_b32_e64 v6, v37, v6, s6
	ds_bpermute_b32 v26, v66, v12 offset:64
	ds_bpermute_b32 v27, v66, v13 offset:64
	s_wait_dscnt 0x7
	v_cndmask_b32_e64 v25, v25, v38, s7
	ds_bpermute_b32 v37, v66, v10
	v_cndmask_b32_e64 v6, v6, v29, s5
	s_wait_dscnt 0x7
	v_cndmask_b32_e64 v29, 0, v39, s8
	ds_bpermute_b32 v38, v66, v8 offset:32
	v_cndmask_b32_e64 v31, v25, v42, s6
	s_wait_dscnt 0x6
	v_cndmask_b32_e64 v24, v24, v40, s6
	ds_bpermute_b32 v40, v66, v14 offset:64
	v_cndmask_b32_e64 v29, v29, v43, s7
	ds_bpermute_b32 v42, v66, v12 offset:96
	v_cndmask_b32_e64 v30, 0, v41, s8
	v_cndmask_b32_e64 v25, v24, v44, s5
	ds_bpermute_b32 v24, v66, v15 offset:64
	ds_bpermute_b32 v44, v66, v13 offset:96
	ds_bpermute_b32 v39, v66, v11 offset:32
	ds_bpermute_b32 v41, v66, v9 offset:64
	ds_bpermute_b32 v43, v66, v8 offset:64
	s_wait_dscnt 0xc
	v_cndmask_b32_e64 v28, v29, v28, s6
	ds_bpermute_b32 v29, v66, v10 offset:32
	; wave barrier
	s_wait_loadcnt_dscnt 0x0
	global_inv scope:SCOPE_SE
	s_load_b32 s15, s[20:21], 0xc
	v_cndmask_b32_e64 v30, v30, v45, s7
	ds_bpermute_b32 v45, v66, v10 offset:64
	ds_bpermute_b32 v46, v66, v11 offset:64
	;; [unrolled: 1-line block ×4, first 2 shown]
	v_cndmask_b32_e64 v26, 0, v26, s8
	v_cndmask_b32_e64 v27, 0, v27, s8
	;; [unrolled: 1-line block ×3, first 2 shown]
	s_mov_b32 s22, -1
	s_brev_b32 s23, -2
	v_cndmask_b32_e64 v26, v26, v40, s7
	v_cndmask_b32_e64 v50, v27, v24, s7
	;; [unrolled: 1-line block ×8, first 2 shown]
	s_getpc_b64 s[8:9]
	s_wait_alu 0xfffe
	s_sext_i32_i16 s9, s9
	s_add_co_u32 s8, s8, _ZN7rocprim17ROCPRIM_400000_NS16block_radix_sortIdLj32ELj4ElLj1ELj1ELj0ELNS0_26block_radix_rank_algorithmE1ELNS0_18block_padding_hintE2ELNS0_4arch9wavefront6targetE0EE19radix_bits_per_passE@rel32@lo+12
	s_wait_alu 0xfffe
	s_add_co_ci_u32 s9, s9, _ZN7rocprim17ROCPRIM_400000_NS16block_radix_sortIdLj32ELj4ElLj1ELj1ELj0ELNS0_26block_radix_rank_algorithmE1ELNS0_18block_padding_hintE2ELNS0_4arch9wavefront6targetE0EE19radix_bits_per_passE@rel32@hi+24
	v_cndmask_b32_e64 v26, v30, v29, s5
	v_cndmask_b32_e64 v30, v31, v47, s7
	;; [unrolled: 1-line block ×3, first 2 shown]
	s_wait_kmcnt 0x0
	s_lshr_b32 s7, s15, 16
	s_wait_dscnt 0x2
	v_cndmask_b32_e64 v29, v28, v46, s5
	v_cndmask_b32_e64 v28, v37, v45, s5
	s_wait_alu 0xfffe
	v_mad_u32_u24 v37, v65, s7, v64
	ds_bpermute_b32 v39, v66, v11 offset:96
	ds_bpermute_b32 v40, v66, v10 offset:96
	s_wait_dscnt 0x3
	v_cndmask_b32_e64 v30, v30, v49, s6
	s_wait_dscnt 0x2
	v_cndmask_b32_e64 v31, v31, v51, s6
	s_and_b32 s6, s15, 0xffff
	s_load_b32 s11, s[8:9], 0x0
	v_mad_co_u64_u32 v[37:38], null, v37, s6, v[36:37]
	v_sub_co_u32 v38, s15, v35, 1
	v_lshlrev_b32_e32 v73, 3, v61
	v_cmp_lt_u32_e64 s6, 1, v62
	v_cmp_lt_u32_e64 s7, 3, v62
	s_delay_alu instid0(VALU_DEP_4)
	v_cmp_gt_i32_e32 vcc_lo, 0, v38
	v_lshrrev_b32_e32 v37, 3, v37
	v_cmp_lt_u32_e64 s8, 7, v62
	v_cmp_eq_u32_e64 s9, 0, v63
	s_wait_alu 0xfffd
	v_dual_mov_b32 v75, 0 :: v_dual_cndmask_b32 v38, v38, v35
	v_and_b32_e32 v74, 0x1ffffffc, v37
	s_wait_dscnt 0x1
	v_cndmask_b32_e64 v31, v31, v39, s5
	s_wait_dscnt 0x0
	v_cndmask_b32_e64 v30, v30, v40, s5
	v_cmp_eq_u32_e64 s5, 0, v62
	v_dual_mov_b32 v37, 0 :: v_dual_lshlrev_b32 v72, 2, v38
	v_mov_b32_e32 v38, 0
	s_or_b32 s15, s10, s15
	s_mov_b32 s17, 64
	s_branch .LBB188_23
.LBB188_22:                             ;   in Loop: Header=BB188_23 Depth=1
	s_wait_alu 0xfffe
	s_and_not1_b32 vcc_lo, exec_lo, s10
	s_wait_alu 0xfffe
	s_cbranch_vccz .LBB188_36
.LBB188_23:                             ; =>This Inner Loop Header: Depth=1
	v_dual_mov_b32 v40, v1 :: v_dual_mov_b32 v39, v0
	s_wait_kmcnt 0x0
	s_wait_alu 0xfffe
	s_min_u32 s10, s11, s17
	ds_store_2addr_b32 v60, v75, v75 offset0:1 offset1:2
	ds_store_2addr_b32 v60, v75, v75 offset0:3 offset1:4
	;; [unrolled: 1-line block ×4, first 2 shown]
	s_wait_alu 0xfffe
	s_lshl_b32 s10, -1, s10
	s_wait_loadcnt_dscnt 0x0
	v_cmp_ne_u64_e32 vcc_lo, s[22:23], v[39:40]
	s_wait_alu 0xfffe
	s_not_b32 s24, s10
	; wave barrier
	global_inv scope:SCOPE_SE
	; wave barrier
	s_wait_alu 0xfffd
	v_dual_mov_b32 v50, v7 :: v_dual_cndmask_b32 v1, 0x80000000, v40
	v_dual_cndmask_b32 v0, 0, v39 :: v_dual_mov_b32 v49, v6
	v_mov_b32_e32 v52, v5
	v_dual_mov_b32 v54, v3 :: v_dual_mov_b32 v51, v4
	s_delay_alu instid0(VALU_DEP_3) | instskip(SKIP_2) | instid1(VALU_DEP_2)
	v_lshrrev_b64 v[0:1], v37, v[0:1]
	v_mov_b32_e32 v53, v2
	s_wait_alu 0xfffe
	v_and_b32_e32 v1, s24, v0
	s_delay_alu instid0(VALU_DEP_1)
	v_and_b32_e32 v0, 1, v1
	v_lshlrev_b32_e32 v41, 30, v1
	v_lshlrev_b32_e32 v42, 29, v1
	;; [unrolled: 1-line block ×4, first 2 shown]
	v_add_co_u32 v0, s10, v0, -1
	s_wait_alu 0xf1ff
	v_cndmask_b32_e64 v44, 0, 1, s10
	v_not_b32_e32 v48, v41
	v_cmp_gt_i32_e64 s10, 0, v41
	v_not_b32_e32 v41, v42
	v_lshlrev_b32_e32 v46, 26, v1
	v_cmp_ne_u32_e32 vcc_lo, 0, v44
	v_ashrrev_i32_e32 v48, 31, v48
	v_lshlrev_b32_e32 v47, 25, v1
	v_ashrrev_i32_e32 v41, 31, v41
	v_lshlrev_b32_e32 v44, 24, v1
	s_wait_alu 0xfffd
	v_xor_b32_e32 v0, vcc_lo, v0
	v_cmp_gt_i32_e32 vcc_lo, 0, v42
	v_not_b32_e32 v42, v43
	s_wait_alu 0xf1ff
	v_xor_b32_e32 v48, s10, v48
	v_cmp_gt_i32_e64 s10, 0, v43
	v_and_b32_e32 v0, exec_lo, v0
	v_not_b32_e32 v43, v45
	v_ashrrev_i32_e32 v42, 31, v42
	s_wait_alu 0xfffd
	v_xor_b32_e32 v41, vcc_lo, v41
	v_cmp_gt_i32_e32 vcc_lo, 0, v45
	v_and_b32_e32 v0, v0, v48
	v_not_b32_e32 v45, v46
	v_ashrrev_i32_e32 v43, 31, v43
	s_wait_alu 0xf1ff
	v_xor_b32_e32 v42, s10, v42
	v_cmp_gt_i32_e64 s10, 0, v46
	v_and_b32_e32 v0, v0, v41
	v_ashrrev_i32_e32 v45, 31, v45
	s_wait_alu 0xfffd
	v_xor_b32_e32 v43, vcc_lo, v43
	s_delay_alu instid0(VALU_DEP_3) | instskip(SKIP_2) | instid1(VALU_DEP_2)
	v_and_b32_e32 v0, v0, v42
	s_wait_alu 0xf1ff
	v_xor_b32_e32 v45, s10, v45
	v_and_b32_e32 v0, v0, v43
	s_delay_alu instid0(VALU_DEP_1)
	v_and_b32_e32 v0, v0, v45
	v_mov_b32_e32 v46, v27
	v_not_b32_e32 v41, v47
	v_cmp_gt_i32_e32 vcc_lo, 0, v47
	v_dual_mov_b32 v48, v25 :: v_dual_mov_b32 v47, v24
	v_not_b32_e32 v42, v44
	s_delay_alu instid0(VALU_DEP_4) | instskip(SKIP_2) | instid1(VALU_DEP_4)
	v_ashrrev_i32_e32 v41, 31, v41
	v_cmp_gt_i32_e64 s10, 0, v44
	v_dual_mov_b32 v44, v29 :: v_dual_mov_b32 v45, v26
	v_ashrrev_i32_e32 v42, 31, v42
	s_wait_alu 0xfffd
	v_xor_b32_e32 v41, vcc_lo, v41
	v_mov_b32_e32 v43, v28
	v_lshl_add_u32 v25, v1, 2, v74
	s_wait_alu 0xf1ff
	v_xor_b32_e32 v42, s10, v42
	v_and_b32_e32 v0, v0, v41
	s_delay_alu instid0(VALU_DEP_1) | instskip(SKIP_1) | instid1(VALU_DEP_2)
	v_and_b32_e32 v0, v0, v42
	v_dual_mov_b32 v42, v31 :: v_dual_mov_b32 v41, v30
	v_mbcnt_lo_u32_b32 v24, v0, 0
	v_cmp_ne_u32_e64 s10, 0, v0
	s_delay_alu instid0(VALU_DEP_2)
	v_cmp_eq_u32_e32 vcc_lo, 0, v24
	s_and_b32 s25, s10, vcc_lo
	s_wait_alu 0xfffe
	s_and_saveexec_b32 s10, s25
; %bb.24:                               ;   in Loop: Header=BB188_23 Depth=1
	v_bcnt_u32_b32 v0, v0, 0
	ds_store_b32 v25, v0 offset:4
; %bb.25:                               ;   in Loop: Header=BB188_23 Depth=1
	s_wait_alu 0xfffe
	s_or_b32 exec_lo, exec_lo, s10
	v_cmp_ne_u64_e32 vcc_lo, s[22:23], v[53:54]
	; wave barrier
	s_wait_alu 0xfffd
	v_cndmask_b32_e32 v1, 0x80000000, v54, vcc_lo
	v_cndmask_b32_e32 v0, 0, v53, vcc_lo
	s_delay_alu instid0(VALU_DEP_1) | instskip(NEXT) | instid1(VALU_DEP_1)
	v_lshrrev_b64 v[0:1], v37, v[0:1]
	v_and_b32_e32 v0, s24, v0
	s_delay_alu instid0(VALU_DEP_1)
	v_and_b32_e32 v1, 1, v0
	v_lshlrev_b32_e32 v2, 30, v0
	v_lshlrev_b32_e32 v3, 29, v0
	;; [unrolled: 1-line block ×4, first 2 shown]
	v_add_co_u32 v1, s10, v1, -1
	s_wait_alu 0xf1ff
	v_cndmask_b32_e64 v5, 0, 1, s10
	v_not_b32_e32 v27, v2
	v_cmp_gt_i32_e64 s10, 0, v2
	v_not_b32_e32 v2, v3
	v_lshlrev_b32_e32 v7, 26, v0
	v_cmp_ne_u32_e32 vcc_lo, 0, v5
	v_ashrrev_i32_e32 v27, 31, v27
	v_lshlrev_b32_e32 v26, 25, v0
	v_ashrrev_i32_e32 v2, 31, v2
	v_lshlrev_b32_e32 v5, 24, v0
	s_wait_alu 0xfffd
	v_xor_b32_e32 v1, vcc_lo, v1
	v_cmp_gt_i32_e32 vcc_lo, 0, v3
	v_not_b32_e32 v3, v4
	s_wait_alu 0xf1ff
	v_xor_b32_e32 v27, s10, v27
	v_cmp_gt_i32_e64 s10, 0, v4
	v_and_b32_e32 v1, exec_lo, v1
	v_not_b32_e32 v4, v6
	v_ashrrev_i32_e32 v3, 31, v3
	s_wait_alu 0xfffd
	v_xor_b32_e32 v2, vcc_lo, v2
	v_cmp_gt_i32_e32 vcc_lo, 0, v6
	v_and_b32_e32 v1, v1, v27
	v_not_b32_e32 v6, v7
	v_ashrrev_i32_e32 v4, 31, v4
	s_wait_alu 0xf1ff
	v_xor_b32_e32 v3, s10, v3
	v_cmp_gt_i32_e64 s10, 0, v7
	v_and_b32_e32 v1, v1, v2
	v_not_b32_e32 v2, v26
	v_ashrrev_i32_e32 v6, 31, v6
	s_wait_alu 0xfffd
	v_xor_b32_e32 v4, vcc_lo, v4
	v_cmp_gt_i32_e32 vcc_lo, 0, v26
	v_and_b32_e32 v1, v1, v3
	v_not_b32_e32 v3, v5
	v_ashrrev_i32_e32 v2, 31, v2
	s_wait_alu 0xf1ff
	v_xor_b32_e32 v6, s10, v6
	v_cmp_gt_i32_e64 s10, 0, v5
	v_and_b32_e32 v1, v1, v4
	v_ashrrev_i32_e32 v3, 31, v3
	s_wait_alu 0xfffd
	v_xor_b32_e32 v2, vcc_lo, v2
	v_lshl_add_u32 v27, v0, 2, v74
	v_and_b32_e32 v1, v1, v6
	s_wait_alu 0xf1ff
	v_xor_b32_e32 v0, s10, v3
	ds_load_b32 v26, v27 offset:4
	v_and_b32_e32 v1, v1, v2
	; wave barrier
	s_delay_alu instid0(VALU_DEP_1) | instskip(NEXT) | instid1(VALU_DEP_1)
	v_and_b32_e32 v0, v1, v0
	v_mbcnt_lo_u32_b32 v28, v0, 0
	v_cmp_ne_u32_e64 s10, 0, v0
	s_delay_alu instid0(VALU_DEP_2)
	v_cmp_eq_u32_e32 vcc_lo, 0, v28
	s_and_b32 s25, s10, vcc_lo
	s_wait_alu 0xfffe
	s_and_saveexec_b32 s10, s25
	s_cbranch_execz .LBB188_27
; %bb.26:                               ;   in Loop: Header=BB188_23 Depth=1
	s_wait_dscnt 0x0
	v_bcnt_u32_b32 v0, v0, v26
	ds_store_b32 v27, v0 offset:4
.LBB188_27:                             ;   in Loop: Header=BB188_23 Depth=1
	s_wait_alu 0xfffe
	s_or_b32 exec_lo, exec_lo, s10
	v_cmp_ne_u64_e32 vcc_lo, s[22:23], v[51:52]
	; wave barrier
	s_wait_alu 0xfffd
	v_cndmask_b32_e32 v1, 0x80000000, v52, vcc_lo
	v_cndmask_b32_e32 v0, 0, v51, vcc_lo
	s_delay_alu instid0(VALU_DEP_1) | instskip(NEXT) | instid1(VALU_DEP_1)
	v_lshrrev_b64 v[0:1], v37, v[0:1]
	v_and_b32_e32 v0, s24, v0
	s_delay_alu instid0(VALU_DEP_1)
	v_and_b32_e32 v1, 1, v0
	v_lshlrev_b32_e32 v2, 30, v0
	v_lshlrev_b32_e32 v3, 29, v0
	;; [unrolled: 1-line block ×4, first 2 shown]
	v_add_co_u32 v1, s10, v1, -1
	s_wait_alu 0xf1ff
	v_cndmask_b32_e64 v5, 0, 1, s10
	v_not_b32_e32 v30, v2
	v_cmp_gt_i32_e64 s10, 0, v2
	v_not_b32_e32 v2, v3
	v_lshlrev_b32_e32 v7, 26, v0
	v_cmp_ne_u32_e32 vcc_lo, 0, v5
	v_ashrrev_i32_e32 v30, 31, v30
	v_lshlrev_b32_e32 v29, 25, v0
	v_ashrrev_i32_e32 v2, 31, v2
	v_lshlrev_b32_e32 v5, 24, v0
	s_wait_alu 0xfffd
	v_xor_b32_e32 v1, vcc_lo, v1
	v_cmp_gt_i32_e32 vcc_lo, 0, v3
	v_not_b32_e32 v3, v4
	s_wait_alu 0xf1ff
	v_xor_b32_e32 v30, s10, v30
	v_cmp_gt_i32_e64 s10, 0, v4
	v_and_b32_e32 v1, exec_lo, v1
	v_not_b32_e32 v4, v6
	v_ashrrev_i32_e32 v3, 31, v3
	s_wait_alu 0xfffd
	v_xor_b32_e32 v2, vcc_lo, v2
	v_cmp_gt_i32_e32 vcc_lo, 0, v6
	v_and_b32_e32 v1, v1, v30
	v_not_b32_e32 v6, v7
	v_ashrrev_i32_e32 v4, 31, v4
	s_wait_alu 0xf1ff
	v_xor_b32_e32 v3, s10, v3
	v_cmp_gt_i32_e64 s10, 0, v7
	v_and_b32_e32 v1, v1, v2
	v_not_b32_e32 v2, v29
	v_ashrrev_i32_e32 v6, 31, v6
	s_wait_alu 0xfffd
	v_xor_b32_e32 v4, vcc_lo, v4
	v_cmp_gt_i32_e32 vcc_lo, 0, v29
	v_and_b32_e32 v1, v1, v3
	v_not_b32_e32 v3, v5
	v_ashrrev_i32_e32 v2, 31, v2
	s_wait_alu 0xf1ff
	v_xor_b32_e32 v6, s10, v6
	v_cmp_gt_i32_e64 s10, 0, v5
	v_and_b32_e32 v1, v1, v4
	v_ashrrev_i32_e32 v3, 31, v3
	s_wait_alu 0xfffd
	v_xor_b32_e32 v2, vcc_lo, v2
	v_lshl_add_u32 v30, v0, 2, v74
	v_and_b32_e32 v1, v1, v6
	s_wait_alu 0xf1ff
	v_xor_b32_e32 v0, s10, v3
	ds_load_b32 v29, v30 offset:4
	v_and_b32_e32 v1, v1, v2
	; wave barrier
	s_delay_alu instid0(VALU_DEP_1) | instskip(NEXT) | instid1(VALU_DEP_1)
	v_and_b32_e32 v0, v1, v0
	v_mbcnt_lo_u32_b32 v31, v0, 0
	v_cmp_ne_u32_e64 s10, 0, v0
	s_delay_alu instid0(VALU_DEP_2)
	v_cmp_eq_u32_e32 vcc_lo, 0, v31
	s_and_b32 s25, s10, vcc_lo
	s_wait_alu 0xfffe
	s_and_saveexec_b32 s10, s25
	s_cbranch_execz .LBB188_29
; %bb.28:                               ;   in Loop: Header=BB188_23 Depth=1
	s_wait_dscnt 0x0
	v_bcnt_u32_b32 v0, v0, v29
	ds_store_b32 v30, v0 offset:4
.LBB188_29:                             ;   in Loop: Header=BB188_23 Depth=1
	s_wait_alu 0xfffe
	s_or_b32 exec_lo, exec_lo, s10
	v_cmp_ne_u64_e32 vcc_lo, s[22:23], v[49:50]
	; wave barrier
	s_wait_alu 0xfffd
	v_cndmask_b32_e32 v1, 0x80000000, v50, vcc_lo
	v_cndmask_b32_e32 v0, 0, v49, vcc_lo
	s_delay_alu instid0(VALU_DEP_1) | instskip(NEXT) | instid1(VALU_DEP_1)
	v_lshrrev_b64 v[0:1], v37, v[0:1]
	v_and_b32_e32 v0, s24, v0
	s_delay_alu instid0(VALU_DEP_1)
	v_and_b32_e32 v1, 1, v0
	v_lshlrev_b32_e32 v2, 30, v0
	v_lshlrev_b32_e32 v3, 29, v0
	;; [unrolled: 1-line block ×4, first 2 shown]
	v_add_co_u32 v1, s10, v1, -1
	s_wait_alu 0xf1ff
	v_cndmask_b32_e64 v5, 0, 1, s10
	v_not_b32_e32 v77, v2
	v_cmp_gt_i32_e64 s10, 0, v2
	v_not_b32_e32 v2, v3
	v_lshlrev_b32_e32 v7, 26, v0
	v_cmp_ne_u32_e32 vcc_lo, 0, v5
	v_ashrrev_i32_e32 v77, 31, v77
	v_lshlrev_b32_e32 v76, 25, v0
	v_ashrrev_i32_e32 v2, 31, v2
	v_lshlrev_b32_e32 v5, 24, v0
	s_wait_alu 0xfffd
	v_xor_b32_e32 v1, vcc_lo, v1
	v_cmp_gt_i32_e32 vcc_lo, 0, v3
	v_not_b32_e32 v3, v4
	s_wait_alu 0xf1ff
	v_xor_b32_e32 v77, s10, v77
	v_cmp_gt_i32_e64 s10, 0, v4
	v_and_b32_e32 v1, exec_lo, v1
	v_not_b32_e32 v4, v6
	v_ashrrev_i32_e32 v3, 31, v3
	s_wait_alu 0xfffd
	v_xor_b32_e32 v2, vcc_lo, v2
	v_cmp_gt_i32_e32 vcc_lo, 0, v6
	v_and_b32_e32 v1, v1, v77
	v_not_b32_e32 v6, v7
	v_ashrrev_i32_e32 v4, 31, v4
	s_wait_alu 0xf1ff
	v_xor_b32_e32 v3, s10, v3
	v_cmp_gt_i32_e64 s10, 0, v7
	v_and_b32_e32 v1, v1, v2
	v_not_b32_e32 v2, v76
	v_ashrrev_i32_e32 v6, 31, v6
	s_wait_alu 0xfffd
	v_xor_b32_e32 v4, vcc_lo, v4
	v_cmp_gt_i32_e32 vcc_lo, 0, v76
	v_and_b32_e32 v1, v1, v3
	v_not_b32_e32 v3, v5
	v_ashrrev_i32_e32 v2, 31, v2
	s_wait_alu 0xf1ff
	v_xor_b32_e32 v6, s10, v6
	v_cmp_gt_i32_e64 s10, 0, v5
	v_and_b32_e32 v1, v1, v4
	v_ashrrev_i32_e32 v3, 31, v3
	s_wait_alu 0xfffd
	v_xor_b32_e32 v2, vcc_lo, v2
	v_lshl_add_u32 v77, v0, 2, v74
	v_and_b32_e32 v1, v1, v6
	s_wait_alu 0xf1ff
	v_xor_b32_e32 v0, s10, v3
	ds_load_b32 v76, v77 offset:4
	v_and_b32_e32 v1, v1, v2
	; wave barrier
	s_delay_alu instid0(VALU_DEP_1) | instskip(NEXT) | instid1(VALU_DEP_1)
	v_and_b32_e32 v0, v1, v0
	v_mbcnt_lo_u32_b32 v80, v0, 0
	v_cmp_ne_u32_e64 s10, 0, v0
	s_delay_alu instid0(VALU_DEP_2)
	v_cmp_eq_u32_e32 vcc_lo, 0, v80
	s_and_b32 s24, s10, vcc_lo
	s_wait_alu 0xfffe
	s_and_saveexec_b32 s10, s24
	s_cbranch_execz .LBB188_31
; %bb.30:                               ;   in Loop: Header=BB188_23 Depth=1
	s_wait_dscnt 0x0
	v_bcnt_u32_b32 v0, v0, v76
	ds_store_b32 v77, v0 offset:4
.LBB188_31:                             ;   in Loop: Header=BB188_23 Depth=1
	s_wait_alu 0xfffe
	s_or_b32 exec_lo, exec_lo, s10
	; wave barrier
	; wave barrier
	s_wait_loadcnt_dscnt 0x0
	global_inv scope:SCOPE_SE
	ds_load_2addr_b32 v[6:7], v60 offset0:1 offset1:2
	ds_load_2addr_b32 v[4:5], v60 offset0:3 offset1:4
	;; [unrolled: 1-line block ×4, first 2 shown]
	s_wait_dscnt 0x3
	v_add_nc_u32_e32 v78, v7, v6
	s_wait_dscnt 0x2
	s_delay_alu instid0(VALU_DEP_1) | instskip(SKIP_1) | instid1(VALU_DEP_1)
	v_add3_u32 v78, v78, v4, v5
	s_wait_dscnt 0x1
	v_add3_u32 v78, v78, v2, v3
	s_wait_dscnt 0x0
	s_delay_alu instid0(VALU_DEP_1) | instskip(NEXT) | instid1(VALU_DEP_1)
	v_add3_u32 v1, v78, v0, v1
	v_mov_b32_dpp v78, v1 row_shr:1 row_mask:0xf bank_mask:0xf
	s_delay_alu instid0(VALU_DEP_1) | instskip(NEXT) | instid1(VALU_DEP_1)
	v_cndmask_b32_e64 v78, v78, 0, s5
	v_add_nc_u32_e32 v1, v78, v1
	s_delay_alu instid0(VALU_DEP_1) | instskip(NEXT) | instid1(VALU_DEP_1)
	v_mov_b32_dpp v78, v1 row_shr:2 row_mask:0xf bank_mask:0xf
	v_cndmask_b32_e64 v78, 0, v78, s6
	s_delay_alu instid0(VALU_DEP_1) | instskip(NEXT) | instid1(VALU_DEP_1)
	v_add_nc_u32_e32 v1, v1, v78
	v_mov_b32_dpp v78, v1 row_shr:4 row_mask:0xf bank_mask:0xf
	s_delay_alu instid0(VALU_DEP_1) | instskip(NEXT) | instid1(VALU_DEP_1)
	v_cndmask_b32_e64 v78, 0, v78, s7
	v_add_nc_u32_e32 v1, v1, v78
	s_delay_alu instid0(VALU_DEP_1) | instskip(NEXT) | instid1(VALU_DEP_1)
	v_mov_b32_dpp v78, v1 row_shr:8 row_mask:0xf bank_mask:0xf
	v_cndmask_b32_e64 v78, 0, v78, s8
	s_delay_alu instid0(VALU_DEP_1) | instskip(SKIP_3) | instid1(VALU_DEP_1)
	v_add_nc_u32_e32 v1, v1, v78
	ds_swizzle_b32 v78, v1 offset:swizzle(BROADCAST,32,15)
	s_wait_dscnt 0x0
	v_cndmask_b32_e64 v78, v78, 0, s9
	v_add_nc_u32_e32 v1, v1, v78
	s_and_saveexec_b32 s10, s4
; %bb.32:                               ;   in Loop: Header=BB188_23 Depth=1
	ds_store_b32 v75, v1
; %bb.33:                               ;   in Loop: Header=BB188_23 Depth=1
	s_wait_alu 0xfffe
	s_or_b32 exec_lo, exec_lo, s10
	ds_bpermute_b32 v1, v72, v1
	; wave barrier
	s_wait_loadcnt_dscnt 0x0
	global_inv scope:SCOPE_SE
	v_cmp_lt_u32_e32 vcc_lo, 55, v37
	s_mov_b32 s10, -1
	s_and_b32 vcc_lo, exec_lo, vcc_lo
	v_cndmask_b32_e64 v1, v1, 0, s15
	s_delay_alu instid0(VALU_DEP_1) | instskip(NEXT) | instid1(VALU_DEP_1)
	v_add_nc_u32_e32 v6, v1, v6
	v_add_nc_u32_e32 v7, v6, v7
	s_delay_alu instid0(VALU_DEP_1) | instskip(NEXT) | instid1(VALU_DEP_1)
	v_add_nc_u32_e32 v4, v7, v4
	v_add_nc_u32_e32 v5, v4, v5
	;; [unrolled: 3-line block ×3, first 2 shown]
	s_delay_alu instid0(VALU_DEP_1)
	v_add_nc_u32_e32 v0, v3, v0
	ds_store_2addr_b32 v60, v1, v6 offset0:1 offset1:2
	ds_store_2addr_b32 v60, v7, v4 offset0:3 offset1:4
	;; [unrolled: 1-line block ×4, first 2 shown]
	; wave barrier
	s_wait_loadcnt_dscnt 0x0
	global_inv scope:SCOPE_SE
	ds_load_b32 v0, v25 offset:4
	ds_load_b32 v1, v27 offset:4
	;; [unrolled: 1-line block ×4, first 2 shown]
                                        ; implicit-def: $vgpr6_vgpr7
	s_wait_dscnt 0x3
	v_add_nc_u32_e32 v79, v0, v24
	s_wait_dscnt 0x2
	v_add3_u32 v78, v28, v26, v1
	s_wait_dscnt 0x1
	v_add3_u32 v77, v31, v29, v2
	;; [unrolled: 2-line block ×3, first 2 shown]
                                        ; implicit-def: $vgpr2_vgpr3
                                        ; implicit-def: $vgpr24_vgpr25
                                        ; implicit-def: $vgpr28_vgpr29
	s_wait_alu 0xfffe
	s_cbranch_vccnz .LBB188_22
; %bb.34:                               ;   in Loop: Header=BB188_23 Depth=1
	v_lshlrev_b32_e32 v24, 3, v79
	v_lshlrev_b32_e32 v25, 3, v78
	v_lshlrev_b32_e32 v26, 3, v77
	v_lshlrev_b32_e32 v27, 3, v76
	s_wait_loadcnt 0x0
	; wave barrier
	global_inv scope:SCOPE_SE
	ds_store_b64 v24, v[39:40]
	ds_store_b64 v25, v[53:54]
	ds_store_b64 v26, v[51:52]
	ds_store_b64 v27, v[49:50]
	; wave barrier
	s_wait_loadcnt_dscnt 0x0
	global_inv scope:SCOPE_SE
	ds_load_2addr_b64 v[0:3], v73 offset1:32
	ds_load_2addr_b64 v[4:7], v73 offset0:64 offset1:96
	; wave barrier
	s_wait_loadcnt_dscnt 0x0
	global_inv scope:SCOPE_SE
	ds_store_b64 v24, v[47:48]
	ds_store_b64 v25, v[45:46]
	;; [unrolled: 1-line block ×4, first 2 shown]
	; wave barrier
	s_wait_loadcnt_dscnt 0x0
	global_inv scope:SCOPE_SE
	ds_load_2addr_b64 v[24:27], v73 offset1:32
	ds_load_2addr_b64 v[28:31], v73 offset0:64 offset1:96
	v_add_co_u32 v37, vcc_lo, v37, 8
	s_wait_alu 0xfffd
	v_add_co_ci_u32_e64 v38, null, 0, v38, vcc_lo
	s_add_co_i32 s17, s17, -8
	s_mov_b32 s10, 0
	; wave barrier
	s_wait_loadcnt_dscnt 0x0
	global_inv scope:SCOPE_SE
	s_branch .LBB188_22
.LBB188_35:
                                        ; implicit-def: $vgpr37
                                        ; implicit-def: $vgpr0_vgpr1_vgpr2_vgpr3_vgpr4_vgpr5_vgpr6_vgpr7
	s_and_b32 vcc_lo, exec_lo, s9
	s_wait_alu 0xfffe
	s_cbranch_vccnz .LBB188_37
	s_branch .LBB188_52
.LBB188_36:
	v_lshlrev_b32_e32 v24, 3, v79
	v_lshlrev_b32_e32 v26, 3, v77
	v_lshlrev_b32_e32 v37, 3, v33
	v_lshlrev_b32_e32 v25, 3, v78
	v_lshlrev_b32_e32 v27, 3, v76
	s_wait_loadcnt 0x0
	; wave barrier
	global_inv scope:SCOPE_SE
	ds_store_b64 v24, v[39:40]
	ds_store_b64 v25, v[53:54]
	ds_store_b64 v26, v[51:52]
	ds_store_b64 v27, v[49:50]
	; wave barrier
	s_wait_loadcnt_dscnt 0x0
	global_inv scope:SCOPE_SE
	ds_load_b128 v[0:3], v37
	ds_load_b128 v[4:7], v37 offset:16
	; wave barrier
	s_wait_loadcnt_dscnt 0x0
	global_inv scope:SCOPE_SE
	ds_store_b64 v24, v[47:48]
	ds_store_b64 v25, v[45:46]
	;; [unrolled: 1-line block ×4, first 2 shown]
	; wave barrier
	s_wait_loadcnt_dscnt 0x0
	global_inv scope:SCOPE_SE
	v_cmp_lt_i64_e32 vcc_lo, -1, v[0:1]
	v_ashrrev_i32_e32 v25, 31, v1
	v_ashrrev_i32_e32 v28, 31, v3
	;; [unrolled: 1-line block ×4, first 2 shown]
	s_wait_alu 0xfffd
	v_cndmask_b32_e64 v24, 0x80000000, -1, vcc_lo
	v_cmp_lt_i64_e32 vcc_lo, -1, v[2:3]
	v_not_b32_e32 v25, v25
	s_delay_alu instid0(VALU_DEP_3)
	v_xor_b32_e32 v1, v24, v1
	v_not_b32_e32 v24, v28
	s_wait_alu 0xfffd
	v_cndmask_b32_e64 v26, 0x80000000, -1, vcc_lo
	v_cmp_lt_i64_e32 vcc_lo, -1, v[4:5]
	v_xor_b32_e32 v0, v25, v0
	v_not_b32_e32 v28, v31
	v_xor_b32_e32 v2, v24, v2
	v_xor_b32_e32 v3, v26, v3
	v_not_b32_e32 v26, v30
	s_wait_alu 0xfffd
	v_cndmask_b32_e64 v29, 0x80000000, -1, vcc_lo
	v_cmp_lt_i64_e32 vcc_lo, -1, v[6:7]
	v_xor_b32_e32 v6, v28, v6
	v_xor_b32_e32 v4, v26, v4
	s_delay_alu instid0(VALU_DEP_4) | instskip(SKIP_2) | instid1(VALU_DEP_1)
	v_xor_b32_e32 v5, v29, v5
	s_wait_alu 0xfffd
	v_cndmask_b32_e64 v25, 0x80000000, -1, vcc_lo
	v_xor_b32_e32 v7, v25, v7
	s_branch .LBB188_52
.LBB188_37:
	v_cmp_gt_i64_e32 vcc_lo, 0, v[20:21]
	v_not_b32_e32 v1, v71
	v_not_b32_e32 v3, v70
	v_cmp_gt_i64_e64 s4, 0, v[18:19]
	v_cmp_eq_u32_e64 s5, 2, v67
	v_cmp_eq_u32_e64 s6, 3, v67
	s_wait_alu 0xfffd
	v_cndmask_b32_e64 v0, 0x7fffffff, 0, vcc_lo
	v_cmp_gt_i64_e32 vcc_lo, 0, v[22:23]
	v_xor_b32_e32 v1, v1, v20
	v_xor_b32_e32 v4, v3, v22
	v_not_b32_e32 v3, v69
	v_xor_b32_e32 v0, v0, v21
	s_wait_alu 0xf1ff
	v_cndmask_b32_e64 v22, 0x7fffffff, 0, s4
	s_wait_alu 0xfffd
	v_cndmask_b32_e64 v2, 0x7fffffff, 0, vcc_lo
	v_cmp_gt_i64_e32 vcc_lo, 0, v[16:17]
	ds_bpermute_b32 v5, v66, v1
	ds_bpermute_b32 v6, v66, v0
	v_xor_b32_e32 v16, v3, v16
	v_xor_b32_e32 v2, v2, v23
	ds_bpermute_b32 v20, v66, v4
	s_wait_alu 0xfffd
	v_cndmask_b32_e64 v7, 0x7fffffff, 0, vcc_lo
	v_cmp_eq_u32_e32 vcc_lo, 0, v67
	v_cmp_eq_u32_e64 s4, 1, v67
	ds_bpermute_b32 v3, v66, v2
	v_xor_b32_e32 v19, v22, v19
	v_xor_b32_e32 v7, v7, v17
	v_not_b32_e32 v23, v68
	ds_bpermute_b32 v22, v66, v0 offset:32
	ds_bpermute_b32 v40, v66, v1 offset:96
	ds_bpermute_b32 v17, v66, v16
	ds_bpermute_b32 v21, v66, v7
	v_xor_b32_e32 v18, v23, v18
	ds_bpermute_b32 v23, v66, v0 offset:64
	ds_bpermute_b32 v24, v66, v1 offset:32
	;; [unrolled: 1-line block ×3, first 2 shown]
	s_wait_dscnt 0x9
	s_wait_alu 0xfffd
	v_dual_cndmask_b32 v5, 0, v5 :: v_dual_cndmask_b32 v6, 0, v6
	ds_bpermute_b32 v28, v66, v16 offset:32
	ds_bpermute_b32 v29, v66, v4 offset:64
	ds_bpermute_b32 v25, v66, v18
	s_wait_dscnt 0xb
	s_wait_alu 0xf1ff
	v_cndmask_b32_e64 v5, v5, v20, s4
	ds_bpermute_b32 v20, v66, v2 offset:32
	ds_bpermute_b32 v27, v66, v7 offset:32
	s_wait_dscnt 0xc
	v_cndmask_b32_e64 v3, v6, v3, s4
	ds_bpermute_b32 v6, v66, v19
	ds_bpermute_b32 v30, v66, v7 offset:64
	ds_bpermute_b32 v37, v66, v18 offset:32
	s_wait_dscnt 0xe
	v_cndmask_b32_e32 v22, 0, v22, vcc_lo
	ds_bpermute_b32 v38, v66, v16 offset:64
	s_wait_dscnt 0xd
	v_cndmask_b32_e64 v5, v5, v17, s5
	s_wait_dscnt 0xc
	v_cndmask_b32_e64 v3, v3, v21, s5
	ds_bpermute_b32 v21, v66, v1 offset:64
	ds_bpermute_b32 v17, v66, v4 offset:32
	;; [unrolled: 1-line block ×7, first 2 shown]
	; wave barrier
	s_wait_loadcnt_dscnt 0x0
	global_inv scope:SCOPE_SE
	s_load_b32 s7, s[20:21], 0xc
	v_cmp_eq_u32_e64 s8, 0, v63
	v_cmp_eq_u32_e64 s9, 31, v36
	s_mov_b32 s22, 0
	v_cndmask_b32_e64 v1, v3, v6, s6
	ds_bpermute_b32 v6, v66, v0 offset:96
	v_dual_cndmask_b32 v0, 0, v23 :: v_dual_cndmask_b32 v23, 0, v40
	v_cndmask_b32_e64 v3, v22, v20, s4
	ds_bpermute_b32 v22, v66, v13
	ds_bpermute_b32 v40, v66, v8 offset:32
	v_cndmask_b32_e32 v20, 0, v21, vcc_lo
	ds_bpermute_b32 v21, v66, v2 offset:96
	v_cndmask_b32_e64 v2, v0, v26, s4
	v_cndmask_b32_e64 v3, v3, v27, s5
	;; [unrolled: 1-line block ×4, first 2 shown]
	ds_bpermute_b32 v25, v66, v4 offset:96
	v_cndmask_b32_e64 v5, v2, v30, s5
	ds_bpermute_b32 v26, v66, v15
	ds_bpermute_b32 v27, v66, v14
	;; [unrolled: 1-line block ×3, first 2 shown]
	ds_bpermute_b32 v30, v66, v13 offset:32
	v_cndmask_b32_e64 v3, v3, v31, s6
	v_cndmask_b32_e64 v5, v5, v39, s6
	s_wait_dscnt 0x8
	v_cndmask_b32_e32 v6, 0, v6, vcc_lo
	ds_bpermute_b32 v31, v66, v14 offset:32
	ds_bpermute_b32 v39, v66, v15 offset:32
	s_brev_b32 s23, 1
	s_wait_dscnt 0x9
	v_cndmask_b32_e32 v22, 0, v22, vcc_lo
	s_mov_b32 s17, 64
	s_wait_dscnt 0x7
	v_cndmask_b32_e64 v6, v6, v21, s4
	ds_bpermute_b32 v21, v66, v12 offset:32
	v_cndmask_b32_e32 v24, 0, v24, vcc_lo
	v_cndmask_b32_e64 v6, v6, v7, s5
	s_delay_alu instid0(VALU_DEP_2)
	v_cndmask_b32_e64 v17, v24, v17, s4
	ds_bpermute_b32 v24, v66, v12
	v_cndmask_b32_e64 v7, v6, v19, s6
	v_cndmask_b32_e64 v17, v17, v28, s5
	ds_bpermute_b32 v28, v66, v9
	v_cndmask_b32_e64 v2, v17, v37, s6
	v_cndmask_b32_e64 v17, v20, v38, s5
	ds_bpermute_b32 v20, v66, v18 offset:64
	ds_bpermute_b32 v18, v66, v18 offset:96
	ds_bpermute_b32 v38, v66, v10
	ds_bpermute_b32 v37, v66, v11
	s_wait_dscnt 0x5
	v_cndmask_b32_e32 v24, 0, v24, vcc_lo
	s_wait_dscnt 0x3
	v_cndmask_b32_e64 v4, v17, v20, s6
	v_cndmask_b32_e64 v17, v23, v25, s4
	;; [unrolled: 1-line block ×4, first 2 shown]
	ds_bpermute_b32 v23, v66, v13 offset:64
	ds_bpermute_b32 v24, v66, v12 offset:64
	v_cndmask_b32_e64 v16, v17, v16, s5
	v_cndmask_b32_e64 v19, v20, v28, s5
	;; [unrolled: 1-line block ×3, first 2 shown]
	ds_bpermute_b32 v13, v66, v13 offset:96
	ds_bpermute_b32 v12, v66, v12 offset:96
	s_wait_dscnt 0x6
	v_cndmask_b32_e64 v6, v16, v18, s6
	ds_bpermute_b32 v25, v66, v15 offset:64
	s_wait_dscnt 0x6
	v_cndmask_b32_e64 v16, v20, v38, s6
	ds_bpermute_b32 v20, v66, v9 offset:32
	ds_bpermute_b32 v26, v66, v14 offset:64
	;; [unrolled: 1-line block ×4, first 2 shown]
	v_cndmask_b32_e32 v17, 0, v21, vcc_lo
	v_cndmask_b32_e32 v21, 0, v30, vcc_lo
	ds_bpermute_b32 v27, v66, v9 offset:64
	ds_bpermute_b32 v28, v66, v8 offset:64
	;; [unrolled: 1-line block ×4, first 2 shown]
	v_cndmask_b32_e64 v18, v17, v31, s4
	s_wait_dscnt 0xd
	v_cndmask_b32_e64 v17, v19, v37, s6
	v_cndmask_b32_e64 v19, v21, v39, s4
	ds_bpermute_b32 v21, v66, v10 offset:32
	ds_bpermute_b32 v22, v66, v11 offset:32
	;; [unrolled: 1-line block ×6, first 2 shown]
	s_wait_dscnt 0x12
	v_cndmask_b32_e32 v23, 0, v23, vcc_lo
	s_wait_dscnt 0xd
	v_cndmask_b32_e64 v19, v19, v20, s5
	v_dual_cndmask_b32 v20, 0, v24 :: v_dual_cndmask_b32 v13, 0, v13
	v_cndmask_b32_e32 v12, 0, v12, vcc_lo
	v_cndmask_b32_e64 v23, v23, v25, s4
	v_cndmask_b32_e64 v18, v18, v40, s5
	s_wait_dscnt 0xc
	v_cndmask_b32_e64 v20, v20, v26, s4
	s_wait_dscnt 0xb
	;; [unrolled: 2-line block ×4, first 2 shown]
	v_cndmask_b32_e64 v14, v23, v27, s5
	v_lshlrev_b32_e32 v38, 3, v61
	s_wait_dscnt 0x8
	v_cndmask_b32_e64 v15, v20, v28, s5
	s_wait_dscnt 0x7
	v_cndmask_b32_e64 v13, v13, v9, s5
	;; [unrolled: 2-line block ×3, first 2 shown]
	s_getpc_b64 s[4:5]
	s_wait_alu 0xfffe
	s_sext_i32_i16 s5, s5
	s_add_co_u32 s4, s4, _ZN7rocprim17ROCPRIM_400000_NS16block_radix_sortIdLj32ELj4ElLj1ELj1ELj0ELNS0_26block_radix_rank_algorithmE1ELNS0_18block_padding_hintE2ELNS0_4arch9wavefront6targetE0EE19radix_bits_per_passE@rel32@lo+12
	s_wait_alu 0xfffe
	s_add_co_ci_u32 s5, s5, _ZN7rocprim17ROCPRIM_400000_NS16block_radix_sortIdLj32ELj4ElLj1ELj1ELj0ELNS0_26block_radix_rank_algorithmE1ELNS0_18block_padding_hintE2ELNS0_4arch9wavefront6targetE0EE19radix_bits_per_passE@rel32@hi+24
	s_wait_dscnt 0x4
	v_cndmask_b32_e64 v19, v19, v22, s6
	v_cndmask_b32_e64 v18, v18, v21, s6
	s_wait_dscnt 0x2
	v_cndmask_b32_e64 v9, v14, v30, s6
	v_cndmask_b32_e64 v8, v15, v29, s6
	;; [unrolled: 3-line block ×3, first 2 shown]
	s_wait_kmcnt 0x0
	s_lshr_b32 s6, s7, 16
	s_load_b32 s11, s[4:5], 0x0
	v_mad_u32_u24 v12, v65, s6, v64
	s_and_b32 s4, s7, 0xffff
	v_sub_co_u32 v14, s10, v35, 1
	v_cmp_lt_u32_e64 s5, 1, v62
	s_wait_alu 0xfffe
	v_mad_co_u64_u32 v[12:13], null, v12, s4, v[36:37]
	s_delay_alu instid0(VALU_DEP_3)
	v_cmp_gt_i32_e32 vcc_lo, 0, v14
	v_cmp_eq_u32_e64 s4, 0, v62
	v_cmp_lt_u32_e64 s6, 3, v62
	v_cmp_lt_u32_e64 s7, 7, v62
	s_wait_alu 0xfffd
	v_dual_mov_b32 v40, 0 :: v_dual_cndmask_b32 v13, v14, v35
	v_lshrrev_b32_e32 v12, 3, v12
	v_cmp_eq_u32_e32 vcc_lo, 0, v36
	s_delay_alu instid0(VALU_DEP_3) | instskip(NEXT) | instid1(VALU_DEP_3)
	v_lshlrev_b32_e32 v37, 2, v13
	v_dual_mov_b32 v12, 0 :: v_dual_and_b32 v39, 0x1ffffffc, v12
	v_mov_b32_e32 v13, 0
	s_or_b32 s15, vcc_lo, s10
	s_branch .LBB188_39
.LBB188_38:                             ;   in Loop: Header=BB188_39 Depth=1
	s_wait_alu 0xfffe
	s_and_not1_b32 vcc_lo, exec_lo, s10
	s_wait_alu 0xfffe
	s_cbranch_vccz .LBB188_51
.LBB188_39:                             ; =>This Inner Loop Header: Depth=1
	v_dual_mov_b32 v15, v1 :: v_dual_mov_b32 v14, v0
	s_wait_kmcnt 0x0
	s_min_u32 s10, s11, s17
	v_mov_b32_e32 v29, v7
	s_wait_alu 0xfffe
	s_lshl_b32 s10, -1, s10
	ds_store_2addr_b32 v60, v40, v40 offset0:1 offset1:2
	ds_store_2addr_b32 v60, v40, v40 offset0:3 offset1:4
	;; [unrolled: 1-line block ×4, first 2 shown]
	v_cmp_ne_u64_e32 vcc_lo, s[22:23], v[14:15]
	s_wait_alu 0xfffe
	s_not_b32 s20, s10
	; wave barrier
	s_wait_loadcnt_dscnt 0x0
	global_inv scope:SCOPE_SE
	; wave barrier
	s_wait_alu 0xfffd
	v_cndmask_b32_e32 v1, 0x7fffffff, v15, vcc_lo
	v_cndmask_b32_e32 v0, -1, v14, vcc_lo
	v_dual_mov_b32 v28, v6 :: v_dual_mov_b32 v31, v5
	v_mov_b32_e32 v30, v4
	v_mov_b32_e32 v36, v3
	s_delay_alu instid0(VALU_DEP_4) | instskip(SKIP_2) | instid1(VALU_DEP_2)
	v_lshrrev_b64 v[0:1], v12, v[0:1]
	v_mov_b32_e32 v35, v2
	s_wait_alu 0xfffe
	v_and_b32_e32 v1, s20, v0
	s_delay_alu instid0(VALU_DEP_1)
	v_and_b32_e32 v0, 1, v1
	v_lshlrev_b32_e32 v20, 30, v1
	v_lshlrev_b32_e32 v21, 29, v1
	;; [unrolled: 1-line block ×4, first 2 shown]
	v_add_co_u32 v0, s10, v0, -1
	s_wait_alu 0xf1ff
	v_cndmask_b32_e64 v23, 0, 1, s10
	v_not_b32_e32 v27, v20
	v_cmp_gt_i32_e64 s10, 0, v20
	v_not_b32_e32 v20, v21
	v_lshlrev_b32_e32 v25, 26, v1
	v_cmp_ne_u32_e32 vcc_lo, 0, v23
	v_lshlrev_b32_e32 v23, 24, v1
	v_lshlrev_b32_e32 v26, 25, v1
	v_ashrrev_i32_e32 v27, 31, v27
	v_ashrrev_i32_e32 v20, 31, v20
	s_wait_alu 0xfffd
	v_xor_b32_e32 v0, vcc_lo, v0
	v_cmp_gt_i32_e32 vcc_lo, 0, v21
	v_not_b32_e32 v21, v22
	s_wait_alu 0xf1ff
	v_xor_b32_e32 v27, s10, v27
	v_cmp_gt_i32_e64 s10, 0, v22
	v_and_b32_e32 v0, exec_lo, v0
	v_not_b32_e32 v22, v24
	v_ashrrev_i32_e32 v21, 31, v21
	s_wait_alu 0xfffd
	v_xor_b32_e32 v20, vcc_lo, v20
	v_cmp_gt_i32_e32 vcc_lo, 0, v24
	v_and_b32_e32 v0, v0, v27
	v_not_b32_e32 v24, v25
	v_ashrrev_i32_e32 v22, 31, v22
	s_wait_alu 0xf1ff
	v_xor_b32_e32 v21, s10, v21
	v_cmp_gt_i32_e64 s10, 0, v25
	v_and_b32_e32 v0, v0, v20
	v_ashrrev_i32_e32 v24, 31, v24
	s_wait_alu 0xfffd
	v_xor_b32_e32 v22, vcc_lo, v22
	s_delay_alu instid0(VALU_DEP_3)
	v_and_b32_e32 v0, v0, v21
	s_wait_alu 0xf1ff
	v_xor_b32_e32 v24, s10, v24
	v_not_b32_e32 v21, v23
	v_cmp_gt_i32_e64 s10, 0, v23
	v_dual_mov_b32 v23, v9 :: v_dual_and_b32 v0, v0, v22
	s_delay_alu instid0(VALU_DEP_3) | instskip(SKIP_2) | instid1(VALU_DEP_4)
	v_ashrrev_i32_e32 v21, 31, v21
	v_mov_b32_e32 v22, v8
	v_lshl_add_u32 v9, v1, 2, v39
	v_dual_mov_b32 v25, v19 :: v_dual_and_b32 v0, v0, v24
	v_not_b32_e32 v20, v26
	v_cmp_gt_i32_e32 vcc_lo, 0, v26
	s_wait_alu 0xf1ff
	v_xor_b32_e32 v21, s10, v21
	v_dual_mov_b32 v27, v17 :: v_dual_mov_b32 v26, v16
	v_ashrrev_i32_e32 v20, 31, v20
	v_mov_b32_e32 v24, v18
	s_wait_alu 0xfffd
	s_delay_alu instid0(VALU_DEP_2) | instskip(NEXT) | instid1(VALU_DEP_1)
	v_xor_b32_e32 v20, vcc_lo, v20
	v_and_b32_e32 v0, v0, v20
	s_delay_alu instid0(VALU_DEP_1) | instskip(SKIP_1) | instid1(VALU_DEP_2)
	v_dual_mov_b32 v21, v11 :: v_dual_and_b32 v0, v0, v21
	v_mov_b32_e32 v20, v10
	v_mbcnt_lo_u32_b32 v8, v0, 0
	v_cmp_ne_u32_e64 s10, 0, v0
	s_delay_alu instid0(VALU_DEP_2)
	v_cmp_eq_u32_e32 vcc_lo, 0, v8
	s_and_b32 s21, s10, vcc_lo
	s_wait_alu 0xfffe
	s_and_saveexec_b32 s10, s21
; %bb.40:                               ;   in Loop: Header=BB188_39 Depth=1
	v_bcnt_u32_b32 v0, v0, 0
	ds_store_b32 v9, v0 offset:4
; %bb.41:                               ;   in Loop: Header=BB188_39 Depth=1
	s_wait_alu 0xfffe
	s_or_b32 exec_lo, exec_lo, s10
	v_cmp_ne_u64_e32 vcc_lo, s[22:23], v[35:36]
	; wave barrier
	s_wait_alu 0xfffd
	v_cndmask_b32_e32 v1, 0x7fffffff, v36, vcc_lo
	v_cndmask_b32_e32 v0, -1, v35, vcc_lo
	s_delay_alu instid0(VALU_DEP_1) | instskip(NEXT) | instid1(VALU_DEP_1)
	v_lshrrev_b64 v[0:1], v12, v[0:1]
	v_and_b32_e32 v0, s20, v0
	s_delay_alu instid0(VALU_DEP_1)
	v_and_b32_e32 v1, 1, v0
	v_lshlrev_b32_e32 v2, 30, v0
	v_lshlrev_b32_e32 v3, 29, v0
	;; [unrolled: 1-line block ×4, first 2 shown]
	v_add_co_u32 v1, s10, v1, -1
	s_wait_alu 0xf1ff
	v_cndmask_b32_e64 v5, 0, 1, s10
	v_not_b32_e32 v11, v2
	v_cmp_gt_i32_e64 s10, 0, v2
	v_not_b32_e32 v2, v3
	v_lshlrev_b32_e32 v7, 26, v0
	v_cmp_ne_u32_e32 vcc_lo, 0, v5
	v_ashrrev_i32_e32 v11, 31, v11
	v_lshlrev_b32_e32 v10, 25, v0
	v_ashrrev_i32_e32 v2, 31, v2
	v_lshlrev_b32_e32 v5, 24, v0
	s_wait_alu 0xfffd
	v_xor_b32_e32 v1, vcc_lo, v1
	v_cmp_gt_i32_e32 vcc_lo, 0, v3
	v_not_b32_e32 v3, v4
	s_wait_alu 0xf1ff
	v_xor_b32_e32 v11, s10, v11
	v_cmp_gt_i32_e64 s10, 0, v4
	v_and_b32_e32 v1, exec_lo, v1
	v_not_b32_e32 v4, v6
	v_ashrrev_i32_e32 v3, 31, v3
	s_wait_alu 0xfffd
	v_xor_b32_e32 v2, vcc_lo, v2
	v_cmp_gt_i32_e32 vcc_lo, 0, v6
	v_and_b32_e32 v1, v1, v11
	v_not_b32_e32 v6, v7
	v_ashrrev_i32_e32 v4, 31, v4
	s_wait_alu 0xf1ff
	v_xor_b32_e32 v3, s10, v3
	v_cmp_gt_i32_e64 s10, 0, v7
	v_and_b32_e32 v1, v1, v2
	v_not_b32_e32 v2, v10
	v_ashrrev_i32_e32 v6, 31, v6
	s_wait_alu 0xfffd
	v_xor_b32_e32 v4, vcc_lo, v4
	v_cmp_gt_i32_e32 vcc_lo, 0, v10
	v_and_b32_e32 v1, v1, v3
	v_not_b32_e32 v3, v5
	v_ashrrev_i32_e32 v2, 31, v2
	s_wait_alu 0xf1ff
	v_xor_b32_e32 v6, s10, v6
	v_cmp_gt_i32_e64 s10, 0, v5
	v_and_b32_e32 v1, v1, v4
	v_ashrrev_i32_e32 v3, 31, v3
	s_wait_alu 0xfffd
	v_xor_b32_e32 v2, vcc_lo, v2
	v_lshl_add_u32 v11, v0, 2, v39
	v_and_b32_e32 v1, v1, v6
	s_wait_alu 0xf1ff
	v_xor_b32_e32 v0, s10, v3
	ds_load_b32 v10, v11 offset:4
	v_and_b32_e32 v1, v1, v2
	; wave barrier
	s_delay_alu instid0(VALU_DEP_1) | instskip(NEXT) | instid1(VALU_DEP_1)
	v_and_b32_e32 v0, v1, v0
	v_mbcnt_lo_u32_b32 v16, v0, 0
	v_cmp_ne_u32_e64 s10, 0, v0
	s_delay_alu instid0(VALU_DEP_2)
	v_cmp_eq_u32_e32 vcc_lo, 0, v16
	s_and_b32 s21, s10, vcc_lo
	s_wait_alu 0xfffe
	s_and_saveexec_b32 s10, s21
	s_cbranch_execz .LBB188_43
; %bb.42:                               ;   in Loop: Header=BB188_39 Depth=1
	s_wait_dscnt 0x0
	v_bcnt_u32_b32 v0, v0, v10
	ds_store_b32 v11, v0 offset:4
.LBB188_43:                             ;   in Loop: Header=BB188_39 Depth=1
	s_wait_alu 0xfffe
	s_or_b32 exec_lo, exec_lo, s10
	v_cmp_ne_u64_e32 vcc_lo, s[22:23], v[30:31]
	; wave barrier
	s_wait_alu 0xfffd
	v_cndmask_b32_e32 v1, 0x7fffffff, v31, vcc_lo
	v_cndmask_b32_e32 v0, -1, v30, vcc_lo
	s_delay_alu instid0(VALU_DEP_1) | instskip(NEXT) | instid1(VALU_DEP_1)
	v_lshrrev_b64 v[0:1], v12, v[0:1]
	v_and_b32_e32 v0, s20, v0
	s_delay_alu instid0(VALU_DEP_1)
	v_and_b32_e32 v1, 1, v0
	v_lshlrev_b32_e32 v2, 30, v0
	v_lshlrev_b32_e32 v3, 29, v0
	;; [unrolled: 1-line block ×4, first 2 shown]
	v_add_co_u32 v1, s10, v1, -1
	s_wait_alu 0xf1ff
	v_cndmask_b32_e64 v5, 0, 1, s10
	v_not_b32_e32 v18, v2
	v_cmp_gt_i32_e64 s10, 0, v2
	v_not_b32_e32 v2, v3
	v_lshlrev_b32_e32 v7, 26, v0
	v_cmp_ne_u32_e32 vcc_lo, 0, v5
	v_ashrrev_i32_e32 v18, 31, v18
	v_lshlrev_b32_e32 v17, 25, v0
	v_ashrrev_i32_e32 v2, 31, v2
	v_lshlrev_b32_e32 v5, 24, v0
	s_wait_alu 0xfffd
	v_xor_b32_e32 v1, vcc_lo, v1
	v_cmp_gt_i32_e32 vcc_lo, 0, v3
	v_not_b32_e32 v3, v4
	s_wait_alu 0xf1ff
	v_xor_b32_e32 v18, s10, v18
	v_cmp_gt_i32_e64 s10, 0, v4
	v_and_b32_e32 v1, exec_lo, v1
	v_not_b32_e32 v4, v6
	v_ashrrev_i32_e32 v3, 31, v3
	s_wait_alu 0xfffd
	v_xor_b32_e32 v2, vcc_lo, v2
	v_cmp_gt_i32_e32 vcc_lo, 0, v6
	v_and_b32_e32 v1, v1, v18
	v_not_b32_e32 v6, v7
	v_ashrrev_i32_e32 v4, 31, v4
	s_wait_alu 0xf1ff
	v_xor_b32_e32 v3, s10, v3
	v_cmp_gt_i32_e64 s10, 0, v7
	v_and_b32_e32 v1, v1, v2
	v_not_b32_e32 v2, v17
	v_ashrrev_i32_e32 v6, 31, v6
	s_wait_alu 0xfffd
	v_xor_b32_e32 v4, vcc_lo, v4
	v_cmp_gt_i32_e32 vcc_lo, 0, v17
	v_and_b32_e32 v1, v1, v3
	v_not_b32_e32 v3, v5
	v_ashrrev_i32_e32 v2, 31, v2
	s_wait_alu 0xf1ff
	v_xor_b32_e32 v6, s10, v6
	v_cmp_gt_i32_e64 s10, 0, v5
	v_and_b32_e32 v1, v1, v4
	v_ashrrev_i32_e32 v3, 31, v3
	s_wait_alu 0xfffd
	v_xor_b32_e32 v2, vcc_lo, v2
	v_lshl_add_u32 v18, v0, 2, v39
	v_and_b32_e32 v1, v1, v6
	s_wait_alu 0xf1ff
	v_xor_b32_e32 v0, s10, v3
	ds_load_b32 v17, v18 offset:4
	v_and_b32_e32 v1, v1, v2
	; wave barrier
	s_delay_alu instid0(VALU_DEP_1) | instskip(NEXT) | instid1(VALU_DEP_1)
	v_and_b32_e32 v0, v1, v0
	v_mbcnt_lo_u32_b32 v19, v0, 0
	v_cmp_ne_u32_e64 s10, 0, v0
	s_delay_alu instid0(VALU_DEP_2)
	v_cmp_eq_u32_e32 vcc_lo, 0, v19
	s_and_b32 s21, s10, vcc_lo
	s_wait_alu 0xfffe
	s_and_saveexec_b32 s10, s21
	s_cbranch_execz .LBB188_45
; %bb.44:                               ;   in Loop: Header=BB188_39 Depth=1
	s_wait_dscnt 0x0
	v_bcnt_u32_b32 v0, v0, v17
	ds_store_b32 v18, v0 offset:4
.LBB188_45:                             ;   in Loop: Header=BB188_39 Depth=1
	s_wait_alu 0xfffe
	s_or_b32 exec_lo, exec_lo, s10
	v_cmp_ne_u64_e32 vcc_lo, s[22:23], v[28:29]
	; wave barrier
	s_wait_alu 0xfffd
	v_cndmask_b32_e32 v1, 0x7fffffff, v29, vcc_lo
	v_cndmask_b32_e32 v0, -1, v28, vcc_lo
	s_delay_alu instid0(VALU_DEP_1) | instskip(NEXT) | instid1(VALU_DEP_1)
	v_lshrrev_b64 v[0:1], v12, v[0:1]
	v_and_b32_e32 v0, s20, v0
	s_delay_alu instid0(VALU_DEP_1)
	v_and_b32_e32 v1, 1, v0
	v_lshlrev_b32_e32 v2, 30, v0
	v_lshlrev_b32_e32 v3, 29, v0
	;; [unrolled: 1-line block ×4, first 2 shown]
	v_add_co_u32 v1, s10, v1, -1
	s_wait_alu 0xf1ff
	v_cndmask_b32_e64 v5, 0, 1, s10
	v_not_b32_e32 v42, v2
	v_cmp_gt_i32_e64 s10, 0, v2
	v_not_b32_e32 v2, v3
	v_lshlrev_b32_e32 v7, 26, v0
	v_cmp_ne_u32_e32 vcc_lo, 0, v5
	v_ashrrev_i32_e32 v42, 31, v42
	v_lshlrev_b32_e32 v41, 25, v0
	v_ashrrev_i32_e32 v2, 31, v2
	v_lshlrev_b32_e32 v5, 24, v0
	s_wait_alu 0xfffd
	v_xor_b32_e32 v1, vcc_lo, v1
	v_cmp_gt_i32_e32 vcc_lo, 0, v3
	v_not_b32_e32 v3, v4
	s_wait_alu 0xf1ff
	v_xor_b32_e32 v42, s10, v42
	v_cmp_gt_i32_e64 s10, 0, v4
	v_and_b32_e32 v1, exec_lo, v1
	v_not_b32_e32 v4, v6
	v_ashrrev_i32_e32 v3, 31, v3
	s_wait_alu 0xfffd
	v_xor_b32_e32 v2, vcc_lo, v2
	v_cmp_gt_i32_e32 vcc_lo, 0, v6
	v_and_b32_e32 v1, v1, v42
	v_not_b32_e32 v6, v7
	v_ashrrev_i32_e32 v4, 31, v4
	s_wait_alu 0xf1ff
	v_xor_b32_e32 v3, s10, v3
	v_cmp_gt_i32_e64 s10, 0, v7
	v_and_b32_e32 v1, v1, v2
	v_not_b32_e32 v2, v41
	v_ashrrev_i32_e32 v6, 31, v6
	s_wait_alu 0xfffd
	v_xor_b32_e32 v4, vcc_lo, v4
	v_cmp_gt_i32_e32 vcc_lo, 0, v41
	v_and_b32_e32 v1, v1, v3
	v_not_b32_e32 v3, v5
	v_ashrrev_i32_e32 v2, 31, v2
	s_wait_alu 0xf1ff
	v_xor_b32_e32 v6, s10, v6
	v_cmp_gt_i32_e64 s10, 0, v5
	v_and_b32_e32 v1, v1, v4
	v_ashrrev_i32_e32 v3, 31, v3
	s_wait_alu 0xfffd
	v_xor_b32_e32 v2, vcc_lo, v2
	v_lshl_add_u32 v42, v0, 2, v39
	v_and_b32_e32 v1, v1, v6
	s_wait_alu 0xf1ff
	v_xor_b32_e32 v0, s10, v3
	ds_load_b32 v41, v42 offset:4
	v_and_b32_e32 v1, v1, v2
	; wave barrier
	s_delay_alu instid0(VALU_DEP_1) | instskip(NEXT) | instid1(VALU_DEP_1)
	v_and_b32_e32 v0, v1, v0
	v_mbcnt_lo_u32_b32 v45, v0, 0
	v_cmp_ne_u32_e64 s10, 0, v0
	s_delay_alu instid0(VALU_DEP_2)
	v_cmp_eq_u32_e32 vcc_lo, 0, v45
	s_and_b32 s20, s10, vcc_lo
	s_wait_alu 0xfffe
	s_and_saveexec_b32 s10, s20
	s_cbranch_execz .LBB188_47
; %bb.46:                               ;   in Loop: Header=BB188_39 Depth=1
	s_wait_dscnt 0x0
	v_bcnt_u32_b32 v0, v0, v41
	ds_store_b32 v42, v0 offset:4
.LBB188_47:                             ;   in Loop: Header=BB188_39 Depth=1
	s_wait_alu 0xfffe
	s_or_b32 exec_lo, exec_lo, s10
	; wave barrier
	; wave barrier
	s_wait_loadcnt_dscnt 0x0
	global_inv scope:SCOPE_SE
	ds_load_2addr_b32 v[6:7], v60 offset0:1 offset1:2
	ds_load_2addr_b32 v[4:5], v60 offset0:3 offset1:4
	;; [unrolled: 1-line block ×4, first 2 shown]
	s_wait_dscnt 0x3
	v_add_nc_u32_e32 v43, v7, v6
	s_wait_dscnt 0x2
	s_delay_alu instid0(VALU_DEP_1) | instskip(SKIP_1) | instid1(VALU_DEP_1)
	v_add3_u32 v43, v43, v4, v5
	s_wait_dscnt 0x1
	v_add3_u32 v43, v43, v2, v3
	s_wait_dscnt 0x0
	s_delay_alu instid0(VALU_DEP_1) | instskip(NEXT) | instid1(VALU_DEP_1)
	v_add3_u32 v1, v43, v0, v1
	v_mov_b32_dpp v43, v1 row_shr:1 row_mask:0xf bank_mask:0xf
	s_delay_alu instid0(VALU_DEP_1) | instskip(NEXT) | instid1(VALU_DEP_1)
	v_cndmask_b32_e64 v43, v43, 0, s4
	v_add_nc_u32_e32 v1, v43, v1
	s_delay_alu instid0(VALU_DEP_1) | instskip(NEXT) | instid1(VALU_DEP_1)
	v_mov_b32_dpp v43, v1 row_shr:2 row_mask:0xf bank_mask:0xf
	v_cndmask_b32_e64 v43, 0, v43, s5
	s_delay_alu instid0(VALU_DEP_1) | instskip(NEXT) | instid1(VALU_DEP_1)
	v_add_nc_u32_e32 v1, v1, v43
	v_mov_b32_dpp v43, v1 row_shr:4 row_mask:0xf bank_mask:0xf
	s_delay_alu instid0(VALU_DEP_1) | instskip(NEXT) | instid1(VALU_DEP_1)
	v_cndmask_b32_e64 v43, 0, v43, s6
	v_add_nc_u32_e32 v1, v1, v43
	s_delay_alu instid0(VALU_DEP_1) | instskip(NEXT) | instid1(VALU_DEP_1)
	v_mov_b32_dpp v43, v1 row_shr:8 row_mask:0xf bank_mask:0xf
	v_cndmask_b32_e64 v43, 0, v43, s7
	s_delay_alu instid0(VALU_DEP_1) | instskip(SKIP_3) | instid1(VALU_DEP_1)
	v_add_nc_u32_e32 v1, v1, v43
	ds_swizzle_b32 v43, v1 offset:swizzle(BROADCAST,32,15)
	s_wait_dscnt 0x0
	v_cndmask_b32_e64 v43, v43, 0, s8
	v_add_nc_u32_e32 v1, v1, v43
	s_and_saveexec_b32 s10, s9
; %bb.48:                               ;   in Loop: Header=BB188_39 Depth=1
	ds_store_b32 v40, v1
; %bb.49:                               ;   in Loop: Header=BB188_39 Depth=1
	s_wait_alu 0xfffe
	s_or_b32 exec_lo, exec_lo, s10
	ds_bpermute_b32 v1, v37, v1
	; wave barrier
	s_wait_loadcnt_dscnt 0x0
	global_inv scope:SCOPE_SE
	v_cmp_lt_u32_e32 vcc_lo, 55, v12
	s_mov_b32 s10, -1
	s_and_b32 vcc_lo, exec_lo, vcc_lo
	v_cndmask_b32_e64 v1, v1, 0, s15
	s_delay_alu instid0(VALU_DEP_1) | instskip(NEXT) | instid1(VALU_DEP_1)
	v_add_nc_u32_e32 v6, v1, v6
	v_add_nc_u32_e32 v7, v6, v7
	s_delay_alu instid0(VALU_DEP_1) | instskip(NEXT) | instid1(VALU_DEP_1)
	v_add_nc_u32_e32 v4, v7, v4
	v_add_nc_u32_e32 v5, v4, v5
	;; [unrolled: 3-line block ×3, first 2 shown]
	s_delay_alu instid0(VALU_DEP_1)
	v_add_nc_u32_e32 v0, v3, v0
	ds_store_2addr_b32 v60, v1, v6 offset0:1 offset1:2
	ds_store_2addr_b32 v60, v7, v4 offset0:3 offset1:4
	;; [unrolled: 1-line block ×4, first 2 shown]
	; wave barrier
	s_wait_loadcnt_dscnt 0x0
	global_inv scope:SCOPE_SE
	ds_load_b32 v0, v9 offset:4
	ds_load_b32 v1, v11 offset:4
	;; [unrolled: 1-line block ×4, first 2 shown]
                                        ; implicit-def: $vgpr6_vgpr7
	s_wait_dscnt 0x3
	v_add_nc_u32_e32 v44, v0, v8
	s_wait_dscnt 0x2
	v_add3_u32 v43, v16, v10, v1
	s_wait_dscnt 0x1
	v_add3_u32 v42, v19, v17, v2
	;; [unrolled: 2-line block ×3, first 2 shown]
                                        ; implicit-def: $vgpr2_vgpr3
                                        ; implicit-def: $vgpr16_vgpr17
                                        ; implicit-def: $vgpr8_vgpr9
	s_wait_alu 0xfffe
	s_cbranch_vccnz .LBB188_38
; %bb.50:                               ;   in Loop: Header=BB188_39 Depth=1
	v_lshlrev_b32_e32 v8, 3, v44
	v_lshlrev_b32_e32 v9, 3, v43
	;; [unrolled: 1-line block ×4, first 2 shown]
	s_wait_loadcnt 0x0
	; wave barrier
	global_inv scope:SCOPE_SE
	ds_store_b64 v8, v[14:15]
	ds_store_b64 v9, v[35:36]
	;; [unrolled: 1-line block ×4, first 2 shown]
	; wave barrier
	s_wait_loadcnt_dscnt 0x0
	global_inv scope:SCOPE_SE
	ds_load_2addr_b64 v[0:3], v38 offset1:32
	ds_load_2addr_b64 v[4:7], v38 offset0:64 offset1:96
	; wave barrier
	s_wait_loadcnt_dscnt 0x0
	global_inv scope:SCOPE_SE
	ds_store_b64 v8, v[26:27]
	ds_store_b64 v9, v[24:25]
	;; [unrolled: 1-line block ×4, first 2 shown]
	; wave barrier
	s_wait_loadcnt_dscnt 0x0
	global_inv scope:SCOPE_SE
	ds_load_2addr_b64 v[16:19], v38 offset1:32
	ds_load_2addr_b64 v[8:11], v38 offset0:64 offset1:96
	v_add_co_u32 v12, vcc_lo, v12, 8
	s_wait_alu 0xfffd
	v_add_co_ci_u32_e64 v13, null, 0, v13, vcc_lo
	s_add_co_i32 s17, s17, -8
	s_mov_b32 s10, 0
	; wave barrier
	s_wait_loadcnt_dscnt 0x0
	global_inv scope:SCOPE_SE
	s_branch .LBB188_38
.LBB188_51:
	v_lshlrev_b32_e32 v8, 3, v44
	v_lshlrev_b32_e32 v10, 3, v42
	;; [unrolled: 1-line block ×5, first 2 shown]
	s_wait_loadcnt 0x0
	; wave barrier
	global_inv scope:SCOPE_SE
	ds_store_b64 v8, v[14:15]
	ds_store_b64 v9, v[35:36]
	;; [unrolled: 1-line block ×4, first 2 shown]
	; wave barrier
	s_wait_loadcnt_dscnt 0x0
	global_inv scope:SCOPE_SE
	ds_load_b128 v[0:3], v37
	ds_load_b128 v[4:7], v37 offset:16
	; wave barrier
	s_wait_loadcnt_dscnt 0x0
	global_inv scope:SCOPE_SE
	ds_store_b64 v8, v[26:27]
	ds_store_b64 v9, v[24:25]
	;; [unrolled: 1-line block ×4, first 2 shown]
	; wave barrier
	s_wait_loadcnt_dscnt 0x0
	global_inv scope:SCOPE_SE
	v_cmp_gt_i64_e32 vcc_lo, 0, v[0:1]
	v_ashrrev_i32_e32 v9, 31, v1
	v_ashrrev_i32_e32 v13, 31, v3
	;; [unrolled: 1-line block ×4, first 2 shown]
	s_wait_alu 0xfffd
	v_cndmask_b32_e64 v8, 0x7fffffff, 0, vcc_lo
	v_cmp_gt_i64_e32 vcc_lo, 0, v[2:3]
	v_not_b32_e32 v9, v9
	s_delay_alu instid0(VALU_DEP_3)
	v_xor_b32_e32 v1, v8, v1
	v_not_b32_e32 v8, v13
	s_wait_alu 0xfffd
	v_cndmask_b32_e64 v12, 0x7fffffff, 0, vcc_lo
	v_cmp_gt_i64_e32 vcc_lo, 0, v[4:5]
	v_xor_b32_e32 v0, v9, v0
	v_not_b32_e32 v13, v16
	v_xor_b32_e32 v2, v8, v2
	v_xor_b32_e32 v3, v12, v3
	v_not_b32_e32 v12, v15
	s_wait_alu 0xfffd
	v_cndmask_b32_e64 v14, 0x7fffffff, 0, vcc_lo
	v_cmp_gt_i64_e32 vcc_lo, 0, v[6:7]
	v_xor_b32_e32 v6, v13, v6
	v_xor_b32_e32 v4, v12, v4
	s_delay_alu instid0(VALU_DEP_4) | instskip(SKIP_2) | instid1(VALU_DEP_1)
	v_xor_b32_e32 v5, v14, v5
	s_wait_alu 0xfffd
	v_cndmask_b32_e64 v9, 0x7fffffff, 0, vcc_lo
	v_xor_b32_e32 v7, v9, v7
.LBB188_52:
	ds_load_2addr_b64 v[8:11], v37 offset1:1
	ds_load_2addr_b64 v[12:15], v37 offset0:2 offset1:3
	; wave barrier
	s_wait_loadcnt_dscnt 0x0
	global_inv scope:SCOPE_SE
	ds_store_2addr_b64 v59, v[0:1], v[2:3] offset1:1
	ds_store_2addr_b64 v59, v[4:5], v[6:7] offset0:2 offset1:3
	; wave barrier
	s_wait_loadcnt_dscnt 0x0
	global_inv scope:SCOPE_SE
	ds_load_b64 v[6:7], v56 offset:256
	ds_load_b64 v[4:5], v57 offset:512
	;; [unrolled: 1-line block ×3, first 2 shown]
	v_mov_b32_e32 v33, 0
	s_delay_alu instid0(VALU_DEP_1) | instskip(NEXT) | instid1(VALU_DEP_1)
	v_lshlrev_b64_e32 v[2:3], 3, v[32:33]
	v_add_co_u32 v2, vcc_lo, s18, v2
	s_wait_alu 0xfffd
	s_delay_alu instid0(VALU_DEP_2)
	v_add_co_ci_u32_e64 v3, null, s19, v3, vcc_lo
	s_and_saveexec_b32 s4, s0
	s_cbranch_execnz .LBB188_63
; %bb.53:
	s_wait_alu 0xfffe
	s_or_b32 exec_lo, exec_lo, s4
	s_and_saveexec_b32 s4, s1
	s_cbranch_execnz .LBB188_64
.LBB188_54:
	s_wait_alu 0xfffe
	s_or_b32 exec_lo, exec_lo, s4
	s_and_saveexec_b32 s4, s2
	s_cbranch_execnz .LBB188_65
.LBB188_55:
	s_wait_alu 0xfffe
	s_or_b32 exec_lo, exec_lo, s4
	s_and_saveexec_b32 s4, s3
	s_cbranch_execz .LBB188_57
.LBB188_56:
	s_mul_i32 s6, s14, 0x60
	s_mov_b32 s7, 0
	s_wait_alu 0xfffe
	s_lshl_b64 s[6:7], s[6:7], 3
	s_wait_alu 0xfffe
	v_add_co_u32 v2, vcc_lo, v2, s6
	s_wait_alu 0xfffd
	v_add_co_ci_u32_e64 v3, null, s7, v3, vcc_lo
	s_wait_dscnt 0x0
	global_store_b64 v[2:3], v[0:1], off
.LBB188_57:
	s_wait_alu 0xfffe
	s_or_b32 exec_lo, exec_lo, s4
	s_wait_storecnt 0x0
	; wave barrier
	s_wait_loadcnt_dscnt 0x0
	global_inv scope:SCOPE_SE
	ds_store_2addr_b64 v59, v[8:9], v[10:11] offset1:1
	ds_store_2addr_b64 v59, v[12:13], v[14:15] offset0:2 offset1:3
	; wave barrier
	s_wait_loadcnt_dscnt 0x0
	global_inv scope:SCOPE_SE
	ds_load_b64 v[6:7], v56 offset:256
	ds_load_b64 v[4:5], v57 offset:512
	;; [unrolled: 1-line block ×3, first 2 shown]
	v_mov_b32_e32 v35, 0
	s_delay_alu instid0(VALU_DEP_1) | instskip(NEXT) | instid1(VALU_DEP_1)
	v_lshlrev_b64_e32 v[2:3], 3, v[34:35]
	v_add_co_u32 v2, vcc_lo, s12, v2
	s_wait_alu 0xfffd
	s_delay_alu instid0(VALU_DEP_2)
	v_add_co_ci_u32_e64 v3, null, s13, v3, vcc_lo
	s_and_saveexec_b32 s4, s0
	s_cbranch_execnz .LBB188_66
; %bb.58:
	s_wait_alu 0xfffe
	s_or_b32 exec_lo, exec_lo, s4
	s_and_saveexec_b32 s0, s1
	s_cbranch_execnz .LBB188_67
.LBB188_59:
	s_or_b32 exec_lo, exec_lo, s0
	s_and_saveexec_b32 s0, s2
	s_cbranch_execnz .LBB188_68
.LBB188_60:
	s_or_b32 exec_lo, exec_lo, s0
	s_and_saveexec_b32 s0, s3
	s_cbranch_execz .LBB188_62
.LBB188_61:
	s_mul_i32 s0, s16, 0x60
	s_mov_b32 s1, 0
	s_delay_alu instid0(SALU_CYCLE_1) | instskip(NEXT) | instid1(SALU_CYCLE_1)
	s_lshl_b64 s[0:1], s[0:1], 3
	v_add_co_u32 v2, vcc_lo, v2, s0
	s_wait_alu 0xfffd
	v_add_co_ci_u32_e64 v3, null, s1, v3, vcc_lo
	s_wait_dscnt 0x0
	global_store_b64 v[2:3], v[0:1], off
.LBB188_62:
	s_endpgm
.LBB188_63:
	ds_load_b64 v[16:17], v55
	s_wait_dscnt 0x0
	global_store_b64 v[2:3], v[16:17], off
	s_wait_alu 0xfffe
	s_or_b32 exec_lo, exec_lo, s4
	s_and_saveexec_b32 s4, s1
	s_cbranch_execz .LBB188_54
.LBB188_64:
	s_lshl_b32 s6, s14, 5
	s_mov_b32 s7, 0
	s_wait_alu 0xfffe
	s_lshl_b64 s[6:7], s[6:7], 3
	s_wait_alu 0xfffe
	v_add_co_u32 v16, vcc_lo, v2, s6
	s_wait_alu 0xfffd
	v_add_co_ci_u32_e64 v17, null, s7, v3, vcc_lo
	s_wait_dscnt 0x2
	global_store_b64 v[16:17], v[6:7], off
	s_or_b32 exec_lo, exec_lo, s4
	s_and_saveexec_b32 s4, s2
	s_cbranch_execz .LBB188_55
.LBB188_65:
	s_lshl_b32 s6, s14, 6
	s_mov_b32 s7, 0
	s_wait_alu 0xfffe
	s_lshl_b64 s[6:7], s[6:7], 3
	s_wait_dscnt 0x2
	s_wait_alu 0xfffe
	v_add_co_u32 v6, vcc_lo, v2, s6
	s_wait_alu 0xfffd
	v_add_co_ci_u32_e64 v7, null, s7, v3, vcc_lo
	s_wait_dscnt 0x1
	global_store_b64 v[6:7], v[4:5], off
	s_or_b32 exec_lo, exec_lo, s4
	s_and_saveexec_b32 s4, s3
	s_cbranch_execnz .LBB188_56
	s_branch .LBB188_57
.LBB188_66:
	ds_load_b64 v[8:9], v55
	s_wait_dscnt 0x0
	global_store_b64 v[2:3], v[8:9], off
	s_wait_alu 0xfffe
	s_or_b32 exec_lo, exec_lo, s4
	s_and_saveexec_b32 s0, s1
	s_cbranch_execz .LBB188_59
.LBB188_67:
	s_lshl_b32 s4, s16, 5
	s_mov_b32 s5, 0
	s_wait_alu 0xfffe
	s_lshl_b64 s[4:5], s[4:5], 3
	s_wait_alu 0xfffe
	v_add_co_u32 v8, vcc_lo, v2, s4
	s_wait_alu 0xfffd
	v_add_co_ci_u32_e64 v9, null, s5, v3, vcc_lo
	s_wait_dscnt 0x2
	global_store_b64 v[8:9], v[6:7], off
	s_or_b32 exec_lo, exec_lo, s0
	s_and_saveexec_b32 s0, s2
	s_cbranch_execz .LBB188_60
.LBB188_68:
	s_lshl_b32 s4, s16, 6
	s_mov_b32 s5, 0
	s_wait_alu 0xfffe
	s_lshl_b64 s[4:5], s[4:5], 3
	s_wait_dscnt 0x2
	s_wait_alu 0xfffe
	v_add_co_u32 v6, vcc_lo, v2, s4
	s_wait_alu 0xfffd
	v_add_co_ci_u32_e64 v7, null, s5, v3, vcc_lo
	s_wait_dscnt 0x1
	global_store_b64 v[6:7], v[4:5], off
	s_or_b32 exec_lo, exec_lo, s0
	s_and_saveexec_b32 s0, s3
	s_cbranch_execnz .LBB188_61
	s_branch .LBB188_62
	.section	.rodata,"a",@progbits
	.p2align	6, 0x0
	.amdhsa_kernel _ZN2at6native18radixSortKVInPlaceILi2ELin1ELi32ELi4EdljEEvNS_4cuda6detail10TensorInfoIT3_T5_EES6_S6_S6_NS4_IT4_S6_EES6_b
		.amdhsa_group_segment_fixed_size 1056
		.amdhsa_private_segment_fixed_size 0
		.amdhsa_kernarg_size 712
		.amdhsa_user_sgpr_count 2
		.amdhsa_user_sgpr_dispatch_ptr 0
		.amdhsa_user_sgpr_queue_ptr 0
		.amdhsa_user_sgpr_kernarg_segment_ptr 1
		.amdhsa_user_sgpr_dispatch_id 0
		.amdhsa_user_sgpr_private_segment_size 0
		.amdhsa_wavefront_size32 1
		.amdhsa_uses_dynamic_stack 0
		.amdhsa_enable_private_segment 0
		.amdhsa_system_sgpr_workgroup_id_x 1
		.amdhsa_system_sgpr_workgroup_id_y 1
		.amdhsa_system_sgpr_workgroup_id_z 1
		.amdhsa_system_sgpr_workgroup_info 0
		.amdhsa_system_vgpr_workitem_id 2
		.amdhsa_next_free_vgpr 81
		.amdhsa_next_free_sgpr 26
		.amdhsa_reserve_vcc 1
		.amdhsa_float_round_mode_32 0
		.amdhsa_float_round_mode_16_64 0
		.amdhsa_float_denorm_mode_32 3
		.amdhsa_float_denorm_mode_16_64 3
		.amdhsa_fp16_overflow 0
		.amdhsa_workgroup_processor_mode 1
		.amdhsa_memory_ordered 1
		.amdhsa_forward_progress 1
		.amdhsa_inst_pref_size 86
		.amdhsa_round_robin_scheduling 0
		.amdhsa_exception_fp_ieee_invalid_op 0
		.amdhsa_exception_fp_denorm_src 0
		.amdhsa_exception_fp_ieee_div_zero 0
		.amdhsa_exception_fp_ieee_overflow 0
		.amdhsa_exception_fp_ieee_underflow 0
		.amdhsa_exception_fp_ieee_inexact 0
		.amdhsa_exception_int_div_zero 0
	.end_amdhsa_kernel
	.section	.text._ZN2at6native18radixSortKVInPlaceILi2ELin1ELi32ELi4EdljEEvNS_4cuda6detail10TensorInfoIT3_T5_EES6_S6_S6_NS4_IT4_S6_EES6_b,"axG",@progbits,_ZN2at6native18radixSortKVInPlaceILi2ELin1ELi32ELi4EdljEEvNS_4cuda6detail10TensorInfoIT3_T5_EES6_S6_S6_NS4_IT4_S6_EES6_b,comdat
.Lfunc_end188:
	.size	_ZN2at6native18radixSortKVInPlaceILi2ELin1ELi32ELi4EdljEEvNS_4cuda6detail10TensorInfoIT3_T5_EES6_S6_S6_NS4_IT4_S6_EES6_b, .Lfunc_end188-_ZN2at6native18radixSortKVInPlaceILi2ELin1ELi32ELi4EdljEEvNS_4cuda6detail10TensorInfoIT3_T5_EES6_S6_S6_NS4_IT4_S6_EES6_b
                                        ; -- End function
	.set _ZN2at6native18radixSortKVInPlaceILi2ELin1ELi32ELi4EdljEEvNS_4cuda6detail10TensorInfoIT3_T5_EES6_S6_S6_NS4_IT4_S6_EES6_b.num_vgpr, 81
	.set _ZN2at6native18radixSortKVInPlaceILi2ELin1ELi32ELi4EdljEEvNS_4cuda6detail10TensorInfoIT3_T5_EES6_S6_S6_NS4_IT4_S6_EES6_b.num_agpr, 0
	.set _ZN2at6native18radixSortKVInPlaceILi2ELin1ELi32ELi4EdljEEvNS_4cuda6detail10TensorInfoIT3_T5_EES6_S6_S6_NS4_IT4_S6_EES6_b.numbered_sgpr, 26
	.set _ZN2at6native18radixSortKVInPlaceILi2ELin1ELi32ELi4EdljEEvNS_4cuda6detail10TensorInfoIT3_T5_EES6_S6_S6_NS4_IT4_S6_EES6_b.num_named_barrier, 0
	.set _ZN2at6native18radixSortKVInPlaceILi2ELin1ELi32ELi4EdljEEvNS_4cuda6detail10TensorInfoIT3_T5_EES6_S6_S6_NS4_IT4_S6_EES6_b.private_seg_size, 0
	.set _ZN2at6native18radixSortKVInPlaceILi2ELin1ELi32ELi4EdljEEvNS_4cuda6detail10TensorInfoIT3_T5_EES6_S6_S6_NS4_IT4_S6_EES6_b.uses_vcc, 1
	.set _ZN2at6native18radixSortKVInPlaceILi2ELin1ELi32ELi4EdljEEvNS_4cuda6detail10TensorInfoIT3_T5_EES6_S6_S6_NS4_IT4_S6_EES6_b.uses_flat_scratch, 0
	.set _ZN2at6native18radixSortKVInPlaceILi2ELin1ELi32ELi4EdljEEvNS_4cuda6detail10TensorInfoIT3_T5_EES6_S6_S6_NS4_IT4_S6_EES6_b.has_dyn_sized_stack, 0
	.set _ZN2at6native18radixSortKVInPlaceILi2ELin1ELi32ELi4EdljEEvNS_4cuda6detail10TensorInfoIT3_T5_EES6_S6_S6_NS4_IT4_S6_EES6_b.has_recursion, 0
	.set _ZN2at6native18radixSortKVInPlaceILi2ELin1ELi32ELi4EdljEEvNS_4cuda6detail10TensorInfoIT3_T5_EES6_S6_S6_NS4_IT4_S6_EES6_b.has_indirect_call, 0
	.section	.AMDGPU.csdata,"",@progbits
; Kernel info:
; codeLenInByte = 10960
; TotalNumSgprs: 28
; NumVgprs: 81
; ScratchSize: 0
; MemoryBound: 0
; FloatMode: 240
; IeeeMode: 1
; LDSByteSize: 1056 bytes/workgroup (compile time only)
; SGPRBlocks: 0
; VGPRBlocks: 10
; NumSGPRsForWavesPerEU: 28
; NumVGPRsForWavesPerEU: 81
; Occupancy: 16
; WaveLimiterHint : 1
; COMPUTE_PGM_RSRC2:SCRATCH_EN: 0
; COMPUTE_PGM_RSRC2:USER_SGPR: 2
; COMPUTE_PGM_RSRC2:TRAP_HANDLER: 0
; COMPUTE_PGM_RSRC2:TGID_X_EN: 1
; COMPUTE_PGM_RSRC2:TGID_Y_EN: 1
; COMPUTE_PGM_RSRC2:TGID_Z_EN: 1
; COMPUTE_PGM_RSRC2:TIDIG_COMP_CNT: 2
	.section	.text._ZN2at6native18radixSortKVInPlaceILi2ELin1ELi16ELi2EdljEEvNS_4cuda6detail10TensorInfoIT3_T5_EES6_S6_S6_NS4_IT4_S6_EES6_b,"axG",@progbits,_ZN2at6native18radixSortKVInPlaceILi2ELin1ELi16ELi2EdljEEvNS_4cuda6detail10TensorInfoIT3_T5_EES6_S6_S6_NS4_IT4_S6_EES6_b,comdat
	.protected	_ZN2at6native18radixSortKVInPlaceILi2ELin1ELi16ELi2EdljEEvNS_4cuda6detail10TensorInfoIT3_T5_EES6_S6_S6_NS4_IT4_S6_EES6_b ; -- Begin function _ZN2at6native18radixSortKVInPlaceILi2ELin1ELi16ELi2EdljEEvNS_4cuda6detail10TensorInfoIT3_T5_EES6_S6_S6_NS4_IT4_S6_EES6_b
	.globl	_ZN2at6native18radixSortKVInPlaceILi2ELin1ELi16ELi2EdljEEvNS_4cuda6detail10TensorInfoIT3_T5_EES6_S6_S6_NS4_IT4_S6_EES6_b
	.p2align	8
	.type	_ZN2at6native18radixSortKVInPlaceILi2ELin1ELi16ELi2EdljEEvNS_4cuda6detail10TensorInfoIT3_T5_EES6_S6_S6_NS4_IT4_S6_EES6_b,@function
_ZN2at6native18radixSortKVInPlaceILi2ELin1ELi16ELi2EdljEEvNS_4cuda6detail10TensorInfoIT3_T5_EES6_S6_S6_NS4_IT4_S6_EES6_b: ; @_ZN2at6native18radixSortKVInPlaceILi2ELin1ELi16ELi2EdljEEvNS_4cuda6detail10TensorInfoIT3_T5_EES6_S6_S6_NS4_IT4_S6_EES6_b
; %bb.0:
	s_clause 0x1
	s_load_b64 s[2:3], s[0:1], 0x1c8
	s_load_b96 s[16:18], s[0:1], 0xd8
	s_lshr_b32 s4, ttmp7, 16
	s_wait_kmcnt 0x0
	s_mul_i32 s3, s3, s4
	s_and_b32 s4, ttmp7, 0xffff
	s_delay_alu instid0(SALU_CYCLE_1) | instskip(NEXT) | instid1(SALU_CYCLE_1)
	s_add_co_i32 s3, s3, s4
	s_mul_i32 s2, s3, s2
	s_delay_alu instid0(SALU_CYCLE_1) | instskip(NEXT) | instid1(SALU_CYCLE_1)
	s_add_co_i32 s6, s2, ttmp9
	s_cmp_ge_u32 s6, s16
	s_cbranch_scc1 .LBB189_54
; %bb.1:
	s_clause 0x2
	s_load_b32 s14, s[0:1], 0xc
	s_load_b64 s[10:11], s[0:1], 0x6c
	s_load_b32 s12, s[0:1], 0x1b8
	s_mov_b32 s7, 0
	s_add_nc_u64 s[8:9], s[0:1], 0xe8
	s_mov_b32 s5, s7
	s_wait_kmcnt 0x0
	s_cvt_f32_u32 s2, s14
	s_sub_co_i32 s3, 0, s14
	s_delay_alu instid0(SALU_CYCLE_2) | instskip(NEXT) | instid1(TRANS32_DEP_1)
	v_rcp_iflag_f32_e32 v1, s2
	v_readfirstlane_b32 s2, v1
	s_mul_f32 s2, s2, 0x4f7ffffe
	s_wait_alu 0xfffe
	s_delay_alu instid0(SALU_CYCLE_2) | instskip(SKIP_1) | instid1(SALU_CYCLE_2)
	s_cvt_u32_f32 s2, s2
	s_wait_alu 0xfffe
	s_mul_i32 s3, s3, s2
	s_wait_alu 0xfffe
	s_mul_hi_u32 s3, s2, s3
	s_wait_alu 0xfffe
	s_add_co_i32 s4, s2, s3
	s_cmp_lt_i32 s12, 2
	s_mov_b32 s2, s6
	s_mov_b32 s3, s7
	s_cbranch_scc1 .LBB189_4
; %bb.2:
	s_add_co_i32 s2, s12, -1
	s_mov_b32 s3, 0
	s_add_co_i32 s15, s12, 1
	s_wait_alu 0xfffe
	s_lshl_b64 s[20:21], s[2:3], 2
	s_mov_b32 s2, s6
	s_add_nc_u64 s[20:21], s[8:9], s[20:21]
	s_delay_alu instid0(SALU_CYCLE_1)
	s_add_nc_u64 s[12:13], s[20:21], 8
.LBB189_3:                              ; =>This Inner Loop Header: Depth=1
	s_clause 0x1
	s_load_b32 s16, s[12:13], 0x0
	s_load_b32 s19, s[12:13], 0x64
	s_mov_b32 s22, s2
	s_add_nc_u64 s[12:13], s[12:13], -4
	s_wait_kmcnt 0x0
	s_cvt_f32_u32 s20, s16
	s_sub_co_i32 s21, 0, s16
	s_wait_alu 0xfffe
	s_delay_alu instid0(SALU_CYCLE_1) | instskip(NEXT) | instid1(TRANS32_DEP_1)
	v_rcp_iflag_f32_e32 v1, s20
	v_readfirstlane_b32 s20, v1
	s_mul_f32 s20, s20, 0x4f7ffffe
	s_wait_alu 0xfffe
	s_delay_alu instid0(SALU_CYCLE_2) | instskip(SKIP_1) | instid1(SALU_CYCLE_2)
	s_cvt_u32_f32 s20, s20
	s_wait_alu 0xfffe
	s_mul_i32 s21, s21, s20
	s_wait_alu 0xfffe
	s_mul_hi_u32 s21, s20, s21
	s_wait_alu 0xfffe
	s_add_co_i32 s20, s20, s21
	s_wait_alu 0xfffe
	s_mul_hi_u32 s2, s2, s20
	s_wait_alu 0xfffe
	s_mul_i32 s20, s2, s16
	s_add_co_i32 s21, s2, 1
	s_wait_alu 0xfffe
	s_sub_co_i32 s20, s22, s20
	s_wait_alu 0xfffe
	s_sub_co_i32 s23, s20, s16
	s_cmp_ge_u32 s20, s16
	s_cselect_b32 s2, s21, s2
	s_cselect_b32 s20, s23, s20
	s_wait_alu 0xfffe
	s_add_co_i32 s21, s2, 1
	s_cmp_ge_u32 s20, s16
	s_wait_alu 0xfffe
	s_cselect_b32 s2, s21, s2
	s_add_co_i32 s15, s15, -1
	s_wait_alu 0xfffe
	s_mul_i32 s16, s2, s16
	s_delay_alu instid0(SALU_CYCLE_1) | instskip(NEXT) | instid1(SALU_CYCLE_1)
	s_sub_co_i32 s16, s22, s16
	s_mul_i32 s16, s19, s16
	s_delay_alu instid0(SALU_CYCLE_1)
	s_add_co_i32 s3, s16, s3
	s_cmp_gt_u32 s15, 2
	s_cbranch_scc1 .LBB189_3
.LBB189_4:
	s_mul_u64 s[4:5], s[6:7], s[4:5]
	s_clause 0x1
	s_load_b64 s[12:13], s[0:1], 0x0
	s_load_b64 s[20:21], s[0:1], 0x1c0
	s_mul_i32 s4, s5, s14
	s_add_co_i32 s1, s5, 1
	s_sub_co_i32 s0, s6, s4
	v_mul_lo_u32 v20, s18, v0
	s_sub_co_i32 s4, s0, s14
	s_cmp_ge_u32 s0, s14
	s_cselect_b32 s1, s1, s5
	s_cselect_b32 s0, s4, s0
	s_add_co_i32 s4, s1, 1
	s_cmp_ge_u32 s0, s14
	s_cselect_b32 s0, s4, s1
	s_mov_b32 s4, -1
	s_mul_i32 s1, s0, s14
	s_mul_i32 s0, s0, s10
	s_sub_co_i32 s1, s6, s1
	s_mov_b32 s6, s4
	s_mul_i32 s5, s1, s11
	s_mov_b32 s1, 0
	s_add_co_i32 s0, s0, s5
	s_wait_kmcnt 0x0
	s_bitcmp1_b32 s21, 0
	s_cselect_b32 s10, -1, 0
	s_lshl_b64 s[14:15], s[0:1], 3
	s_and_b32 s0, s10, exec_lo
	s_cselect_b32 s5, -1, 0x7fffffff
	v_cmp_gt_u32_e64 s0, s17, v0
	s_mov_b32 s7, s5
	v_dual_mov_b32 v1, s4 :: v_dual_mov_b32 v2, s5
	v_dual_mov_b32 v3, s6 :: v_dual_mov_b32 v4, s7
	;; [unrolled: 1-line block ×3, first 2 shown]
	s_add_nc_u64 s[22:23], s[12:13], s[14:15]
	s_and_saveexec_b32 s1, s0
	s_cbranch_execz .LBB189_6
; %bb.5:
	v_mov_b32_e32 v21, 0
	s_delay_alu instid0(VALU_DEP_1) | instskip(NEXT) | instid1(VALU_DEP_1)
	v_lshlrev_b64_e32 v[1:2], 3, v[20:21]
	v_add_co_u32 v1, vcc_lo, s22, v1
	s_delay_alu instid0(VALU_DEP_1)
	v_add_co_ci_u32_e64 v2, null, s23, v2, vcc_lo
	global_load_b64 v[5:6], v[1:2], off
	v_dual_mov_b32 v1, s4 :: v_dual_mov_b32 v4, s7
	v_dual_mov_b32 v3, s6 :: v_dual_mov_b32 v2, s5
.LBB189_6:
	s_or_b32 exec_lo, exec_lo, s1
	s_clause 0x1
	s_load_b32 s6, s[8:9], 0x6c
	s_load_b64 s[4:5], s[8:9], 0x0
	v_or_b32_e32 v7, 16, v0
	s_delay_alu instid0(VALU_DEP_1)
	v_cmp_gt_u32_e64 s1, s17, v7
	s_and_saveexec_b32 s7, s1
	s_cbranch_execz .LBB189_8
; %bb.7:
	v_mul_lo_u32 v1, s18, v7
	v_mov_b32_e32 v2, 0
	s_delay_alu instid0(VALU_DEP_1) | instskip(NEXT) | instid1(VALU_DEP_1)
	v_lshlrev_b64_e32 v[1:2], 3, v[1:2]
	v_add_co_u32 v1, vcc_lo, s22, v1
	s_wait_alu 0xfffd
	s_delay_alu instid0(VALU_DEP_2)
	v_add_co_ci_u32_e64 v2, null, s23, v2, vcc_lo
	global_load_b64 v[3:4], v[1:2], off
.LBB189_8:
	s_wait_alu 0xfffe
	s_or_b32 exec_lo, exec_lo, s7
	v_dual_mov_b32 v18, 0 :: v_dual_lshlrev_b32 v29, 3, v0
	v_lshlrev_b32_e32 v30, 4, v0
	s_wait_kmcnt 0x0
	s_mul_i32 s2, s6, s2
	v_mul_lo_u32 v17, s20, v0
	s_wait_loadcnt 0x0
	ds_store_2addr_b64 v29, v[5:6], v[3:4] offset1:16
	s_wait_dscnt 0x0
	; wave barrier
	global_inv scope:SCOPE_SE
	v_mov_b32_e32 v5, 0
	ds_load_2addr_b64 v[1:4], v30 offset1:1
	s_wait_alu 0xfffe
	s_add_co_i32 s2, s2, s3
	s_mov_b32 s3, 0
	v_dual_mov_b32 v6, 0 :: v_dual_mov_b32 v19, v18
	s_wait_alu 0xfffe
	s_lshl_b64 s[2:3], s[2:3], 3
	s_wait_loadcnt_dscnt 0x0
	s_wait_alu 0xfffe
	s_add_nc_u64 s[16:17], s[4:5], s[2:3]
	; wave barrier
	global_inv scope:SCOPE_SE
	s_and_saveexec_b32 s2, s0
	s_cbranch_execz .LBB189_10
; %bb.9:
	v_lshlrev_b64_e32 v[5:6], 3, v[17:18]
	v_mov_b32_e32 v19, v18
	s_wait_alu 0xfffe
	s_delay_alu instid0(VALU_DEP_2) | instskip(SKIP_1) | instid1(VALU_DEP_3)
	v_add_co_u32 v5, vcc_lo, s16, v5
	s_wait_alu 0xfffd
	v_add_co_ci_u32_e64 v6, null, s17, v6, vcc_lo
	global_load_b64 v[5:6], v[5:6], off
.LBB189_10:
	s_wait_alu 0xfffe
	s_or_b32 exec_lo, exec_lo, s2
	s_xor_b32 s8, s10, -1
	s_and_saveexec_b32 s2, s1
	s_cbranch_execz .LBB189_12
; %bb.11:
	v_mul_lo_u32 v7, s20, v7
	v_mov_b32_e32 v8, 0
	s_delay_alu instid0(VALU_DEP_1) | instskip(NEXT) | instid1(VALU_DEP_1)
	v_lshlrev_b64_e32 v[7:8], 3, v[7:8]
	v_add_co_u32 v7, vcc_lo, s16, v7
	s_wait_alu 0xfffd
	s_delay_alu instid0(VALU_DEP_2)
	v_add_co_ci_u32_e64 v8, null, s17, v8, vcc_lo
	global_load_b64 v[18:19], v[7:8], off
.LBB189_12:
	s_wait_alu 0xfffe
	s_or_b32 exec_lo, exec_lo, s2
	v_mbcnt_lo_u32_b32 v9, -1, 0
	s_getpc_b64 s[2:3]
	s_wait_alu 0xfffe
	s_sext_i32_i16 s3, s3
	s_add_co_u32 s2, s2, _ZN7rocprim17ROCPRIM_400000_NS16block_radix_sortIdLj16ELj2ElLj1ELj1ELj0ELNS0_26block_radix_rank_algorithmE1ELNS0_18block_padding_hintE2ELNS0_4arch9wavefront6targetE0EE19radix_bits_per_passE@rel32@lo+12
	s_wait_alu 0xfffe
	s_add_co_ci_u32 s3, s3, _ZN7rocprim17ROCPRIM_400000_NS16block_radix_sortIdLj16ELj2ElLj1ELj1ELj0ELNS0_26block_radix_rank_algorithmE1ELNS0_18block_padding_hintE2ELNS0_4arch9wavefront6targetE0EE19radix_bits_per_passE@rel32@hi+24
	s_wait_loadcnt 0x0
	ds_store_2addr_b64 v29, v[5:6], v[18:19] offset1:16
	s_wait_dscnt 0x0
	; wave barrier
	global_inv scope:SCOPE_SE
	ds_load_2addr_b64 v[5:8], v30 offset1:1
	v_sub_co_u32 v11, s15, v9, 1
	v_and_b32_e32 v12, 16, v9
	s_load_b32 s19, s[2:3], 0x0
	v_and_b32_e32 v10, 15, v9
	v_cmp_gt_u32_e64 s2, 0x80, v0
	v_cmp_eq_u32_e64 s7, 15, v0
	v_cmp_lt_i32_e32 vcc_lo, v11, v12
	v_lshlrev_b32_e32 v32, 5, v0
	v_cmp_eq_u32_e64 s3, 0, v10
	v_cmp_lt_u32_e64 s4, 1, v10
	v_cmp_lt_u32_e64 s5, 3, v10
	s_wait_alu 0xfffd
	v_cndmask_b32_e32 v9, v11, v9, vcc_lo
	v_cmp_lt_u32_e64 s6, 7, v10
	v_sub_nc_u32_e32 v31, v32, v30
	s_and_b32 vcc_lo, exec_lo, s8
	v_ashrrev_i32_e32 v35, 31, v2
	v_lshlrev_b32_e32 v33, 2, v9
	v_ashrrev_i32_e32 v34, 31, v4
	v_cmp_gt_u32_e64 s8, 0x70, v0
	v_cmp_gt_u32_e64 s9, 0x60, v0
	;; [unrolled: 1-line block ×7, first 2 shown]
	s_mov_b32 s21, -1
	; wave barrier
	s_wait_loadcnt_dscnt 0x0
	global_inv scope:SCOPE_SE
	s_wait_alu 0xfffe
	s_cbranch_vccz .LBB189_28
; %bb.13:
	v_cmp_lt_i64_e32 vcc_lo, -1, v[1:2]
	v_dual_mov_b32 v23, 0 :: v_dual_lshlrev_b32 v36, 2, v0
	v_xor_b32_e32 v9, v35, v1
	v_dual_mov_b32 v24, 0 :: v_dual_mov_b32 v37, 0
	s_wait_alu 0xfffd
	v_cndmask_b32_e64 v10, -1, 0x80000000, vcc_lo
	v_cmp_lt_i64_e32 vcc_lo, -1, v[3:4]
	v_dual_mov_b32 v14, v6 :: v_dual_mov_b32 v13, v5
	v_dual_mov_b32 v16, v8 :: v_dual_mov_b32 v15, v7
	s_delay_alu instid0(VALU_DEP_4)
	v_xor_b32_e32 v10, v10, v2
	s_wait_alu 0xfffd
	v_cndmask_b32_e64 v11, -1, 0x80000000, vcc_lo
	s_mov_b32 s24, -1
	s_brev_b32 s25, -2
	s_mov_b32 s21, 64
	s_delay_alu instid0(VALU_DEP_1)
	v_xor_b32_e32 v12, v11, v4
	v_xor_b32_e32 v11, v34, v3
	s_branch .LBB189_15
.LBB189_14:                             ;   in Loop: Header=BB189_15 Depth=1
	s_wait_alu 0xfffe
	s_and_not1_b32 vcc_lo, exec_lo, s26
	s_wait_alu 0xfffe
	s_cbranch_vccz .LBB189_29
.LBB189_15:                             ; =>This Inner Loop Header: Depth=1
	s_delay_alu instid0(VALU_DEP_1)
	v_dual_mov_b32 v26, v12 :: v_dual_mov_b32 v25, v11
	v_dual_mov_b32 v28, v10 :: v_dual_mov_b32 v27, v9
	;; [unrolled: 1-line block ×4, first 2 shown]
	s_and_saveexec_b32 s26, s2
	s_cbranch_execz .LBB189_24
; %bb.16:                               ;   in Loop: Header=BB189_15 Depth=1
	ds_store_b32 v36, v37
	s_and_b32 exec_lo, exec_lo, s8
	s_cbranch_execz .LBB189_24
; %bb.17:                               ;   in Loop: Header=BB189_15 Depth=1
	ds_store_b32 v36, v37 offset:64
	s_and_b32 exec_lo, exec_lo, s9
	s_cbranch_execz .LBB189_24
; %bb.18:                               ;   in Loop: Header=BB189_15 Depth=1
	ds_store_b32 v36, v37 offset:128
	;; [unrolled: 4-line block ×6, first 2 shown]
	s_and_b32 exec_lo, exec_lo, s14
; %bb.23:                               ;   in Loop: Header=BB189_15 Depth=1
	ds_store_b32 v36, v37 offset:448
.LBB189_24:                             ;   in Loop: Header=BB189_15 Depth=1
	s_wait_alu 0xfffe
	s_or_b32 exec_lo, exec_lo, s26
	v_cmp_ne_u64_e32 vcc_lo, s[24:25], v[27:28]
	s_wait_kmcnt 0x0
	s_min_u32 s26, s19, s21
	s_wait_alu 0xfffe
	s_lshl_b32 s26, -1, s26
	s_wait_alu 0xfffe
	s_not_b32 s26, s26
	s_wait_alu 0xfffd
	v_cndmask_b32_e32 v10, 0x80000000, v28, vcc_lo
	v_cndmask_b32_e32 v9, 0, v27, vcc_lo
	v_cmp_ne_u64_e32 vcc_lo, s[24:25], v[25:26]
	s_delay_alu instid0(VALU_DEP_2) | instskip(SKIP_1) | instid1(VALU_DEP_1)
	v_lshrrev_b64 v[9:10], v23, v[9:10]
	s_wait_alu 0xfffe
	v_and_b32_e32 v9, s26, v9
	s_delay_alu instid0(VALU_DEP_1) | instskip(SKIP_1) | instid1(VALU_DEP_2)
	v_lshlrev_b32_e32 v10, 4, v9
	v_lshrrev_b32_e32 v9, 2, v9
	v_and_or_b32 v11, 0x70, v10, v0
	s_delay_alu instid0(VALU_DEP_2) | instskip(SKIP_3) | instid1(VALU_DEP_3)
	v_and_b32_e32 v12, 0x1ffffffe, v9
	s_wait_alu 0xfffd
	v_cndmask_b32_e32 v10, 0x80000000, v26, vcc_lo
	v_cndmask_b32_e32 v9, 0, v25, vcc_lo
	v_lshl_add_u32 v38, v11, 2, v12
	s_delay_alu instid0(VALU_DEP_2) | instskip(SKIP_2) | instid1(VALU_DEP_1)
	v_lshrrev_b64 v[9:10], v23, v[9:10]
	ds_load_u16 v39, v38
	v_and_b32_e32 v9, s26, v9
	v_lshlrev_b32_e32 v10, 4, v9
	v_lshrrev_b32_e32 v9, 2, v9
	s_delay_alu instid0(VALU_DEP_2) | instskip(NEXT) | instid1(VALU_DEP_2)
	v_and_or_b32 v10, 0x70, v10, v0
	v_and_b32_e32 v9, 0x1ffffffe, v9
	s_delay_alu instid0(VALU_DEP_1)
	v_lshl_add_u32 v40, v10, 2, v9
	s_wait_dscnt 0x0
	v_add_nc_u16 v11, v39, 1
	ds_store_b16 v38, v11
	ds_load_u16 v41, v40
	s_wait_dscnt 0x0
	v_add_nc_u16 v9, v41, 1
	ds_store_b16 v40, v9
	; wave barrier
	s_wait_loadcnt_dscnt 0x0
	global_inv scope:SCOPE_SE
	ds_load_b128 v[13:16], v32
	ds_load_b128 v[9:12], v32 offset:16
	s_wait_dscnt 0x1
	v_add_nc_u32_e32 v42, v14, v13
	s_delay_alu instid0(VALU_DEP_1) | instskip(SKIP_1) | instid1(VALU_DEP_1)
	v_add3_u32 v42, v42, v15, v16
	s_wait_dscnt 0x0
	v_add3_u32 v42, v42, v9, v10
	s_delay_alu instid0(VALU_DEP_1) | instskip(NEXT) | instid1(VALU_DEP_1)
	v_add3_u32 v12, v42, v11, v12
	v_mov_b32_dpp v42, v12 row_shr:1 row_mask:0xf bank_mask:0xf
	s_delay_alu instid0(VALU_DEP_1) | instskip(NEXT) | instid1(VALU_DEP_1)
	v_cndmask_b32_e64 v42, v42, 0, s3
	v_add_nc_u32_e32 v12, v42, v12
	s_delay_alu instid0(VALU_DEP_1) | instskip(NEXT) | instid1(VALU_DEP_1)
	v_mov_b32_dpp v42, v12 row_shr:2 row_mask:0xf bank_mask:0xf
	v_cndmask_b32_e64 v42, 0, v42, s4
	s_delay_alu instid0(VALU_DEP_1) | instskip(NEXT) | instid1(VALU_DEP_1)
	v_add_nc_u32_e32 v12, v12, v42
	v_mov_b32_dpp v42, v12 row_shr:4 row_mask:0xf bank_mask:0xf
	s_delay_alu instid0(VALU_DEP_1) | instskip(NEXT) | instid1(VALU_DEP_1)
	v_cndmask_b32_e64 v42, 0, v42, s5
	v_add_nc_u32_e32 v12, v12, v42
	s_delay_alu instid0(VALU_DEP_1) | instskip(NEXT) | instid1(VALU_DEP_1)
	v_mov_b32_dpp v42, v12 row_shr:8 row_mask:0xf bank_mask:0xf
	v_cndmask_b32_e64 v42, 0, v42, s6
	s_delay_alu instid0(VALU_DEP_1)
	v_add_nc_u32_e32 v12, v12, v42
	s_and_saveexec_b32 s26, s7
; %bb.25:                               ;   in Loop: Header=BB189_15 Depth=1
	ds_store_b32 v37, v12 offset:512
; %bb.26:                               ;   in Loop: Header=BB189_15 Depth=1
	s_wait_alu 0xfffe
	s_or_b32 exec_lo, exec_lo, s26
	ds_bpermute_b32 v12, v33, v12
	; wave barrier
	s_wait_loadcnt_dscnt 0x0
	global_inv scope:SCOPE_SE
	ds_load_b32 v42, v37 offset:512
	v_cmp_lt_u32_e32 vcc_lo, 59, v23
	s_mov_b32 s26, -1
	s_and_b32 vcc_lo, exec_lo, vcc_lo
	v_cndmask_b32_e64 v12, v12, 0, s15
	s_wait_dscnt 0x0
	s_delay_alu instid0(VALU_DEP_1) | instskip(NEXT) | instid1(VALU_DEP_1)
	v_lshl_add_u32 v12, v42, 16, v12
	v_add_nc_u32_e32 v13, v12, v13
	s_delay_alu instid0(VALU_DEP_1) | instskip(NEXT) | instid1(VALU_DEP_1)
	v_add_nc_u32_e32 v14, v13, v14
	v_add_nc_u32_e32 v15, v14, v15
	s_delay_alu instid0(VALU_DEP_1) | instskip(NEXT) | instid1(VALU_DEP_1)
	v_add_nc_u32_e32 v42, v15, v16
	;; [unrolled: 3-line block ×3, first 2 shown]
	v_add_nc_u32_e32 v45, v44, v11
	v_and_b32_e32 v11, 0xffff, v39
	ds_store_b128 v32, v[12:15]
	ds_store_b128 v32, v[42:45] offset:16
	; wave barrier
	s_wait_loadcnt_dscnt 0x0
	global_inv scope:SCOPE_SE
	ds_load_u16 v9, v38
	ds_load_u16 v10, v40
	v_and_b32_e32 v12, 0xffff, v41
                                        ; implicit-def: $vgpr15_vgpr16
	s_wait_dscnt 0x1
	v_add_nc_u32_e32 v39, v9, v11
	s_wait_dscnt 0x0
	s_delay_alu instid0(VALU_DEP_2)
	v_add_nc_u32_e32 v38, v10, v12
                                        ; implicit-def: $vgpr11_vgpr12
	s_wait_alu 0xfffe
	s_cbranch_vccnz .LBB189_14
; %bb.27:                               ;   in Loop: Header=BB189_15 Depth=1
	v_lshlrev_b32_e32 v13, 3, v39
	s_delay_alu instid0(VALU_DEP_2)
	v_lshlrev_b32_e32 v14, 3, v38
	s_wait_loadcnt 0x0
	; wave barrier
	global_inv scope:SCOPE_SE
	v_add_co_u32 v23, vcc_lo, v23, 4
	ds_store_b64 v13, v[27:28]
	ds_store_b64 v14, v[25:26]
	; wave barrier
	s_wait_loadcnt_dscnt 0x0
	global_inv scope:SCOPE_SE
	ds_load_b128 v[9:12], v31
	; wave barrier
	s_wait_loadcnt_dscnt 0x0
	global_inv scope:SCOPE_SE
	ds_store_b64 v13, v[21:22]
	ds_store_b64 v14, v[18:19]
	; wave barrier
	s_wait_loadcnt_dscnt 0x0
	global_inv scope:SCOPE_SE
	ds_load_b128 v[13:16], v31
	s_wait_alu 0xfffd
	v_add_co_ci_u32_e64 v24, null, 0, v24, vcc_lo
	s_add_co_i32 s21, s21, -4
	s_mov_b32 s26, 0
	; wave barrier
	s_wait_loadcnt_dscnt 0x0
	global_inv scope:SCOPE_SE
	s_branch .LBB189_14
.LBB189_28:
                                        ; implicit-def: $vgpr11_vgpr12
                                        ; implicit-def: $vgpr13_vgpr14_vgpr15_vgpr16
	s_and_b32 vcc_lo, exec_lo, s21
	s_wait_alu 0xfffe
	s_cbranch_vccnz .LBB189_30
	s_branch .LBB189_46
.LBB189_29:
	v_lshlrev_b32_e32 v9, 3, v39
	v_lshlrev_b32_e32 v10, 3, v38
	s_wait_loadcnt 0x0
	; wave barrier
	global_inv scope:SCOPE_SE
	ds_store_b64 v9, v[27:28]
	ds_store_b64 v10, v[25:26]
	; wave barrier
	s_wait_loadcnt_dscnt 0x0
	global_inv scope:SCOPE_SE
	ds_load_b128 v[13:16], v31
	; wave barrier
	s_wait_loadcnt_dscnt 0x0
	global_inv scope:SCOPE_SE
	ds_store_b64 v9, v[21:22]
	ds_store_b64 v10, v[18:19]
	; wave barrier
	s_wait_loadcnt_dscnt 0x0
	global_inv scope:SCOPE_SE
	ds_load_b128 v[9:12], v31
	v_cmp_lt_i64_e32 vcc_lo, -1, v[13:14]
	v_ashrrev_i32_e32 v18, 31, v14
	v_ashrrev_i32_e32 v19, 31, v16
	s_wait_alu 0xfffd
	v_cndmask_b32_e64 v21, 0x80000000, -1, vcc_lo
	v_cmp_lt_i64_e32 vcc_lo, -1, v[15:16]
	v_not_b32_e32 v18, v18
	v_not_b32_e32 v19, v19
	s_delay_alu instid0(VALU_DEP_4) | instskip(SKIP_4) | instid1(VALU_DEP_3)
	v_xor_b32_e32 v14, v21, v14
	s_wait_alu 0xfffd
	v_cndmask_b32_e64 v22, 0x80000000, -1, vcc_lo
	v_xor_b32_e32 v13, v18, v13
	v_xor_b32_e32 v15, v19, v15
	;; [unrolled: 1-line block ×3, first 2 shown]
	s_branch .LBB189_46
.LBB189_30:
	v_cmp_gt_i64_e32 vcc_lo, 0, v[1:2]
	s_wait_dscnt 0x0
	v_not_b32_e32 v10, v35
	v_not_b32_e32 v12, v34
	v_dual_mov_b32 v13, 0 :: v_dual_mov_b32 v22, 0
	v_cmp_gt_u32_e64 s8, 0x70, v0
	s_wait_alu 0xfffd
	v_cndmask_b32_e64 v9, 0x7fffffff, 0, vcc_lo
	v_cmp_gt_i64_e32 vcc_lo, 0, v[3:4]
	v_xor_b32_e32 v1, v10, v1
	v_xor_b32_e32 v3, v12, v3
	v_cmp_gt_u32_e64 s9, 0x60, v0
	v_xor_b32_e32 v2, v9, v2
	v_mul_i32_i24_e32 v9, -12, v0
	s_wait_alu 0xfffd
	v_cndmask_b32_e64 v11, 0x7fffffff, 0, vcc_lo
	v_cmp_gt_u32_e64 s10, 0x50, v0
	v_cmp_gt_u32_e64 s11, 64, v0
	;; [unrolled: 1-line block ×4, first 2 shown]
	v_xor_b32_e32 v4, v11, v4
	v_cmp_gt_u32_e64 s14, 16, v0
	v_dual_mov_b32 v14, 0 :: v_dual_add_nc_u32 v21, v31, v9
	s_mov_b32 s24, 0
	s_brev_b32 s25, 1
	s_mov_b32 s21, 64
	s_branch .LBB189_32
.LBB189_31:                             ;   in Loop: Header=BB189_32 Depth=1
	s_wait_alu 0xfffe
	s_and_not1_b32 vcc_lo, exec_lo, s26
	s_wait_alu 0xfffe
	s_cbranch_vccz .LBB189_45
.LBB189_32:                             ; =>This Inner Loop Header: Depth=1
	v_dual_mov_b32 v16, v4 :: v_dual_mov_b32 v15, v3
	v_dual_mov_b32 v19, v2 :: v_dual_mov_b32 v18, v1
	;; [unrolled: 1-line block ×4, first 2 shown]
	s_and_saveexec_b32 s26, s2
	s_cbranch_execz .LBB189_41
; %bb.33:                               ;   in Loop: Header=BB189_32 Depth=1
	ds_store_b32 v21, v22
	s_and_b32 exec_lo, exec_lo, s8
	s_cbranch_execz .LBB189_41
; %bb.34:                               ;   in Loop: Header=BB189_32 Depth=1
	ds_store_b32 v21, v22 offset:64
	s_and_b32 exec_lo, exec_lo, s9
	s_cbranch_execz .LBB189_41
; %bb.35:                               ;   in Loop: Header=BB189_32 Depth=1
	ds_store_b32 v21, v22 offset:128
	;; [unrolled: 4-line block ×6, first 2 shown]
	s_and_b32 exec_lo, exec_lo, s14
; %bb.40:                               ;   in Loop: Header=BB189_32 Depth=1
	ds_store_b32 v21, v22 offset:448
.LBB189_41:                             ;   in Loop: Header=BB189_32 Depth=1
	s_wait_alu 0xfffe
	s_or_b32 exec_lo, exec_lo, s26
	v_cmp_ne_u64_e32 vcc_lo, s[24:25], v[18:19]
	s_wait_kmcnt 0x0
	s_min_u32 s26, s19, s21
	s_wait_alu 0xfffe
	s_lshl_b32 s26, -1, s26
	s_wait_alu 0xfffe
	s_not_b32 s26, s26
	s_wait_alu 0xfffd
	v_cndmask_b32_e32 v2, 0x7fffffff, v19, vcc_lo
	v_cndmask_b32_e32 v1, -1, v18, vcc_lo
	v_cmp_ne_u64_e32 vcc_lo, s[24:25], v[15:16]
	s_delay_alu instid0(VALU_DEP_2) | instskip(SKIP_1) | instid1(VALU_DEP_1)
	v_lshrrev_b64 v[1:2], v13, v[1:2]
	s_wait_alu 0xfffe
	v_and_b32_e32 v1, s26, v1
	s_delay_alu instid0(VALU_DEP_1) | instskip(SKIP_2) | instid1(VALU_DEP_1)
	v_lshlrev_b32_e32 v2, 4, v1
	v_lshrrev_b32_e32 v1, 2, v1
	s_wait_alu 0xfffd
	v_dual_cndmask_b32 v1, -1, v15 :: v_dual_and_b32 v4, 0x1ffffffe, v1
	s_delay_alu instid0(VALU_DEP_3) | instskip(SKIP_1) | instid1(VALU_DEP_2)
	v_and_or_b32 v3, 0x70, v2, v0
	v_cndmask_b32_e32 v2, 0x7fffffff, v16, vcc_lo
	v_lshl_add_u32 v23, v3, 2, v4
	s_delay_alu instid0(VALU_DEP_2) | instskip(SKIP_2) | instid1(VALU_DEP_1)
	v_lshrrev_b64 v[1:2], v13, v[1:2]
	ds_load_u16 v24, v23
	v_and_b32_e32 v1, s26, v1
	v_lshlrev_b32_e32 v2, 4, v1
	v_lshrrev_b32_e32 v1, 2, v1
	s_delay_alu instid0(VALU_DEP_2) | instskip(NEXT) | instid1(VALU_DEP_2)
	v_and_or_b32 v2, 0x70, v2, v0
	v_and_b32_e32 v1, 0x1ffffffe, v1
	s_delay_alu instid0(VALU_DEP_1)
	v_lshl_add_u32 v25, v2, 2, v1
	s_wait_dscnt 0x0
	v_add_nc_u16 v3, v24, 1
	ds_store_b16 v23, v3
	ds_load_u16 v26, v25
	s_wait_dscnt 0x0
	v_add_nc_u16 v1, v26, 1
	ds_store_b16 v25, v1
	; wave barrier
	s_wait_loadcnt_dscnt 0x0
	global_inv scope:SCOPE_SE
	ds_load_b128 v[5:8], v32
	ds_load_b128 v[1:4], v32 offset:16
	s_wait_dscnt 0x1
	v_add_nc_u32_e32 v27, v6, v5
	s_delay_alu instid0(VALU_DEP_1) | instskip(SKIP_1) | instid1(VALU_DEP_1)
	v_add3_u32 v27, v27, v7, v8
	s_wait_dscnt 0x0
	v_add3_u32 v27, v27, v1, v2
	s_delay_alu instid0(VALU_DEP_1) | instskip(NEXT) | instid1(VALU_DEP_1)
	v_add3_u32 v4, v27, v3, v4
	v_mov_b32_dpp v27, v4 row_shr:1 row_mask:0xf bank_mask:0xf
	s_delay_alu instid0(VALU_DEP_1) | instskip(NEXT) | instid1(VALU_DEP_1)
	v_cndmask_b32_e64 v27, v27, 0, s3
	v_add_nc_u32_e32 v4, v27, v4
	s_delay_alu instid0(VALU_DEP_1) | instskip(NEXT) | instid1(VALU_DEP_1)
	v_mov_b32_dpp v27, v4 row_shr:2 row_mask:0xf bank_mask:0xf
	v_cndmask_b32_e64 v27, 0, v27, s4
	s_delay_alu instid0(VALU_DEP_1) | instskip(NEXT) | instid1(VALU_DEP_1)
	v_add_nc_u32_e32 v4, v4, v27
	v_mov_b32_dpp v27, v4 row_shr:4 row_mask:0xf bank_mask:0xf
	s_delay_alu instid0(VALU_DEP_1) | instskip(NEXT) | instid1(VALU_DEP_1)
	v_cndmask_b32_e64 v27, 0, v27, s5
	v_add_nc_u32_e32 v4, v4, v27
	s_delay_alu instid0(VALU_DEP_1) | instskip(NEXT) | instid1(VALU_DEP_1)
	v_mov_b32_dpp v27, v4 row_shr:8 row_mask:0xf bank_mask:0xf
	v_cndmask_b32_e64 v27, 0, v27, s6
	s_delay_alu instid0(VALU_DEP_1)
	v_add_nc_u32_e32 v4, v4, v27
	s_and_saveexec_b32 s26, s7
; %bb.42:                               ;   in Loop: Header=BB189_32 Depth=1
	ds_store_b32 v22, v4 offset:512
; %bb.43:                               ;   in Loop: Header=BB189_32 Depth=1
	s_wait_alu 0xfffe
	s_or_b32 exec_lo, exec_lo, s26
	ds_bpermute_b32 v4, v33, v4
	; wave barrier
	s_wait_loadcnt_dscnt 0x0
	global_inv scope:SCOPE_SE
	ds_load_b32 v27, v22 offset:512
	v_cmp_lt_u32_e32 vcc_lo, 59, v13
	s_mov_b32 s26, -1
	s_and_b32 vcc_lo, exec_lo, vcc_lo
	v_cndmask_b32_e64 v4, v4, 0, s15
	s_wait_dscnt 0x0
	s_delay_alu instid0(VALU_DEP_1) | instskip(NEXT) | instid1(VALU_DEP_1)
	v_lshl_add_u32 v4, v27, 16, v4
	v_add_nc_u32_e32 v5, v4, v5
	s_delay_alu instid0(VALU_DEP_1) | instskip(NEXT) | instid1(VALU_DEP_1)
	v_add_nc_u32_e32 v6, v5, v6
	v_add_nc_u32_e32 v7, v6, v7
	s_delay_alu instid0(VALU_DEP_1) | instskip(NEXT) | instid1(VALU_DEP_1)
	v_add_nc_u32_e32 v34, v7, v8
	;; [unrolled: 3-line block ×3, first 2 shown]
	v_add_nc_u32_e32 v37, v36, v3
	v_and_b32_e32 v3, 0xffff, v24
	ds_store_b128 v32, v[4:7]
	ds_store_b128 v32, v[34:37] offset:16
	; wave barrier
	s_wait_loadcnt_dscnt 0x0
	global_inv scope:SCOPE_SE
	ds_load_u16 v1, v23
	ds_load_u16 v2, v25
	v_and_b32_e32 v4, 0xffff, v26
                                        ; implicit-def: $vgpr7_vgpr8
	s_wait_dscnt 0x1
	v_add_nc_u32_e32 v24, v1, v3
	s_wait_dscnt 0x0
	s_delay_alu instid0(VALU_DEP_2)
	v_add_nc_u32_e32 v23, v2, v4
                                        ; implicit-def: $vgpr3_vgpr4
	s_wait_alu 0xfffe
	s_cbranch_vccnz .LBB189_31
; %bb.44:                               ;   in Loop: Header=BB189_32 Depth=1
	v_lshlrev_b32_e32 v5, 3, v24
	s_delay_alu instid0(VALU_DEP_2)
	v_lshlrev_b32_e32 v6, 3, v23
	s_wait_loadcnt 0x0
	; wave barrier
	global_inv scope:SCOPE_SE
	v_add_co_u32 v13, vcc_lo, v13, 4
	ds_store_b64 v5, v[18:19]
	ds_store_b64 v6, v[15:16]
	; wave barrier
	s_wait_loadcnt_dscnt 0x0
	global_inv scope:SCOPE_SE
	ds_load_b128 v[1:4], v31
	; wave barrier
	s_wait_loadcnt_dscnt 0x0
	global_inv scope:SCOPE_SE
	ds_store_b64 v5, v[11:12]
	ds_store_b64 v6, v[9:10]
	; wave barrier
	s_wait_loadcnt_dscnt 0x0
	global_inv scope:SCOPE_SE
	ds_load_b128 v[5:8], v31
	s_wait_alu 0xfffd
	v_add_co_ci_u32_e64 v14, null, 0, v14, vcc_lo
	s_add_co_i32 s21, s21, -4
	s_mov_b32 s26, 0
	; wave barrier
	s_wait_loadcnt_dscnt 0x0
	global_inv scope:SCOPE_SE
	s_branch .LBB189_31
.LBB189_45:
	v_lshlrev_b32_e32 v4, 3, v24
	v_lshlrev_b32_e32 v5, 3, v23
	s_wait_loadcnt 0x0
	; wave barrier
	global_inv scope:SCOPE_SE
	ds_store_b64 v4, v[18:19]
	ds_store_b64 v5, v[15:16]
	; wave barrier
	s_wait_loadcnt_dscnt 0x0
	global_inv scope:SCOPE_SE
	ds_load_b128 v[0:3], v31
	; wave barrier
	s_wait_loadcnt_dscnt 0x0
	global_inv scope:SCOPE_SE
	ds_store_b64 v4, v[11:12]
	ds_store_b64 v5, v[9:10]
	; wave barrier
	s_wait_loadcnt_dscnt 0x0
	global_inv scope:SCOPE_SE
	ds_load_b128 v[9:12], v31
	v_cmp_gt_i64_e32 vcc_lo, 0, v[0:1]
	v_ashrrev_i32_e32 v4, 31, v1
	v_ashrrev_i32_e32 v5, 31, v3
	s_wait_alu 0xfffd
	v_cndmask_b32_e64 v6, 0x7fffffff, 0, vcc_lo
	v_cmp_gt_i64_e32 vcc_lo, 0, v[2:3]
	v_not_b32_e32 v4, v4
	v_not_b32_e32 v5, v5
	s_delay_alu instid0(VALU_DEP_4) | instskip(SKIP_4) | instid1(VALU_DEP_3)
	v_xor_b32_e32 v14, v6, v1
	s_wait_alu 0xfffd
	v_cndmask_b32_e64 v7, 0x7fffffff, 0, vcc_lo
	v_xor_b32_e32 v13, v4, v0
	v_xor_b32_e32 v15, v5, v2
	;; [unrolled: 1-line block ×3, first 2 shown]
.LBB189_46:
	; wave barrier
	s_wait_loadcnt_dscnt 0x0
	global_inv scope:SCOPE_SE
	ds_store_2addr_b64 v30, v[13:14], v[15:16] offset1:1
	; wave barrier
	s_wait_loadcnt_dscnt 0x0
	global_inv scope:SCOPE_SE
	ds_load_b64 v[0:1], v29 offset:128
	v_mov_b32_e32 v21, 0
	s_delay_alu instid0(VALU_DEP_1) | instskip(NEXT) | instid1(VALU_DEP_1)
	v_lshlrev_b64_e32 v[2:3], 3, v[20:21]
	v_add_co_u32 v2, vcc_lo, s22, v2
	s_wait_alu 0xfffd
	s_delay_alu instid0(VALU_DEP_2)
	v_add_co_ci_u32_e64 v3, null, s23, v3, vcc_lo
	s_and_saveexec_b32 s2, s0
	s_cbranch_execz .LBB189_48
; %bb.47:
	ds_load_b64 v[4:5], v29
	s_wait_dscnt 0x0
	global_store_b64 v[2:3], v[4:5], off
.LBB189_48:
	s_wait_alu 0xfffe
	s_or_b32 exec_lo, exec_lo, s2
	s_and_saveexec_b32 s2, s1
	s_cbranch_execz .LBB189_50
; %bb.49:
	s_lshl_b32 s4, s18, 4
	s_mov_b32 s5, 0
	s_wait_alu 0xfffe
	s_lshl_b64 s[4:5], s[4:5], 3
	s_wait_alu 0xfffe
	v_add_co_u32 v2, vcc_lo, v2, s4
	s_wait_alu 0xfffd
	v_add_co_ci_u32_e64 v3, null, s5, v3, vcc_lo
	s_wait_dscnt 0x0
	global_store_b64 v[2:3], v[0:1], off
.LBB189_50:
	s_wait_alu 0xfffe
	s_or_b32 exec_lo, exec_lo, s2
	s_wait_storecnt 0x0
	; wave barrier
	s_wait_loadcnt_dscnt 0x0
	global_inv scope:SCOPE_SE
	ds_store_2addr_b64 v30, v[9:10], v[11:12] offset1:1
	; wave barrier
	s_wait_loadcnt_dscnt 0x0
	global_inv scope:SCOPE_SE
	ds_load_b64 v[0:1], v29 offset:128
	v_mov_b32_e32 v18, 0
	s_delay_alu instid0(VALU_DEP_1) | instskip(NEXT) | instid1(VALU_DEP_1)
	v_lshlrev_b64_e32 v[2:3], 3, v[17:18]
	v_add_co_u32 v2, vcc_lo, s16, v2
	s_wait_alu 0xfffd
	s_delay_alu instid0(VALU_DEP_2)
	v_add_co_ci_u32_e64 v3, null, s17, v3, vcc_lo
	s_and_saveexec_b32 s2, s0
	s_cbranch_execz .LBB189_52
; %bb.51:
	ds_load_b64 v[4:5], v29
	s_wait_dscnt 0x0
	global_store_b64 v[2:3], v[4:5], off
.LBB189_52:
	s_wait_alu 0xfffe
	s_or_b32 exec_lo, exec_lo, s2
	s_and_saveexec_b32 s0, s1
	s_cbranch_execz .LBB189_54
; %bb.53:
	s_lshl_b32 s0, s20, 4
	s_mov_b32 s1, 0
	s_delay_alu instid0(SALU_CYCLE_1) | instskip(NEXT) | instid1(SALU_CYCLE_1)
	s_lshl_b64 s[0:1], s[0:1], 3
	v_add_co_u32 v2, vcc_lo, v2, s0
	s_wait_alu 0xfffd
	v_add_co_ci_u32_e64 v3, null, s1, v3, vcc_lo
	s_wait_dscnt 0x0
	global_store_b64 v[2:3], v[0:1], off
.LBB189_54:
	s_endpgm
	.section	.rodata,"a",@progbits
	.p2align	6, 0x0
	.amdhsa_kernel _ZN2at6native18radixSortKVInPlaceILi2ELin1ELi16ELi2EdljEEvNS_4cuda6detail10TensorInfoIT3_T5_EES6_S6_S6_NS4_IT4_S6_EES6_b
		.amdhsa_group_segment_fixed_size 528
		.amdhsa_private_segment_fixed_size 0
		.amdhsa_kernarg_size 712
		.amdhsa_user_sgpr_count 2
		.amdhsa_user_sgpr_dispatch_ptr 0
		.amdhsa_user_sgpr_queue_ptr 0
		.amdhsa_user_sgpr_kernarg_segment_ptr 1
		.amdhsa_user_sgpr_dispatch_id 0
		.amdhsa_user_sgpr_private_segment_size 0
		.amdhsa_wavefront_size32 1
		.amdhsa_uses_dynamic_stack 0
		.amdhsa_enable_private_segment 0
		.amdhsa_system_sgpr_workgroup_id_x 1
		.amdhsa_system_sgpr_workgroup_id_y 1
		.amdhsa_system_sgpr_workgroup_id_z 1
		.amdhsa_system_sgpr_workgroup_info 0
		.amdhsa_system_vgpr_workitem_id 0
		.amdhsa_next_free_vgpr 46
		.amdhsa_next_free_sgpr 27
		.amdhsa_reserve_vcc 1
		.amdhsa_float_round_mode_32 0
		.amdhsa_float_round_mode_16_64 0
		.amdhsa_float_denorm_mode_32 3
		.amdhsa_float_denorm_mode_16_64 3
		.amdhsa_fp16_overflow 0
		.amdhsa_workgroup_processor_mode 1
		.amdhsa_memory_ordered 1
		.amdhsa_forward_progress 1
		.amdhsa_inst_pref_size 35
		.amdhsa_round_robin_scheduling 0
		.amdhsa_exception_fp_ieee_invalid_op 0
		.amdhsa_exception_fp_denorm_src 0
		.amdhsa_exception_fp_ieee_div_zero 0
		.amdhsa_exception_fp_ieee_overflow 0
		.amdhsa_exception_fp_ieee_underflow 0
		.amdhsa_exception_fp_ieee_inexact 0
		.amdhsa_exception_int_div_zero 0
	.end_amdhsa_kernel
	.section	.text._ZN2at6native18radixSortKVInPlaceILi2ELin1ELi16ELi2EdljEEvNS_4cuda6detail10TensorInfoIT3_T5_EES6_S6_S6_NS4_IT4_S6_EES6_b,"axG",@progbits,_ZN2at6native18radixSortKVInPlaceILi2ELin1ELi16ELi2EdljEEvNS_4cuda6detail10TensorInfoIT3_T5_EES6_S6_S6_NS4_IT4_S6_EES6_b,comdat
.Lfunc_end189:
	.size	_ZN2at6native18radixSortKVInPlaceILi2ELin1ELi16ELi2EdljEEvNS_4cuda6detail10TensorInfoIT3_T5_EES6_S6_S6_NS4_IT4_S6_EES6_b, .Lfunc_end189-_ZN2at6native18radixSortKVInPlaceILi2ELin1ELi16ELi2EdljEEvNS_4cuda6detail10TensorInfoIT3_T5_EES6_S6_S6_NS4_IT4_S6_EES6_b
                                        ; -- End function
	.set _ZN2at6native18radixSortKVInPlaceILi2ELin1ELi16ELi2EdljEEvNS_4cuda6detail10TensorInfoIT3_T5_EES6_S6_S6_NS4_IT4_S6_EES6_b.num_vgpr, 46
	.set _ZN2at6native18radixSortKVInPlaceILi2ELin1ELi16ELi2EdljEEvNS_4cuda6detail10TensorInfoIT3_T5_EES6_S6_S6_NS4_IT4_S6_EES6_b.num_agpr, 0
	.set _ZN2at6native18radixSortKVInPlaceILi2ELin1ELi16ELi2EdljEEvNS_4cuda6detail10TensorInfoIT3_T5_EES6_S6_S6_NS4_IT4_S6_EES6_b.numbered_sgpr, 27
	.set _ZN2at6native18radixSortKVInPlaceILi2ELin1ELi16ELi2EdljEEvNS_4cuda6detail10TensorInfoIT3_T5_EES6_S6_S6_NS4_IT4_S6_EES6_b.num_named_barrier, 0
	.set _ZN2at6native18radixSortKVInPlaceILi2ELin1ELi16ELi2EdljEEvNS_4cuda6detail10TensorInfoIT3_T5_EES6_S6_S6_NS4_IT4_S6_EES6_b.private_seg_size, 0
	.set _ZN2at6native18radixSortKVInPlaceILi2ELin1ELi16ELi2EdljEEvNS_4cuda6detail10TensorInfoIT3_T5_EES6_S6_S6_NS4_IT4_S6_EES6_b.uses_vcc, 1
	.set _ZN2at6native18radixSortKVInPlaceILi2ELin1ELi16ELi2EdljEEvNS_4cuda6detail10TensorInfoIT3_T5_EES6_S6_S6_NS4_IT4_S6_EES6_b.uses_flat_scratch, 0
	.set _ZN2at6native18radixSortKVInPlaceILi2ELin1ELi16ELi2EdljEEvNS_4cuda6detail10TensorInfoIT3_T5_EES6_S6_S6_NS4_IT4_S6_EES6_b.has_dyn_sized_stack, 0
	.set _ZN2at6native18radixSortKVInPlaceILi2ELin1ELi16ELi2EdljEEvNS_4cuda6detail10TensorInfoIT3_T5_EES6_S6_S6_NS4_IT4_S6_EES6_b.has_recursion, 0
	.set _ZN2at6native18radixSortKVInPlaceILi2ELin1ELi16ELi2EdljEEvNS_4cuda6detail10TensorInfoIT3_T5_EES6_S6_S6_NS4_IT4_S6_EES6_b.has_indirect_call, 0
	.section	.AMDGPU.csdata,"",@progbits
; Kernel info:
; codeLenInByte = 4416
; TotalNumSgprs: 29
; NumVgprs: 46
; ScratchSize: 0
; MemoryBound: 0
; FloatMode: 240
; IeeeMode: 1
; LDSByteSize: 528 bytes/workgroup (compile time only)
; SGPRBlocks: 0
; VGPRBlocks: 5
; NumSGPRsForWavesPerEU: 29
; NumVGPRsForWavesPerEU: 46
; Occupancy: 16
; WaveLimiterHint : 1
; COMPUTE_PGM_RSRC2:SCRATCH_EN: 0
; COMPUTE_PGM_RSRC2:USER_SGPR: 2
; COMPUTE_PGM_RSRC2:TRAP_HANDLER: 0
; COMPUTE_PGM_RSRC2:TGID_X_EN: 1
; COMPUTE_PGM_RSRC2:TGID_Y_EN: 1
; COMPUTE_PGM_RSRC2:TGID_Z_EN: 1
; COMPUTE_PGM_RSRC2:TIDIG_COMP_CNT: 0
	.section	.text._ZN2at6native18radixSortKVInPlaceILin1ELin1ELi512ELi8EdljEEvNS_4cuda6detail10TensorInfoIT3_T5_EES6_S6_S6_NS4_IT4_S6_EES6_b,"axG",@progbits,_ZN2at6native18radixSortKVInPlaceILin1ELin1ELi512ELi8EdljEEvNS_4cuda6detail10TensorInfoIT3_T5_EES6_S6_S6_NS4_IT4_S6_EES6_b,comdat
	.protected	_ZN2at6native18radixSortKVInPlaceILin1ELin1ELi512ELi8EdljEEvNS_4cuda6detail10TensorInfoIT3_T5_EES6_S6_S6_NS4_IT4_S6_EES6_b ; -- Begin function _ZN2at6native18radixSortKVInPlaceILin1ELin1ELi512ELi8EdljEEvNS_4cuda6detail10TensorInfoIT3_T5_EES6_S6_S6_NS4_IT4_S6_EES6_b
	.globl	_ZN2at6native18radixSortKVInPlaceILin1ELin1ELi512ELi8EdljEEvNS_4cuda6detail10TensorInfoIT3_T5_EES6_S6_S6_NS4_IT4_S6_EES6_b
	.p2align	8
	.type	_ZN2at6native18radixSortKVInPlaceILin1ELin1ELi512ELi8EdljEEvNS_4cuda6detail10TensorInfoIT3_T5_EES6_S6_S6_NS4_IT4_S6_EES6_b,@function
_ZN2at6native18radixSortKVInPlaceILin1ELin1ELi512ELi8EdljEEvNS_4cuda6detail10TensorInfoIT3_T5_EES6_S6_S6_NS4_IT4_S6_EES6_b: ; @_ZN2at6native18radixSortKVInPlaceILin1ELin1ELi512ELi8EdljEEvNS_4cuda6detail10TensorInfoIT3_T5_EES6_S6_S6_NS4_IT4_S6_EES6_b
; %bb.0:
	s_clause 0x1
	s_load_b64 s[2:3], s[0:1], 0x1c8
	s_load_b96 s[24:26], s[0:1], 0xd8
	s_lshr_b32 s4, ttmp7, 16
	s_wait_kmcnt 0x0
	s_mul_i32 s3, s3, s4
	s_and_b32 s4, ttmp7, 0xffff
	s_delay_alu instid0(SALU_CYCLE_1) | instskip(NEXT) | instid1(SALU_CYCLE_1)
	s_add_co_i32 s3, s3, s4
	s_mul_i32 s2, s3, s2
	s_delay_alu instid0(SALU_CYCLE_1) | instskip(NEXT) | instid1(SALU_CYCLE_1)
	s_add_co_i32 s27, s2, ttmp9
	s_cmp_ge_u32 s27, s24
	s_cbranch_scc1 .LBB190_113
; %bb.1:
	s_load_b32 s4, s[0:1], 0xd0
	s_mov_b32 s3, 0
	s_mov_b32 s2, s27
	s_wait_kmcnt 0x0
	s_cmp_lt_i32 s4, 2
	s_cbranch_scc1 .LBB190_4
; %bb.2:
	s_add_co_i32 s2, s4, -1
	s_delay_alu instid0(SALU_CYCLE_1)
	s_lshl_b64 s[6:7], s[2:3], 2
	s_mov_b32 s2, s27
	s_add_nc_u64 s[8:9], s[0:1], s[6:7]
	s_add_co_i32 s6, s4, 1
	s_add_nc_u64 s[4:5], s[8:9], 8
.LBB190_3:                              ; =>This Inner Loop Header: Depth=1
	s_clause 0x1
	s_load_b32 s7, s[4:5], 0x0
	s_load_b32 s8, s[4:5], 0x64
	s_mov_b32 s11, s2
	s_add_nc_u64 s[4:5], s[4:5], -4
	s_wait_kmcnt 0x0
	s_cvt_f32_u32 s9, s7
	s_sub_co_i32 s10, 0, s7
	s_wait_alu 0xfffe
	s_delay_alu instid0(SALU_CYCLE_1) | instskip(NEXT) | instid1(TRANS32_DEP_1)
	v_rcp_iflag_f32_e32 v1, s9
	v_readfirstlane_b32 s9, v1
	s_mul_f32 s9, s9, 0x4f7ffffe
	s_wait_alu 0xfffe
	s_delay_alu instid0(SALU_CYCLE_2) | instskip(SKIP_1) | instid1(SALU_CYCLE_2)
	s_cvt_u32_f32 s9, s9
	s_wait_alu 0xfffe
	s_mul_i32 s10, s10, s9
	s_delay_alu instid0(SALU_CYCLE_1) | instskip(NEXT) | instid1(SALU_CYCLE_1)
	s_mul_hi_u32 s10, s9, s10
	s_add_co_i32 s9, s9, s10
	s_wait_alu 0xfffe
	s_mul_hi_u32 s2, s2, s9
	s_delay_alu instid0(SALU_CYCLE_1)
	s_mul_i32 s9, s2, s7
	s_add_co_i32 s10, s2, 1
	s_wait_alu 0xfffe
	s_sub_co_i32 s9, s11, s9
	s_wait_alu 0xfffe
	s_sub_co_i32 s12, s9, s7
	s_cmp_ge_u32 s9, s7
	s_cselect_b32 s2, s10, s2
	s_cselect_b32 s9, s12, s9
	s_add_co_i32 s10, s2, 1
	s_wait_alu 0xfffe
	s_cmp_ge_u32 s9, s7
	s_cselect_b32 s2, s10, s2
	s_add_co_i32 s6, s6, -1
	s_mul_i32 s7, s2, s7
	s_delay_alu instid0(SALU_CYCLE_1) | instskip(NEXT) | instid1(SALU_CYCLE_1)
	s_sub_co_i32 s7, s11, s7
	s_mul_i32 s7, s8, s7
	s_delay_alu instid0(SALU_CYCLE_1)
	s_add_co_i32 s3, s7, s3
	s_cmp_gt_u32 s6, 2
	s_cbranch_scc1 .LBB190_3
.LBB190_4:
	s_load_b32 s4, s[0:1], 0x1b8
	s_add_nc_u64 s[20:21], s[0:1], 0x1c8
	s_mov_b32 s23, 0
	s_wait_kmcnt 0x0
	s_cmp_lt_i32 s4, 2
	s_cbranch_scc1 .LBB190_7
; %bb.5:
	s_add_co_i32 s22, s4, -1
	s_delay_alu instid0(SALU_CYCLE_1) | instskip(NEXT) | instid1(SALU_CYCLE_1)
	s_lshl_b64 s[6:7], s[22:23], 2
	s_add_nc_u64 s[8:9], s[0:1], s[6:7]
	s_add_co_i32 s6, s4, 1
	s_wait_alu 0xfffe
	s_add_nc_u64 s[4:5], s[8:9], 0xf0
.LBB190_6:                              ; =>This Inner Loop Header: Depth=1
	s_clause 0x1
	s_load_b32 s7, s[4:5], 0x0
	s_load_b32 s8, s[4:5], 0x64
	s_mov_b32 s11, s27
	s_add_nc_u64 s[4:5], s[4:5], -4
	s_wait_kmcnt 0x0
	s_cvt_f32_u32 s9, s7
	s_sub_co_i32 s10, 0, s7
	s_wait_alu 0xfffe
	s_delay_alu instid0(SALU_CYCLE_1) | instskip(NEXT) | instid1(TRANS32_DEP_1)
	v_rcp_iflag_f32_e32 v1, s9
	v_readfirstlane_b32 s9, v1
	s_mul_f32 s9, s9, 0x4f7ffffe
	s_wait_alu 0xfffe
	s_delay_alu instid0(SALU_CYCLE_2) | instskip(SKIP_1) | instid1(SALU_CYCLE_2)
	s_cvt_u32_f32 s9, s9
	s_wait_alu 0xfffe
	s_mul_i32 s10, s10, s9
	s_delay_alu instid0(SALU_CYCLE_1) | instskip(NEXT) | instid1(SALU_CYCLE_1)
	s_mul_hi_u32 s10, s9, s10
	s_add_co_i32 s9, s9, s10
	s_wait_alu 0xfffe
	s_mul_hi_u32 s9, s27, s9
	s_wait_alu 0xfffe
	s_mul_i32 s10, s9, s7
	s_add_co_i32 s12, s9, 1
	s_sub_co_i32 s10, s27, s10
	s_delay_alu instid0(SALU_CYCLE_1)
	s_sub_co_i32 s13, s10, s7
	s_cmp_ge_u32 s10, s7
	s_cselect_b32 s9, s12, s9
	s_cselect_b32 s10, s13, s10
	s_wait_alu 0xfffe
	s_add_co_i32 s12, s9, 1
	s_cmp_ge_u32 s10, s7
	s_cselect_b32 s27, s12, s9
	s_add_co_i32 s6, s6, -1
	s_mul_i32 s7, s27, s7
	s_delay_alu instid0(SALU_CYCLE_1) | instskip(NEXT) | instid1(SALU_CYCLE_1)
	s_sub_co_i32 s7, s11, s7
	s_mul_i32 s7, s8, s7
	s_delay_alu instid0(SALU_CYCLE_1)
	s_add_co_i32 s23, s7, s23
	s_cmp_gt_u32 s6, 2
	s_cbranch_scc1 .LBB190_6
.LBB190_7:
	s_clause 0x2
	s_load_b32 s4, s[0:1], 0x6c
	s_load_b64 s[28:29], s[0:1], 0x1c0
	s_load_b64 s[30:31], s[0:1], 0x0
	s_mov_b32 s19, 0
	s_wait_kmcnt 0x0
	s_mul_i32 s2, s4, s2
	s_mov_b32 s4, -1
	s_add_co_i32 s18, s2, s3
	s_bitcmp1_b32 s29, 0
	s_mov_b32 s6, s4
	s_cselect_b32 s22, -1, 0
	s_lshl_b64 s[34:35], s[18:19], 3
	s_and_b32 s2, s22, exec_lo
	s_cselect_b32 s5, -1, 0x7fffffff
	s_mov_b32 s8, s4
	s_mov_b32 s10, s4
	;; [unrolled: 1-line block ×13, first 2 shown]
	v_and_b32_e32 v73, 0x3ff, v0
	v_dual_mov_b32 v1, s4 :: v_dual_mov_b32 v4, s7
	v_dual_mov_b32 v2, s5 :: v_dual_mov_b32 v15, s18
	v_mov_b32_e32 v18, s5
	s_delay_alu instid0(VALU_DEP_4)
	v_mul_lo_u32 v71, s26, v73
	v_cmp_gt_u32_e64 s2, s25, v73
	s_wait_alu 0xfffe
	v_dual_mov_b32 v3, s6 :: v_dual_mov_b32 v6, s9
	v_dual_mov_b32 v5, s8 :: v_dual_mov_b32 v8, s11
	;; [unrolled: 1-line block ×6, first 2 shown]
	v_mov_b32_e32 v17, s4
	s_add_nc_u64 s[30:31], s[30:31], s[34:35]
	s_and_saveexec_b32 s3, s2
	s_cbranch_execz .LBB190_9
; %bb.8:
	v_mov_b32_e32 v72, 0
	s_delay_alu instid0(VALU_DEP_1) | instskip(NEXT) | instid1(VALU_DEP_1)
	v_lshlrev_b64_e32 v[1:2], 3, v[71:72]
	v_add_co_u32 v1, vcc_lo, s30, v1
	s_delay_alu instid0(VALU_DEP_1)
	v_add_co_ci_u32_e64 v2, null, s31, v2, vcc_lo
	global_load_b64 v[17:18], v[1:2], off
	v_dual_mov_b32 v1, s4 :: v_dual_mov_b32 v2, s5
	v_dual_mov_b32 v3, s6 :: v_dual_mov_b32 v4, s7
	;; [unrolled: 1-line block ×8, first 2 shown]
.LBB190_9:
	s_or_b32 exec_lo, exec_lo, s3
	v_add_nc_u32_e32 v32, 0x200, v73
	s_delay_alu instid0(VALU_DEP_1)
	v_cmp_gt_u32_e64 s3, s25, v32
	s_and_saveexec_b32 s4, s3
	s_cbranch_execz .LBB190_11
; %bb.10:
	v_mul_lo_u32 v1, s26, v32
	v_mov_b32_e32 v2, 0
	s_delay_alu instid0(VALU_DEP_1) | instskip(NEXT) | instid1(VALU_DEP_1)
	v_lshlrev_b64_e32 v[1:2], 3, v[1:2]
	v_add_co_u32 v1, vcc_lo, s30, v1
	s_wait_alu 0xfffd
	s_delay_alu instid0(VALU_DEP_2)
	v_add_co_ci_u32_e64 v2, null, s31, v2, vcc_lo
	global_load_b64 v[3:4], v[1:2], off
.LBB190_11:
	s_wait_alu 0xfffe
	s_or_b32 exec_lo, exec_lo, s4
	v_or_b32_e32 v33, 0x400, v73
	s_delay_alu instid0(VALU_DEP_1)
	v_cmp_gt_u32_e64 s4, s25, v33
	s_and_saveexec_b32 s5, s4
	s_cbranch_execz .LBB190_13
; %bb.12:
	v_mul_lo_u32 v1, s26, v33
	v_mov_b32_e32 v2, 0
	s_delay_alu instid0(VALU_DEP_1) | instskip(NEXT) | instid1(VALU_DEP_1)
	v_lshlrev_b64_e32 v[1:2], 3, v[1:2]
	v_add_co_u32 v1, vcc_lo, s30, v1
	s_wait_alu 0xfffd
	s_delay_alu instid0(VALU_DEP_2)
	v_add_co_ci_u32_e64 v2, null, s31, v2, vcc_lo
	global_load_b64 v[5:6], v[1:2], off
.LBB190_13:
	s_wait_alu 0xfffe
	s_or_b32 exec_lo, exec_lo, s5
	v_add_nc_u32_e32 v34, 0x600, v73
	s_delay_alu instid0(VALU_DEP_1)
	v_cmp_gt_u32_e64 s5, s25, v34
	s_and_saveexec_b32 s6, s5
	s_cbranch_execz .LBB190_15
; %bb.14:
	v_mul_lo_u32 v1, s26, v34
	v_mov_b32_e32 v2, 0
	s_delay_alu instid0(VALU_DEP_1) | instskip(NEXT) | instid1(VALU_DEP_1)
	v_lshlrev_b64_e32 v[1:2], 3, v[1:2]
	v_add_co_u32 v1, vcc_lo, s30, v1
	s_wait_alu 0xfffd
	s_delay_alu instid0(VALU_DEP_2)
	v_add_co_ci_u32_e64 v2, null, s31, v2, vcc_lo
	global_load_b64 v[7:8], v[1:2], off
.LBB190_15:
	s_wait_alu 0xfffe
	s_or_b32 exec_lo, exec_lo, s6
	v_or_b32_e32 v35, 0x800, v73
	s_delay_alu instid0(VALU_DEP_1)
	v_cmp_gt_u32_e64 s6, s25, v35
	s_and_saveexec_b32 s7, s6
	s_cbranch_execz .LBB190_17
; %bb.16:
	v_mul_lo_u32 v1, s26, v35
	v_mov_b32_e32 v2, 0
	s_delay_alu instid0(VALU_DEP_1) | instskip(NEXT) | instid1(VALU_DEP_1)
	v_lshlrev_b64_e32 v[1:2], 3, v[1:2]
	v_add_co_u32 v1, vcc_lo, s30, v1
	s_wait_alu 0xfffd
	s_delay_alu instid0(VALU_DEP_2)
	v_add_co_ci_u32_e64 v2, null, s31, v2, vcc_lo
	global_load_b64 v[9:10], v[1:2], off
.LBB190_17:
	s_wait_alu 0xfffe
	;; [unrolled: 36-line block ×3, first 2 shown]
	s_or_b32 exec_lo, exec_lo, s9
	s_clause 0x1
	s_load_b32 s9, s[0:1], 0x154
	s_load_b64 s[10:11], s[0:1], 0xe8
	v_add_nc_u32_e32 v38, 0xe00, v73
	s_delay_alu instid0(VALU_DEP_1)
	v_cmp_gt_u32_e64 s0, s25, v38
	s_and_saveexec_b32 s1, s0
	s_cbranch_execz .LBB190_23
; %bb.22:
	v_mul_lo_u32 v1, s26, v38
	v_mov_b32_e32 v2, 0
	s_delay_alu instid0(VALU_DEP_1) | instskip(NEXT) | instid1(VALU_DEP_1)
	v_lshlrev_b64_e32 v[1:2], 3, v[1:2]
	v_add_co_u32 v1, vcc_lo, s30, v1
	s_wait_alu 0xfffd
	s_delay_alu instid0(VALU_DEP_2)
	v_add_co_ci_u32_e64 v2, null, s31, v2, vcc_lo
	global_load_b64 v[15:16], v[1:2], off
.LBB190_23:
	s_or_b32 exec_lo, exec_lo, s1
	v_lshrrev_b32_e32 v2, 2, v33
	v_dual_mov_b32 v69, 0 :: v_dual_lshlrev_b32 v72, 3, v73
	v_lshrrev_b32_e32 v1, 2, v32
	v_lshrrev_b32_e32 v19, 2, v34
	s_delay_alu instid0(VALU_DEP_4) | instskip(SKIP_1) | instid1(VALU_DEP_4)
	v_and_b32_e32 v2, 0x1f8, v2
	v_lshrrev_b32_e32 v48, 5, v73
	v_dual_mov_b32 v70, v69 :: v_dual_and_b32 v1, 0x1f8, v1
	s_delay_alu instid0(VALU_DEP_4) | instskip(NEXT) | instid1(VALU_DEP_4)
	v_and_b32_e32 v19, 0x3f8, v19
	v_add_nc_u32_e32 v108, v2, v72
	v_lshrrev_b32_e32 v2, 2, v36
	v_lshl_add_u32 v106, v48, 3, v72
	v_add_nc_u32_e32 v107, v1, v72
	v_lshrrev_b32_e32 v1, 2, v35
	v_lshrrev_b32_e32 v20, 2, v38
	v_and_b32_e32 v2, 0x3f8, v2
	s_wait_kmcnt 0x0
	s_mul_i32 s1, s9, s27
	v_mul_lo_u32 v68, s28, v73
	v_and_b32_e32 v1, 0x3f8, v1
	s_mov_b32 s13, 0
	v_dual_mov_b32 v2, v69 :: v_dual_add_nc_u32 v111, v2, v72
	v_add_nc_u32_e32 v109, v19, v72
	v_lshrrev_b32_e32 v19, 2, v37
	s_wait_loadcnt 0x0
	ds_store_b64 v106, v[17:18]
	ds_store_b64 v107, v[3:4] offset:4096
	ds_store_b64 v108, v[5:6] offset:8192
	;; [unrolled: 1-line block ×3, first 2 shown]
	v_dual_mov_b32 v7, v69 :: v_dual_and_b32 v4, 0x7f8, v20
	v_lshlrev_b32_e32 v5, 1, v73
	v_dual_mov_b32 v8, v69 :: v_dual_and_b32 v3, 0x3f8, v19
	v_mov_b32_e32 v6, v69
	v_add_nc_u32_e32 v110, v1, v72
	v_add_nc_u32_e32 v113, v4, v72
	s_delay_alu instid0(VALU_DEP_4)
	v_add_nc_u32_e32 v112, v3, v72
	ds_store_b64 v110, v[9:10] offset:16384
	ds_store_b64 v111, v[11:12] offset:20480
	;; [unrolled: 1-line block ×4, first 2 shown]
	v_dual_mov_b32 v10, v69 :: v_dual_and_b32 v1, 0x7f8, v5
	s_wait_dscnt 0x0
	s_barrier_signal -1
	s_barrier_wait -1
	global_inv scope:SCOPE_SE
	v_lshl_add_u32 v114, v73, 6, v1
	ds_load_2addr_b64 v[28:31], v114 offset1:1
	ds_load_2addr_b64 v[24:27], v114 offset0:2 offset1:3
	ds_load_2addr_b64 v[20:23], v114 offset0:4 offset1:5
	;; [unrolled: 1-line block ×3, first 2 shown]
	s_add_co_i32 s12, s1, s23
	v_mov_b32_e32 v11, 0
	v_mov_b32_e32 v1, v69
	v_dual_mov_b32 v3, v69 :: v_dual_mov_b32 v4, v69
	v_mov_b32_e32 v5, v69
	v_mov_b32_e32 v9, v69
	v_dual_mov_b32 v13, v69 :: v_dual_mov_b32 v12, 0
	v_mov_b32_e32 v14, v69
	s_wait_alu 0xfffe
	s_lshl_b64 s[12:13], s[12:13], 3
	s_wait_loadcnt_dscnt 0x0
	s_wait_alu 0xfffe
	s_add_nc_u64 s[24:25], s[10:11], s[12:13]
	s_barrier_signal -1
	s_barrier_wait -1
	global_inv scope:SCOPE_SE
	s_and_saveexec_b32 s1, s2
	s_cbranch_execnz .LBB190_59
; %bb.24:
	s_or_b32 exec_lo, exec_lo, s1
	s_and_saveexec_b32 s1, s3
	s_cbranch_execnz .LBB190_60
.LBB190_25:
	s_or_b32 exec_lo, exec_lo, s1
	s_and_saveexec_b32 s1, s4
	s_cbranch_execnz .LBB190_61
.LBB190_26:
	s_or_b32 exec_lo, exec_lo, s1
	s_and_saveexec_b32 s1, s5
	s_cbranch_execnz .LBB190_62
.LBB190_27:
	s_or_b32 exec_lo, exec_lo, s1
	s_and_saveexec_b32 s1, s6
	s_cbranch_execnz .LBB190_63
.LBB190_28:
	s_or_b32 exec_lo, exec_lo, s1
	s_and_saveexec_b32 s1, s7
	s_cbranch_execnz .LBB190_64
.LBB190_29:
	s_or_b32 exec_lo, exec_lo, s1
	s_and_saveexec_b32 s1, s8
	s_cbranch_execnz .LBB190_65
.LBB190_30:
	s_or_b32 exec_lo, exec_lo, s1
	s_xor_b32 s1, s22, -1
	s_and_saveexec_b32 s9, s0
	s_cbranch_execz .LBB190_32
.LBB190_31:
	v_mul_lo_u32 v13, s28, v38
	v_mov_b32_e32 v14, 0
	s_delay_alu instid0(VALU_DEP_1) | instskip(SKIP_1) | instid1(VALU_DEP_1)
	v_lshlrev_b64_e32 v[13:14], 3, v[13:14]
	s_wait_alu 0xfffe
	v_add_co_u32 v13, vcc_lo, s24, v13
	s_wait_alu 0xfffd
	s_delay_alu instid0(VALU_DEP_2)
	v_add_co_ci_u32_e64 v14, null, s25, v14, vcc_lo
	global_load_b64 v[13:14], v[13:14], off
.LBB190_32:
	s_wait_alu 0xfffe
	s_or_b32 exec_lo, exec_lo, s9
	s_wait_loadcnt 0x0
	ds_store_b64 v106, v[11:12]
	ds_store_b64 v107, v[69:70] offset:4096
	ds_store_b64 v108, v[1:2] offset:8192
	;; [unrolled: 1-line block ×7, first 2 shown]
	s_wait_dscnt 0x0
	s_barrier_signal -1
	s_barrier_wait -1
	global_inv scope:SCOPE_SE
	ds_load_2addr_b64 v[44:47], v114 offset1:1
	ds_load_2addr_b64 v[40:43], v114 offset0:2 offset1:3
	ds_load_2addr_b64 v[36:39], v114 offset0:4 offset1:5
	;; [unrolled: 1-line block ×3, first 2 shown]
	s_and_b32 vcc_lo, exec_lo, s1
	v_bfe_u32 v120, v0, 10, 10
	v_bfe_u32 v121, v0, 20, 10
	v_ashrrev_i32_e32 v129, 31, v29
	v_ashrrev_i32_e32 v128, 31, v31
	;; [unrolled: 1-line block ×8, first 2 shown]
	v_mbcnt_lo_u32_b32 v118, -1, 0
	v_and_b32_e32 v119, 0x3e0, v73
	v_lshlrev_b32_e32 v115, 2, v72
	v_cmp_gt_u32_e64 s1, 16, v73
	v_cmp_lt_u32_e64 s9, 31, v73
	v_cmp_eq_u32_e64 s10, 0, v73
	v_lshlrev_b32_e32 v116, 2, v48
	v_mul_i32_i24_e32 v117, 0xffffffe4, v73
	s_wait_loadcnt_dscnt 0x0
	s_barrier_signal -1
	s_barrier_wait -1
	global_inv scope:SCOPE_SE
	s_wait_alu 0xfffe
	s_cbranch_vccz .LBB190_66
; %bb.33:
	v_cmp_lt_i64_e32 vcc_lo, -1, v[28:29]
	v_or_b32_e32 v14, v118, v119
	s_mov_b32 s36, 0
	s_getpc_b64 s[12:13]
	s_wait_alu 0xfffe
	s_sext_i32_i16 s13, s13
	s_add_co_u32 s12, s12, _ZN7rocprim17ROCPRIM_400000_NS16block_radix_sortIdLj512ELj8ElLj1ELj1ELj0ELNS0_26block_radix_rank_algorithmE1ELNS0_18block_padding_hintE2ELNS0_4arch9wavefront6targetE0EE19radix_bits_per_passE@rel32@lo+12
	s_wait_alu 0xfffe
	s_add_co_ci_u32 s13, s13, _ZN7rocprim17ROCPRIM_400000_NS16block_radix_sortIdLj512ELj8ElLj1ELj1ELj0ELNS0_26block_radix_rank_algorithmE1ELNS0_18block_padding_hintE2ELNS0_4arch9wavefront6targetE0EE19radix_bits_per_passE@rel32@hi+24
	s_mov_b32 s37, s36
	s_mov_b32 s38, s36
	s_wait_alu 0xfffd
	v_cndmask_b32_e64 v0, -1, 0x80000000, vcc_lo
	v_cmp_lt_i64_e32 vcc_lo, -1, v[30:31]
	v_lshlrev_b32_e32 v48, 6, v14
	s_mov_b32 s39, s36
	v_and_b32_e32 v69, 16, v118
	v_xor_b32_e32 v1, v0, v29
	v_xor_b32_e32 v0, v129, v28
	s_wait_alu 0xfffd
	v_cndmask_b32_e64 v2, -1, 0x80000000, vcc_lo
	v_cmp_lt_i64_e32 vcc_lo, -1, v[24:25]
	v_and_or_b32 v49, 0x1f00, v72, v118
	s_load_b32 s19, s[12:13], 0x0
	v_cmp_eq_u32_e64 s16, 0, v69
	v_xor_b32_e32 v3, v2, v31
	v_xor_b32_e32 v2, v128, v30
	v_cndmask_b32_e64 v4, -1, 0x80000000, vcc_lo
	v_cmp_lt_i64_e32 vcc_lo, -1, v[26:27]
	v_mov_b32_e32 v69, 0
	v_xor_b32_e32 v14, v122, v18
	v_add_nc_u32_e32 v132, -4, v116
	v_xor_b32_e32 v5, v4, v25
	v_xor_b32_e32 v4, v127, v24
	s_wait_alu 0xfffd
	v_cndmask_b32_e64 v6, -1, 0x80000000, vcc_lo
	v_cmp_lt_i64_e32 vcc_lo, -1, v[20:21]
	v_add_nc_u32_e32 v134, v115, v117
	s_mov_b32 s22, -1
	s_brev_b32 s23, -2
	v_xor_b32_e32 v7, v6, v27
	v_xor_b32_e32 v6, v126, v26
	s_wait_alu 0xfffd
	v_cndmask_b32_e64 v8, -1, 0x80000000, vcc_lo
	v_cmp_lt_i64_e32 vcc_lo, -1, v[22:23]
	ds_store_b128 v48, v[0:3]
	ds_store_b128 v48, v[4:7] offset:16
	v_sub_co_u32 v3, s12, v118, 1
	v_xor_b32_e32 v9, v8, v21
	s_wait_alu 0xfffd
	v_cndmask_b32_e64 v10, -1, 0x80000000, vcc_lo
	v_cmp_lt_i64_e32 vcc_lo, -1, v[16:17]
	v_xor_b32_e32 v8, v125, v20
	v_and_b32_e32 v2, 15, v118
	s_mov_b32 s27, 64
	v_xor_b32_e32 v11, v10, v23
	v_xor_b32_e32 v10, v124, v22
	s_wait_alu 0xfffd
	v_cndmask_b32_e64 v12, -1, 0x80000000, vcc_lo
	v_cmp_lt_i64_e32 vcc_lo, -1, v[18:19]
	v_cmp_lt_u32_e64 s13, 1, v2
	v_cmp_lt_u32_e64 s15, 7, v2
	v_mov_b32_e32 v70, 0
	v_xor_b32_e32 v13, v12, v17
	v_xor_b32_e32 v12, v123, v16
	s_wait_alu 0xfffd
	v_cndmask_b32_e64 v15, -1, 0x80000000, vcc_lo
	v_cmp_gt_i32_e32 vcc_lo, 0, v3
	v_lshlrev_b32_e32 v130, 3, v49
	s_delay_alu instid0(VALU_DEP_3)
	v_xor_b32_e32 v15, v15, v19
	ds_store_b128 v48, v[8:11] offset:32
	ds_store_b128 v48, v[12:15] offset:48
	; wave barrier
	s_wait_alu 0xfffd
	v_cndmask_b32_e32 v3, v3, v118, vcc_lo
	ds_load_2addr_b64 v[4:7], v130 offset1:32
	ds_load_2addr_b64 v[8:11], v130 offset0:64 offset1:96
	ds_load_2addr_b64 v[12:15], v130 offset0:128 offset1:160
	;; [unrolled: 1-line block ×3, first 2 shown]
	; wave barrier
	ds_store_b128 v48, v[44:47]
	ds_store_b128 v48, v[40:43] offset:16
	ds_store_b128 v48, v[36:39] offset:32
	;; [unrolled: 1-line block ×3, first 2 shown]
	; wave barrier
	ds_load_2addr_b64 v[48:51], v130 offset1:32
	ds_load_2addr_b64 v[52:55], v130 offset0:64 offset1:96
	ds_load_2addr_b64 v[56:59], v130 offset0:128 offset1:160
	;; [unrolled: 1-line block ×3, first 2 shown]
	s_wait_loadcnt_dscnt 0x0
	s_barrier_signal -1
	s_barrier_wait -1
	global_inv scope:SCOPE_SE
	s_load_b32 s11, s[20:21], 0xc
	v_lshlrev_b32_e32 v131, 2, v3
	s_wait_kmcnt 0x0
	s_lshr_b32 s14, s11, 16
	s_and_b32 s11, s11, 0xffff
	s_wait_alu 0xfffe
	v_mad_u32_u24 v0, v121, s14, v120
	v_cmp_lt_u32_e64 s14, 3, v2
	s_delay_alu instid0(VALU_DEP_2) | instskip(SKIP_2) | instid1(VALU_DEP_2)
	v_mad_co_u64_u32 v[0:1], null, v0, s11, v[73:74]
	v_min_u32_e32 v1, 0x1e0, v119
	v_cmp_eq_u32_e64 s11, 0, v2
	v_or_b32_e32 v1, 31, v1
	s_delay_alu instid0(VALU_DEP_4) | instskip(NEXT) | instid1(VALU_DEP_2)
	v_lshrrev_b32_e32 v0, 3, v0
	v_cmp_eq_u32_e64 s17, v73, v1
	s_delay_alu instid0(VALU_DEP_2)
	v_dual_mov_b32 v0, s36 :: v_dual_and_b32 v133, 0x1ffffffc, v0
	v_dual_mov_b32 v1, s37 :: v_dual_mov_b32 v2, s38
	v_mov_b32_e32 v3, s39
	s_branch .LBB190_35
.LBB190_34:                             ;   in Loop: Header=BB190_35 Depth=1
	s_wait_alu 0xfffe
	s_and_not1_b32 vcc_lo, exec_lo, s18
	s_wait_alu 0xfffe
	s_cbranch_vccz .LBB190_67
.LBB190_35:                             ; =>This Inner Loop Header: Depth=1
	v_dual_mov_b32 v75, v5 :: v_dual_mov_b32 v74, v4
	s_min_u32 s18, s19, s27
	v_mov_b32_e32 v79, v65
	s_wait_alu 0xfffe
	s_lshl_b32 s18, -1, s18
	ds_store_b128 v115, v[0:3] offset:64
	ds_store_b128 v115, v[0:3] offset:80
	v_cmp_ne_u64_e32 vcc_lo, s[22:23], v[74:75]
	s_wait_alu 0xfffe
	s_not_b32 s29, s18
	s_wait_loadcnt_dscnt 0x0
	s_barrier_signal -1
	s_barrier_wait -1
	s_wait_alu 0xfffd
	v_dual_mov_b32 v77, v67 :: v_dual_cndmask_b32 v4, 0, v74
	v_dual_cndmask_b32 v5, 0x80000000, v75 :: v_dual_mov_b32 v76, v66
	global_inv scope:SCOPE_SE
	; wave barrier
	v_lshrrev_b64 v[4:5], v69, v[4:5]
	v_dual_mov_b32 v78, v64 :: v_dual_mov_b32 v99, v13
	v_mov_b32_e32 v101, v11
	v_mov_b32_e32 v103, v9
	;; [unrolled: 1-line block ×3, first 2 shown]
	s_wait_alu 0xfffe
	v_and_b32_e32 v5, s29, v4
	v_dual_mov_b32 v81, v15 :: v_dual_mov_b32 v80, v14
	v_mov_b32_e32 v98, v12
	s_delay_alu instid0(VALU_DEP_3)
	v_dual_mov_b32 v100, v10 :: v_dual_lshlrev_b32 v67, 26, v5
	v_and_b32_e32 v4, 1, v5
	v_lshlrev_b32_e32 v14, 30, v5
	v_lshlrev_b32_e32 v15, 29, v5
	;; [unrolled: 1-line block ×4, first 2 shown]
	v_add_co_u32 v4, s18, v4, -1
	s_wait_alu 0xf1ff
	v_cndmask_b32_e64 v65, 0, 1, s18
	v_not_b32_e32 v83, v14
	v_cmp_gt_i32_e64 s18, 0, v14
	v_not_b32_e32 v14, v15
	v_lshlrev_b32_e32 v82, 25, v5
	v_cmp_ne_u32_e32 vcc_lo, 0, v65
	v_ashrrev_i32_e32 v83, 31, v83
	v_dual_mov_b32 v102, v8 :: v_dual_lshlrev_b32 v65, 24, v5
	v_ashrrev_i32_e32 v14, 31, v14
	s_wait_alu 0xfffd
	v_xor_b32_e32 v4, vcc_lo, v4
	v_cmp_gt_i32_e32 vcc_lo, 0, v15
	v_not_b32_e32 v15, v64
	s_wait_alu 0xf1ff
	v_xor_b32_e32 v83, s18, v83
	v_cmp_gt_i32_e64 s18, 0, v64
	v_and_b32_e32 v4, exec_lo, v4
	v_not_b32_e32 v64, v66
	v_ashrrev_i32_e32 v15, 31, v15
	s_wait_alu 0xfffd
	v_xor_b32_e32 v14, vcc_lo, v14
	v_cmp_gt_i32_e32 vcc_lo, 0, v66
	v_dual_mov_b32 v85, v61 :: v_dual_and_b32 v4, v4, v83
	v_not_b32_e32 v66, v67
	v_ashrrev_i32_e32 v64, 31, v64
	s_wait_alu 0xf1ff
	v_xor_b32_e32 v15, s18, v15
	v_dual_mov_b32 v87, v59 :: v_dual_and_b32 v4, v4, v14
	v_cmp_gt_i32_e64 s18, 0, v67
	v_not_b32_e32 v14, v82
	v_ashrrev_i32_e32 v66, 31, v66
	s_wait_alu 0xfffd
	v_xor_b32_e32 v64, vcc_lo, v64
	v_dual_mov_b32 v89, v57 :: v_dual_and_b32 v4, v4, v15
	v_cmp_gt_i32_e32 vcc_lo, 0, v82
	v_not_b32_e32 v15, v65
	v_ashrrev_i32_e32 v14, 31, v14
	s_wait_alu 0xf1ff
	v_xor_b32_e32 v66, s18, v66
	v_dual_mov_b32 v91, v55 :: v_dual_and_b32 v4, v4, v64
	v_cmp_gt_i32_e64 s18, 0, v65
	v_ashrrev_i32_e32 v12, 31, v15
	s_wait_alu 0xfffd
	v_xor_b32_e32 v13, vcc_lo, v14
	v_dual_mov_b32 v93, v53 :: v_dual_and_b32 v4, v4, v66
	v_dual_mov_b32 v104, v6 :: v_dual_mov_b32 v95, v51
	s_wait_alu 0xf1ff
	v_xor_b32_e32 v6, s18, v12
	s_delay_alu instid0(VALU_DEP_3) | instskip(SKIP_2) | instid1(VALU_DEP_3)
	v_dual_mov_b32 v97, v49 :: v_dual_and_b32 v4, v4, v13
	v_dual_mov_b32 v83, v63 :: v_dual_mov_b32 v82, v62
	v_lshlrev_b32_e32 v5, 6, v5
	v_and_b32_e32 v4, v4, v6
	v_mov_b32_e32 v84, v60
	v_mov_b32_e32 v86, v58
	;; [unrolled: 1-line block ×4, first 2 shown]
	v_mbcnt_lo_u32_b32 v12, v4, 0
	v_cmp_ne_u32_e64 s18, 0, v4
	v_mov_b32_e32 v92, v52
	v_mov_b32_e32 v94, v50
	;; [unrolled: 1-line block ×3, first 2 shown]
	v_cmp_eq_u32_e32 vcc_lo, 0, v12
	v_add_nc_u32_e32 v13, v133, v5
	s_and_b32 s33, s18, vcc_lo
	s_delay_alu instid0(SALU_CYCLE_1)
	s_and_saveexec_b32 s18, s33
; %bb.36:                               ;   in Loop: Header=BB190_35 Depth=1
	v_bcnt_u32_b32 v4, v4, 0
	ds_store_b32 v13, v4 offset:64
; %bb.37:                               ;   in Loop: Header=BB190_35 Depth=1
	s_wait_alu 0xfffe
	s_or_b32 exec_lo, exec_lo, s18
	v_cmp_ne_u64_e32 vcc_lo, s[22:23], v[104:105]
	; wave barrier
	s_wait_alu 0xfffd
	v_cndmask_b32_e32 v5, 0x80000000, v105, vcc_lo
	v_cndmask_b32_e32 v4, 0, v104, vcc_lo
	s_delay_alu instid0(VALU_DEP_1) | instskip(NEXT) | instid1(VALU_DEP_1)
	v_lshrrev_b64 v[4:5], v69, v[4:5]
	v_and_b32_e32 v4, s29, v4
	s_delay_alu instid0(VALU_DEP_1)
	v_and_b32_e32 v5, 1, v4
	v_lshlrev_b32_e32 v6, 30, v4
	v_lshlrev_b32_e32 v7, 29, v4
	;; [unrolled: 1-line block ×4, first 2 shown]
	v_add_co_u32 v5, s18, v5, -1
	s_wait_alu 0xf1ff
	v_cndmask_b32_e64 v9, 0, 1, s18
	v_not_b32_e32 v15, v6
	v_cmp_gt_i32_e64 s18, 0, v6
	v_not_b32_e32 v6, v7
	v_lshlrev_b32_e32 v11, 26, v4
	v_cmp_ne_u32_e32 vcc_lo, 0, v9
	v_ashrrev_i32_e32 v15, 31, v15
	v_lshlrev_b32_e32 v14, 25, v4
	v_ashrrev_i32_e32 v6, 31, v6
	v_lshlrev_b32_e32 v9, 24, v4
	s_wait_alu 0xfffd
	v_xor_b32_e32 v5, vcc_lo, v5
	v_cmp_gt_i32_e32 vcc_lo, 0, v7
	v_not_b32_e32 v7, v8
	s_wait_alu 0xf1ff
	v_xor_b32_e32 v15, s18, v15
	v_cmp_gt_i32_e64 s18, 0, v8
	v_and_b32_e32 v5, exec_lo, v5
	v_not_b32_e32 v8, v10
	v_ashrrev_i32_e32 v7, 31, v7
	s_wait_alu 0xfffd
	v_xor_b32_e32 v6, vcc_lo, v6
	v_cmp_gt_i32_e32 vcc_lo, 0, v10
	v_and_b32_e32 v5, v5, v15
	v_not_b32_e32 v10, v11
	v_ashrrev_i32_e32 v8, 31, v8
	s_wait_alu 0xf1ff
	v_xor_b32_e32 v7, s18, v7
	v_cmp_gt_i32_e64 s18, 0, v11
	v_and_b32_e32 v5, v5, v6
	v_not_b32_e32 v6, v14
	v_ashrrev_i32_e32 v10, 31, v10
	s_wait_alu 0xfffd
	v_xor_b32_e32 v8, vcc_lo, v8
	v_cmp_gt_i32_e32 vcc_lo, 0, v14
	v_and_b32_e32 v5, v5, v7
	v_not_b32_e32 v7, v9
	v_ashrrev_i32_e32 v6, 31, v6
	s_wait_alu 0xf1ff
	v_xor_b32_e32 v10, s18, v10
	v_lshlrev_b32_e32 v4, 6, v4
	v_and_b32_e32 v5, v5, v8
	v_cmp_gt_i32_e64 s18, 0, v9
	v_ashrrev_i32_e32 v7, 31, v7
	s_wait_alu 0xfffd
	v_xor_b32_e32 v6, vcc_lo, v6
	v_add_nc_u32_e32 v48, v133, v4
	v_and_b32_e32 v5, v5, v10
	s_wait_alu 0xf1ff
	v_xor_b32_e32 v4, s18, v7
	ds_load_b32 v14, v48 offset:64
	v_and_b32_e32 v5, v5, v6
	; wave barrier
	s_delay_alu instid0(VALU_DEP_1) | instskip(NEXT) | instid1(VALU_DEP_1)
	v_and_b32_e32 v4, v5, v4
	v_mbcnt_lo_u32_b32 v15, v4, 0
	v_cmp_ne_u32_e64 s18, 0, v4
	s_delay_alu instid0(VALU_DEP_2) | instskip(SKIP_1) | instid1(SALU_CYCLE_1)
	v_cmp_eq_u32_e32 vcc_lo, 0, v15
	s_and_b32 s33, s18, vcc_lo
	s_and_saveexec_b32 s18, s33
	s_cbranch_execz .LBB190_39
; %bb.38:                               ;   in Loop: Header=BB190_35 Depth=1
	s_wait_dscnt 0x0
	v_bcnt_u32_b32 v4, v4, v14
	ds_store_b32 v48, v4 offset:64
.LBB190_39:                             ;   in Loop: Header=BB190_35 Depth=1
	s_wait_alu 0xfffe
	s_or_b32 exec_lo, exec_lo, s18
	v_cmp_ne_u64_e32 vcc_lo, s[22:23], v[102:103]
	; wave barrier
	s_wait_alu 0xfffd
	v_cndmask_b32_e32 v5, 0x80000000, v103, vcc_lo
	v_cndmask_b32_e32 v4, 0, v102, vcc_lo
	s_delay_alu instid0(VALU_DEP_1) | instskip(NEXT) | instid1(VALU_DEP_1)
	v_lshrrev_b64 v[4:5], v69, v[4:5]
	v_and_b32_e32 v4, s29, v4
	s_delay_alu instid0(VALU_DEP_1)
	v_and_b32_e32 v5, 1, v4
	v_lshlrev_b32_e32 v6, 30, v4
	v_lshlrev_b32_e32 v7, 29, v4
	;; [unrolled: 1-line block ×4, first 2 shown]
	v_add_co_u32 v5, s18, v5, -1
	s_wait_alu 0xf1ff
	v_cndmask_b32_e64 v9, 0, 1, s18
	v_not_b32_e32 v50, v6
	v_cmp_gt_i32_e64 s18, 0, v6
	v_not_b32_e32 v6, v7
	v_lshlrev_b32_e32 v11, 26, v4
	v_cmp_ne_u32_e32 vcc_lo, 0, v9
	v_ashrrev_i32_e32 v50, 31, v50
	v_lshlrev_b32_e32 v49, 25, v4
	v_ashrrev_i32_e32 v6, 31, v6
	v_lshlrev_b32_e32 v9, 24, v4
	s_wait_alu 0xfffd
	v_xor_b32_e32 v5, vcc_lo, v5
	v_cmp_gt_i32_e32 vcc_lo, 0, v7
	v_not_b32_e32 v7, v8
	s_wait_alu 0xf1ff
	v_xor_b32_e32 v50, s18, v50
	v_cmp_gt_i32_e64 s18, 0, v8
	v_and_b32_e32 v5, exec_lo, v5
	v_not_b32_e32 v8, v10
	v_ashrrev_i32_e32 v7, 31, v7
	s_wait_alu 0xfffd
	v_xor_b32_e32 v6, vcc_lo, v6
	v_cmp_gt_i32_e32 vcc_lo, 0, v10
	v_and_b32_e32 v5, v5, v50
	v_not_b32_e32 v10, v11
	v_ashrrev_i32_e32 v8, 31, v8
	s_wait_alu 0xf1ff
	v_xor_b32_e32 v7, s18, v7
	v_cmp_gt_i32_e64 s18, 0, v11
	v_and_b32_e32 v5, v5, v6
	v_not_b32_e32 v6, v49
	v_ashrrev_i32_e32 v10, 31, v10
	s_wait_alu 0xfffd
	v_xor_b32_e32 v8, vcc_lo, v8
	v_cmp_gt_i32_e32 vcc_lo, 0, v49
	v_and_b32_e32 v5, v5, v7
	v_not_b32_e32 v7, v9
	v_ashrrev_i32_e32 v6, 31, v6
	s_wait_alu 0xf1ff
	v_xor_b32_e32 v10, s18, v10
	v_lshlrev_b32_e32 v4, 6, v4
	v_and_b32_e32 v5, v5, v8
	v_cmp_gt_i32_e64 s18, 0, v9
	v_ashrrev_i32_e32 v7, 31, v7
	s_wait_alu 0xfffd
	v_xor_b32_e32 v6, vcc_lo, v6
	v_add_nc_u32_e32 v51, v133, v4
	v_and_b32_e32 v5, v5, v10
	s_wait_alu 0xf1ff
	v_xor_b32_e32 v4, s18, v7
	ds_load_b32 v49, v51 offset:64
	v_and_b32_e32 v5, v5, v6
	; wave barrier
	s_delay_alu instid0(VALU_DEP_1) | instskip(NEXT) | instid1(VALU_DEP_1)
	v_and_b32_e32 v4, v5, v4
	v_mbcnt_lo_u32_b32 v50, v4, 0
	v_cmp_ne_u32_e64 s18, 0, v4
	s_delay_alu instid0(VALU_DEP_2) | instskip(SKIP_1) | instid1(SALU_CYCLE_1)
	v_cmp_eq_u32_e32 vcc_lo, 0, v50
	s_and_b32 s33, s18, vcc_lo
	s_and_saveexec_b32 s18, s33
	s_cbranch_execz .LBB190_41
; %bb.40:                               ;   in Loop: Header=BB190_35 Depth=1
	s_wait_dscnt 0x0
	v_bcnt_u32_b32 v4, v4, v49
	ds_store_b32 v51, v4 offset:64
.LBB190_41:                             ;   in Loop: Header=BB190_35 Depth=1
	s_wait_alu 0xfffe
	s_or_b32 exec_lo, exec_lo, s18
	v_cmp_ne_u64_e32 vcc_lo, s[22:23], v[100:101]
	; wave barrier
	s_wait_alu 0xfffd
	v_cndmask_b32_e32 v5, 0x80000000, v101, vcc_lo
	v_cndmask_b32_e32 v4, 0, v100, vcc_lo
	s_delay_alu instid0(VALU_DEP_1) | instskip(NEXT) | instid1(VALU_DEP_1)
	v_lshrrev_b64 v[4:5], v69, v[4:5]
	v_and_b32_e32 v4, s29, v4
	s_delay_alu instid0(VALU_DEP_1)
	v_and_b32_e32 v5, 1, v4
	v_lshlrev_b32_e32 v6, 30, v4
	v_lshlrev_b32_e32 v7, 29, v4
	;; [unrolled: 1-line block ×4, first 2 shown]
	v_add_co_u32 v5, s18, v5, -1
	s_wait_alu 0xf1ff
	v_cndmask_b32_e64 v9, 0, 1, s18
	v_not_b32_e32 v53, v6
	v_cmp_gt_i32_e64 s18, 0, v6
	v_not_b32_e32 v6, v7
	v_lshlrev_b32_e32 v11, 26, v4
	v_cmp_ne_u32_e32 vcc_lo, 0, v9
	v_ashrrev_i32_e32 v53, 31, v53
	v_lshlrev_b32_e32 v52, 25, v4
	v_ashrrev_i32_e32 v6, 31, v6
	v_lshlrev_b32_e32 v9, 24, v4
	s_wait_alu 0xfffd
	v_xor_b32_e32 v5, vcc_lo, v5
	v_cmp_gt_i32_e32 vcc_lo, 0, v7
	v_not_b32_e32 v7, v8
	s_wait_alu 0xf1ff
	v_xor_b32_e32 v53, s18, v53
	v_cmp_gt_i32_e64 s18, 0, v8
	v_and_b32_e32 v5, exec_lo, v5
	v_not_b32_e32 v8, v10
	v_ashrrev_i32_e32 v7, 31, v7
	s_wait_alu 0xfffd
	v_xor_b32_e32 v6, vcc_lo, v6
	v_cmp_gt_i32_e32 vcc_lo, 0, v10
	v_and_b32_e32 v5, v5, v53
	v_not_b32_e32 v10, v11
	v_ashrrev_i32_e32 v8, 31, v8
	s_wait_alu 0xf1ff
	v_xor_b32_e32 v7, s18, v7
	v_cmp_gt_i32_e64 s18, 0, v11
	v_and_b32_e32 v5, v5, v6
	v_not_b32_e32 v6, v52
	v_ashrrev_i32_e32 v10, 31, v10
	s_wait_alu 0xfffd
	v_xor_b32_e32 v8, vcc_lo, v8
	v_cmp_gt_i32_e32 vcc_lo, 0, v52
	v_and_b32_e32 v5, v5, v7
	v_not_b32_e32 v7, v9
	v_ashrrev_i32_e32 v6, 31, v6
	s_wait_alu 0xf1ff
	v_xor_b32_e32 v10, s18, v10
	v_lshlrev_b32_e32 v4, 6, v4
	v_and_b32_e32 v5, v5, v8
	v_cmp_gt_i32_e64 s18, 0, v9
	v_ashrrev_i32_e32 v7, 31, v7
	s_wait_alu 0xfffd
	v_xor_b32_e32 v6, vcc_lo, v6
	v_add_nc_u32_e32 v54, v133, v4
	v_and_b32_e32 v5, v5, v10
	s_wait_alu 0xf1ff
	v_xor_b32_e32 v4, s18, v7
	ds_load_b32 v52, v54 offset:64
	v_and_b32_e32 v5, v5, v6
	; wave barrier
	s_delay_alu instid0(VALU_DEP_1) | instskip(NEXT) | instid1(VALU_DEP_1)
	v_and_b32_e32 v4, v5, v4
	v_mbcnt_lo_u32_b32 v53, v4, 0
	v_cmp_ne_u32_e64 s18, 0, v4
	s_delay_alu instid0(VALU_DEP_2) | instskip(SKIP_1) | instid1(SALU_CYCLE_1)
	v_cmp_eq_u32_e32 vcc_lo, 0, v53
	s_and_b32 s33, s18, vcc_lo
	s_and_saveexec_b32 s18, s33
	s_cbranch_execz .LBB190_43
; %bb.42:                               ;   in Loop: Header=BB190_35 Depth=1
	s_wait_dscnt 0x0
	v_bcnt_u32_b32 v4, v4, v52
	ds_store_b32 v54, v4 offset:64
.LBB190_43:                             ;   in Loop: Header=BB190_35 Depth=1
	s_wait_alu 0xfffe
	s_or_b32 exec_lo, exec_lo, s18
	v_cmp_ne_u64_e32 vcc_lo, s[22:23], v[98:99]
	; wave barrier
	s_wait_alu 0xfffd
	v_cndmask_b32_e32 v5, 0x80000000, v99, vcc_lo
	v_cndmask_b32_e32 v4, 0, v98, vcc_lo
	s_delay_alu instid0(VALU_DEP_1) | instskip(NEXT) | instid1(VALU_DEP_1)
	v_lshrrev_b64 v[4:5], v69, v[4:5]
	v_and_b32_e32 v4, s29, v4
	s_delay_alu instid0(VALU_DEP_1)
	v_and_b32_e32 v5, 1, v4
	v_lshlrev_b32_e32 v6, 30, v4
	v_lshlrev_b32_e32 v7, 29, v4
	;; [unrolled: 1-line block ×4, first 2 shown]
	v_add_co_u32 v5, s18, v5, -1
	s_wait_alu 0xf1ff
	v_cndmask_b32_e64 v9, 0, 1, s18
	v_not_b32_e32 v56, v6
	v_cmp_gt_i32_e64 s18, 0, v6
	v_not_b32_e32 v6, v7
	v_lshlrev_b32_e32 v11, 26, v4
	v_cmp_ne_u32_e32 vcc_lo, 0, v9
	v_ashrrev_i32_e32 v56, 31, v56
	v_lshlrev_b32_e32 v55, 25, v4
	v_ashrrev_i32_e32 v6, 31, v6
	v_lshlrev_b32_e32 v9, 24, v4
	s_wait_alu 0xfffd
	v_xor_b32_e32 v5, vcc_lo, v5
	v_cmp_gt_i32_e32 vcc_lo, 0, v7
	v_not_b32_e32 v7, v8
	s_wait_alu 0xf1ff
	v_xor_b32_e32 v56, s18, v56
	v_cmp_gt_i32_e64 s18, 0, v8
	v_and_b32_e32 v5, exec_lo, v5
	v_not_b32_e32 v8, v10
	v_ashrrev_i32_e32 v7, 31, v7
	s_wait_alu 0xfffd
	v_xor_b32_e32 v6, vcc_lo, v6
	v_cmp_gt_i32_e32 vcc_lo, 0, v10
	v_and_b32_e32 v5, v5, v56
	v_not_b32_e32 v10, v11
	v_ashrrev_i32_e32 v8, 31, v8
	s_wait_alu 0xf1ff
	v_xor_b32_e32 v7, s18, v7
	v_cmp_gt_i32_e64 s18, 0, v11
	v_and_b32_e32 v5, v5, v6
	v_not_b32_e32 v6, v55
	v_ashrrev_i32_e32 v10, 31, v10
	s_wait_alu 0xfffd
	v_xor_b32_e32 v8, vcc_lo, v8
	v_cmp_gt_i32_e32 vcc_lo, 0, v55
	v_and_b32_e32 v5, v5, v7
	v_not_b32_e32 v7, v9
	v_ashrrev_i32_e32 v6, 31, v6
	s_wait_alu 0xf1ff
	v_xor_b32_e32 v10, s18, v10
	v_lshlrev_b32_e32 v4, 6, v4
	v_and_b32_e32 v5, v5, v8
	v_cmp_gt_i32_e64 s18, 0, v9
	v_ashrrev_i32_e32 v7, 31, v7
	s_wait_alu 0xfffd
	v_xor_b32_e32 v6, vcc_lo, v6
	v_add_nc_u32_e32 v57, v133, v4
	v_and_b32_e32 v5, v5, v10
	s_wait_alu 0xf1ff
	v_xor_b32_e32 v4, s18, v7
	ds_load_b32 v55, v57 offset:64
	v_and_b32_e32 v5, v5, v6
	; wave barrier
	s_delay_alu instid0(VALU_DEP_1) | instskip(NEXT) | instid1(VALU_DEP_1)
	v_and_b32_e32 v4, v5, v4
	v_mbcnt_lo_u32_b32 v56, v4, 0
	v_cmp_ne_u32_e64 s18, 0, v4
	s_delay_alu instid0(VALU_DEP_2) | instskip(SKIP_1) | instid1(SALU_CYCLE_1)
	v_cmp_eq_u32_e32 vcc_lo, 0, v56
	s_and_b32 s33, s18, vcc_lo
	s_and_saveexec_b32 s18, s33
	s_cbranch_execz .LBB190_45
; %bb.44:                               ;   in Loop: Header=BB190_35 Depth=1
	s_wait_dscnt 0x0
	v_bcnt_u32_b32 v4, v4, v55
	ds_store_b32 v57, v4 offset:64
.LBB190_45:                             ;   in Loop: Header=BB190_35 Depth=1
	s_wait_alu 0xfffe
	s_or_b32 exec_lo, exec_lo, s18
	v_cmp_ne_u64_e32 vcc_lo, s[22:23], v[80:81]
	; wave barrier
	s_wait_alu 0xfffd
	v_cndmask_b32_e32 v5, 0x80000000, v81, vcc_lo
	v_cndmask_b32_e32 v4, 0, v80, vcc_lo
	s_delay_alu instid0(VALU_DEP_1) | instskip(NEXT) | instid1(VALU_DEP_1)
	v_lshrrev_b64 v[4:5], v69, v[4:5]
	v_and_b32_e32 v4, s29, v4
	s_delay_alu instid0(VALU_DEP_1)
	v_and_b32_e32 v5, 1, v4
	v_lshlrev_b32_e32 v6, 30, v4
	v_lshlrev_b32_e32 v7, 29, v4
	;; [unrolled: 1-line block ×4, first 2 shown]
	v_add_co_u32 v5, s18, v5, -1
	s_wait_alu 0xf1ff
	v_cndmask_b32_e64 v9, 0, 1, s18
	v_not_b32_e32 v59, v6
	v_cmp_gt_i32_e64 s18, 0, v6
	v_not_b32_e32 v6, v7
	v_lshlrev_b32_e32 v11, 26, v4
	v_cmp_ne_u32_e32 vcc_lo, 0, v9
	v_ashrrev_i32_e32 v59, 31, v59
	v_lshlrev_b32_e32 v58, 25, v4
	v_ashrrev_i32_e32 v6, 31, v6
	v_lshlrev_b32_e32 v9, 24, v4
	s_wait_alu 0xfffd
	v_xor_b32_e32 v5, vcc_lo, v5
	v_cmp_gt_i32_e32 vcc_lo, 0, v7
	v_not_b32_e32 v7, v8
	s_wait_alu 0xf1ff
	v_xor_b32_e32 v59, s18, v59
	v_cmp_gt_i32_e64 s18, 0, v8
	v_and_b32_e32 v5, exec_lo, v5
	v_not_b32_e32 v8, v10
	v_ashrrev_i32_e32 v7, 31, v7
	s_wait_alu 0xfffd
	v_xor_b32_e32 v6, vcc_lo, v6
	v_cmp_gt_i32_e32 vcc_lo, 0, v10
	v_and_b32_e32 v5, v5, v59
	v_not_b32_e32 v10, v11
	v_ashrrev_i32_e32 v8, 31, v8
	s_wait_alu 0xf1ff
	v_xor_b32_e32 v7, s18, v7
	v_cmp_gt_i32_e64 s18, 0, v11
	v_and_b32_e32 v5, v5, v6
	v_not_b32_e32 v6, v58
	v_ashrrev_i32_e32 v10, 31, v10
	s_wait_alu 0xfffd
	v_xor_b32_e32 v8, vcc_lo, v8
	v_cmp_gt_i32_e32 vcc_lo, 0, v58
	v_and_b32_e32 v5, v5, v7
	v_not_b32_e32 v7, v9
	v_ashrrev_i32_e32 v6, 31, v6
	s_wait_alu 0xf1ff
	v_xor_b32_e32 v10, s18, v10
	v_lshlrev_b32_e32 v4, 6, v4
	v_and_b32_e32 v5, v5, v8
	v_cmp_gt_i32_e64 s18, 0, v9
	v_ashrrev_i32_e32 v7, 31, v7
	s_wait_alu 0xfffd
	v_xor_b32_e32 v6, vcc_lo, v6
	v_add_nc_u32_e32 v60, v133, v4
	v_and_b32_e32 v5, v5, v10
	s_wait_alu 0xf1ff
	v_xor_b32_e32 v4, s18, v7
	ds_load_b32 v58, v60 offset:64
	v_and_b32_e32 v5, v5, v6
	; wave barrier
	s_delay_alu instid0(VALU_DEP_1) | instskip(NEXT) | instid1(VALU_DEP_1)
	v_and_b32_e32 v4, v5, v4
	v_mbcnt_lo_u32_b32 v59, v4, 0
	v_cmp_ne_u32_e64 s18, 0, v4
	s_delay_alu instid0(VALU_DEP_2) | instskip(SKIP_1) | instid1(SALU_CYCLE_1)
	v_cmp_eq_u32_e32 vcc_lo, 0, v59
	s_and_b32 s33, s18, vcc_lo
	s_and_saveexec_b32 s18, s33
	s_cbranch_execz .LBB190_47
; %bb.46:                               ;   in Loop: Header=BB190_35 Depth=1
	s_wait_dscnt 0x0
	v_bcnt_u32_b32 v4, v4, v58
	ds_store_b32 v60, v4 offset:64
.LBB190_47:                             ;   in Loop: Header=BB190_35 Depth=1
	s_wait_alu 0xfffe
	s_or_b32 exec_lo, exec_lo, s18
	v_cmp_ne_u64_e32 vcc_lo, s[22:23], v[78:79]
	; wave barrier
	s_wait_alu 0xfffd
	v_cndmask_b32_e32 v5, 0x80000000, v79, vcc_lo
	v_cndmask_b32_e32 v4, 0, v78, vcc_lo
	s_delay_alu instid0(VALU_DEP_1) | instskip(NEXT) | instid1(VALU_DEP_1)
	v_lshrrev_b64 v[4:5], v69, v[4:5]
	v_and_b32_e32 v4, s29, v4
	s_delay_alu instid0(VALU_DEP_1)
	v_and_b32_e32 v5, 1, v4
	v_lshlrev_b32_e32 v6, 30, v4
	v_lshlrev_b32_e32 v7, 29, v4
	;; [unrolled: 1-line block ×4, first 2 shown]
	v_add_co_u32 v5, s18, v5, -1
	s_wait_alu 0xf1ff
	v_cndmask_b32_e64 v9, 0, 1, s18
	v_not_b32_e32 v62, v6
	v_cmp_gt_i32_e64 s18, 0, v6
	v_not_b32_e32 v6, v7
	v_lshlrev_b32_e32 v11, 26, v4
	v_cmp_ne_u32_e32 vcc_lo, 0, v9
	v_ashrrev_i32_e32 v62, 31, v62
	v_lshlrev_b32_e32 v61, 25, v4
	v_ashrrev_i32_e32 v6, 31, v6
	v_lshlrev_b32_e32 v9, 24, v4
	s_wait_alu 0xfffd
	v_xor_b32_e32 v5, vcc_lo, v5
	v_cmp_gt_i32_e32 vcc_lo, 0, v7
	v_not_b32_e32 v7, v8
	s_wait_alu 0xf1ff
	v_xor_b32_e32 v62, s18, v62
	v_cmp_gt_i32_e64 s18, 0, v8
	v_and_b32_e32 v5, exec_lo, v5
	v_not_b32_e32 v8, v10
	v_ashrrev_i32_e32 v7, 31, v7
	s_wait_alu 0xfffd
	v_xor_b32_e32 v6, vcc_lo, v6
	v_cmp_gt_i32_e32 vcc_lo, 0, v10
	v_and_b32_e32 v5, v5, v62
	v_not_b32_e32 v10, v11
	v_ashrrev_i32_e32 v8, 31, v8
	s_wait_alu 0xf1ff
	v_xor_b32_e32 v7, s18, v7
	v_cmp_gt_i32_e64 s18, 0, v11
	v_and_b32_e32 v5, v5, v6
	v_not_b32_e32 v6, v61
	v_ashrrev_i32_e32 v10, 31, v10
	s_wait_alu 0xfffd
	v_xor_b32_e32 v8, vcc_lo, v8
	v_cmp_gt_i32_e32 vcc_lo, 0, v61
	v_and_b32_e32 v5, v5, v7
	v_not_b32_e32 v7, v9
	v_ashrrev_i32_e32 v6, 31, v6
	s_wait_alu 0xf1ff
	v_xor_b32_e32 v10, s18, v10
	v_lshlrev_b32_e32 v4, 6, v4
	v_and_b32_e32 v5, v5, v8
	v_cmp_gt_i32_e64 s18, 0, v9
	v_ashrrev_i32_e32 v7, 31, v7
	s_wait_alu 0xfffd
	v_xor_b32_e32 v6, vcc_lo, v6
	v_add_nc_u32_e32 v63, v133, v4
	v_and_b32_e32 v5, v5, v10
	s_wait_alu 0xf1ff
	v_xor_b32_e32 v4, s18, v7
	ds_load_b32 v61, v63 offset:64
	v_and_b32_e32 v5, v5, v6
	; wave barrier
	s_delay_alu instid0(VALU_DEP_1) | instskip(NEXT) | instid1(VALU_DEP_1)
	v_and_b32_e32 v4, v5, v4
	v_mbcnt_lo_u32_b32 v62, v4, 0
	v_cmp_ne_u32_e64 s18, 0, v4
	s_delay_alu instid0(VALU_DEP_2) | instskip(SKIP_1) | instid1(SALU_CYCLE_1)
	v_cmp_eq_u32_e32 vcc_lo, 0, v62
	s_and_b32 s33, s18, vcc_lo
	s_and_saveexec_b32 s18, s33
	s_cbranch_execz .LBB190_49
; %bb.48:                               ;   in Loop: Header=BB190_35 Depth=1
	s_wait_dscnt 0x0
	v_bcnt_u32_b32 v4, v4, v61
	ds_store_b32 v63, v4 offset:64
.LBB190_49:                             ;   in Loop: Header=BB190_35 Depth=1
	s_wait_alu 0xfffe
	s_or_b32 exec_lo, exec_lo, s18
	v_cmp_ne_u64_e32 vcc_lo, s[22:23], v[76:77]
	; wave barrier
	s_wait_alu 0xfffd
	v_cndmask_b32_e32 v5, 0x80000000, v77, vcc_lo
	v_cndmask_b32_e32 v4, 0, v76, vcc_lo
	s_delay_alu instid0(VALU_DEP_1) | instskip(NEXT) | instid1(VALU_DEP_1)
	v_lshrrev_b64 v[4:5], v69, v[4:5]
	v_and_b32_e32 v4, s29, v4
	s_delay_alu instid0(VALU_DEP_1)
	v_and_b32_e32 v5, 1, v4
	v_lshlrev_b32_e32 v6, 30, v4
	v_lshlrev_b32_e32 v7, 29, v4
	;; [unrolled: 1-line block ×4, first 2 shown]
	v_add_co_u32 v5, s18, v5, -1
	s_wait_alu 0xf1ff
	v_cndmask_b32_e64 v9, 0, 1, s18
	v_not_b32_e32 v65, v6
	v_cmp_gt_i32_e64 s18, 0, v6
	v_not_b32_e32 v6, v7
	v_lshlrev_b32_e32 v11, 26, v4
	v_cmp_ne_u32_e32 vcc_lo, 0, v9
	v_ashrrev_i32_e32 v65, 31, v65
	v_lshlrev_b32_e32 v64, 25, v4
	v_ashrrev_i32_e32 v6, 31, v6
	v_lshlrev_b32_e32 v9, 24, v4
	s_wait_alu 0xfffd
	v_xor_b32_e32 v5, vcc_lo, v5
	v_cmp_gt_i32_e32 vcc_lo, 0, v7
	v_not_b32_e32 v7, v8
	s_wait_alu 0xf1ff
	v_xor_b32_e32 v65, s18, v65
	v_cmp_gt_i32_e64 s18, 0, v8
	v_and_b32_e32 v5, exec_lo, v5
	v_not_b32_e32 v8, v10
	v_ashrrev_i32_e32 v7, 31, v7
	s_wait_alu 0xfffd
	v_xor_b32_e32 v6, vcc_lo, v6
	v_cmp_gt_i32_e32 vcc_lo, 0, v10
	v_and_b32_e32 v5, v5, v65
	v_not_b32_e32 v10, v11
	v_ashrrev_i32_e32 v8, 31, v8
	s_wait_alu 0xf1ff
	v_xor_b32_e32 v7, s18, v7
	v_cmp_gt_i32_e64 s18, 0, v11
	v_and_b32_e32 v5, v5, v6
	v_not_b32_e32 v6, v64
	v_ashrrev_i32_e32 v10, 31, v10
	s_wait_alu 0xfffd
	v_xor_b32_e32 v8, vcc_lo, v8
	v_cmp_gt_i32_e32 vcc_lo, 0, v64
	v_and_b32_e32 v5, v5, v7
	v_not_b32_e32 v7, v9
	v_ashrrev_i32_e32 v6, 31, v6
	s_wait_alu 0xf1ff
	v_xor_b32_e32 v10, s18, v10
	v_lshlrev_b32_e32 v4, 6, v4
	v_and_b32_e32 v5, v5, v8
	v_cmp_gt_i32_e64 s18, 0, v9
	v_ashrrev_i32_e32 v7, 31, v7
	s_wait_alu 0xfffd
	v_xor_b32_e32 v6, vcc_lo, v6
	v_add_nc_u32_e32 v66, v133, v4
	v_and_b32_e32 v5, v5, v10
	s_wait_alu 0xf1ff
	v_xor_b32_e32 v4, s18, v7
	ds_load_b32 v64, v66 offset:64
	v_and_b32_e32 v5, v5, v6
	; wave barrier
	s_delay_alu instid0(VALU_DEP_1) | instskip(NEXT) | instid1(VALU_DEP_1)
	v_and_b32_e32 v4, v5, v4
	v_mbcnt_lo_u32_b32 v65, v4, 0
	v_cmp_ne_u32_e64 s18, 0, v4
	s_delay_alu instid0(VALU_DEP_2)
	v_cmp_eq_u32_e32 vcc_lo, 0, v65
	s_and_b32 s29, s18, vcc_lo
	s_wait_alu 0xfffe
	s_and_saveexec_b32 s18, s29
	s_cbranch_execz .LBB190_51
; %bb.50:                               ;   in Loop: Header=BB190_35 Depth=1
	s_wait_dscnt 0x0
	v_bcnt_u32_b32 v4, v4, v64
	ds_store_b32 v66, v4 offset:64
.LBB190_51:                             ;   in Loop: Header=BB190_35 Depth=1
	s_wait_alu 0xfffe
	s_or_b32 exec_lo, exec_lo, s18
	; wave barrier
	s_wait_loadcnt_dscnt 0x0
	s_barrier_signal -1
	s_barrier_wait -1
	global_inv scope:SCOPE_SE
	ds_load_b128 v[8:11], v115 offset:64
	ds_load_b128 v[4:7], v115 offset:80
	s_wait_dscnt 0x1
	v_add_nc_u32_e32 v67, v9, v8
	s_delay_alu instid0(VALU_DEP_1) | instskip(SKIP_1) | instid1(VALU_DEP_1)
	v_add3_u32 v67, v67, v10, v11
	s_wait_dscnt 0x0
	v_add3_u32 v67, v67, v4, v5
	s_delay_alu instid0(VALU_DEP_1) | instskip(NEXT) | instid1(VALU_DEP_1)
	v_add3_u32 v7, v67, v6, v7
	v_mov_b32_dpp v67, v7 row_shr:1 row_mask:0xf bank_mask:0xf
	s_delay_alu instid0(VALU_DEP_1) | instskip(NEXT) | instid1(VALU_DEP_1)
	v_cndmask_b32_e64 v67, v67, 0, s11
	v_add_nc_u32_e32 v7, v67, v7
	s_delay_alu instid0(VALU_DEP_1) | instskip(NEXT) | instid1(VALU_DEP_1)
	v_mov_b32_dpp v67, v7 row_shr:2 row_mask:0xf bank_mask:0xf
	v_cndmask_b32_e64 v67, 0, v67, s13
	s_delay_alu instid0(VALU_DEP_1) | instskip(NEXT) | instid1(VALU_DEP_1)
	v_add_nc_u32_e32 v7, v7, v67
	v_mov_b32_dpp v67, v7 row_shr:4 row_mask:0xf bank_mask:0xf
	s_delay_alu instid0(VALU_DEP_1) | instskip(NEXT) | instid1(VALU_DEP_1)
	v_cndmask_b32_e64 v67, 0, v67, s14
	v_add_nc_u32_e32 v7, v7, v67
	s_delay_alu instid0(VALU_DEP_1) | instskip(NEXT) | instid1(VALU_DEP_1)
	v_mov_b32_dpp v67, v7 row_shr:8 row_mask:0xf bank_mask:0xf
	v_cndmask_b32_e64 v67, 0, v67, s15
	s_delay_alu instid0(VALU_DEP_1) | instskip(SKIP_3) | instid1(VALU_DEP_1)
	v_add_nc_u32_e32 v7, v7, v67
	ds_swizzle_b32 v67, v7 offset:swizzle(BROADCAST,32,15)
	s_wait_dscnt 0x0
	v_cndmask_b32_e64 v67, v67, 0, s16
	v_add_nc_u32_e32 v7, v7, v67
	s_and_saveexec_b32 s18, s17
; %bb.52:                               ;   in Loop: Header=BB190_35 Depth=1
	ds_store_b32 v116, v7
; %bb.53:                               ;   in Loop: Header=BB190_35 Depth=1
	s_wait_alu 0xfffe
	s_or_b32 exec_lo, exec_lo, s18
	s_wait_loadcnt_dscnt 0x0
	s_barrier_signal -1
	s_barrier_wait -1
	global_inv scope:SCOPE_SE
	s_and_saveexec_b32 s18, s1
	s_cbranch_execz .LBB190_55
; %bb.54:                               ;   in Loop: Header=BB190_35 Depth=1
	ds_load_b32 v67, v134
	s_wait_dscnt 0x0
	v_mov_b32_dpp v135, v67 row_shr:1 row_mask:0xf bank_mask:0xf
	s_delay_alu instid0(VALU_DEP_1) | instskip(NEXT) | instid1(VALU_DEP_1)
	v_cndmask_b32_e64 v135, v135, 0, s11
	v_add_nc_u32_e32 v67, v135, v67
	s_delay_alu instid0(VALU_DEP_1) | instskip(NEXT) | instid1(VALU_DEP_1)
	v_mov_b32_dpp v135, v67 row_shr:2 row_mask:0xf bank_mask:0xf
	v_cndmask_b32_e64 v135, 0, v135, s13
	s_delay_alu instid0(VALU_DEP_1) | instskip(NEXT) | instid1(VALU_DEP_1)
	v_add_nc_u32_e32 v67, v67, v135
	v_mov_b32_dpp v135, v67 row_shr:4 row_mask:0xf bank_mask:0xf
	s_delay_alu instid0(VALU_DEP_1) | instskip(NEXT) | instid1(VALU_DEP_1)
	v_cndmask_b32_e64 v135, 0, v135, s14
	v_add_nc_u32_e32 v67, v67, v135
	s_delay_alu instid0(VALU_DEP_1) | instskip(NEXT) | instid1(VALU_DEP_1)
	v_mov_b32_dpp v135, v67 row_shr:8 row_mask:0xf bank_mask:0xf
	v_cndmask_b32_e64 v135, 0, v135, s15
	s_delay_alu instid0(VALU_DEP_1)
	v_add_nc_u32_e32 v67, v67, v135
	ds_store_b32 v134, v67
.LBB190_55:                             ;   in Loop: Header=BB190_35 Depth=1
	s_wait_alu 0xfffe
	s_or_b32 exec_lo, exec_lo, s18
	v_mov_b32_e32 v67, 0
	s_wait_loadcnt_dscnt 0x0
	s_barrier_signal -1
	s_barrier_wait -1
	global_inv scope:SCOPE_SE
	s_and_saveexec_b32 s18, s9
; %bb.56:                               ;   in Loop: Header=BB190_35 Depth=1
	ds_load_b32 v67, v132
; %bb.57:                               ;   in Loop: Header=BB190_35 Depth=1
	s_wait_alu 0xfffe
	s_or_b32 exec_lo, exec_lo, s18
	s_wait_dscnt 0x0
	v_add_nc_u32_e32 v7, v67, v7
	v_cmp_lt_u32_e32 vcc_lo, 55, v69
	s_mov_b32 s18, -1
	ds_bpermute_b32 v7, v131, v7
	s_and_b32 vcc_lo, exec_lo, vcc_lo
	s_wait_dscnt 0x0
	v_cndmask_b32_e64 v7, v7, v67, s12
	s_delay_alu instid0(VALU_DEP_1) | instskip(NEXT) | instid1(VALU_DEP_1)
	v_cndmask_b32_e64 v7, v7, 0, s10
	v_add_nc_u32_e32 v8, v7, v8
	s_delay_alu instid0(VALU_DEP_1) | instskip(NEXT) | instid1(VALU_DEP_1)
	v_add_nc_u32_e32 v9, v8, v9
	v_add_nc_u32_e32 v10, v9, v10
	s_delay_alu instid0(VALU_DEP_1) | instskip(NEXT) | instid1(VALU_DEP_1)
	v_add_nc_u32_e32 v135, v10, v11
	;; [unrolled: 3-line block ×3, first 2 shown]
	v_add_nc_u32_e32 v138, v137, v6
	ds_store_b128 v115, v[7:10] offset:64
	ds_store_b128 v115, v[135:138] offset:80
	s_wait_loadcnt_dscnt 0x0
	s_barrier_signal -1
	s_barrier_wait -1
	global_inv scope:SCOPE_SE
	ds_load_b32 v4, v13 offset:64
	ds_load_b32 v5, v48 offset:64
	;; [unrolled: 1-line block ×8, first 2 shown]
	s_wait_dscnt 0x7
	v_add_nc_u32_e32 v142, v4, v12
	s_wait_dscnt 0x6
	v_add3_u32 v141, v15, v14, v5
	s_wait_dscnt 0x5
	v_add3_u32 v140, v50, v49, v6
	;; [unrolled: 2-line block ×7, first 2 shown]
                                        ; implicit-def: $vgpr66_vgpr67
                                        ; implicit-def: $vgpr14_vgpr15
                                        ; implicit-def: $vgpr10_vgpr11
                                        ; implicit-def: $vgpr6_vgpr7
                                        ; implicit-def: $vgpr62_vgpr63
                                        ; implicit-def: $vgpr58_vgpr59
                                        ; implicit-def: $vgpr54_vgpr55
                                        ; implicit-def: $vgpr50_vgpr51
	s_wait_alu 0xfffe
	s_cbranch_vccnz .LBB190_34
; %bb.58:                               ;   in Loop: Header=BB190_35 Depth=1
	v_lshlrev_b32_e32 v48, 3, v142
	v_lshlrev_b32_e32 v51, 3, v139
	;; [unrolled: 1-line block ×8, first 2 shown]
	s_wait_loadcnt 0x0
	s_barrier_signal -1
	s_barrier_wait -1
	global_inv scope:SCOPE_SE
	ds_store_b64 v48, v[74:75]
	ds_store_b64 v49, v[104:105]
	;; [unrolled: 1-line block ×8, first 2 shown]
	s_wait_loadcnt_dscnt 0x0
	s_barrier_signal -1
	s_barrier_wait -1
	global_inv scope:SCOPE_SE
	ds_load_2addr_b64 v[4:7], v130 offset1:32
	ds_load_2addr_b64 v[8:11], v130 offset0:64 offset1:96
	ds_load_2addr_b64 v[12:15], v130 offset0:128 offset1:160
	;; [unrolled: 1-line block ×3, first 2 shown]
	s_wait_loadcnt_dscnt 0x0
	s_barrier_signal -1
	s_barrier_wait -1
	global_inv scope:SCOPE_SE
	ds_store_b64 v48, v[96:97]
	ds_store_b64 v49, v[94:95]
	;; [unrolled: 1-line block ×8, first 2 shown]
	s_wait_loadcnt_dscnt 0x0
	s_barrier_signal -1
	s_barrier_wait -1
	global_inv scope:SCOPE_SE
	ds_load_2addr_b64 v[48:51], v130 offset1:32
	ds_load_2addr_b64 v[52:55], v130 offset0:64 offset1:96
	ds_load_2addr_b64 v[56:59], v130 offset0:128 offset1:160
	;; [unrolled: 1-line block ×3, first 2 shown]
	v_add_co_u32 v69, vcc_lo, v69, 8
	s_wait_alu 0xfffd
	v_add_co_ci_u32_e64 v70, null, 0, v70, vcc_lo
	s_add_co_i32 s27, s27, -8
	s_mov_b32 s18, 0
	s_wait_loadcnt_dscnt 0x0
	s_barrier_signal -1
	s_barrier_wait -1
	global_inv scope:SCOPE_SE
	s_branch .LBB190_34
.LBB190_59:
	v_lshlrev_b64_e32 v[1:2], 3, v[68:69]
	v_mov_b32_e32 v70, v69
	v_dual_mov_b32 v4, v69 :: v_dual_mov_b32 v5, v69
	v_dual_mov_b32 v6, v69 :: v_dual_mov_b32 v7, v69
	s_wait_alu 0xfffe
	s_delay_alu instid0(VALU_DEP_4)
	v_add_co_u32 v1, vcc_lo, s24, v1
	s_wait_alu 0xfffd
	v_add_co_ci_u32_e64 v2, null, s25, v2, vcc_lo
	v_dual_mov_b32 v8, v69 :: v_dual_mov_b32 v9, v69
	v_dual_mov_b32 v10, v69 :: v_dual_mov_b32 v13, v69
	global_load_b64 v[11:12], v[1:2], off
	v_dual_mov_b32 v1, v69 :: v_dual_mov_b32 v2, v69
	v_dual_mov_b32 v3, v69 :: v_dual_mov_b32 v14, v69
	s_or_b32 exec_lo, exec_lo, s1
	s_and_saveexec_b32 s1, s3
	s_cbranch_execz .LBB190_25
.LBB190_60:
	v_mul_lo_u32 v39, s28, v32
	v_mov_b32_e32 v40, 0
	s_delay_alu instid0(VALU_DEP_1) | instskip(SKIP_1) | instid1(VALU_DEP_1)
	v_lshlrev_b64_e32 v[39:40], 3, v[39:40]
	s_wait_alu 0xfffe
	v_add_co_u32 v39, vcc_lo, s24, v39
	s_wait_alu 0xfffd
	s_delay_alu instid0(VALU_DEP_2)
	v_add_co_ci_u32_e64 v40, null, s25, v40, vcc_lo
	global_load_b64 v[69:70], v[39:40], off
	s_or_b32 exec_lo, exec_lo, s1
	s_and_saveexec_b32 s1, s4
	s_cbranch_execz .LBB190_26
.LBB190_61:
	v_mul_lo_u32 v1, s28, v33
	v_mov_b32_e32 v2, 0
	s_delay_alu instid0(VALU_DEP_1) | instskip(SKIP_1) | instid1(VALU_DEP_1)
	v_lshlrev_b64_e32 v[1:2], 3, v[1:2]
	s_wait_alu 0xfffe
	v_add_co_u32 v1, vcc_lo, s24, v1
	s_wait_alu 0xfffd
	s_delay_alu instid0(VALU_DEP_2)
	v_add_co_ci_u32_e64 v2, null, s25, v2, vcc_lo
	global_load_b64 v[1:2], v[1:2], off
	s_or_b32 exec_lo, exec_lo, s1
	s_and_saveexec_b32 s1, s5
	s_cbranch_execz .LBB190_27
.LBB190_62:
	v_mul_lo_u32 v3, s28, v34
	v_mov_b32_e32 v4, 0
	s_delay_alu instid0(VALU_DEP_1) | instskip(SKIP_1) | instid1(VALU_DEP_1)
	v_lshlrev_b64_e32 v[3:4], 3, v[3:4]
	s_wait_alu 0xfffe
	v_add_co_u32 v3, vcc_lo, s24, v3
	s_wait_alu 0xfffd
	s_delay_alu instid0(VALU_DEP_2)
	v_add_co_ci_u32_e64 v4, null, s25, v4, vcc_lo
	global_load_b64 v[3:4], v[3:4], off
	s_or_b32 exec_lo, exec_lo, s1
	s_and_saveexec_b32 s1, s6
	s_cbranch_execz .LBB190_28
.LBB190_63:
	v_mul_lo_u32 v5, s28, v35
	v_mov_b32_e32 v6, 0
	s_delay_alu instid0(VALU_DEP_1) | instskip(SKIP_1) | instid1(VALU_DEP_1)
	v_lshlrev_b64_e32 v[5:6], 3, v[5:6]
	s_wait_alu 0xfffe
	v_add_co_u32 v5, vcc_lo, s24, v5
	s_wait_alu 0xfffd
	s_delay_alu instid0(VALU_DEP_2)
	v_add_co_ci_u32_e64 v6, null, s25, v6, vcc_lo
	global_load_b64 v[5:6], v[5:6], off
	s_or_b32 exec_lo, exec_lo, s1
	s_and_saveexec_b32 s1, s7
	s_cbranch_execz .LBB190_29
.LBB190_64:
	v_mul_lo_u32 v7, s28, v36
	v_mov_b32_e32 v8, 0
	s_delay_alu instid0(VALU_DEP_1) | instskip(SKIP_1) | instid1(VALU_DEP_1)
	v_lshlrev_b64_e32 v[7:8], 3, v[7:8]
	s_wait_alu 0xfffe
	v_add_co_u32 v7, vcc_lo, s24, v7
	s_wait_alu 0xfffd
	s_delay_alu instid0(VALU_DEP_2)
	v_add_co_ci_u32_e64 v8, null, s25, v8, vcc_lo
	global_load_b64 v[7:8], v[7:8], off
	s_or_b32 exec_lo, exec_lo, s1
	s_and_saveexec_b32 s1, s8
	s_cbranch_execz .LBB190_30
.LBB190_65:
	v_mul_lo_u32 v9, s28, v37
	v_mov_b32_e32 v10, 0
	s_delay_alu instid0(VALU_DEP_1) | instskip(SKIP_1) | instid1(VALU_DEP_1)
	v_lshlrev_b64_e32 v[9:10], 3, v[9:10]
	s_wait_alu 0xfffe
	v_add_co_u32 v9, vcc_lo, s24, v9
	s_wait_alu 0xfffd
	s_delay_alu instid0(VALU_DEP_2)
	v_add_co_ci_u32_e64 v10, null, s25, v10, vcc_lo
	global_load_b64 v[9:10], v[9:10], off
	s_or_b32 exec_lo, exec_lo, s1
	s_xor_b32 s1, s22, -1
	s_and_saveexec_b32 s9, s0
	s_cbranch_execnz .LBB190_31
	s_branch .LBB190_32
.LBB190_66:
                                        ; implicit-def: $vgpr58_vgpr59
                                        ; implicit-def: $vgpr62_vgpr63
                                        ; implicit-def: $vgpr50_vgpr51
                                        ; implicit-def: $vgpr54_vgpr55
                                        ; implicit-def: $vgpr0_vgpr1_vgpr2_vgpr3_vgpr4_vgpr5_vgpr6_vgpr7_vgpr8_vgpr9_vgpr10_vgpr11_vgpr12_vgpr13_vgpr14_vgpr15
	s_cbranch_execnz .LBB190_68
	s_branch .LBB190_95
.LBB190_67:
	v_lshlrev_b32_e32 v48, 3, v142
	v_lshlrev_b32_e32 v51, 3, v139
	v_lshlrev_b32_e32 v56, 3, v72
	v_lshlrev_b32_e32 v49, 3, v141
	v_lshlrev_b32_e32 v52, 3, v138
	v_lshlrev_b32_e32 v50, 3, v140
	v_lshlrev_b32_e32 v53, 3, v137
	v_lshlrev_b32_e32 v54, 3, v136
	v_lshlrev_b32_e32 v55, 3, v135
	s_wait_loadcnt 0x0
	s_barrier_signal -1
	s_barrier_wait -1
	global_inv scope:SCOPE_SE
	ds_store_b64 v48, v[74:75]
	ds_store_b64 v49, v[104:105]
	;; [unrolled: 1-line block ×8, first 2 shown]
	s_wait_loadcnt_dscnt 0x0
	s_barrier_signal -1
	s_barrier_wait -1
	global_inv scope:SCOPE_SE
	ds_load_b128 v[0:3], v56
	ds_load_b128 v[4:7], v56 offset:16
	ds_load_b128 v[8:11], v56 offset:32
	;; [unrolled: 1-line block ×3, first 2 shown]
	s_wait_loadcnt_dscnt 0x0
	s_barrier_signal -1
	s_barrier_wait -1
	global_inv scope:SCOPE_SE
	ds_store_b64 v48, v[96:97]
	ds_store_b64 v49, v[94:95]
	;; [unrolled: 1-line block ×8, first 2 shown]
	s_wait_loadcnt_dscnt 0x0
	s_barrier_signal -1
	s_barrier_wait -1
	global_inv scope:SCOPE_SE
	ds_load_b128 v[52:55], v56
	ds_load_b128 v[48:51], v56 offset:16
	v_cmp_lt_i64_e32 vcc_lo, -1, v[0:1]
	v_ashrrev_i32_e32 v66, 31, v3
	v_ashrrev_i32_e32 v57, 31, v1
	s_wait_alu 0xfffd
	v_cndmask_b32_e64 v64, 0x80000000, -1, vcc_lo
	v_cmp_lt_i64_e32 vcc_lo, -1, v[2:3]
	v_not_b32_e32 v66, v66
	v_not_b32_e32 v65, v57
	ds_load_b128 v[60:63], v56 offset:32
	ds_load_b128 v[56:59], v56 offset:48
	v_xor_b32_e32 v1, v64, v1
	v_ashrrev_i32_e32 v64, 31, v5
	s_wait_alu 0xfffd
	v_cndmask_b32_e64 v67, 0x80000000, -1, vcc_lo
	v_cmp_lt_i64_e32 vcc_lo, -1, v[4:5]
	v_xor_b32_e32 v2, v66, v2
	v_xor_b32_e32 v0, v65, v0
	v_ashrrev_i32_e32 v65, 31, v7
	v_xor_b32_e32 v3, v67, v3
	v_not_b32_e32 v64, v64
	s_wait_alu 0xfffd
	v_cndmask_b32_e64 v66, 0x80000000, -1, vcc_lo
	v_cmp_lt_i64_e32 vcc_lo, -1, v[6:7]
	v_not_b32_e32 v65, v65
	v_xor_b32_e32 v4, v64, v4
	v_ashrrev_i32_e32 v64, 31, v9
	v_xor_b32_e32 v5, v66, v5
	s_wait_alu 0xfffd
	v_cndmask_b32_e64 v67, 0x80000000, -1, vcc_lo
	v_cmp_lt_i64_e32 vcc_lo, -1, v[8:9]
	v_xor_b32_e32 v6, v65, v6
	v_not_b32_e32 v64, v64
	v_ashrrev_i32_e32 v66, 31, v11
	v_xor_b32_e32 v7, v67, v7
	s_wait_alu 0xfffd
	v_cndmask_b32_e64 v65, 0x80000000, -1, vcc_lo
	v_cmp_lt_i64_e32 vcc_lo, -1, v[10:11]
	v_xor_b32_e32 v8, v64, v8
	v_not_b32_e32 v64, v66
	v_ashrrev_i32_e32 v66, 31, v15
	v_xor_b32_e32 v9, v65, v9
	v_ashrrev_i32_e32 v65, 31, v13
	s_wait_alu 0xfffd
	v_cndmask_b32_e64 v67, 0x80000000, -1, vcc_lo
	v_cmp_lt_i64_e32 vcc_lo, -1, v[12:13]
	v_not_b32_e32 v66, v66
	v_xor_b32_e32 v10, v64, v10
	v_not_b32_e32 v65, v65
	v_xor_b32_e32 v11, v67, v11
	s_wait_alu 0xfffd
	v_cndmask_b32_e64 v67, 0x80000000, -1, vcc_lo
	v_cmp_lt_i64_e32 vcc_lo, -1, v[14:15]
	v_xor_b32_e32 v12, v65, v12
	v_xor_b32_e32 v14, v66, v14
	s_delay_alu instid0(VALU_DEP_4) | instskip(SKIP_2) | instid1(VALU_DEP_1)
	v_xor_b32_e32 v13, v67, v13
	s_wait_alu 0xfffd
	v_cndmask_b32_e64 v69, 0x80000000, -1, vcc_lo
	v_xor_b32_e32 v15, v69, v15
	s_branch .LBB190_95
.LBB190_68:
	v_cmp_gt_i64_e32 vcc_lo, 0, v[28:29]
	v_not_b32_e32 v12, v124
	v_not_b32_e32 v8, v126
	;; [unrolled: 1-line block ×4, first 2 shown]
	v_or_b32_e32 v14, v118, v119
	s_wait_alu 0xfffd
	v_cndmask_b32_e64 v0, 0x7fffffff, 0, vcc_lo
	v_cmp_gt_i64_e32 vcc_lo, 0, v[30:31]
	s_getpc_b64 s[10:11]
	s_wait_alu 0xfffe
	s_sext_i32_i16 s11, s11
	s_add_co_u32 s10, s10, _ZN7rocprim17ROCPRIM_400000_NS16block_radix_sortIdLj512ELj8ElLj1ELj1ELj0ELNS0_26block_radix_rank_algorithmE1ELNS0_18block_padding_hintE2ELNS0_4arch9wavefront6targetE0EE19radix_bits_per_passE@rel32@lo+12
	s_wait_alu 0xfffe
	s_add_co_ci_u32 s11, s11, _ZN7rocprim17ROCPRIM_400000_NS16block_radix_sortIdLj512ELj8ElLj1ELj1ELj0ELNS0_26block_radix_rank_algorithmE1ELNS0_18block_padding_hintE2ELNS0_4arch9wavefront6targetE0EE19radix_bits_per_passE@rel32@hi+24
	v_cmp_gt_u32_e64 s15, 16, v73
	s_load_b32 s19, s[10:11], 0x0
	v_xor_b32_e32 v1, v0, v29
	v_xor_b32_e32 v0, v2, v28
	v_cndmask_b32_e64 v3, 0x7fffffff, 0, vcc_lo
	v_cmp_gt_i64_e32 vcc_lo, 0, v[24:25]
	v_xor_b32_e32 v2, v4, v30
	v_not_b32_e32 v4, v127
	v_cmp_lt_u32_e64 s16, 31, v73
	v_xor_b32_e32 v3, v3, v31
	v_cmp_eq_u32_e64 s17, 0, v73
	s_wait_alu 0xfffd
	v_cndmask_b32_e64 v5, 0x7fffffff, 0, vcc_lo
	v_cmp_gt_i64_e32 vcc_lo, 0, v[26:27]
	v_xor_b32_e32 v4, v4, v24
	v_add_nc_u32_e32 v77, v115, v117
	s_delay_alu instid0(VALU_DEP_4) | instskip(SKIP_3) | instid1(VALU_DEP_2)
	v_xor_b32_e32 v5, v5, v25
	s_wait_alu 0xfffd
	v_cndmask_b32_e64 v6, 0x7fffffff, 0, vcc_lo
	v_cmp_gt_i64_e32 vcc_lo, 0, v[20:21]
	v_xor_b32_e32 v7, v6, v27
	v_xor_b32_e32 v6, v8, v26
	s_wait_alu 0xfffd
	v_cndmask_b32_e64 v9, 0x7fffffff, 0, vcc_lo
	v_cmp_gt_i64_e32 vcc_lo, 0, v[22:23]
	v_not_b32_e32 v8, v125
	s_delay_alu instid0(VALU_DEP_3)
	v_xor_b32_e32 v9, v9, v21
	s_wait_alu 0xfffd
	v_cndmask_b32_e64 v10, 0x7fffffff, 0, vcc_lo
	v_cmp_gt_i64_e32 vcc_lo, 0, v[16:17]
	v_xor_b32_e32 v8, v8, v20
	v_lshlrev_b32_e32 v20, 6, v14
	ds_store_b128 v20, v[0:3]
	ds_store_b128 v20, v[4:7] offset:16
	s_wait_alu 0xfffd
	v_cndmask_b32_e64 v13, 0x7fffffff, 0, vcc_lo
	v_xor_b32_e32 v11, v10, v23
	v_xor_b32_e32 v10, v12, v22
	v_not_b32_e32 v12, v123
	v_cmp_gt_i64_e32 vcc_lo, 0, v[18:19]
	v_xor_b32_e32 v13, v13, v17
	v_not_b32_e32 v17, v122
	v_and_b32_e32 v3, 16, v118
	v_xor_b32_e32 v12, v12, v16
	v_and_or_b32 v16, 0x1f00, v72, v118
	s_wait_alu 0xfffd
	v_cndmask_b32_e64 v15, 0x7fffffff, 0, vcc_lo
	v_xor_b32_e32 v14, v17, v18
	s_delay_alu instid0(VALU_DEP_3) | instskip(NEXT) | instid1(VALU_DEP_3)
	v_lshlrev_b32_e32 v74, 3, v16
	v_xor_b32_e32 v15, v15, v19
	ds_store_b128 v20, v[8:11] offset:32
	ds_store_b128 v20, v[12:15] offset:48
	; wave barrier
	ds_load_2addr_b64 v[4:7], v74 offset1:32
	ds_load_2addr_b64 v[8:11], v74 offset0:64 offset1:96
	ds_load_2addr_b64 v[12:15], v74 offset0:128 offset1:160
	s_wait_dscnt 0x9
	ds_load_2addr_b64 v[48:51], v74 offset0:192 offset1:224
	; wave barrier
	ds_store_b128 v20, v[44:47]
	ds_store_b128 v20, v[40:43] offset:16
	ds_store_b128 v20, v[36:39] offset:32
	;; [unrolled: 1-line block ×3, first 2 shown]
	; wave barrier
	ds_load_2addr_b64 v[16:19], v74 offset1:32
	ds_load_2addr_b64 v[20:23], v74 offset0:64 offset1:96
	ds_load_2addr_b64 v[24:27], v74 offset0:128 offset1:160
	;; [unrolled: 1-line block ×3, first 2 shown]
	s_wait_loadcnt_dscnt 0x0
	s_barrier_signal -1
	s_barrier_wait -1
	global_inv scope:SCOPE_SE
	s_load_b32 s1, s[20:21], 0xc
	v_sub_co_u32 v32, s10, v118, 1
	s_mov_b32 s20, 0
	s_delay_alu instid0(SALU_CYCLE_1) | instskip(SKIP_4) | instid1(VALU_DEP_1)
	s_mov_b32 s21, s20
	v_cmp_gt_i32_e32 vcc_lo, 0, v32
	s_mov_b32 s22, s20
	s_mov_b32 s23, s20
	v_and_b32_e32 v2, 15, v118
	v_cmp_lt_u32_e64 s11, 3, v2
	v_cmp_lt_u32_e64 s12, 7, v2
	s_wait_kmcnt 0x0
	s_lshr_b32 s9, s1, 16
	s_and_b32 s1, s1, 0xffff
	s_wait_alu 0xfffe
	v_mad_u32_u24 v0, v121, s9, v120
	v_cmp_lt_u32_e64 s9, 1, v2
	s_delay_alu instid0(VALU_DEP_2)
	v_mad_co_u64_u32 v[0:1], null, v0, s1, v[73:74]
	v_min_u32_e32 v1, 0x1e0, v119
	v_cmp_eq_u32_e64 s1, 0, v2
	s_wait_alu 0xfffd
	v_cndmask_b32_e32 v2, v32, v118, vcc_lo
	v_mov_b32_e32 v32, 0
	v_cmp_eq_u32_e64 s13, 0, v3
	v_or_b32_e32 v1, 31, v1
	v_lshrrev_b32_e32 v0, 3, v0
	v_mov_b32_e32 v33, 0
	s_delay_alu instid0(VALU_DEP_3)
	v_cmp_eq_u32_e64 s14, v73, v1
	v_add_nc_u32_e32 v73, -4, v116
	v_lshlrev_b32_e32 v75, 2, v2
	v_and_b32_e32 v76, 0x1ffffffc, v0
	v_dual_mov_b32 v0, s20 :: v_dual_mov_b32 v1, s21
	v_dual_mov_b32 v2, s22 :: v_dual_mov_b32 v3, s23
	s_mov_b32 s22, 64
	s_brev_b32 s21, 1
	s_branch .LBB190_70
.LBB190_69:                             ;   in Loop: Header=BB190_70 Depth=1
	s_wait_alu 0xfffe
	s_and_not1_b32 vcc_lo, exec_lo, s18
	s_wait_alu 0xfffe
	s_cbranch_vccz .LBB190_94
.LBB190_70:                             ; =>This Inner Loop Header: Depth=1
	v_dual_mov_b32 v35, v5 :: v_dual_mov_b32 v34, v4
	s_wait_alu 0xfffe
	s_min_u32 s18, s19, s22
	v_dual_mov_b32 v70, v7 :: v_dual_mov_b32 v59, v19
	s_wait_alu 0xfffe
	s_lshl_b32 s18, -1, s18
	v_cmp_ne_u64_e32 vcc_lo, s[20:21], v[34:35]
	s_wait_alu 0xfffe
	s_not_b32 s23, s18
	v_mov_b32_e32 v58, v18
	ds_store_b128 v115, v[0:3] offset:64
	ds_store_b128 v115, v[0:3] offset:80
	s_wait_loadcnt_dscnt 0x0
	s_wait_alu 0xfffd
	v_dual_mov_b32 v36, v50 :: v_dual_cndmask_b32 v5, 0x7fffffff, v35
	v_dual_cndmask_b32 v4, -1, v34 :: v_dual_mov_b32 v37, v51
	s_barrier_signal -1
	s_barrier_wait -1
	global_inv scope:SCOPE_SE
	v_lshrrev_b64 v[4:5], v32, v[4:5]
	; wave barrier
	v_dual_mov_b32 v38, v48 :: v_dual_mov_b32 v39, v49
	v_mov_b32_e32 v63, v13
	s_wait_alu 0xfffe
	s_delay_alu instid0(VALU_DEP_3) | instskip(SKIP_2) | instid1(VALU_DEP_3)
	v_and_b32_e32 v5, s23, v4
	v_dual_mov_b32 v41, v15 :: v_dual_mov_b32 v40, v14
	v_dual_mov_b32 v65, v11 :: v_dual_mov_b32 v62, v12
	v_lshlrev_b32_e32 v15, 29, v5
	v_and_b32_e32 v4, 1, v5
	v_lshlrev_b32_e32 v14, 30, v5
	v_lshlrev_b32_e32 v42, 28, v5
	v_dual_mov_b32 v67, v9 :: v_dual_lshlrev_b32 v44, 27, v5
	s_delay_alu instid0(VALU_DEP_4)
	v_add_co_u32 v4, s18, v4, -1
	s_wait_alu 0xf1ff
	v_cndmask_b32_e64 v43, 0, 1, s18
	v_not_b32_e32 v47, v14
	v_cmp_gt_i32_e64 s18, 0, v14
	v_not_b32_e32 v14, v15
	v_dual_mov_b32 v64, v10 :: v_dual_lshlrev_b32 v45, 26, v5
	v_cmp_ne_u32_e32 vcc_lo, 0, v43
	v_ashrrev_i32_e32 v47, 31, v47
	s_delay_alu instid0(VALU_DEP_4)
	v_ashrrev_i32_e32 v14, 31, v14
	v_dual_mov_b32 v69, v6 :: v_dual_lshlrev_b32 v46, 25, v5
	s_wait_alu 0xfffd
	v_xor_b32_e32 v4, vcc_lo, v4
	v_cmp_gt_i32_e32 vcc_lo, 0, v15
	v_not_b32_e32 v15, v42
	s_wait_alu 0xf1ff
	v_xor_b32_e32 v47, s18, v47
	v_cmp_gt_i32_e64 s18, 0, v42
	v_and_b32_e32 v4, exec_lo, v4
	v_not_b32_e32 v42, v44
	v_ashrrev_i32_e32 v15, 31, v15
	s_wait_alu 0xfffd
	v_xor_b32_e32 v14, vcc_lo, v14
	v_cmp_gt_i32_e32 vcc_lo, 0, v44
	v_and_b32_e32 v4, v4, v47
	v_not_b32_e32 v44, v45
	v_ashrrev_i32_e32 v42, 31, v42
	s_wait_alu 0xf1ff
	v_xor_b32_e32 v15, s18, v15
	v_dual_mov_b32 v66, v8 :: v_dual_lshlrev_b32 v43, 24, v5
	v_and_b32_e32 v4, v4, v14
	v_cmp_gt_i32_e64 s18, 0, v45
	v_not_b32_e32 v14, v46
	v_ashrrev_i32_e32 v44, 31, v44
	s_wait_alu 0xfffd
	v_xor_b32_e32 v42, vcc_lo, v42
	v_cmp_gt_i32_e32 vcc_lo, 0, v46
	v_dual_mov_b32 v47, v27 :: v_dual_and_b32 v4, v4, v15
	v_mov_b32_e32 v53, v25
	v_not_b32_e32 v15, v43
	v_ashrrev_i32_e32 v14, 31, v14
	s_wait_alu 0xf1ff
	v_xor_b32_e32 v44, s18, v44
	v_dual_mov_b32 v55, v23 :: v_dual_and_b32 v4, v4, v42
	v_cmp_gt_i32_e64 s18, 0, v43
	v_ashrrev_i32_e32 v12, 31, v15
	s_wait_alu 0xfffd
	v_xor_b32_e32 v13, vcc_lo, v14
	v_dual_mov_b32 v57, v21 :: v_dual_and_b32 v4, v4, v44
	v_mov_b32_e32 v61, v17
	s_wait_alu 0xf1ff
	v_xor_b32_e32 v6, s18, v12
	s_delay_alu instid0(VALU_DEP_3) | instskip(SKIP_2) | instid1(VALU_DEP_3)
	v_dual_mov_b32 v43, v31 :: v_dual_and_b32 v4, v4, v13
	v_dual_mov_b32 v42, v30 :: v_dual_lshlrev_b32 v5, 6, v5
	v_dual_mov_b32 v45, v29 :: v_dual_mov_b32 v44, v28
	v_and_b32_e32 v4, v4, v6
	s_delay_alu instid0(VALU_DEP_3) | instskip(SKIP_2) | instid1(VALU_DEP_4)
	v_dual_mov_b32 v46, v26 :: v_dual_add_nc_u32 v13, v76, v5
	v_mov_b32_e32 v52, v24
	v_mov_b32_e32 v54, v22
	v_mbcnt_lo_u32_b32 v12, v4, 0
	v_cmp_ne_u32_e64 s18, 0, v4
	v_mov_b32_e32 v56, v20
	v_mov_b32_e32 v60, v16
	s_delay_alu instid0(VALU_DEP_4)
	v_cmp_eq_u32_e32 vcc_lo, 0, v12
	s_and_b32 s27, s18, vcc_lo
	s_wait_alu 0xfffe
	s_and_saveexec_b32 s18, s27
; %bb.71:                               ;   in Loop: Header=BB190_70 Depth=1
	v_bcnt_u32_b32 v4, v4, 0
	ds_store_b32 v13, v4 offset:64
; %bb.72:                               ;   in Loop: Header=BB190_70 Depth=1
	s_wait_alu 0xfffe
	s_or_b32 exec_lo, exec_lo, s18
	v_cmp_ne_u64_e32 vcc_lo, s[20:21], v[69:70]
	; wave barrier
	s_wait_alu 0xfffd
	v_cndmask_b32_e32 v5, 0x7fffffff, v70, vcc_lo
	v_cndmask_b32_e32 v4, -1, v69, vcc_lo
	s_delay_alu instid0(VALU_DEP_1) | instskip(NEXT) | instid1(VALU_DEP_1)
	v_lshrrev_b64 v[4:5], v32, v[4:5]
	v_and_b32_e32 v4, s23, v4
	s_delay_alu instid0(VALU_DEP_1)
	v_and_b32_e32 v5, 1, v4
	v_lshlrev_b32_e32 v6, 30, v4
	v_lshlrev_b32_e32 v7, 29, v4
	;; [unrolled: 1-line block ×4, first 2 shown]
	v_add_co_u32 v5, s18, v5, -1
	s_wait_alu 0xf1ff
	v_cndmask_b32_e64 v9, 0, 1, s18
	v_not_b32_e32 v15, v6
	v_cmp_gt_i32_e64 s18, 0, v6
	v_not_b32_e32 v6, v7
	v_lshlrev_b32_e32 v11, 26, v4
	v_cmp_ne_u32_e32 vcc_lo, 0, v9
	v_ashrrev_i32_e32 v15, 31, v15
	v_lshlrev_b32_e32 v14, 25, v4
	v_ashrrev_i32_e32 v6, 31, v6
	v_lshlrev_b32_e32 v9, 24, v4
	s_wait_alu 0xfffd
	v_xor_b32_e32 v5, vcc_lo, v5
	v_cmp_gt_i32_e32 vcc_lo, 0, v7
	v_not_b32_e32 v7, v8
	s_wait_alu 0xf1ff
	v_xor_b32_e32 v15, s18, v15
	v_cmp_gt_i32_e64 s18, 0, v8
	v_and_b32_e32 v5, exec_lo, v5
	v_not_b32_e32 v8, v10
	v_ashrrev_i32_e32 v7, 31, v7
	s_wait_alu 0xfffd
	v_xor_b32_e32 v6, vcc_lo, v6
	v_cmp_gt_i32_e32 vcc_lo, 0, v10
	v_and_b32_e32 v5, v5, v15
	v_not_b32_e32 v10, v11
	v_ashrrev_i32_e32 v8, 31, v8
	s_wait_alu 0xf1ff
	v_xor_b32_e32 v7, s18, v7
	v_cmp_gt_i32_e64 s18, 0, v11
	v_and_b32_e32 v5, v5, v6
	v_not_b32_e32 v6, v14
	v_ashrrev_i32_e32 v10, 31, v10
	s_wait_alu 0xfffd
	v_xor_b32_e32 v8, vcc_lo, v8
	v_cmp_gt_i32_e32 vcc_lo, 0, v14
	v_and_b32_e32 v5, v5, v7
	v_not_b32_e32 v7, v9
	v_ashrrev_i32_e32 v6, 31, v6
	s_wait_alu 0xf1ff
	v_xor_b32_e32 v10, s18, v10
	v_lshlrev_b32_e32 v4, 6, v4
	v_and_b32_e32 v5, v5, v8
	v_cmp_gt_i32_e64 s18, 0, v9
	v_ashrrev_i32_e32 v7, 31, v7
	s_wait_alu 0xfffd
	v_xor_b32_e32 v6, vcc_lo, v6
	v_add_nc_u32_e32 v16, v76, v4
	v_and_b32_e32 v5, v5, v10
	s_wait_alu 0xf1ff
	v_xor_b32_e32 v4, s18, v7
	ds_load_b32 v14, v16 offset:64
	v_and_b32_e32 v5, v5, v6
	; wave barrier
	s_delay_alu instid0(VALU_DEP_1) | instskip(NEXT) | instid1(VALU_DEP_1)
	v_and_b32_e32 v4, v5, v4
	v_mbcnt_lo_u32_b32 v15, v4, 0
	v_cmp_ne_u32_e64 s18, 0, v4
	s_delay_alu instid0(VALU_DEP_2)
	v_cmp_eq_u32_e32 vcc_lo, 0, v15
	s_and_b32 s27, s18, vcc_lo
	s_wait_alu 0xfffe
	s_and_saveexec_b32 s18, s27
	s_cbranch_execz .LBB190_74
; %bb.73:                               ;   in Loop: Header=BB190_70 Depth=1
	s_wait_dscnt 0x0
	v_bcnt_u32_b32 v4, v4, v14
	ds_store_b32 v16, v4 offset:64
.LBB190_74:                             ;   in Loop: Header=BB190_70 Depth=1
	s_wait_alu 0xfffe
	s_or_b32 exec_lo, exec_lo, s18
	v_cmp_ne_u64_e32 vcc_lo, s[20:21], v[66:67]
	; wave barrier
	s_wait_alu 0xfffd
	v_cndmask_b32_e32 v5, 0x7fffffff, v67, vcc_lo
	v_cndmask_b32_e32 v4, -1, v66, vcc_lo
	s_delay_alu instid0(VALU_DEP_1) | instskip(NEXT) | instid1(VALU_DEP_1)
	v_lshrrev_b64 v[4:5], v32, v[4:5]
	v_and_b32_e32 v4, s23, v4
	s_delay_alu instid0(VALU_DEP_1)
	v_and_b32_e32 v5, 1, v4
	v_lshlrev_b32_e32 v6, 30, v4
	v_lshlrev_b32_e32 v7, 29, v4
	;; [unrolled: 1-line block ×4, first 2 shown]
	v_add_co_u32 v5, s18, v5, -1
	s_wait_alu 0xf1ff
	v_cndmask_b32_e64 v9, 0, 1, s18
	v_not_b32_e32 v18, v6
	v_cmp_gt_i32_e64 s18, 0, v6
	v_not_b32_e32 v6, v7
	v_lshlrev_b32_e32 v11, 26, v4
	v_cmp_ne_u32_e32 vcc_lo, 0, v9
	v_ashrrev_i32_e32 v18, 31, v18
	v_lshlrev_b32_e32 v17, 25, v4
	v_ashrrev_i32_e32 v6, 31, v6
	v_lshlrev_b32_e32 v9, 24, v4
	s_wait_alu 0xfffd
	v_xor_b32_e32 v5, vcc_lo, v5
	v_cmp_gt_i32_e32 vcc_lo, 0, v7
	v_not_b32_e32 v7, v8
	s_wait_alu 0xf1ff
	v_xor_b32_e32 v18, s18, v18
	v_cmp_gt_i32_e64 s18, 0, v8
	v_and_b32_e32 v5, exec_lo, v5
	v_not_b32_e32 v8, v10
	v_ashrrev_i32_e32 v7, 31, v7
	s_wait_alu 0xfffd
	v_xor_b32_e32 v6, vcc_lo, v6
	v_cmp_gt_i32_e32 vcc_lo, 0, v10
	v_and_b32_e32 v5, v5, v18
	v_not_b32_e32 v10, v11
	v_ashrrev_i32_e32 v8, 31, v8
	s_wait_alu 0xf1ff
	v_xor_b32_e32 v7, s18, v7
	v_cmp_gt_i32_e64 s18, 0, v11
	v_and_b32_e32 v5, v5, v6
	v_not_b32_e32 v6, v17
	v_ashrrev_i32_e32 v10, 31, v10
	s_wait_alu 0xfffd
	v_xor_b32_e32 v8, vcc_lo, v8
	v_cmp_gt_i32_e32 vcc_lo, 0, v17
	v_and_b32_e32 v5, v5, v7
	v_not_b32_e32 v7, v9
	v_ashrrev_i32_e32 v6, 31, v6
	s_wait_alu 0xf1ff
	v_xor_b32_e32 v10, s18, v10
	v_lshlrev_b32_e32 v4, 6, v4
	v_and_b32_e32 v5, v5, v8
	v_cmp_gt_i32_e64 s18, 0, v9
	v_ashrrev_i32_e32 v7, 31, v7
	s_wait_alu 0xfffd
	v_xor_b32_e32 v6, vcc_lo, v6
	v_add_nc_u32_e32 v19, v76, v4
	v_and_b32_e32 v5, v5, v10
	s_wait_alu 0xf1ff
	v_xor_b32_e32 v4, s18, v7
	ds_load_b32 v17, v19 offset:64
	v_and_b32_e32 v5, v5, v6
	; wave barrier
	s_delay_alu instid0(VALU_DEP_1) | instskip(NEXT) | instid1(VALU_DEP_1)
	v_and_b32_e32 v4, v5, v4
	v_mbcnt_lo_u32_b32 v18, v4, 0
	v_cmp_ne_u32_e64 s18, 0, v4
	s_delay_alu instid0(VALU_DEP_2)
	v_cmp_eq_u32_e32 vcc_lo, 0, v18
	s_and_b32 s27, s18, vcc_lo
	s_wait_alu 0xfffe
	s_and_saveexec_b32 s18, s27
	s_cbranch_execz .LBB190_76
; %bb.75:                               ;   in Loop: Header=BB190_70 Depth=1
	s_wait_dscnt 0x0
	v_bcnt_u32_b32 v4, v4, v17
	ds_store_b32 v19, v4 offset:64
.LBB190_76:                             ;   in Loop: Header=BB190_70 Depth=1
	s_wait_alu 0xfffe
	s_or_b32 exec_lo, exec_lo, s18
	v_cmp_ne_u64_e32 vcc_lo, s[20:21], v[64:65]
	; wave barrier
	s_wait_alu 0xfffd
	v_cndmask_b32_e32 v5, 0x7fffffff, v65, vcc_lo
	v_cndmask_b32_e32 v4, -1, v64, vcc_lo
	s_delay_alu instid0(VALU_DEP_1) | instskip(NEXT) | instid1(VALU_DEP_1)
	v_lshrrev_b64 v[4:5], v32, v[4:5]
	v_and_b32_e32 v4, s23, v4
	s_delay_alu instid0(VALU_DEP_1)
	v_and_b32_e32 v5, 1, v4
	v_lshlrev_b32_e32 v6, 30, v4
	v_lshlrev_b32_e32 v7, 29, v4
	;; [unrolled: 1-line block ×4, first 2 shown]
	v_add_co_u32 v5, s18, v5, -1
	s_wait_alu 0xf1ff
	v_cndmask_b32_e64 v9, 0, 1, s18
	v_not_b32_e32 v21, v6
	v_cmp_gt_i32_e64 s18, 0, v6
	v_not_b32_e32 v6, v7
	v_lshlrev_b32_e32 v11, 26, v4
	v_cmp_ne_u32_e32 vcc_lo, 0, v9
	v_ashrrev_i32_e32 v21, 31, v21
	v_lshlrev_b32_e32 v20, 25, v4
	v_ashrrev_i32_e32 v6, 31, v6
	v_lshlrev_b32_e32 v9, 24, v4
	s_wait_alu 0xfffd
	v_xor_b32_e32 v5, vcc_lo, v5
	v_cmp_gt_i32_e32 vcc_lo, 0, v7
	v_not_b32_e32 v7, v8
	s_wait_alu 0xf1ff
	v_xor_b32_e32 v21, s18, v21
	v_cmp_gt_i32_e64 s18, 0, v8
	v_and_b32_e32 v5, exec_lo, v5
	v_not_b32_e32 v8, v10
	v_ashrrev_i32_e32 v7, 31, v7
	s_wait_alu 0xfffd
	v_xor_b32_e32 v6, vcc_lo, v6
	v_cmp_gt_i32_e32 vcc_lo, 0, v10
	v_and_b32_e32 v5, v5, v21
	v_not_b32_e32 v10, v11
	v_ashrrev_i32_e32 v8, 31, v8
	s_wait_alu 0xf1ff
	v_xor_b32_e32 v7, s18, v7
	v_cmp_gt_i32_e64 s18, 0, v11
	v_and_b32_e32 v5, v5, v6
	v_not_b32_e32 v6, v20
	v_ashrrev_i32_e32 v10, 31, v10
	s_wait_alu 0xfffd
	v_xor_b32_e32 v8, vcc_lo, v8
	v_cmp_gt_i32_e32 vcc_lo, 0, v20
	v_and_b32_e32 v5, v5, v7
	v_not_b32_e32 v7, v9
	v_ashrrev_i32_e32 v6, 31, v6
	s_wait_alu 0xf1ff
	v_xor_b32_e32 v10, s18, v10
	v_lshlrev_b32_e32 v4, 6, v4
	v_and_b32_e32 v5, v5, v8
	v_cmp_gt_i32_e64 s18, 0, v9
	v_ashrrev_i32_e32 v7, 31, v7
	s_wait_alu 0xfffd
	v_xor_b32_e32 v6, vcc_lo, v6
	v_add_nc_u32_e32 v22, v76, v4
	v_and_b32_e32 v5, v5, v10
	s_wait_alu 0xf1ff
	v_xor_b32_e32 v4, s18, v7
	ds_load_b32 v20, v22 offset:64
	v_and_b32_e32 v5, v5, v6
	; wave barrier
	s_delay_alu instid0(VALU_DEP_1) | instskip(NEXT) | instid1(VALU_DEP_1)
	v_and_b32_e32 v4, v5, v4
	v_mbcnt_lo_u32_b32 v21, v4, 0
	v_cmp_ne_u32_e64 s18, 0, v4
	s_delay_alu instid0(VALU_DEP_2)
	v_cmp_eq_u32_e32 vcc_lo, 0, v21
	s_and_b32 s27, s18, vcc_lo
	s_wait_alu 0xfffe
	s_and_saveexec_b32 s18, s27
	s_cbranch_execz .LBB190_78
; %bb.77:                               ;   in Loop: Header=BB190_70 Depth=1
	s_wait_dscnt 0x0
	v_bcnt_u32_b32 v4, v4, v20
	ds_store_b32 v22, v4 offset:64
.LBB190_78:                             ;   in Loop: Header=BB190_70 Depth=1
	s_wait_alu 0xfffe
	s_or_b32 exec_lo, exec_lo, s18
	v_cmp_ne_u64_e32 vcc_lo, s[20:21], v[62:63]
	; wave barrier
	s_wait_alu 0xfffd
	v_cndmask_b32_e32 v5, 0x7fffffff, v63, vcc_lo
	v_cndmask_b32_e32 v4, -1, v62, vcc_lo
	s_delay_alu instid0(VALU_DEP_1) | instskip(NEXT) | instid1(VALU_DEP_1)
	v_lshrrev_b64 v[4:5], v32, v[4:5]
	v_and_b32_e32 v4, s23, v4
	s_delay_alu instid0(VALU_DEP_1)
	v_and_b32_e32 v5, 1, v4
	v_lshlrev_b32_e32 v6, 30, v4
	v_lshlrev_b32_e32 v7, 29, v4
	;; [unrolled: 1-line block ×4, first 2 shown]
	v_add_co_u32 v5, s18, v5, -1
	s_wait_alu 0xf1ff
	v_cndmask_b32_e64 v9, 0, 1, s18
	v_not_b32_e32 v24, v6
	v_cmp_gt_i32_e64 s18, 0, v6
	v_not_b32_e32 v6, v7
	v_lshlrev_b32_e32 v11, 26, v4
	v_cmp_ne_u32_e32 vcc_lo, 0, v9
	v_ashrrev_i32_e32 v24, 31, v24
	v_lshlrev_b32_e32 v23, 25, v4
	v_ashrrev_i32_e32 v6, 31, v6
	v_lshlrev_b32_e32 v9, 24, v4
	s_wait_alu 0xfffd
	v_xor_b32_e32 v5, vcc_lo, v5
	v_cmp_gt_i32_e32 vcc_lo, 0, v7
	v_not_b32_e32 v7, v8
	s_wait_alu 0xf1ff
	v_xor_b32_e32 v24, s18, v24
	v_cmp_gt_i32_e64 s18, 0, v8
	v_and_b32_e32 v5, exec_lo, v5
	v_not_b32_e32 v8, v10
	v_ashrrev_i32_e32 v7, 31, v7
	s_wait_alu 0xfffd
	v_xor_b32_e32 v6, vcc_lo, v6
	v_cmp_gt_i32_e32 vcc_lo, 0, v10
	v_and_b32_e32 v5, v5, v24
	v_not_b32_e32 v10, v11
	v_ashrrev_i32_e32 v8, 31, v8
	s_wait_alu 0xf1ff
	v_xor_b32_e32 v7, s18, v7
	v_cmp_gt_i32_e64 s18, 0, v11
	v_and_b32_e32 v5, v5, v6
	v_not_b32_e32 v6, v23
	v_ashrrev_i32_e32 v10, 31, v10
	s_wait_alu 0xfffd
	v_xor_b32_e32 v8, vcc_lo, v8
	v_cmp_gt_i32_e32 vcc_lo, 0, v23
	v_and_b32_e32 v5, v5, v7
	v_not_b32_e32 v7, v9
	v_ashrrev_i32_e32 v6, 31, v6
	s_wait_alu 0xf1ff
	v_xor_b32_e32 v10, s18, v10
	v_lshlrev_b32_e32 v4, 6, v4
	v_and_b32_e32 v5, v5, v8
	v_cmp_gt_i32_e64 s18, 0, v9
	v_ashrrev_i32_e32 v7, 31, v7
	s_wait_alu 0xfffd
	v_xor_b32_e32 v6, vcc_lo, v6
	v_add_nc_u32_e32 v25, v76, v4
	v_and_b32_e32 v5, v5, v10
	s_wait_alu 0xf1ff
	v_xor_b32_e32 v4, s18, v7
	ds_load_b32 v23, v25 offset:64
	v_and_b32_e32 v5, v5, v6
	; wave barrier
	s_delay_alu instid0(VALU_DEP_1) | instskip(NEXT) | instid1(VALU_DEP_1)
	v_and_b32_e32 v4, v5, v4
	v_mbcnt_lo_u32_b32 v24, v4, 0
	v_cmp_ne_u32_e64 s18, 0, v4
	s_delay_alu instid0(VALU_DEP_2)
	v_cmp_eq_u32_e32 vcc_lo, 0, v24
	s_and_b32 s27, s18, vcc_lo
	s_wait_alu 0xfffe
	s_and_saveexec_b32 s18, s27
	s_cbranch_execz .LBB190_80
; %bb.79:                               ;   in Loop: Header=BB190_70 Depth=1
	s_wait_dscnt 0x0
	v_bcnt_u32_b32 v4, v4, v23
	ds_store_b32 v25, v4 offset:64
.LBB190_80:                             ;   in Loop: Header=BB190_70 Depth=1
	s_wait_alu 0xfffe
	s_or_b32 exec_lo, exec_lo, s18
	v_cmp_ne_u64_e32 vcc_lo, s[20:21], v[40:41]
	; wave barrier
	s_wait_alu 0xfffd
	v_cndmask_b32_e32 v5, 0x7fffffff, v41, vcc_lo
	v_cndmask_b32_e32 v4, -1, v40, vcc_lo
	s_delay_alu instid0(VALU_DEP_1) | instskip(NEXT) | instid1(VALU_DEP_1)
	v_lshrrev_b64 v[4:5], v32, v[4:5]
	v_and_b32_e32 v4, s23, v4
	s_delay_alu instid0(VALU_DEP_1)
	v_and_b32_e32 v5, 1, v4
	v_lshlrev_b32_e32 v6, 30, v4
	v_lshlrev_b32_e32 v7, 29, v4
	v_lshlrev_b32_e32 v8, 28, v4
	v_lshlrev_b32_e32 v10, 27, v4
	v_add_co_u32 v5, s18, v5, -1
	s_wait_alu 0xf1ff
	v_cndmask_b32_e64 v9, 0, 1, s18
	v_not_b32_e32 v27, v6
	v_cmp_gt_i32_e64 s18, 0, v6
	v_not_b32_e32 v6, v7
	v_lshlrev_b32_e32 v11, 26, v4
	v_cmp_ne_u32_e32 vcc_lo, 0, v9
	v_ashrrev_i32_e32 v27, 31, v27
	v_lshlrev_b32_e32 v26, 25, v4
	v_ashrrev_i32_e32 v6, 31, v6
	v_lshlrev_b32_e32 v9, 24, v4
	s_wait_alu 0xfffd
	v_xor_b32_e32 v5, vcc_lo, v5
	v_cmp_gt_i32_e32 vcc_lo, 0, v7
	v_not_b32_e32 v7, v8
	s_wait_alu 0xf1ff
	v_xor_b32_e32 v27, s18, v27
	v_cmp_gt_i32_e64 s18, 0, v8
	v_and_b32_e32 v5, exec_lo, v5
	v_not_b32_e32 v8, v10
	v_ashrrev_i32_e32 v7, 31, v7
	s_wait_alu 0xfffd
	v_xor_b32_e32 v6, vcc_lo, v6
	v_cmp_gt_i32_e32 vcc_lo, 0, v10
	v_and_b32_e32 v5, v5, v27
	v_not_b32_e32 v10, v11
	v_ashrrev_i32_e32 v8, 31, v8
	s_wait_alu 0xf1ff
	v_xor_b32_e32 v7, s18, v7
	v_cmp_gt_i32_e64 s18, 0, v11
	v_and_b32_e32 v5, v5, v6
	v_not_b32_e32 v6, v26
	v_ashrrev_i32_e32 v10, 31, v10
	s_wait_alu 0xfffd
	v_xor_b32_e32 v8, vcc_lo, v8
	v_cmp_gt_i32_e32 vcc_lo, 0, v26
	v_and_b32_e32 v5, v5, v7
	v_not_b32_e32 v7, v9
	v_ashrrev_i32_e32 v6, 31, v6
	s_wait_alu 0xf1ff
	v_xor_b32_e32 v10, s18, v10
	v_lshlrev_b32_e32 v4, 6, v4
	v_and_b32_e32 v5, v5, v8
	v_cmp_gt_i32_e64 s18, 0, v9
	v_ashrrev_i32_e32 v7, 31, v7
	s_wait_alu 0xfffd
	v_xor_b32_e32 v6, vcc_lo, v6
	v_add_nc_u32_e32 v28, v76, v4
	v_and_b32_e32 v5, v5, v10
	s_wait_alu 0xf1ff
	v_xor_b32_e32 v4, s18, v7
	ds_load_b32 v26, v28 offset:64
	v_and_b32_e32 v5, v5, v6
	; wave barrier
	s_delay_alu instid0(VALU_DEP_1) | instskip(NEXT) | instid1(VALU_DEP_1)
	v_and_b32_e32 v4, v5, v4
	v_mbcnt_lo_u32_b32 v27, v4, 0
	v_cmp_ne_u32_e64 s18, 0, v4
	s_delay_alu instid0(VALU_DEP_2)
	v_cmp_eq_u32_e32 vcc_lo, 0, v27
	s_and_b32 s27, s18, vcc_lo
	s_wait_alu 0xfffe
	s_and_saveexec_b32 s18, s27
	s_cbranch_execz .LBB190_82
; %bb.81:                               ;   in Loop: Header=BB190_70 Depth=1
	s_wait_dscnt 0x0
	v_bcnt_u32_b32 v4, v4, v26
	ds_store_b32 v28, v4 offset:64
.LBB190_82:                             ;   in Loop: Header=BB190_70 Depth=1
	s_wait_alu 0xfffe
	s_or_b32 exec_lo, exec_lo, s18
	v_cmp_ne_u64_e32 vcc_lo, s[20:21], v[38:39]
	; wave barrier
	s_wait_alu 0xfffd
	v_cndmask_b32_e32 v5, 0x7fffffff, v39, vcc_lo
	v_cndmask_b32_e32 v4, -1, v38, vcc_lo
	s_delay_alu instid0(VALU_DEP_1) | instskip(NEXT) | instid1(VALU_DEP_1)
	v_lshrrev_b64 v[4:5], v32, v[4:5]
	v_and_b32_e32 v4, s23, v4
	s_delay_alu instid0(VALU_DEP_1)
	v_and_b32_e32 v5, 1, v4
	v_lshlrev_b32_e32 v6, 30, v4
	v_lshlrev_b32_e32 v7, 29, v4
	;; [unrolled: 1-line block ×4, first 2 shown]
	v_add_co_u32 v5, s18, v5, -1
	s_wait_alu 0xf1ff
	v_cndmask_b32_e64 v9, 0, 1, s18
	v_not_b32_e32 v30, v6
	v_cmp_gt_i32_e64 s18, 0, v6
	v_not_b32_e32 v6, v7
	v_lshlrev_b32_e32 v11, 26, v4
	v_cmp_ne_u32_e32 vcc_lo, 0, v9
	v_ashrrev_i32_e32 v30, 31, v30
	v_lshlrev_b32_e32 v29, 25, v4
	v_ashrrev_i32_e32 v6, 31, v6
	v_lshlrev_b32_e32 v9, 24, v4
	s_wait_alu 0xfffd
	v_xor_b32_e32 v5, vcc_lo, v5
	v_cmp_gt_i32_e32 vcc_lo, 0, v7
	v_not_b32_e32 v7, v8
	s_wait_alu 0xf1ff
	v_xor_b32_e32 v30, s18, v30
	v_cmp_gt_i32_e64 s18, 0, v8
	v_and_b32_e32 v5, exec_lo, v5
	v_not_b32_e32 v8, v10
	v_ashrrev_i32_e32 v7, 31, v7
	s_wait_alu 0xfffd
	v_xor_b32_e32 v6, vcc_lo, v6
	v_cmp_gt_i32_e32 vcc_lo, 0, v10
	v_and_b32_e32 v5, v5, v30
	v_not_b32_e32 v10, v11
	v_ashrrev_i32_e32 v8, 31, v8
	s_wait_alu 0xf1ff
	v_xor_b32_e32 v7, s18, v7
	v_cmp_gt_i32_e64 s18, 0, v11
	v_and_b32_e32 v5, v5, v6
	v_not_b32_e32 v6, v29
	v_ashrrev_i32_e32 v10, 31, v10
	s_wait_alu 0xfffd
	v_xor_b32_e32 v8, vcc_lo, v8
	v_cmp_gt_i32_e32 vcc_lo, 0, v29
	v_and_b32_e32 v5, v5, v7
	v_not_b32_e32 v7, v9
	v_ashrrev_i32_e32 v6, 31, v6
	s_wait_alu 0xf1ff
	v_xor_b32_e32 v10, s18, v10
	v_lshlrev_b32_e32 v4, 6, v4
	v_and_b32_e32 v5, v5, v8
	v_cmp_gt_i32_e64 s18, 0, v9
	v_ashrrev_i32_e32 v7, 31, v7
	s_wait_alu 0xfffd
	v_xor_b32_e32 v6, vcc_lo, v6
	v_add_nc_u32_e32 v31, v76, v4
	v_and_b32_e32 v5, v5, v10
	s_wait_alu 0xf1ff
	v_xor_b32_e32 v4, s18, v7
	ds_load_b32 v29, v31 offset:64
	v_and_b32_e32 v5, v5, v6
	; wave barrier
	s_delay_alu instid0(VALU_DEP_1) | instskip(NEXT) | instid1(VALU_DEP_1)
	v_and_b32_e32 v4, v5, v4
	v_mbcnt_lo_u32_b32 v30, v4, 0
	v_cmp_ne_u32_e64 s18, 0, v4
	s_delay_alu instid0(VALU_DEP_2)
	v_cmp_eq_u32_e32 vcc_lo, 0, v30
	s_and_b32 s27, s18, vcc_lo
	s_wait_alu 0xfffe
	s_and_saveexec_b32 s18, s27
	s_cbranch_execz .LBB190_84
; %bb.83:                               ;   in Loop: Header=BB190_70 Depth=1
	s_wait_dscnt 0x0
	v_bcnt_u32_b32 v4, v4, v29
	ds_store_b32 v31, v4 offset:64
.LBB190_84:                             ;   in Loop: Header=BB190_70 Depth=1
	s_wait_alu 0xfffe
	s_or_b32 exec_lo, exec_lo, s18
	v_cmp_ne_u64_e32 vcc_lo, s[20:21], v[36:37]
	; wave barrier
	s_wait_alu 0xfffd
	v_cndmask_b32_e32 v5, 0x7fffffff, v37, vcc_lo
	v_cndmask_b32_e32 v4, -1, v36, vcc_lo
	s_delay_alu instid0(VALU_DEP_1) | instskip(NEXT) | instid1(VALU_DEP_1)
	v_lshrrev_b64 v[4:5], v32, v[4:5]
	v_and_b32_e32 v4, s23, v4
	s_delay_alu instid0(VALU_DEP_1)
	v_and_b32_e32 v5, 1, v4
	v_lshlrev_b32_e32 v6, 30, v4
	v_lshlrev_b32_e32 v7, 29, v4
	;; [unrolled: 1-line block ×4, first 2 shown]
	v_add_co_u32 v5, s18, v5, -1
	s_wait_alu 0xf1ff
	v_cndmask_b32_e64 v9, 0, 1, s18
	v_not_b32_e32 v49, v6
	v_cmp_gt_i32_e64 s18, 0, v6
	v_not_b32_e32 v6, v7
	v_lshlrev_b32_e32 v11, 26, v4
	v_cmp_ne_u32_e32 vcc_lo, 0, v9
	v_ashrrev_i32_e32 v49, 31, v49
	v_lshlrev_b32_e32 v48, 25, v4
	v_ashrrev_i32_e32 v6, 31, v6
	v_lshlrev_b32_e32 v9, 24, v4
	s_wait_alu 0xfffd
	v_xor_b32_e32 v5, vcc_lo, v5
	v_cmp_gt_i32_e32 vcc_lo, 0, v7
	v_not_b32_e32 v7, v8
	s_wait_alu 0xf1ff
	v_xor_b32_e32 v49, s18, v49
	v_cmp_gt_i32_e64 s18, 0, v8
	v_and_b32_e32 v5, exec_lo, v5
	v_not_b32_e32 v8, v10
	v_ashrrev_i32_e32 v7, 31, v7
	s_wait_alu 0xfffd
	v_xor_b32_e32 v6, vcc_lo, v6
	v_cmp_gt_i32_e32 vcc_lo, 0, v10
	v_and_b32_e32 v5, v5, v49
	v_not_b32_e32 v10, v11
	v_ashrrev_i32_e32 v8, 31, v8
	s_wait_alu 0xf1ff
	v_xor_b32_e32 v7, s18, v7
	v_cmp_gt_i32_e64 s18, 0, v11
	v_and_b32_e32 v5, v5, v6
	v_not_b32_e32 v6, v48
	v_ashrrev_i32_e32 v10, 31, v10
	s_wait_alu 0xfffd
	v_xor_b32_e32 v8, vcc_lo, v8
	v_cmp_gt_i32_e32 vcc_lo, 0, v48
	v_and_b32_e32 v5, v5, v7
	v_not_b32_e32 v7, v9
	v_ashrrev_i32_e32 v6, 31, v6
	s_wait_alu 0xf1ff
	v_xor_b32_e32 v10, s18, v10
	v_lshlrev_b32_e32 v4, 6, v4
	v_and_b32_e32 v5, v5, v8
	v_cmp_gt_i32_e64 s18, 0, v9
	v_ashrrev_i32_e32 v7, 31, v7
	s_wait_alu 0xfffd
	v_xor_b32_e32 v6, vcc_lo, v6
	v_add_nc_u32_e32 v50, v76, v4
	v_and_b32_e32 v5, v5, v10
	s_wait_alu 0xf1ff
	v_xor_b32_e32 v4, s18, v7
	ds_load_b32 v48, v50 offset:64
	v_and_b32_e32 v5, v5, v6
	; wave barrier
	s_delay_alu instid0(VALU_DEP_1) | instskip(NEXT) | instid1(VALU_DEP_1)
	v_and_b32_e32 v4, v5, v4
	v_mbcnt_lo_u32_b32 v49, v4, 0
	v_cmp_ne_u32_e64 s18, 0, v4
	s_delay_alu instid0(VALU_DEP_2)
	v_cmp_eq_u32_e32 vcc_lo, 0, v49
	s_and_b32 s23, s18, vcc_lo
	s_wait_alu 0xfffe
	s_and_saveexec_b32 s18, s23
	s_cbranch_execz .LBB190_86
; %bb.85:                               ;   in Loop: Header=BB190_70 Depth=1
	s_wait_dscnt 0x0
	v_bcnt_u32_b32 v4, v4, v48
	ds_store_b32 v50, v4 offset:64
.LBB190_86:                             ;   in Loop: Header=BB190_70 Depth=1
	s_wait_alu 0xfffe
	s_or_b32 exec_lo, exec_lo, s18
	; wave barrier
	s_wait_loadcnt_dscnt 0x0
	s_barrier_signal -1
	s_barrier_wait -1
	global_inv scope:SCOPE_SE
	ds_load_b128 v[8:11], v115 offset:64
	ds_load_b128 v[4:7], v115 offset:80
	s_wait_dscnt 0x1
	v_add_nc_u32_e32 v51, v9, v8
	s_delay_alu instid0(VALU_DEP_1) | instskip(SKIP_1) | instid1(VALU_DEP_1)
	v_add3_u32 v51, v51, v10, v11
	s_wait_dscnt 0x0
	v_add3_u32 v51, v51, v4, v5
	s_delay_alu instid0(VALU_DEP_1) | instskip(NEXT) | instid1(VALU_DEP_1)
	v_add3_u32 v7, v51, v6, v7
	v_mov_b32_dpp v51, v7 row_shr:1 row_mask:0xf bank_mask:0xf
	s_delay_alu instid0(VALU_DEP_1) | instskip(NEXT) | instid1(VALU_DEP_1)
	v_cndmask_b32_e64 v51, v51, 0, s1
	v_add_nc_u32_e32 v7, v51, v7
	s_delay_alu instid0(VALU_DEP_1) | instskip(NEXT) | instid1(VALU_DEP_1)
	v_mov_b32_dpp v51, v7 row_shr:2 row_mask:0xf bank_mask:0xf
	v_cndmask_b32_e64 v51, 0, v51, s9
	s_delay_alu instid0(VALU_DEP_1) | instskip(NEXT) | instid1(VALU_DEP_1)
	v_add_nc_u32_e32 v7, v7, v51
	v_mov_b32_dpp v51, v7 row_shr:4 row_mask:0xf bank_mask:0xf
	s_delay_alu instid0(VALU_DEP_1) | instskip(NEXT) | instid1(VALU_DEP_1)
	v_cndmask_b32_e64 v51, 0, v51, s11
	v_add_nc_u32_e32 v7, v7, v51
	s_delay_alu instid0(VALU_DEP_1) | instskip(NEXT) | instid1(VALU_DEP_1)
	v_mov_b32_dpp v51, v7 row_shr:8 row_mask:0xf bank_mask:0xf
	v_cndmask_b32_e64 v51, 0, v51, s12
	s_delay_alu instid0(VALU_DEP_1) | instskip(SKIP_3) | instid1(VALU_DEP_1)
	v_add_nc_u32_e32 v7, v7, v51
	ds_swizzle_b32 v51, v7 offset:swizzle(BROADCAST,32,15)
	s_wait_dscnt 0x0
	v_cndmask_b32_e64 v51, v51, 0, s13
	v_add_nc_u32_e32 v7, v7, v51
	s_and_saveexec_b32 s18, s14
; %bb.87:                               ;   in Loop: Header=BB190_70 Depth=1
	ds_store_b32 v116, v7
; %bb.88:                               ;   in Loop: Header=BB190_70 Depth=1
	s_wait_alu 0xfffe
	s_or_b32 exec_lo, exec_lo, s18
	s_wait_loadcnt_dscnt 0x0
	s_barrier_signal -1
	s_barrier_wait -1
	global_inv scope:SCOPE_SE
	s_and_saveexec_b32 s18, s15
	s_cbranch_execz .LBB190_90
; %bb.89:                               ;   in Loop: Header=BB190_70 Depth=1
	ds_load_b32 v51, v77
	s_wait_dscnt 0x0
	v_mov_b32_dpp v78, v51 row_shr:1 row_mask:0xf bank_mask:0xf
	s_delay_alu instid0(VALU_DEP_1) | instskip(NEXT) | instid1(VALU_DEP_1)
	v_cndmask_b32_e64 v78, v78, 0, s1
	v_add_nc_u32_e32 v51, v78, v51
	s_delay_alu instid0(VALU_DEP_1) | instskip(NEXT) | instid1(VALU_DEP_1)
	v_mov_b32_dpp v78, v51 row_shr:2 row_mask:0xf bank_mask:0xf
	v_cndmask_b32_e64 v78, 0, v78, s9
	s_delay_alu instid0(VALU_DEP_1) | instskip(NEXT) | instid1(VALU_DEP_1)
	v_add_nc_u32_e32 v51, v51, v78
	v_mov_b32_dpp v78, v51 row_shr:4 row_mask:0xf bank_mask:0xf
	s_delay_alu instid0(VALU_DEP_1) | instskip(NEXT) | instid1(VALU_DEP_1)
	v_cndmask_b32_e64 v78, 0, v78, s11
	v_add_nc_u32_e32 v51, v51, v78
	s_delay_alu instid0(VALU_DEP_1) | instskip(NEXT) | instid1(VALU_DEP_1)
	v_mov_b32_dpp v78, v51 row_shr:8 row_mask:0xf bank_mask:0xf
	v_cndmask_b32_e64 v78, 0, v78, s12
	s_delay_alu instid0(VALU_DEP_1)
	v_add_nc_u32_e32 v51, v51, v78
	ds_store_b32 v77, v51
.LBB190_90:                             ;   in Loop: Header=BB190_70 Depth=1
	s_wait_alu 0xfffe
	s_or_b32 exec_lo, exec_lo, s18
	v_mov_b32_e32 v51, 0
	s_wait_loadcnt_dscnt 0x0
	s_barrier_signal -1
	s_barrier_wait -1
	global_inv scope:SCOPE_SE
	s_and_saveexec_b32 s18, s16
; %bb.91:                               ;   in Loop: Header=BB190_70 Depth=1
	ds_load_b32 v51, v73
; %bb.92:                               ;   in Loop: Header=BB190_70 Depth=1
	s_wait_alu 0xfffe
	s_or_b32 exec_lo, exec_lo, s18
	s_wait_dscnt 0x0
	v_add_nc_u32_e32 v7, v51, v7
	v_cmp_lt_u32_e32 vcc_lo, 55, v32
	s_mov_b32 s18, -1
	ds_bpermute_b32 v7, v75, v7
	s_and_b32 vcc_lo, exec_lo, vcc_lo
	s_wait_dscnt 0x0
	v_cndmask_b32_e64 v7, v7, v51, s10
	s_delay_alu instid0(VALU_DEP_1) | instskip(NEXT) | instid1(VALU_DEP_1)
	v_cndmask_b32_e64 v7, v7, 0, s17
	v_add_nc_u32_e32 v8, v7, v8
	s_delay_alu instid0(VALU_DEP_1) | instskip(NEXT) | instid1(VALU_DEP_1)
	v_add_nc_u32_e32 v9, v8, v9
	v_add_nc_u32_e32 v10, v9, v10
	s_delay_alu instid0(VALU_DEP_1) | instskip(NEXT) | instid1(VALU_DEP_1)
	v_add_nc_u32_e32 v78, v10, v11
	;; [unrolled: 3-line block ×3, first 2 shown]
	v_add_nc_u32_e32 v81, v80, v6
	ds_store_b128 v115, v[7:10] offset:64
	ds_store_b128 v115, v[78:81] offset:80
	s_wait_loadcnt_dscnt 0x0
	s_barrier_signal -1
	s_barrier_wait -1
	global_inv scope:SCOPE_SE
	ds_load_b32 v4, v13 offset:64
	ds_load_b32 v5, v16 offset:64
	;; [unrolled: 1-line block ×8, first 2 shown]
	s_wait_dscnt 0x7
	v_add_nc_u32_e32 v85, v4, v12
	s_wait_dscnt 0x6
	v_add3_u32 v84, v15, v14, v5
	s_wait_dscnt 0x5
	v_add3_u32 v83, v18, v17, v6
	;; [unrolled: 2-line block ×7, first 2 shown]
                                        ; implicit-def: $vgpr50_vgpr51
                                        ; implicit-def: $vgpr14_vgpr15
                                        ; implicit-def: $vgpr10_vgpr11
                                        ; implicit-def: $vgpr6_vgpr7
                                        ; implicit-def: $vgpr30_vgpr31
                                        ; implicit-def: $vgpr26_vgpr27
                                        ; implicit-def: $vgpr22_vgpr23
                                        ; implicit-def: $vgpr18_vgpr19
	s_wait_alu 0xfffe
	s_cbranch_vccnz .LBB190_69
; %bb.93:                               ;   in Loop: Header=BB190_70 Depth=1
	v_lshlrev_b32_e32 v16, 3, v85
	v_lshlrev_b32_e32 v19, 3, v82
	;; [unrolled: 1-line block ×8, first 2 shown]
	s_wait_loadcnt 0x0
	s_barrier_signal -1
	s_barrier_wait -1
	global_inv scope:SCOPE_SE
	ds_store_b64 v16, v[34:35]
	ds_store_b64 v17, v[69:70]
	ds_store_b64 v18, v[66:67]
	ds_store_b64 v19, v[64:65]
	ds_store_b64 v20, v[62:63]
	ds_store_b64 v21, v[40:41]
	ds_store_b64 v22, v[38:39]
	ds_store_b64 v23, v[36:37]
	s_wait_loadcnt_dscnt 0x0
	s_barrier_signal -1
	s_barrier_wait -1
	global_inv scope:SCOPE_SE
	ds_load_2addr_b64 v[4:7], v74 offset1:32
	ds_load_2addr_b64 v[8:11], v74 offset0:64 offset1:96
	ds_load_2addr_b64 v[12:15], v74 offset0:128 offset1:160
	;; [unrolled: 1-line block ×3, first 2 shown]
	s_wait_loadcnt_dscnt 0x0
	s_barrier_signal -1
	s_barrier_wait -1
	global_inv scope:SCOPE_SE
	ds_store_b64 v16, v[60:61]
	ds_store_b64 v17, v[58:59]
	;; [unrolled: 1-line block ×8, first 2 shown]
	s_wait_loadcnt_dscnt 0x0
	s_barrier_signal -1
	s_barrier_wait -1
	global_inv scope:SCOPE_SE
	ds_load_2addr_b64 v[16:19], v74 offset1:32
	ds_load_2addr_b64 v[20:23], v74 offset0:64 offset1:96
	ds_load_2addr_b64 v[24:27], v74 offset0:128 offset1:160
	ds_load_2addr_b64 v[28:31], v74 offset0:192 offset1:224
	v_add_co_u32 v32, vcc_lo, v32, 8
	s_wait_alu 0xfffd
	v_add_co_ci_u32_e64 v33, null, 0, v33, vcc_lo
	s_add_co_i32 s22, s22, -8
	s_mov_b32 s18, 0
	s_wait_loadcnt_dscnt 0x0
	s_barrier_signal -1
	s_barrier_wait -1
	global_inv scope:SCOPE_SE
	s_branch .LBB190_69
.LBB190_94:
	v_lshlrev_b32_e32 v16, 3, v85
	v_lshlrev_b32_e32 v19, 3, v82
	;; [unrolled: 1-line block ×9, first 2 shown]
	s_wait_loadcnt 0x0
	s_barrier_signal -1
	s_barrier_wait -1
	global_inv scope:SCOPE_SE
	ds_store_b64 v16, v[34:35]
	ds_store_b64 v17, v[69:70]
	;; [unrolled: 1-line block ×8, first 2 shown]
	s_wait_loadcnt_dscnt 0x0
	s_barrier_signal -1
	s_barrier_wait -1
	global_inv scope:SCOPE_SE
	ds_load_b128 v[0:3], v24
	ds_load_b128 v[4:7], v24 offset:16
	ds_load_b128 v[8:11], v24 offset:32
	;; [unrolled: 1-line block ×3, first 2 shown]
	s_wait_loadcnt_dscnt 0x0
	s_barrier_signal -1
	s_barrier_wait -1
	global_inv scope:SCOPE_SE
	ds_store_b64 v16, v[60:61]
	ds_store_b64 v17, v[58:59]
	;; [unrolled: 1-line block ×8, first 2 shown]
	s_wait_loadcnt_dscnt 0x0
	s_barrier_signal -1
	s_barrier_wait -1
	global_inv scope:SCOPE_SE
	ds_load_b128 v[52:55], v24
	ds_load_b128 v[48:51], v24 offset:16
	ds_load_b128 v[60:63], v24 offset:32
	;; [unrolled: 1-line block ×3, first 2 shown]
	v_cmp_gt_i64_e32 vcc_lo, 0, v[0:1]
	v_ashrrev_i32_e32 v18, 31, v3
	v_ashrrev_i32_e32 v16, 31, v1
	s_wait_alu 0xfffd
	v_cndmask_b32_e64 v17, 0x7fffffff, 0, vcc_lo
	v_cmp_gt_i64_e32 vcc_lo, 0, v[2:3]
	v_not_b32_e32 v18, v18
	v_not_b32_e32 v16, v16
	s_delay_alu instid0(VALU_DEP_4)
	v_xor_b32_e32 v1, v17, v1
	v_ashrrev_i32_e32 v17, 31, v7
	s_wait_alu 0xfffd
	v_cndmask_b32_e64 v19, 0x7fffffff, 0, vcc_lo
	v_cmp_gt_i64_e32 vcc_lo, 0, v[4:5]
	v_xor_b32_e32 v2, v18, v2
	v_xor_b32_e32 v0, v16, v0
	v_ashrrev_i32_e32 v16, 31, v5
	v_xor_b32_e32 v3, v19, v3
	v_not_b32_e32 v17, v17
	s_wait_alu 0xfffd
	v_cndmask_b32_e64 v18, 0x7fffffff, 0, vcc_lo
	v_cmp_gt_i64_e32 vcc_lo, 0, v[6:7]
	v_not_b32_e32 v16, v16
	v_xor_b32_e32 v6, v17, v6
	s_delay_alu instid0(VALU_DEP_4)
	v_xor_b32_e32 v5, v18, v5
	v_ashrrev_i32_e32 v18, 31, v11
	s_wait_alu 0xfffd
	v_cndmask_b32_e64 v19, 0x7fffffff, 0, vcc_lo
	v_cmp_gt_i64_e32 vcc_lo, 0, v[8:9]
	v_xor_b32_e32 v4, v16, v4
	v_ashrrev_i32_e32 v16, 31, v9
	s_delay_alu instid0(VALU_DEP_4) | instskip(SKIP_4) | instid1(VALU_DEP_3)
	v_xor_b32_e32 v7, v19, v7
	s_wait_alu 0xfffd
	v_cndmask_b32_e64 v17, 0x7fffffff, 0, vcc_lo
	v_cmp_gt_i64_e32 vcc_lo, 0, v[10:11]
	v_not_b32_e32 v16, v16
	v_xor_b32_e32 v9, v17, v9
	v_ashrrev_i32_e32 v17, 31, v13
	s_wait_alu 0xfffd
	v_cndmask_b32_e64 v19, 0x7fffffff, 0, vcc_lo
	v_cmp_gt_i64_e32 vcc_lo, 0, v[12:13]
	v_xor_b32_e32 v8, v16, v8
	v_not_b32_e32 v16, v18
	v_ashrrev_i32_e32 v18, 31, v15
	v_xor_b32_e32 v11, v19, v11
	v_not_b32_e32 v17, v17
	s_wait_alu 0xfffd
	v_cndmask_b32_e64 v19, 0x7fffffff, 0, vcc_lo
	v_cmp_gt_i64_e32 vcc_lo, 0, v[14:15]
	v_not_b32_e32 v18, v18
	v_xor_b32_e32 v10, v16, v10
	v_xor_b32_e32 v12, v17, v12
	;; [unrolled: 1-line block ×3, first 2 shown]
	s_wait_alu 0xfffd
	v_cndmask_b32_e64 v20, 0x7fffffff, 0, vcc_lo
	v_xor_b32_e32 v14, v18, v14
	s_delay_alu instid0(VALU_DEP_2)
	v_xor_b32_e32 v15, v20, v15
.LBB190_95:
	s_wait_loadcnt_dscnt 0x0
	s_barrier_signal -1
	s_barrier_wait -1
	global_inv scope:SCOPE_SE
	ds_store_2addr_b64 v114, v[0:1], v[2:3] offset1:1
	ds_store_2addr_b64 v114, v[4:5], v[6:7] offset0:2 offset1:3
	ds_store_2addr_b64 v114, v[8:9], v[10:11] offset0:4 offset1:5
	;; [unrolled: 1-line block ×3, first 2 shown]
	s_wait_loadcnt_dscnt 0x0
	s_barrier_signal -1
	s_barrier_wait -1
	global_inv scope:SCOPE_SE
	ds_load_b64 v[14:15], v107 offset:4096
	ds_load_b64 v[12:13], v108 offset:8192
	;; [unrolled: 1-line block ×7, first 2 shown]
	v_mov_b32_e32 v72, 0
	s_delay_alu instid0(VALU_DEP_1) | instskip(NEXT) | instid1(VALU_DEP_1)
	v_lshlrev_b64_e32 v[2:3], 3, v[71:72]
	v_add_co_u32 v2, vcc_lo, s30, v2
	s_wait_alu 0xfffd
	s_delay_alu instid0(VALU_DEP_2)
	v_add_co_ci_u32_e64 v3, null, s31, v3, vcc_lo
	s_and_saveexec_b32 s1, s2
	s_cbranch_execnz .LBB190_114
; %bb.96:
	s_wait_alu 0xfffe
	s_or_b32 exec_lo, exec_lo, s1
	s_and_saveexec_b32 s1, s3
	s_cbranch_execnz .LBB190_115
.LBB190_97:
	s_wait_alu 0xfffe
	s_or_b32 exec_lo, exec_lo, s1
	s_and_saveexec_b32 s1, s4
	s_cbranch_execnz .LBB190_116
.LBB190_98:
	s_wait_alu 0xfffe
	s_or_b32 exec_lo, exec_lo, s1
	s_and_saveexec_b32 s1, s5
	s_cbranch_execnz .LBB190_117
.LBB190_99:
	s_wait_alu 0xfffe
	s_or_b32 exec_lo, exec_lo, s1
	s_and_saveexec_b32 s1, s6
	s_cbranch_execnz .LBB190_118
.LBB190_100:
	s_wait_alu 0xfffe
	s_or_b32 exec_lo, exec_lo, s1
	s_and_saveexec_b32 s1, s7
	s_cbranch_execnz .LBB190_119
.LBB190_101:
	s_wait_alu 0xfffe
	s_or_b32 exec_lo, exec_lo, s1
	s_and_saveexec_b32 s1, s8
	s_cbranch_execnz .LBB190_120
.LBB190_102:
	s_wait_alu 0xfffe
	s_or_b32 exec_lo, exec_lo, s1
	s_and_saveexec_b32 s1, s0
	s_cbranch_execz .LBB190_104
.LBB190_103:
	s_mul_i32 s10, s26, 0xe00
	s_mov_b32 s11, 0
	s_wait_alu 0xfffe
	s_lshl_b64 s[10:11], s[10:11], 3
	s_wait_alu 0xfffe
	v_add_co_u32 v2, vcc_lo, v2, s10
	s_wait_alu 0xfffd
	v_add_co_ci_u32_e64 v3, null, s11, v3, vcc_lo
	s_wait_dscnt 0x0
	global_store_b64 v[2:3], v[0:1], off
.LBB190_104:
	s_wait_alu 0xfffe
	s_or_b32 exec_lo, exec_lo, s1
	s_wait_storecnt 0x0
	s_wait_loadcnt_dscnt 0x0
	s_barrier_signal -1
	s_barrier_wait -1
	global_inv scope:SCOPE_SE
	ds_store_2addr_b64 v114, v[52:53], v[54:55] offset1:1
	ds_store_2addr_b64 v114, v[48:49], v[50:51] offset0:2 offset1:3
	ds_store_2addr_b64 v114, v[60:61], v[62:63] offset0:4 offset1:5
	;; [unrolled: 1-line block ×3, first 2 shown]
	s_wait_loadcnt_dscnt 0x0
	s_barrier_signal -1
	s_barrier_wait -1
	global_inv scope:SCOPE_SE
	ds_load_b64 v[14:15], v107 offset:4096
	ds_load_b64 v[12:13], v108 offset:8192
	;; [unrolled: 1-line block ×7, first 2 shown]
	v_mov_b32_e32 v69, 0
	s_delay_alu instid0(VALU_DEP_1) | instskip(NEXT) | instid1(VALU_DEP_1)
	v_lshlrev_b64_e32 v[2:3], 3, v[68:69]
	v_add_co_u32 v2, vcc_lo, s24, v2
	s_wait_alu 0xfffd
	s_delay_alu instid0(VALU_DEP_2)
	v_add_co_ci_u32_e64 v3, null, s25, v3, vcc_lo
	s_and_saveexec_b32 s1, s2
	s_cbranch_execnz .LBB190_121
; %bb.105:
	s_wait_alu 0xfffe
	s_or_b32 exec_lo, exec_lo, s1
	s_and_saveexec_b32 s1, s3
	s_cbranch_execnz .LBB190_122
.LBB190_106:
	s_wait_alu 0xfffe
	s_or_b32 exec_lo, exec_lo, s1
	s_and_saveexec_b32 s1, s4
	s_cbranch_execnz .LBB190_123
.LBB190_107:
	s_wait_alu 0xfffe
	s_or_b32 exec_lo, exec_lo, s1
	s_and_saveexec_b32 s1, s5
	s_cbranch_execnz .LBB190_124
.LBB190_108:
	s_wait_alu 0xfffe
	s_or_b32 exec_lo, exec_lo, s1
	s_and_saveexec_b32 s1, s6
	s_cbranch_execnz .LBB190_125
.LBB190_109:
	s_wait_alu 0xfffe
	s_or_b32 exec_lo, exec_lo, s1
	s_and_saveexec_b32 s1, s7
	s_cbranch_execnz .LBB190_126
.LBB190_110:
	s_wait_alu 0xfffe
	s_or_b32 exec_lo, exec_lo, s1
	s_and_saveexec_b32 s1, s8
	s_cbranch_execnz .LBB190_127
.LBB190_111:
	s_wait_alu 0xfffe
	s_or_b32 exec_lo, exec_lo, s1
	s_and_saveexec_b32 s1, s0
	s_cbranch_execz .LBB190_113
.LBB190_112:
	s_mul_i32 s0, s28, 0xe00
	s_mov_b32 s1, 0
	s_wait_alu 0xfffe
	s_lshl_b64 s[0:1], s[0:1], 3
	s_wait_alu 0xfffe
	v_add_co_u32 v2, vcc_lo, v2, s0
	s_wait_alu 0xfffd
	v_add_co_ci_u32_e64 v3, null, s1, v3, vcc_lo
	s_wait_dscnt 0x0
	global_store_b64 v[2:3], v[0:1], off
.LBB190_113:
	s_nop 0
	s_sendmsg sendmsg(MSG_DEALLOC_VGPRS)
	s_endpgm
.LBB190_114:
	ds_load_b64 v[16:17], v106
	s_wait_dscnt 0x0
	global_store_b64 v[2:3], v[16:17], off
	s_wait_alu 0xfffe
	s_or_b32 exec_lo, exec_lo, s1
	s_and_saveexec_b32 s1, s3
	s_cbranch_execz .LBB190_97
.LBB190_115:
	s_lshl_b32 s10, s26, 9
	s_mov_b32 s11, 0
	s_wait_alu 0xfffe
	s_lshl_b64 s[10:11], s[10:11], 3
	s_wait_alu 0xfffe
	v_add_co_u32 v16, vcc_lo, v2, s10
	s_wait_alu 0xfffd
	v_add_co_ci_u32_e64 v17, null, s11, v3, vcc_lo
	s_wait_dscnt 0x6
	global_store_b64 v[16:17], v[14:15], off
	s_or_b32 exec_lo, exec_lo, s1
	s_and_saveexec_b32 s1, s4
	s_cbranch_execz .LBB190_98
.LBB190_116:
	s_lshl_b32 s10, s26, 10
	s_mov_b32 s11, 0
	s_wait_alu 0xfffe
	s_lshl_b64 s[10:11], s[10:11], 3
	s_wait_dscnt 0x6
	s_wait_alu 0xfffe
	v_add_co_u32 v14, vcc_lo, v2, s10
	s_wait_alu 0xfffd
	v_add_co_ci_u32_e64 v15, null, s11, v3, vcc_lo
	s_wait_dscnt 0x5
	global_store_b64 v[14:15], v[12:13], off
	s_or_b32 exec_lo, exec_lo, s1
	s_and_saveexec_b32 s1, s5
	s_cbranch_execz .LBB190_99
.LBB190_117:
	s_mul_i32 s10, s26, 0x600
	s_mov_b32 s11, 0
	s_wait_alu 0xfffe
	s_lshl_b64 s[10:11], s[10:11], 3
	s_wait_dscnt 0x5
	s_wait_alu 0xfffe
	v_add_co_u32 v12, vcc_lo, v2, s10
	s_wait_alu 0xfffd
	v_add_co_ci_u32_e64 v13, null, s11, v3, vcc_lo
	s_wait_dscnt 0x4
	global_store_b64 v[12:13], v[10:11], off
	s_or_b32 exec_lo, exec_lo, s1
	s_and_saveexec_b32 s1, s6
	s_cbranch_execz .LBB190_100
.LBB190_118:
	s_lshl_b32 s10, s26, 11
	s_mov_b32 s11, 0
	s_wait_alu 0xfffe
	s_lshl_b64 s[10:11], s[10:11], 3
	s_wait_dscnt 0x4
	s_wait_alu 0xfffe
	v_add_co_u32 v10, vcc_lo, v2, s10
	s_wait_alu 0xfffd
	v_add_co_ci_u32_e64 v11, null, s11, v3, vcc_lo
	s_wait_dscnt 0x3
	global_store_b64 v[10:11], v[8:9], off
	s_or_b32 exec_lo, exec_lo, s1
	s_and_saveexec_b32 s1, s7
	s_cbranch_execz .LBB190_101
.LBB190_119:
	s_mul_i32 s10, s26, 0xa00
	s_mov_b32 s11, 0
	s_wait_alu 0xfffe
	s_lshl_b64 s[10:11], s[10:11], 3
	s_wait_dscnt 0x3
	s_wait_alu 0xfffe
	v_add_co_u32 v8, vcc_lo, v2, s10
	s_wait_alu 0xfffd
	v_add_co_ci_u32_e64 v9, null, s11, v3, vcc_lo
	s_wait_dscnt 0x2
	global_store_b64 v[8:9], v[6:7], off
	s_or_b32 exec_lo, exec_lo, s1
	s_and_saveexec_b32 s1, s8
	s_cbranch_execz .LBB190_102
.LBB190_120:
	s_mul_i32 s10, s26, 0xc00
	s_mov_b32 s11, 0
	s_wait_alu 0xfffe
	s_lshl_b64 s[10:11], s[10:11], 3
	s_wait_dscnt 0x2
	s_wait_alu 0xfffe
	v_add_co_u32 v6, vcc_lo, v2, s10
	s_wait_alu 0xfffd
	v_add_co_ci_u32_e64 v7, null, s11, v3, vcc_lo
	s_wait_dscnt 0x1
	global_store_b64 v[6:7], v[4:5], off
	s_or_b32 exec_lo, exec_lo, s1
	s_and_saveexec_b32 s1, s0
	s_cbranch_execnz .LBB190_103
	s_branch .LBB190_104
.LBB190_121:
	ds_load_b64 v[16:17], v106
	s_wait_dscnt 0x0
	global_store_b64 v[2:3], v[16:17], off
	s_wait_alu 0xfffe
	s_or_b32 exec_lo, exec_lo, s1
	s_and_saveexec_b32 s1, s3
	s_cbranch_execz .LBB190_106
.LBB190_122:
	s_lshl_b32 s2, s28, 9
	s_mov_b32 s3, 0
	s_delay_alu instid0(SALU_CYCLE_1) | instskip(NEXT) | instid1(SALU_CYCLE_1)
	s_lshl_b64 s[2:3], s[2:3], 3
	v_add_co_u32 v16, vcc_lo, v2, s2
	s_wait_alu 0xfffd
	v_add_co_ci_u32_e64 v17, null, s3, v3, vcc_lo
	s_wait_dscnt 0x6
	global_store_b64 v[16:17], v[14:15], off
	s_wait_alu 0xfffe
	s_or_b32 exec_lo, exec_lo, s1
	s_and_saveexec_b32 s1, s4
	s_cbranch_execz .LBB190_107
.LBB190_123:
	s_lshl_b32 s2, s28, 10
	s_mov_b32 s3, 0
	s_wait_alu 0xfffe
	s_lshl_b64 s[2:3], s[2:3], 3
	s_wait_dscnt 0x6
	s_wait_alu 0xfffe
	v_add_co_u32 v14, vcc_lo, v2, s2
	s_wait_alu 0xfffd
	v_add_co_ci_u32_e64 v15, null, s3, v3, vcc_lo
	s_wait_dscnt 0x5
	global_store_b64 v[14:15], v[12:13], off
	s_or_b32 exec_lo, exec_lo, s1
	s_and_saveexec_b32 s1, s5
	s_cbranch_execz .LBB190_108
.LBB190_124:
	s_mul_i32 s2, s28, 0x600
	s_mov_b32 s3, 0
	s_wait_alu 0xfffe
	s_lshl_b64 s[2:3], s[2:3], 3
	s_wait_dscnt 0x5
	s_wait_alu 0xfffe
	v_add_co_u32 v12, vcc_lo, v2, s2
	s_wait_alu 0xfffd
	v_add_co_ci_u32_e64 v13, null, s3, v3, vcc_lo
	s_wait_dscnt 0x4
	global_store_b64 v[12:13], v[10:11], off
	s_or_b32 exec_lo, exec_lo, s1
	s_and_saveexec_b32 s1, s6
	s_cbranch_execz .LBB190_109
.LBB190_125:
	s_lshl_b32 s2, s28, 11
	s_mov_b32 s3, 0
	s_wait_alu 0xfffe
	s_lshl_b64 s[2:3], s[2:3], 3
	s_wait_dscnt 0x4
	s_wait_alu 0xfffe
	v_add_co_u32 v10, vcc_lo, v2, s2
	s_wait_alu 0xfffd
	v_add_co_ci_u32_e64 v11, null, s3, v3, vcc_lo
	s_wait_dscnt 0x3
	global_store_b64 v[10:11], v[8:9], off
	s_or_b32 exec_lo, exec_lo, s1
	s_and_saveexec_b32 s1, s7
	s_cbranch_execz .LBB190_110
.LBB190_126:
	s_mul_i32 s2, s28, 0xa00
	s_mov_b32 s3, 0
	s_wait_alu 0xfffe
	s_lshl_b64 s[2:3], s[2:3], 3
	s_wait_dscnt 0x3
	s_wait_alu 0xfffe
	v_add_co_u32 v8, vcc_lo, v2, s2
	s_wait_alu 0xfffd
	v_add_co_ci_u32_e64 v9, null, s3, v3, vcc_lo
	s_wait_dscnt 0x2
	global_store_b64 v[8:9], v[6:7], off
	s_or_b32 exec_lo, exec_lo, s1
	s_and_saveexec_b32 s1, s8
	s_cbranch_execz .LBB190_111
.LBB190_127:
	s_mul_i32 s2, s28, 0xc00
	s_mov_b32 s3, 0
	s_wait_alu 0xfffe
	s_lshl_b64 s[2:3], s[2:3], 3
	s_wait_dscnt 0x2
	s_wait_alu 0xfffe
	v_add_co_u32 v6, vcc_lo, v2, s2
	s_wait_alu 0xfffd
	v_add_co_ci_u32_e64 v7, null, s3, v3, vcc_lo
	s_wait_dscnt 0x1
	global_store_b64 v[6:7], v[4:5], off
	s_or_b32 exec_lo, exec_lo, s1
	s_and_saveexec_b32 s1, s0
	s_cbranch_execnz .LBB190_112
	s_branch .LBB190_113
	.section	.rodata,"a",@progbits
	.p2align	6, 0x0
	.amdhsa_kernel _ZN2at6native18radixSortKVInPlaceILin1ELin1ELi512ELi8EdljEEvNS_4cuda6detail10TensorInfoIT3_T5_EES6_S6_S6_NS4_IT4_S6_EES6_b
		.amdhsa_group_segment_fixed_size 33792
		.amdhsa_private_segment_fixed_size 0
		.amdhsa_kernarg_size 712
		.amdhsa_user_sgpr_count 2
		.amdhsa_user_sgpr_dispatch_ptr 0
		.amdhsa_user_sgpr_queue_ptr 0
		.amdhsa_user_sgpr_kernarg_segment_ptr 1
		.amdhsa_user_sgpr_dispatch_id 0
		.amdhsa_user_sgpr_private_segment_size 0
		.amdhsa_wavefront_size32 1
		.amdhsa_uses_dynamic_stack 0
		.amdhsa_enable_private_segment 0
		.amdhsa_system_sgpr_workgroup_id_x 1
		.amdhsa_system_sgpr_workgroup_id_y 1
		.amdhsa_system_sgpr_workgroup_id_z 1
		.amdhsa_system_sgpr_workgroup_info 0
		.amdhsa_system_vgpr_workitem_id 2
		.amdhsa_next_free_vgpr 143
		.amdhsa_next_free_sgpr 40
		.amdhsa_reserve_vcc 1
		.amdhsa_float_round_mode_32 0
		.amdhsa_float_round_mode_16_64 0
		.amdhsa_float_denorm_mode_32 3
		.amdhsa_float_denorm_mode_16_64 3
		.amdhsa_fp16_overflow 0
		.amdhsa_workgroup_processor_mode 1
		.amdhsa_memory_ordered 1
		.amdhsa_forward_progress 1
		.amdhsa_inst_pref_size 125
		.amdhsa_round_robin_scheduling 0
		.amdhsa_exception_fp_ieee_invalid_op 0
		.amdhsa_exception_fp_denorm_src 0
		.amdhsa_exception_fp_ieee_div_zero 0
		.amdhsa_exception_fp_ieee_overflow 0
		.amdhsa_exception_fp_ieee_underflow 0
		.amdhsa_exception_fp_ieee_inexact 0
		.amdhsa_exception_int_div_zero 0
	.end_amdhsa_kernel
	.section	.text._ZN2at6native18radixSortKVInPlaceILin1ELin1ELi512ELi8EdljEEvNS_4cuda6detail10TensorInfoIT3_T5_EES6_S6_S6_NS4_IT4_S6_EES6_b,"axG",@progbits,_ZN2at6native18radixSortKVInPlaceILin1ELin1ELi512ELi8EdljEEvNS_4cuda6detail10TensorInfoIT3_T5_EES6_S6_S6_NS4_IT4_S6_EES6_b,comdat
.Lfunc_end190:
	.size	_ZN2at6native18radixSortKVInPlaceILin1ELin1ELi512ELi8EdljEEvNS_4cuda6detail10TensorInfoIT3_T5_EES6_S6_S6_NS4_IT4_S6_EES6_b, .Lfunc_end190-_ZN2at6native18radixSortKVInPlaceILin1ELin1ELi512ELi8EdljEEvNS_4cuda6detail10TensorInfoIT3_T5_EES6_S6_S6_NS4_IT4_S6_EES6_b
                                        ; -- End function
	.set _ZN2at6native18radixSortKVInPlaceILin1ELin1ELi512ELi8EdljEEvNS_4cuda6detail10TensorInfoIT3_T5_EES6_S6_S6_NS4_IT4_S6_EES6_b.num_vgpr, 143
	.set _ZN2at6native18radixSortKVInPlaceILin1ELin1ELi512ELi8EdljEEvNS_4cuda6detail10TensorInfoIT3_T5_EES6_S6_S6_NS4_IT4_S6_EES6_b.num_agpr, 0
	.set _ZN2at6native18radixSortKVInPlaceILin1ELin1ELi512ELi8EdljEEvNS_4cuda6detail10TensorInfoIT3_T5_EES6_S6_S6_NS4_IT4_S6_EES6_b.numbered_sgpr, 40
	.set _ZN2at6native18radixSortKVInPlaceILin1ELin1ELi512ELi8EdljEEvNS_4cuda6detail10TensorInfoIT3_T5_EES6_S6_S6_NS4_IT4_S6_EES6_b.num_named_barrier, 0
	.set _ZN2at6native18radixSortKVInPlaceILin1ELin1ELi512ELi8EdljEEvNS_4cuda6detail10TensorInfoIT3_T5_EES6_S6_S6_NS4_IT4_S6_EES6_b.private_seg_size, 0
	.set _ZN2at6native18radixSortKVInPlaceILin1ELin1ELi512ELi8EdljEEvNS_4cuda6detail10TensorInfoIT3_T5_EES6_S6_S6_NS4_IT4_S6_EES6_b.uses_vcc, 1
	.set _ZN2at6native18radixSortKVInPlaceILin1ELin1ELi512ELi8EdljEEvNS_4cuda6detail10TensorInfoIT3_T5_EES6_S6_S6_NS4_IT4_S6_EES6_b.uses_flat_scratch, 0
	.set _ZN2at6native18radixSortKVInPlaceILin1ELin1ELi512ELi8EdljEEvNS_4cuda6detail10TensorInfoIT3_T5_EES6_S6_S6_NS4_IT4_S6_EES6_b.has_dyn_sized_stack, 0
	.set _ZN2at6native18radixSortKVInPlaceILin1ELin1ELi512ELi8EdljEEvNS_4cuda6detail10TensorInfoIT3_T5_EES6_S6_S6_NS4_IT4_S6_EES6_b.has_recursion, 0
	.set _ZN2at6native18radixSortKVInPlaceILin1ELin1ELi512ELi8EdljEEvNS_4cuda6detail10TensorInfoIT3_T5_EES6_S6_S6_NS4_IT4_S6_EES6_b.has_indirect_call, 0
	.section	.AMDGPU.csdata,"",@progbits
; Kernel info:
; codeLenInByte = 16000
; TotalNumSgprs: 42
; NumVgprs: 143
; ScratchSize: 0
; MemoryBound: 0
; FloatMode: 240
; IeeeMode: 1
; LDSByteSize: 33792 bytes/workgroup (compile time only)
; SGPRBlocks: 0
; VGPRBlocks: 17
; NumSGPRsForWavesPerEU: 42
; NumVGPRsForWavesPerEU: 143
; Occupancy: 10
; WaveLimiterHint : 1
; COMPUTE_PGM_RSRC2:SCRATCH_EN: 0
; COMPUTE_PGM_RSRC2:USER_SGPR: 2
; COMPUTE_PGM_RSRC2:TRAP_HANDLER: 0
; COMPUTE_PGM_RSRC2:TGID_X_EN: 1
; COMPUTE_PGM_RSRC2:TGID_Y_EN: 1
; COMPUTE_PGM_RSRC2:TGID_Z_EN: 1
; COMPUTE_PGM_RSRC2:TIDIG_COMP_CNT: 2
	.section	.text._ZN2at6native18radixSortKVInPlaceILin1ELin1ELi256ELi8EdljEEvNS_4cuda6detail10TensorInfoIT3_T5_EES6_S6_S6_NS4_IT4_S6_EES6_b,"axG",@progbits,_ZN2at6native18radixSortKVInPlaceILin1ELin1ELi256ELi8EdljEEvNS_4cuda6detail10TensorInfoIT3_T5_EES6_S6_S6_NS4_IT4_S6_EES6_b,comdat
	.protected	_ZN2at6native18radixSortKVInPlaceILin1ELin1ELi256ELi8EdljEEvNS_4cuda6detail10TensorInfoIT3_T5_EES6_S6_S6_NS4_IT4_S6_EES6_b ; -- Begin function _ZN2at6native18radixSortKVInPlaceILin1ELin1ELi256ELi8EdljEEvNS_4cuda6detail10TensorInfoIT3_T5_EES6_S6_S6_NS4_IT4_S6_EES6_b
	.globl	_ZN2at6native18radixSortKVInPlaceILin1ELin1ELi256ELi8EdljEEvNS_4cuda6detail10TensorInfoIT3_T5_EES6_S6_S6_NS4_IT4_S6_EES6_b
	.p2align	8
	.type	_ZN2at6native18radixSortKVInPlaceILin1ELin1ELi256ELi8EdljEEvNS_4cuda6detail10TensorInfoIT3_T5_EES6_S6_S6_NS4_IT4_S6_EES6_b,@function
_ZN2at6native18radixSortKVInPlaceILin1ELin1ELi256ELi8EdljEEvNS_4cuda6detail10TensorInfoIT3_T5_EES6_S6_S6_NS4_IT4_S6_EES6_b: ; @_ZN2at6native18radixSortKVInPlaceILin1ELin1ELi256ELi8EdljEEvNS_4cuda6detail10TensorInfoIT3_T5_EES6_S6_S6_NS4_IT4_S6_EES6_b
; %bb.0:
	s_clause 0x1
	s_load_b64 s[2:3], s[0:1], 0x1c8
	s_load_b96 s[20:22], s[0:1], 0xd8
	s_lshr_b32 s4, ttmp7, 16
	s_wait_kmcnt 0x0
	s_mul_i32 s3, s3, s4
	s_and_b32 s4, ttmp7, 0xffff
	s_delay_alu instid0(SALU_CYCLE_1) | instskip(NEXT) | instid1(SALU_CYCLE_1)
	s_add_co_i32 s3, s3, s4
	s_mul_i32 s2, s3, s2
	s_delay_alu instid0(SALU_CYCLE_1) | instskip(NEXT) | instid1(SALU_CYCLE_1)
	s_add_co_i32 s23, s2, ttmp9
	s_cmp_ge_u32 s23, s20
	s_cbranch_scc1 .LBB191_113
; %bb.1:
	s_load_b32 s4, s[0:1], 0xd0
	s_mov_b32 s3, 0
	s_mov_b32 s2, s23
	s_wait_kmcnt 0x0
	s_cmp_lt_i32 s4, 2
	s_cbranch_scc1 .LBB191_4
; %bb.2:
	s_add_co_i32 s2, s4, -1
	s_delay_alu instid0(SALU_CYCLE_1)
	s_lshl_b64 s[6:7], s[2:3], 2
	s_mov_b32 s2, s23
	s_add_nc_u64 s[8:9], s[0:1], s[6:7]
	s_add_co_i32 s6, s4, 1
	s_add_nc_u64 s[4:5], s[8:9], 8
.LBB191_3:                              ; =>This Inner Loop Header: Depth=1
	s_clause 0x1
	s_load_b32 s7, s[4:5], 0x0
	s_load_b32 s8, s[4:5], 0x64
	s_mov_b32 s11, s2
	s_add_nc_u64 s[4:5], s[4:5], -4
	s_wait_kmcnt 0x0
	s_cvt_f32_u32 s9, s7
	s_sub_co_i32 s10, 0, s7
	s_wait_alu 0xfffe
	s_delay_alu instid0(SALU_CYCLE_1) | instskip(NEXT) | instid1(TRANS32_DEP_1)
	v_rcp_iflag_f32_e32 v1, s9
	v_readfirstlane_b32 s9, v1
	s_mul_f32 s9, s9, 0x4f7ffffe
	s_wait_alu 0xfffe
	s_delay_alu instid0(SALU_CYCLE_2) | instskip(SKIP_1) | instid1(SALU_CYCLE_2)
	s_cvt_u32_f32 s9, s9
	s_wait_alu 0xfffe
	s_mul_i32 s10, s10, s9
	s_delay_alu instid0(SALU_CYCLE_1) | instskip(NEXT) | instid1(SALU_CYCLE_1)
	s_mul_hi_u32 s10, s9, s10
	s_add_co_i32 s9, s9, s10
	s_wait_alu 0xfffe
	s_mul_hi_u32 s2, s2, s9
	s_delay_alu instid0(SALU_CYCLE_1)
	s_mul_i32 s9, s2, s7
	s_add_co_i32 s10, s2, 1
	s_wait_alu 0xfffe
	s_sub_co_i32 s9, s11, s9
	s_wait_alu 0xfffe
	s_sub_co_i32 s12, s9, s7
	s_cmp_ge_u32 s9, s7
	s_cselect_b32 s2, s10, s2
	s_cselect_b32 s9, s12, s9
	s_add_co_i32 s10, s2, 1
	s_wait_alu 0xfffe
	s_cmp_ge_u32 s9, s7
	s_cselect_b32 s2, s10, s2
	s_add_co_i32 s6, s6, -1
	s_mul_i32 s7, s2, s7
	s_delay_alu instid0(SALU_CYCLE_1) | instskip(NEXT) | instid1(SALU_CYCLE_1)
	s_sub_co_i32 s7, s11, s7
	s_mul_i32 s7, s8, s7
	s_delay_alu instid0(SALU_CYCLE_1)
	s_add_co_i32 s3, s7, s3
	s_cmp_gt_u32 s6, 2
	s_cbranch_scc1 .LBB191_3
.LBB191_4:
	s_load_b32 s4, s[0:1], 0x1b8
	s_add_nc_u64 s[24:25], s[0:1], 0x1c8
	s_mov_b32 s27, 0
	s_wait_kmcnt 0x0
	s_cmp_lt_i32 s4, 2
	s_cbranch_scc1 .LBB191_7
; %bb.5:
	s_add_co_i32 s26, s4, -1
	s_delay_alu instid0(SALU_CYCLE_1) | instskip(NEXT) | instid1(SALU_CYCLE_1)
	s_lshl_b64 s[6:7], s[26:27], 2
	s_add_nc_u64 s[8:9], s[0:1], s[6:7]
	s_add_co_i32 s6, s4, 1
	s_wait_alu 0xfffe
	s_add_nc_u64 s[4:5], s[8:9], 0xf0
.LBB191_6:                              ; =>This Inner Loop Header: Depth=1
	s_clause 0x1
	s_load_b32 s7, s[4:5], 0x0
	s_load_b32 s8, s[4:5], 0x64
	s_mov_b32 s11, s23
	s_add_nc_u64 s[4:5], s[4:5], -4
	s_wait_kmcnt 0x0
	s_cvt_f32_u32 s9, s7
	s_sub_co_i32 s10, 0, s7
	s_wait_alu 0xfffe
	s_delay_alu instid0(SALU_CYCLE_1) | instskip(NEXT) | instid1(TRANS32_DEP_1)
	v_rcp_iflag_f32_e32 v1, s9
	v_readfirstlane_b32 s9, v1
	s_mul_f32 s9, s9, 0x4f7ffffe
	s_wait_alu 0xfffe
	s_delay_alu instid0(SALU_CYCLE_2) | instskip(SKIP_1) | instid1(SALU_CYCLE_2)
	s_cvt_u32_f32 s9, s9
	s_wait_alu 0xfffe
	s_mul_i32 s10, s10, s9
	s_delay_alu instid0(SALU_CYCLE_1) | instskip(NEXT) | instid1(SALU_CYCLE_1)
	s_mul_hi_u32 s10, s9, s10
	s_add_co_i32 s9, s9, s10
	s_wait_alu 0xfffe
	s_mul_hi_u32 s9, s23, s9
	s_wait_alu 0xfffe
	s_mul_i32 s10, s9, s7
	s_add_co_i32 s12, s9, 1
	s_sub_co_i32 s10, s23, s10
	s_delay_alu instid0(SALU_CYCLE_1)
	s_sub_co_i32 s13, s10, s7
	s_cmp_ge_u32 s10, s7
	s_cselect_b32 s9, s12, s9
	s_cselect_b32 s10, s13, s10
	s_wait_alu 0xfffe
	s_add_co_i32 s12, s9, 1
	s_cmp_ge_u32 s10, s7
	s_cselect_b32 s23, s12, s9
	s_add_co_i32 s6, s6, -1
	s_mul_i32 s7, s23, s7
	s_delay_alu instid0(SALU_CYCLE_1) | instskip(NEXT) | instid1(SALU_CYCLE_1)
	s_sub_co_i32 s7, s11, s7
	s_mul_i32 s7, s8, s7
	s_delay_alu instid0(SALU_CYCLE_1)
	s_add_co_i32 s27, s7, s27
	s_cmp_gt_u32 s6, 2
	s_cbranch_scc1 .LBB191_6
.LBB191_7:
	s_clause 0x2
	s_load_b32 s4, s[0:1], 0x6c
	s_load_b64 s[28:29], s[0:1], 0x1c0
	s_load_b64 s[30:31], s[0:1], 0x0
	s_mov_b32 s19, 0
	s_wait_kmcnt 0x0
	s_mul_i32 s2, s4, s2
	s_mov_b32 s4, -1
	s_add_co_i32 s18, s2, s3
	s_bitcmp1_b32 s29, 0
	s_mov_b32 s6, s4
	s_cselect_b32 s20, -1, 0
	s_lshl_b64 s[34:35], s[18:19], 3
	s_and_b32 s2, s20, exec_lo
	s_cselect_b32 s5, -1, 0x7fffffff
	s_mov_b32 s8, s4
	s_mov_b32 s10, s4
	;; [unrolled: 1-line block ×13, first 2 shown]
	v_and_b32_e32 v73, 0x3ff, v0
	v_dual_mov_b32 v1, s4 :: v_dual_mov_b32 v4, s7
	v_dual_mov_b32 v2, s5 :: v_dual_mov_b32 v15, s18
	v_mov_b32_e32 v18, s5
	s_delay_alu instid0(VALU_DEP_4)
	v_mul_lo_u32 v71, s22, v73
	v_cmp_gt_u32_e64 s2, s21, v73
	s_wait_alu 0xfffe
	v_dual_mov_b32 v3, s6 :: v_dual_mov_b32 v6, s9
	v_dual_mov_b32 v5, s8 :: v_dual_mov_b32 v8, s11
	;; [unrolled: 1-line block ×6, first 2 shown]
	v_mov_b32_e32 v17, s4
	s_add_nc_u64 s[30:31], s[30:31], s[34:35]
	s_and_saveexec_b32 s3, s2
	s_cbranch_execz .LBB191_9
; %bb.8:
	v_mov_b32_e32 v72, 0
	s_delay_alu instid0(VALU_DEP_1) | instskip(NEXT) | instid1(VALU_DEP_1)
	v_lshlrev_b64_e32 v[1:2], 3, v[71:72]
	v_add_co_u32 v1, vcc_lo, s30, v1
	s_delay_alu instid0(VALU_DEP_1)
	v_add_co_ci_u32_e64 v2, null, s31, v2, vcc_lo
	global_load_b64 v[17:18], v[1:2], off
	v_dual_mov_b32 v1, s4 :: v_dual_mov_b32 v2, s5
	v_dual_mov_b32 v3, s6 :: v_dual_mov_b32 v4, s7
	;; [unrolled: 1-line block ×8, first 2 shown]
.LBB191_9:
	s_or_b32 exec_lo, exec_lo, s3
	v_add_nc_u32_e32 v32, 0x100, v73
	s_delay_alu instid0(VALU_DEP_1)
	v_cmp_gt_u32_e64 s3, s21, v32
	s_and_saveexec_b32 s4, s3
	s_cbranch_execz .LBB191_11
; %bb.10:
	v_mul_lo_u32 v1, s22, v32
	v_mov_b32_e32 v2, 0
	s_delay_alu instid0(VALU_DEP_1) | instskip(NEXT) | instid1(VALU_DEP_1)
	v_lshlrev_b64_e32 v[1:2], 3, v[1:2]
	v_add_co_u32 v1, vcc_lo, s30, v1
	s_wait_alu 0xfffd
	s_delay_alu instid0(VALU_DEP_2)
	v_add_co_ci_u32_e64 v2, null, s31, v2, vcc_lo
	global_load_b64 v[3:4], v[1:2], off
.LBB191_11:
	s_wait_alu 0xfffe
	s_or_b32 exec_lo, exec_lo, s4
	v_add_nc_u32_e32 v33, 0x200, v73
	s_delay_alu instid0(VALU_DEP_1)
	v_cmp_gt_u32_e64 s4, s21, v33
	s_and_saveexec_b32 s5, s4
	s_cbranch_execz .LBB191_13
; %bb.12:
	v_mul_lo_u32 v1, s22, v33
	v_mov_b32_e32 v2, 0
	s_delay_alu instid0(VALU_DEP_1) | instskip(NEXT) | instid1(VALU_DEP_1)
	v_lshlrev_b64_e32 v[1:2], 3, v[1:2]
	v_add_co_u32 v1, vcc_lo, s30, v1
	s_wait_alu 0xfffd
	s_delay_alu instid0(VALU_DEP_2)
	v_add_co_ci_u32_e64 v2, null, s31, v2, vcc_lo
	global_load_b64 v[5:6], v[1:2], off
.LBB191_13:
	s_wait_alu 0xfffe
	;; [unrolled: 18-line block ×3, first 2 shown]
	s_or_b32 exec_lo, exec_lo, s6
	v_or_b32_e32 v35, 0x400, v73
	s_delay_alu instid0(VALU_DEP_1)
	v_cmp_gt_u32_e64 s6, s21, v35
	s_and_saveexec_b32 s7, s6
	s_cbranch_execz .LBB191_17
; %bb.16:
	v_mul_lo_u32 v1, s22, v35
	v_mov_b32_e32 v2, 0
	s_delay_alu instid0(VALU_DEP_1) | instskip(NEXT) | instid1(VALU_DEP_1)
	v_lshlrev_b64_e32 v[1:2], 3, v[1:2]
	v_add_co_u32 v1, vcc_lo, s30, v1
	s_wait_alu 0xfffd
	s_delay_alu instid0(VALU_DEP_2)
	v_add_co_ci_u32_e64 v2, null, s31, v2, vcc_lo
	global_load_b64 v[9:10], v[1:2], off
.LBB191_17:
	s_wait_alu 0xfffe
	s_or_b32 exec_lo, exec_lo, s7
	v_add_nc_u32_e32 v36, 0x500, v73
	s_delay_alu instid0(VALU_DEP_1)
	v_cmp_gt_u32_e64 s7, s21, v36
	s_and_saveexec_b32 s8, s7
	s_cbranch_execz .LBB191_19
; %bb.18:
	v_mul_lo_u32 v1, s22, v36
	v_mov_b32_e32 v2, 0
	s_delay_alu instid0(VALU_DEP_1) | instskip(NEXT) | instid1(VALU_DEP_1)
	v_lshlrev_b64_e32 v[1:2], 3, v[1:2]
	v_add_co_u32 v1, vcc_lo, s30, v1
	s_wait_alu 0xfffd
	s_delay_alu instid0(VALU_DEP_2)
	v_add_co_ci_u32_e64 v2, null, s31, v2, vcc_lo
	global_load_b64 v[11:12], v[1:2], off
.LBB191_19:
	s_wait_alu 0xfffe
	s_or_b32 exec_lo, exec_lo, s8
	v_add_nc_u32_e32 v37, 0x600, v73
	s_delay_alu instid0(VALU_DEP_1)
	v_cmp_gt_u32_e64 s8, s21, v37
	s_and_saveexec_b32 s9, s8
	s_cbranch_execz .LBB191_21
; %bb.20:
	v_mul_lo_u32 v1, s22, v37
	v_mov_b32_e32 v2, 0
	s_delay_alu instid0(VALU_DEP_1) | instskip(NEXT) | instid1(VALU_DEP_1)
	v_lshlrev_b64_e32 v[1:2], 3, v[1:2]
	v_add_co_u32 v1, vcc_lo, s30, v1
	s_wait_alu 0xfffd
	s_delay_alu instid0(VALU_DEP_2)
	v_add_co_ci_u32_e64 v2, null, s31, v2, vcc_lo
	global_load_b64 v[13:14], v[1:2], off
.LBB191_21:
	s_wait_alu 0xfffe
	s_or_b32 exec_lo, exec_lo, s9
	s_clause 0x1
	s_load_b32 s9, s[0:1], 0x154
	s_load_b64 s[10:11], s[0:1], 0xe8
	v_add_nc_u32_e32 v38, 0x700, v73
	s_delay_alu instid0(VALU_DEP_1)
	v_cmp_gt_u32_e64 s0, s21, v38
	s_and_saveexec_b32 s1, s0
	s_cbranch_execz .LBB191_23
; %bb.22:
	v_mul_lo_u32 v1, s22, v38
	v_mov_b32_e32 v2, 0
	s_delay_alu instid0(VALU_DEP_1) | instskip(NEXT) | instid1(VALU_DEP_1)
	v_lshlrev_b64_e32 v[1:2], 3, v[1:2]
	v_add_co_u32 v1, vcc_lo, s30, v1
	s_wait_alu 0xfffd
	s_delay_alu instid0(VALU_DEP_2)
	v_add_co_ci_u32_e64 v2, null, s31, v2, vcc_lo
	global_load_b64 v[15:16], v[1:2], off
.LBB191_23:
	s_or_b32 exec_lo, exec_lo, s1
	v_lshrrev_b32_e32 v2, 2, v33
	v_dual_mov_b32 v69, 0 :: v_dual_lshlrev_b32 v72, 3, v73
	v_lshrrev_b32_e32 v1, 2, v32
	v_lshrrev_b32_e32 v19, 2, v34
	s_delay_alu instid0(VALU_DEP_4) | instskip(SKIP_1) | instid1(VALU_DEP_4)
	v_and_b32_e32 v2, 0x1f8, v2
	v_lshrrev_b32_e32 v48, 5, v73
	v_dual_mov_b32 v70, v69 :: v_dual_and_b32 v1, 0x1f8, v1
	s_delay_alu instid0(VALU_DEP_4) | instskip(NEXT) | instid1(VALU_DEP_4)
	v_and_b32_e32 v19, 0x1f8, v19
	v_add_nc_u32_e32 v108, v2, v72
	v_lshrrev_b32_e32 v2, 2, v36
	v_lshl_add_u32 v106, v48, 3, v72
	v_add_nc_u32_e32 v107, v1, v72
	v_lshrrev_b32_e32 v1, 2, v35
	v_lshrrev_b32_e32 v20, 2, v38
	v_and_b32_e32 v2, 0x3f8, v2
	s_wait_kmcnt 0x0
	s_mul_i32 s1, s9, s23
	v_mul_lo_u32 v68, s28, v73
	v_and_b32_e32 v1, 0x1f8, v1
	s_mov_b32 s13, 0
	v_dual_mov_b32 v2, v69 :: v_dual_add_nc_u32 v111, v2, v72
	v_add_nc_u32_e32 v109, v19, v72
	v_lshrrev_b32_e32 v19, 2, v37
	s_wait_loadcnt 0x0
	ds_store_b64 v106, v[17:18]
	ds_store_b64 v107, v[3:4] offset:2048
	ds_store_b64 v108, v[5:6] offset:4096
	;; [unrolled: 1-line block ×3, first 2 shown]
	v_dual_mov_b32 v7, v69 :: v_dual_and_b32 v4, 0x3f8, v20
	v_lshlrev_b32_e32 v5, 1, v73
	v_dual_mov_b32 v8, v69 :: v_dual_and_b32 v3, 0x3f8, v19
	v_mov_b32_e32 v6, v69
	v_add_nc_u32_e32 v110, v1, v72
	v_add_nc_u32_e32 v113, v4, v72
	s_delay_alu instid0(VALU_DEP_4)
	v_add_nc_u32_e32 v112, v3, v72
	ds_store_b64 v110, v[9:10] offset:8192
	ds_store_b64 v111, v[11:12] offset:10240
	;; [unrolled: 1-line block ×4, first 2 shown]
	v_dual_mov_b32 v10, v69 :: v_dual_and_b32 v1, 0x7f8, v5
	s_wait_dscnt 0x0
	s_barrier_signal -1
	s_barrier_wait -1
	global_inv scope:SCOPE_SE
	v_lshl_add_u32 v114, v73, 6, v1
	ds_load_2addr_b64 v[28:31], v114 offset1:1
	ds_load_2addr_b64 v[24:27], v114 offset0:2 offset1:3
	ds_load_2addr_b64 v[20:23], v114 offset0:4 offset1:5
	;; [unrolled: 1-line block ×3, first 2 shown]
	s_add_co_i32 s12, s1, s27
	v_mov_b32_e32 v11, 0
	v_mov_b32_e32 v1, v69
	v_dual_mov_b32 v3, v69 :: v_dual_mov_b32 v4, v69
	v_mov_b32_e32 v5, v69
	v_mov_b32_e32 v9, v69
	v_dual_mov_b32 v13, v69 :: v_dual_mov_b32 v12, 0
	v_mov_b32_e32 v14, v69
	s_wait_alu 0xfffe
	s_lshl_b64 s[12:13], s[12:13], 3
	s_wait_loadcnt_dscnt 0x0
	s_wait_alu 0xfffe
	s_add_nc_u64 s[34:35], s[10:11], s[12:13]
	s_barrier_signal -1
	s_barrier_wait -1
	global_inv scope:SCOPE_SE
	s_and_saveexec_b32 s1, s2
	s_cbranch_execnz .LBB191_59
; %bb.24:
	s_or_b32 exec_lo, exec_lo, s1
	s_and_saveexec_b32 s1, s3
	s_cbranch_execnz .LBB191_60
.LBB191_25:
	s_or_b32 exec_lo, exec_lo, s1
	s_and_saveexec_b32 s1, s4
	s_cbranch_execnz .LBB191_61
.LBB191_26:
	s_or_b32 exec_lo, exec_lo, s1
	s_and_saveexec_b32 s1, s5
	s_cbranch_execnz .LBB191_62
.LBB191_27:
	s_or_b32 exec_lo, exec_lo, s1
	s_and_saveexec_b32 s1, s6
	s_cbranch_execnz .LBB191_63
.LBB191_28:
	s_or_b32 exec_lo, exec_lo, s1
	s_and_saveexec_b32 s1, s7
	s_cbranch_execnz .LBB191_64
.LBB191_29:
	s_or_b32 exec_lo, exec_lo, s1
	s_and_saveexec_b32 s1, s8
	s_cbranch_execnz .LBB191_65
.LBB191_30:
	s_or_b32 exec_lo, exec_lo, s1
	s_xor_b32 s1, s20, -1
	s_and_saveexec_b32 s9, s0
	s_cbranch_execz .LBB191_32
.LBB191_31:
	v_mul_lo_u32 v13, s28, v38
	v_mov_b32_e32 v14, 0
	s_delay_alu instid0(VALU_DEP_1) | instskip(NEXT) | instid1(VALU_DEP_1)
	v_lshlrev_b64_e32 v[13:14], 3, v[13:14]
	v_add_co_u32 v13, vcc_lo, s34, v13
	s_wait_alu 0xfffd
	s_delay_alu instid0(VALU_DEP_2)
	v_add_co_ci_u32_e64 v14, null, s35, v14, vcc_lo
	global_load_b64 v[13:14], v[13:14], off
.LBB191_32:
	s_wait_alu 0xfffe
	s_or_b32 exec_lo, exec_lo, s9
	s_wait_loadcnt 0x0
	ds_store_b64 v106, v[11:12]
	ds_store_b64 v107, v[69:70] offset:2048
	ds_store_b64 v108, v[1:2] offset:4096
	;; [unrolled: 1-line block ×7, first 2 shown]
	s_wait_dscnt 0x0
	s_barrier_signal -1
	s_barrier_wait -1
	global_inv scope:SCOPE_SE
	ds_load_2addr_b64 v[44:47], v114 offset1:1
	ds_load_2addr_b64 v[40:43], v114 offset0:2 offset1:3
	ds_load_2addr_b64 v[36:39], v114 offset0:4 offset1:5
	;; [unrolled: 1-line block ×3, first 2 shown]
	s_and_b32 vcc_lo, exec_lo, s1
	v_bfe_u32 v120, v0, 10, 10
	v_bfe_u32 v121, v0, 20, 10
	v_ashrrev_i32_e32 v129, 31, v29
	v_ashrrev_i32_e32 v128, 31, v31
	;; [unrolled: 1-line block ×8, first 2 shown]
	v_mbcnt_lo_u32_b32 v118, -1, 0
	v_and_b32_e32 v119, 0x3e0, v73
	v_lshlrev_b32_e32 v115, 2, v72
	v_cmp_gt_u32_e64 s1, 8, v73
	v_cmp_lt_u32_e64 s9, 31, v73
	v_cmp_eq_u32_e64 s10, 0, v73
	v_lshlrev_b32_e32 v116, 2, v48
	v_mul_i32_i24_e32 v117, 0xffffffe4, v73
	s_wait_loadcnt_dscnt 0x0
	s_barrier_signal -1
	s_barrier_wait -1
	global_inv scope:SCOPE_SE
	s_wait_alu 0xfffe
	s_cbranch_vccz .LBB191_66
; %bb.33:
	v_cmp_lt_i64_e32 vcc_lo, -1, v[28:29]
	v_or_b32_e32 v14, v118, v119
	s_mov_b32 s36, 0
	s_getpc_b64 s[12:13]
	s_wait_alu 0xfffe
	s_sext_i32_i16 s13, s13
	s_add_co_u32 s12, s12, _ZN7rocprim17ROCPRIM_400000_NS16block_radix_sortIdLj256ELj8ElLj1ELj1ELj0ELNS0_26block_radix_rank_algorithmE1ELNS0_18block_padding_hintE2ELNS0_4arch9wavefront6targetE0EE19radix_bits_per_passE@rel32@lo+12
	s_wait_alu 0xfffe
	s_add_co_ci_u32 s13, s13, _ZN7rocprim17ROCPRIM_400000_NS16block_radix_sortIdLj256ELj8ElLj1ELj1ELj0ELNS0_26block_radix_rank_algorithmE1ELNS0_18block_padding_hintE2ELNS0_4arch9wavefront6targetE0EE19radix_bits_per_passE@rel32@hi+24
	s_mov_b32 s37, s36
	s_mov_b32 s38, s36
	s_wait_alu 0xfffd
	v_cndmask_b32_e64 v0, -1, 0x80000000, vcc_lo
	v_cmp_lt_i64_e32 vcc_lo, -1, v[30:31]
	v_lshlrev_b32_e32 v48, 6, v14
	s_mov_b32 s39, s36
	v_and_b32_e32 v69, 16, v118
	v_xor_b32_e32 v1, v0, v29
	v_xor_b32_e32 v0, v129, v28
	s_wait_alu 0xfffd
	v_cndmask_b32_e64 v2, -1, 0x80000000, vcc_lo
	v_cmp_lt_i64_e32 vcc_lo, -1, v[24:25]
	v_and_or_b32 v49, 0x1f00, v72, v118
	s_load_b32 s23, s[12:13], 0x0
	v_cmp_eq_u32_e64 s16, 0, v69
	v_xor_b32_e32 v3, v2, v31
	v_xor_b32_e32 v2, v128, v30
	v_cndmask_b32_e64 v4, -1, 0x80000000, vcc_lo
	v_cmp_lt_i64_e32 vcc_lo, -1, v[26:27]
	v_mov_b32_e32 v69, 0
	v_xor_b32_e32 v14, v122, v18
	v_add_nc_u32_e32 v132, -4, v116
	v_xor_b32_e32 v5, v4, v25
	v_xor_b32_e32 v4, v127, v24
	s_wait_alu 0xfffd
	v_cndmask_b32_e64 v6, -1, 0x80000000, vcc_lo
	v_cmp_lt_i64_e32 vcc_lo, -1, v[20:21]
	v_add_nc_u32_e32 v134, v115, v117
	s_mov_b32 s26, -1
	s_brev_b32 s27, -2
	v_xor_b32_e32 v7, v6, v27
	v_xor_b32_e32 v6, v126, v26
	s_wait_alu 0xfffd
	v_cndmask_b32_e64 v8, -1, 0x80000000, vcc_lo
	v_cmp_lt_i64_e32 vcc_lo, -1, v[22:23]
	ds_store_b128 v48, v[0:3]
	ds_store_b128 v48, v[4:7] offset:16
	v_sub_co_u32 v3, s12, v118, 1
	v_xor_b32_e32 v9, v8, v21
	s_wait_alu 0xfffd
	v_cndmask_b32_e64 v10, -1, 0x80000000, vcc_lo
	v_cmp_lt_i64_e32 vcc_lo, -1, v[16:17]
	v_xor_b32_e32 v8, v125, v20
	v_and_b32_e32 v2, 15, v118
	s_mov_b32 s29, 64
	v_xor_b32_e32 v11, v10, v23
	v_xor_b32_e32 v10, v124, v22
	s_wait_alu 0xfffd
	v_cndmask_b32_e64 v12, -1, 0x80000000, vcc_lo
	v_cmp_lt_i64_e32 vcc_lo, -1, v[18:19]
	v_cmp_lt_u32_e64 s13, 1, v2
	v_cmp_lt_u32_e64 s15, 7, v2
	v_mov_b32_e32 v70, 0
	v_xor_b32_e32 v13, v12, v17
	v_xor_b32_e32 v12, v123, v16
	s_wait_alu 0xfffd
	v_cndmask_b32_e64 v15, -1, 0x80000000, vcc_lo
	v_cmp_gt_i32_e32 vcc_lo, 0, v3
	v_lshlrev_b32_e32 v130, 3, v49
	s_delay_alu instid0(VALU_DEP_3)
	v_xor_b32_e32 v15, v15, v19
	ds_store_b128 v48, v[8:11] offset:32
	ds_store_b128 v48, v[12:15] offset:48
	; wave barrier
	s_wait_alu 0xfffd
	v_cndmask_b32_e32 v3, v3, v118, vcc_lo
	ds_load_2addr_b64 v[4:7], v130 offset1:32
	ds_load_2addr_b64 v[8:11], v130 offset0:64 offset1:96
	ds_load_2addr_b64 v[12:15], v130 offset0:128 offset1:160
	;; [unrolled: 1-line block ×3, first 2 shown]
	; wave barrier
	ds_store_b128 v48, v[44:47]
	ds_store_b128 v48, v[40:43] offset:16
	ds_store_b128 v48, v[36:39] offset:32
	;; [unrolled: 1-line block ×3, first 2 shown]
	; wave barrier
	ds_load_2addr_b64 v[48:51], v130 offset1:32
	ds_load_2addr_b64 v[52:55], v130 offset0:64 offset1:96
	ds_load_2addr_b64 v[56:59], v130 offset0:128 offset1:160
	;; [unrolled: 1-line block ×3, first 2 shown]
	s_wait_loadcnt_dscnt 0x0
	s_barrier_signal -1
	s_barrier_wait -1
	global_inv scope:SCOPE_SE
	s_load_b32 s11, s[24:25], 0xc
	v_lshlrev_b32_e32 v131, 2, v3
	s_wait_kmcnt 0x0
	s_lshr_b32 s14, s11, 16
	s_and_b32 s11, s11, 0xffff
	s_wait_alu 0xfffe
	v_mad_u32_u24 v0, v121, s14, v120
	v_cmp_lt_u32_e64 s14, 3, v2
	s_delay_alu instid0(VALU_DEP_2) | instskip(SKIP_3) | instid1(VALU_DEP_3)
	v_mad_co_u64_u32 v[0:1], null, v0, s11, v[73:74]
	v_min_u32_e32 v1, 0xe0, v119
	v_cmp_eq_u32_e64 s11, 0, v2
	v_and_b32_e32 v2, 7, v118
	v_or_b32_e32 v1, 31, v1
	v_lshrrev_b32_e32 v0, 3, v0
	s_delay_alu instid0(VALU_DEP_3)
	v_cmp_eq_u32_e64 s18, 0, v2
	v_cmp_lt_u32_e64 s19, 1, v2
	v_cmp_lt_u32_e64 s20, 3, v2
	v_cmp_eq_u32_e64 s17, v73, v1
	v_dual_mov_b32 v0, s36 :: v_dual_and_b32 v133, 0x1ffffffc, v0
	v_dual_mov_b32 v1, s37 :: v_dual_mov_b32 v2, s38
	v_mov_b32_e32 v3, s39
	s_branch .LBB191_35
.LBB191_34:                             ;   in Loop: Header=BB191_35 Depth=1
	s_wait_alu 0xfffe
	s_and_not1_b32 vcc_lo, exec_lo, s21
	s_wait_alu 0xfffe
	s_cbranch_vccz .LBB191_67
.LBB191_35:                             ; =>This Inner Loop Header: Depth=1
	v_dual_mov_b32 v75, v5 :: v_dual_mov_b32 v74, v4
	s_min_u32 s21, s23, s29
	v_mov_b32_e32 v79, v65
	s_wait_alu 0xfffe
	s_lshl_b32 s21, -1, s21
	ds_store_b128 v115, v[0:3] offset:32
	ds_store_b128 v115, v[0:3] offset:48
	v_cmp_ne_u64_e32 vcc_lo, s[26:27], v[74:75]
	s_wait_alu 0xfffe
	s_not_b32 s33, s21
	s_wait_loadcnt_dscnt 0x0
	s_barrier_signal -1
	s_barrier_wait -1
	s_wait_alu 0xfffd
	v_dual_mov_b32 v77, v67 :: v_dual_cndmask_b32 v4, 0, v74
	v_dual_cndmask_b32 v5, 0x80000000, v75 :: v_dual_mov_b32 v76, v66
	global_inv scope:SCOPE_SE
	; wave barrier
	v_lshrrev_b64 v[4:5], v69, v[4:5]
	v_dual_mov_b32 v78, v64 :: v_dual_mov_b32 v99, v13
	v_mov_b32_e32 v101, v11
	v_mov_b32_e32 v103, v9
	;; [unrolled: 1-line block ×3, first 2 shown]
	s_wait_alu 0xfffe
	v_and_b32_e32 v5, s33, v4
	v_dual_mov_b32 v81, v15 :: v_dual_mov_b32 v80, v14
	v_mov_b32_e32 v98, v12
	s_delay_alu instid0(VALU_DEP_3)
	v_dual_mov_b32 v100, v10 :: v_dual_lshlrev_b32 v67, 26, v5
	v_and_b32_e32 v4, 1, v5
	v_lshlrev_b32_e32 v14, 30, v5
	v_lshlrev_b32_e32 v15, 29, v5
	;; [unrolled: 1-line block ×4, first 2 shown]
	v_add_co_u32 v4, s21, v4, -1
	s_wait_alu 0xf1ff
	v_cndmask_b32_e64 v65, 0, 1, s21
	v_not_b32_e32 v83, v14
	v_cmp_gt_i32_e64 s21, 0, v14
	v_not_b32_e32 v14, v15
	v_lshlrev_b32_e32 v82, 25, v5
	v_cmp_ne_u32_e32 vcc_lo, 0, v65
	v_ashrrev_i32_e32 v83, 31, v83
	v_dual_mov_b32 v102, v8 :: v_dual_lshlrev_b32 v65, 24, v5
	v_ashrrev_i32_e32 v14, 31, v14
	s_wait_alu 0xfffd
	v_xor_b32_e32 v4, vcc_lo, v4
	v_cmp_gt_i32_e32 vcc_lo, 0, v15
	v_not_b32_e32 v15, v64
	s_wait_alu 0xf1ff
	v_xor_b32_e32 v83, s21, v83
	v_cmp_gt_i32_e64 s21, 0, v64
	v_and_b32_e32 v4, exec_lo, v4
	v_not_b32_e32 v64, v66
	v_ashrrev_i32_e32 v15, 31, v15
	s_wait_alu 0xfffd
	v_xor_b32_e32 v14, vcc_lo, v14
	v_cmp_gt_i32_e32 vcc_lo, 0, v66
	v_dual_mov_b32 v85, v61 :: v_dual_and_b32 v4, v4, v83
	v_not_b32_e32 v66, v67
	v_ashrrev_i32_e32 v64, 31, v64
	s_wait_alu 0xf1ff
	v_xor_b32_e32 v15, s21, v15
	v_dual_mov_b32 v87, v59 :: v_dual_and_b32 v4, v4, v14
	v_cmp_gt_i32_e64 s21, 0, v67
	v_not_b32_e32 v14, v82
	v_ashrrev_i32_e32 v66, 31, v66
	s_wait_alu 0xfffd
	v_xor_b32_e32 v64, vcc_lo, v64
	v_dual_mov_b32 v89, v57 :: v_dual_and_b32 v4, v4, v15
	v_cmp_gt_i32_e32 vcc_lo, 0, v82
	v_not_b32_e32 v15, v65
	v_ashrrev_i32_e32 v14, 31, v14
	s_wait_alu 0xf1ff
	v_xor_b32_e32 v66, s21, v66
	v_dual_mov_b32 v91, v55 :: v_dual_and_b32 v4, v4, v64
	v_cmp_gt_i32_e64 s21, 0, v65
	v_ashrrev_i32_e32 v12, 31, v15
	s_wait_alu 0xfffd
	v_xor_b32_e32 v13, vcc_lo, v14
	v_dual_mov_b32 v93, v53 :: v_dual_and_b32 v4, v4, v66
	v_dual_mov_b32 v104, v6 :: v_dual_mov_b32 v95, v51
	s_wait_alu 0xf1ff
	v_xor_b32_e32 v6, s21, v12
	s_delay_alu instid0(VALU_DEP_3) | instskip(SKIP_2) | instid1(VALU_DEP_3)
	v_dual_mov_b32 v97, v49 :: v_dual_and_b32 v4, v4, v13
	v_dual_mov_b32 v83, v63 :: v_dual_mov_b32 v82, v62
	v_lshlrev_b32_e32 v5, 5, v5
	v_and_b32_e32 v4, v4, v6
	v_mov_b32_e32 v84, v60
	v_mov_b32_e32 v86, v58
	;; [unrolled: 1-line block ×4, first 2 shown]
	v_mbcnt_lo_u32_b32 v12, v4, 0
	v_cmp_ne_u32_e64 s21, 0, v4
	v_mov_b32_e32 v92, v52
	v_mov_b32_e32 v94, v50
	;; [unrolled: 1-line block ×3, first 2 shown]
	v_cmp_eq_u32_e32 vcc_lo, 0, v12
	v_add_nc_u32_e32 v13, v133, v5
	s_and_b32 s36, s21, vcc_lo
	s_wait_alu 0xfffe
	s_and_saveexec_b32 s21, s36
; %bb.36:                               ;   in Loop: Header=BB191_35 Depth=1
	v_bcnt_u32_b32 v4, v4, 0
	ds_store_b32 v13, v4 offset:32
; %bb.37:                               ;   in Loop: Header=BB191_35 Depth=1
	s_wait_alu 0xfffe
	s_or_b32 exec_lo, exec_lo, s21
	v_cmp_ne_u64_e32 vcc_lo, s[26:27], v[104:105]
	; wave barrier
	s_wait_alu 0xfffd
	v_cndmask_b32_e32 v5, 0x80000000, v105, vcc_lo
	v_cndmask_b32_e32 v4, 0, v104, vcc_lo
	s_delay_alu instid0(VALU_DEP_1) | instskip(NEXT) | instid1(VALU_DEP_1)
	v_lshrrev_b64 v[4:5], v69, v[4:5]
	v_and_b32_e32 v4, s33, v4
	s_delay_alu instid0(VALU_DEP_1)
	v_and_b32_e32 v5, 1, v4
	v_lshlrev_b32_e32 v6, 30, v4
	v_lshlrev_b32_e32 v7, 29, v4
	v_lshlrev_b32_e32 v8, 28, v4
	v_lshlrev_b32_e32 v10, 27, v4
	v_add_co_u32 v5, s21, v5, -1
	s_wait_alu 0xf1ff
	v_cndmask_b32_e64 v9, 0, 1, s21
	v_not_b32_e32 v15, v6
	v_cmp_gt_i32_e64 s21, 0, v6
	v_not_b32_e32 v6, v7
	v_lshlrev_b32_e32 v11, 26, v4
	v_cmp_ne_u32_e32 vcc_lo, 0, v9
	v_ashrrev_i32_e32 v15, 31, v15
	v_lshlrev_b32_e32 v14, 25, v4
	v_ashrrev_i32_e32 v6, 31, v6
	v_lshlrev_b32_e32 v9, 24, v4
	s_wait_alu 0xfffd
	v_xor_b32_e32 v5, vcc_lo, v5
	v_cmp_gt_i32_e32 vcc_lo, 0, v7
	v_not_b32_e32 v7, v8
	s_wait_alu 0xf1ff
	v_xor_b32_e32 v15, s21, v15
	v_cmp_gt_i32_e64 s21, 0, v8
	v_and_b32_e32 v5, exec_lo, v5
	v_not_b32_e32 v8, v10
	v_ashrrev_i32_e32 v7, 31, v7
	s_wait_alu 0xfffd
	v_xor_b32_e32 v6, vcc_lo, v6
	v_cmp_gt_i32_e32 vcc_lo, 0, v10
	v_and_b32_e32 v5, v5, v15
	v_not_b32_e32 v10, v11
	v_ashrrev_i32_e32 v8, 31, v8
	s_wait_alu 0xf1ff
	v_xor_b32_e32 v7, s21, v7
	v_cmp_gt_i32_e64 s21, 0, v11
	v_and_b32_e32 v5, v5, v6
	v_not_b32_e32 v6, v14
	v_ashrrev_i32_e32 v10, 31, v10
	s_wait_alu 0xfffd
	v_xor_b32_e32 v8, vcc_lo, v8
	v_cmp_gt_i32_e32 vcc_lo, 0, v14
	v_and_b32_e32 v5, v5, v7
	v_not_b32_e32 v7, v9
	v_ashrrev_i32_e32 v6, 31, v6
	s_wait_alu 0xf1ff
	v_xor_b32_e32 v10, s21, v10
	v_lshlrev_b32_e32 v4, 5, v4
	v_and_b32_e32 v5, v5, v8
	v_cmp_gt_i32_e64 s21, 0, v9
	v_ashrrev_i32_e32 v7, 31, v7
	s_wait_alu 0xfffd
	v_xor_b32_e32 v6, vcc_lo, v6
	v_add_nc_u32_e32 v48, v133, v4
	v_and_b32_e32 v5, v5, v10
	s_wait_alu 0xf1ff
	v_xor_b32_e32 v4, s21, v7
	ds_load_b32 v14, v48 offset:32
	v_and_b32_e32 v5, v5, v6
	; wave barrier
	s_delay_alu instid0(VALU_DEP_1) | instskip(NEXT) | instid1(VALU_DEP_1)
	v_and_b32_e32 v4, v5, v4
	v_mbcnt_lo_u32_b32 v15, v4, 0
	v_cmp_ne_u32_e64 s21, 0, v4
	s_delay_alu instid0(VALU_DEP_2)
	v_cmp_eq_u32_e32 vcc_lo, 0, v15
	s_and_b32 s36, s21, vcc_lo
	s_wait_alu 0xfffe
	s_and_saveexec_b32 s21, s36
	s_cbranch_execz .LBB191_39
; %bb.38:                               ;   in Loop: Header=BB191_35 Depth=1
	s_wait_dscnt 0x0
	v_bcnt_u32_b32 v4, v4, v14
	ds_store_b32 v48, v4 offset:32
.LBB191_39:                             ;   in Loop: Header=BB191_35 Depth=1
	s_wait_alu 0xfffe
	s_or_b32 exec_lo, exec_lo, s21
	v_cmp_ne_u64_e32 vcc_lo, s[26:27], v[102:103]
	; wave barrier
	s_wait_alu 0xfffd
	v_cndmask_b32_e32 v5, 0x80000000, v103, vcc_lo
	v_cndmask_b32_e32 v4, 0, v102, vcc_lo
	s_delay_alu instid0(VALU_DEP_1) | instskip(NEXT) | instid1(VALU_DEP_1)
	v_lshrrev_b64 v[4:5], v69, v[4:5]
	v_and_b32_e32 v4, s33, v4
	s_delay_alu instid0(VALU_DEP_1)
	v_and_b32_e32 v5, 1, v4
	v_lshlrev_b32_e32 v6, 30, v4
	v_lshlrev_b32_e32 v7, 29, v4
	;; [unrolled: 1-line block ×4, first 2 shown]
	v_add_co_u32 v5, s21, v5, -1
	s_wait_alu 0xf1ff
	v_cndmask_b32_e64 v9, 0, 1, s21
	v_not_b32_e32 v50, v6
	v_cmp_gt_i32_e64 s21, 0, v6
	v_not_b32_e32 v6, v7
	v_lshlrev_b32_e32 v11, 26, v4
	v_cmp_ne_u32_e32 vcc_lo, 0, v9
	v_ashrrev_i32_e32 v50, 31, v50
	v_lshlrev_b32_e32 v49, 25, v4
	v_ashrrev_i32_e32 v6, 31, v6
	v_lshlrev_b32_e32 v9, 24, v4
	s_wait_alu 0xfffd
	v_xor_b32_e32 v5, vcc_lo, v5
	v_cmp_gt_i32_e32 vcc_lo, 0, v7
	v_not_b32_e32 v7, v8
	s_wait_alu 0xf1ff
	v_xor_b32_e32 v50, s21, v50
	v_cmp_gt_i32_e64 s21, 0, v8
	v_and_b32_e32 v5, exec_lo, v5
	v_not_b32_e32 v8, v10
	v_ashrrev_i32_e32 v7, 31, v7
	s_wait_alu 0xfffd
	v_xor_b32_e32 v6, vcc_lo, v6
	v_cmp_gt_i32_e32 vcc_lo, 0, v10
	v_and_b32_e32 v5, v5, v50
	v_not_b32_e32 v10, v11
	v_ashrrev_i32_e32 v8, 31, v8
	s_wait_alu 0xf1ff
	v_xor_b32_e32 v7, s21, v7
	v_cmp_gt_i32_e64 s21, 0, v11
	v_and_b32_e32 v5, v5, v6
	v_not_b32_e32 v6, v49
	v_ashrrev_i32_e32 v10, 31, v10
	s_wait_alu 0xfffd
	v_xor_b32_e32 v8, vcc_lo, v8
	v_cmp_gt_i32_e32 vcc_lo, 0, v49
	v_and_b32_e32 v5, v5, v7
	v_not_b32_e32 v7, v9
	v_ashrrev_i32_e32 v6, 31, v6
	s_wait_alu 0xf1ff
	v_xor_b32_e32 v10, s21, v10
	v_lshlrev_b32_e32 v4, 5, v4
	v_and_b32_e32 v5, v5, v8
	v_cmp_gt_i32_e64 s21, 0, v9
	v_ashrrev_i32_e32 v7, 31, v7
	s_wait_alu 0xfffd
	v_xor_b32_e32 v6, vcc_lo, v6
	v_add_nc_u32_e32 v51, v133, v4
	v_and_b32_e32 v5, v5, v10
	s_wait_alu 0xf1ff
	v_xor_b32_e32 v4, s21, v7
	ds_load_b32 v49, v51 offset:32
	v_and_b32_e32 v5, v5, v6
	; wave barrier
	s_delay_alu instid0(VALU_DEP_1) | instskip(NEXT) | instid1(VALU_DEP_1)
	v_and_b32_e32 v4, v5, v4
	v_mbcnt_lo_u32_b32 v50, v4, 0
	v_cmp_ne_u32_e64 s21, 0, v4
	s_delay_alu instid0(VALU_DEP_2)
	v_cmp_eq_u32_e32 vcc_lo, 0, v50
	s_and_b32 s36, s21, vcc_lo
	s_wait_alu 0xfffe
	s_and_saveexec_b32 s21, s36
	s_cbranch_execz .LBB191_41
; %bb.40:                               ;   in Loop: Header=BB191_35 Depth=1
	s_wait_dscnt 0x0
	v_bcnt_u32_b32 v4, v4, v49
	ds_store_b32 v51, v4 offset:32
.LBB191_41:                             ;   in Loop: Header=BB191_35 Depth=1
	s_wait_alu 0xfffe
	s_or_b32 exec_lo, exec_lo, s21
	v_cmp_ne_u64_e32 vcc_lo, s[26:27], v[100:101]
	; wave barrier
	s_wait_alu 0xfffd
	v_cndmask_b32_e32 v5, 0x80000000, v101, vcc_lo
	v_cndmask_b32_e32 v4, 0, v100, vcc_lo
	s_delay_alu instid0(VALU_DEP_1) | instskip(NEXT) | instid1(VALU_DEP_1)
	v_lshrrev_b64 v[4:5], v69, v[4:5]
	v_and_b32_e32 v4, s33, v4
	s_delay_alu instid0(VALU_DEP_1)
	v_and_b32_e32 v5, 1, v4
	v_lshlrev_b32_e32 v6, 30, v4
	v_lshlrev_b32_e32 v7, 29, v4
	;; [unrolled: 1-line block ×4, first 2 shown]
	v_add_co_u32 v5, s21, v5, -1
	s_wait_alu 0xf1ff
	v_cndmask_b32_e64 v9, 0, 1, s21
	v_not_b32_e32 v53, v6
	v_cmp_gt_i32_e64 s21, 0, v6
	v_not_b32_e32 v6, v7
	v_lshlrev_b32_e32 v11, 26, v4
	v_cmp_ne_u32_e32 vcc_lo, 0, v9
	v_ashrrev_i32_e32 v53, 31, v53
	v_lshlrev_b32_e32 v52, 25, v4
	v_ashrrev_i32_e32 v6, 31, v6
	v_lshlrev_b32_e32 v9, 24, v4
	s_wait_alu 0xfffd
	v_xor_b32_e32 v5, vcc_lo, v5
	v_cmp_gt_i32_e32 vcc_lo, 0, v7
	v_not_b32_e32 v7, v8
	s_wait_alu 0xf1ff
	v_xor_b32_e32 v53, s21, v53
	v_cmp_gt_i32_e64 s21, 0, v8
	v_and_b32_e32 v5, exec_lo, v5
	v_not_b32_e32 v8, v10
	v_ashrrev_i32_e32 v7, 31, v7
	s_wait_alu 0xfffd
	v_xor_b32_e32 v6, vcc_lo, v6
	v_cmp_gt_i32_e32 vcc_lo, 0, v10
	v_and_b32_e32 v5, v5, v53
	v_not_b32_e32 v10, v11
	v_ashrrev_i32_e32 v8, 31, v8
	s_wait_alu 0xf1ff
	v_xor_b32_e32 v7, s21, v7
	v_cmp_gt_i32_e64 s21, 0, v11
	v_and_b32_e32 v5, v5, v6
	v_not_b32_e32 v6, v52
	v_ashrrev_i32_e32 v10, 31, v10
	s_wait_alu 0xfffd
	v_xor_b32_e32 v8, vcc_lo, v8
	v_cmp_gt_i32_e32 vcc_lo, 0, v52
	v_and_b32_e32 v5, v5, v7
	v_not_b32_e32 v7, v9
	v_ashrrev_i32_e32 v6, 31, v6
	s_wait_alu 0xf1ff
	v_xor_b32_e32 v10, s21, v10
	v_lshlrev_b32_e32 v4, 5, v4
	v_and_b32_e32 v5, v5, v8
	v_cmp_gt_i32_e64 s21, 0, v9
	v_ashrrev_i32_e32 v7, 31, v7
	s_wait_alu 0xfffd
	v_xor_b32_e32 v6, vcc_lo, v6
	v_add_nc_u32_e32 v54, v133, v4
	v_and_b32_e32 v5, v5, v10
	s_wait_alu 0xf1ff
	v_xor_b32_e32 v4, s21, v7
	ds_load_b32 v52, v54 offset:32
	v_and_b32_e32 v5, v5, v6
	; wave barrier
	s_delay_alu instid0(VALU_DEP_1) | instskip(NEXT) | instid1(VALU_DEP_1)
	v_and_b32_e32 v4, v5, v4
	v_mbcnt_lo_u32_b32 v53, v4, 0
	v_cmp_ne_u32_e64 s21, 0, v4
	s_delay_alu instid0(VALU_DEP_2)
	v_cmp_eq_u32_e32 vcc_lo, 0, v53
	s_and_b32 s36, s21, vcc_lo
	s_wait_alu 0xfffe
	s_and_saveexec_b32 s21, s36
	s_cbranch_execz .LBB191_43
; %bb.42:                               ;   in Loop: Header=BB191_35 Depth=1
	s_wait_dscnt 0x0
	v_bcnt_u32_b32 v4, v4, v52
	ds_store_b32 v54, v4 offset:32
.LBB191_43:                             ;   in Loop: Header=BB191_35 Depth=1
	s_wait_alu 0xfffe
	s_or_b32 exec_lo, exec_lo, s21
	v_cmp_ne_u64_e32 vcc_lo, s[26:27], v[98:99]
	; wave barrier
	s_wait_alu 0xfffd
	v_cndmask_b32_e32 v5, 0x80000000, v99, vcc_lo
	v_cndmask_b32_e32 v4, 0, v98, vcc_lo
	s_delay_alu instid0(VALU_DEP_1) | instskip(NEXT) | instid1(VALU_DEP_1)
	v_lshrrev_b64 v[4:5], v69, v[4:5]
	v_and_b32_e32 v4, s33, v4
	s_delay_alu instid0(VALU_DEP_1)
	v_and_b32_e32 v5, 1, v4
	v_lshlrev_b32_e32 v6, 30, v4
	v_lshlrev_b32_e32 v7, 29, v4
	;; [unrolled: 1-line block ×4, first 2 shown]
	v_add_co_u32 v5, s21, v5, -1
	s_wait_alu 0xf1ff
	v_cndmask_b32_e64 v9, 0, 1, s21
	v_not_b32_e32 v56, v6
	v_cmp_gt_i32_e64 s21, 0, v6
	v_not_b32_e32 v6, v7
	v_lshlrev_b32_e32 v11, 26, v4
	v_cmp_ne_u32_e32 vcc_lo, 0, v9
	v_ashrrev_i32_e32 v56, 31, v56
	v_lshlrev_b32_e32 v55, 25, v4
	v_ashrrev_i32_e32 v6, 31, v6
	v_lshlrev_b32_e32 v9, 24, v4
	s_wait_alu 0xfffd
	v_xor_b32_e32 v5, vcc_lo, v5
	v_cmp_gt_i32_e32 vcc_lo, 0, v7
	v_not_b32_e32 v7, v8
	s_wait_alu 0xf1ff
	v_xor_b32_e32 v56, s21, v56
	v_cmp_gt_i32_e64 s21, 0, v8
	v_and_b32_e32 v5, exec_lo, v5
	v_not_b32_e32 v8, v10
	v_ashrrev_i32_e32 v7, 31, v7
	s_wait_alu 0xfffd
	v_xor_b32_e32 v6, vcc_lo, v6
	v_cmp_gt_i32_e32 vcc_lo, 0, v10
	v_and_b32_e32 v5, v5, v56
	v_not_b32_e32 v10, v11
	v_ashrrev_i32_e32 v8, 31, v8
	s_wait_alu 0xf1ff
	v_xor_b32_e32 v7, s21, v7
	v_cmp_gt_i32_e64 s21, 0, v11
	v_and_b32_e32 v5, v5, v6
	v_not_b32_e32 v6, v55
	v_ashrrev_i32_e32 v10, 31, v10
	s_wait_alu 0xfffd
	v_xor_b32_e32 v8, vcc_lo, v8
	v_cmp_gt_i32_e32 vcc_lo, 0, v55
	v_and_b32_e32 v5, v5, v7
	v_not_b32_e32 v7, v9
	v_ashrrev_i32_e32 v6, 31, v6
	s_wait_alu 0xf1ff
	v_xor_b32_e32 v10, s21, v10
	v_lshlrev_b32_e32 v4, 5, v4
	v_and_b32_e32 v5, v5, v8
	v_cmp_gt_i32_e64 s21, 0, v9
	v_ashrrev_i32_e32 v7, 31, v7
	s_wait_alu 0xfffd
	v_xor_b32_e32 v6, vcc_lo, v6
	v_add_nc_u32_e32 v57, v133, v4
	v_and_b32_e32 v5, v5, v10
	s_wait_alu 0xf1ff
	v_xor_b32_e32 v4, s21, v7
	ds_load_b32 v55, v57 offset:32
	v_and_b32_e32 v5, v5, v6
	; wave barrier
	s_delay_alu instid0(VALU_DEP_1) | instskip(NEXT) | instid1(VALU_DEP_1)
	v_and_b32_e32 v4, v5, v4
	v_mbcnt_lo_u32_b32 v56, v4, 0
	v_cmp_ne_u32_e64 s21, 0, v4
	s_delay_alu instid0(VALU_DEP_2)
	v_cmp_eq_u32_e32 vcc_lo, 0, v56
	s_and_b32 s36, s21, vcc_lo
	s_wait_alu 0xfffe
	s_and_saveexec_b32 s21, s36
	s_cbranch_execz .LBB191_45
; %bb.44:                               ;   in Loop: Header=BB191_35 Depth=1
	s_wait_dscnt 0x0
	v_bcnt_u32_b32 v4, v4, v55
	ds_store_b32 v57, v4 offset:32
.LBB191_45:                             ;   in Loop: Header=BB191_35 Depth=1
	s_wait_alu 0xfffe
	s_or_b32 exec_lo, exec_lo, s21
	v_cmp_ne_u64_e32 vcc_lo, s[26:27], v[80:81]
	; wave barrier
	s_wait_alu 0xfffd
	v_cndmask_b32_e32 v5, 0x80000000, v81, vcc_lo
	v_cndmask_b32_e32 v4, 0, v80, vcc_lo
	s_delay_alu instid0(VALU_DEP_1) | instskip(NEXT) | instid1(VALU_DEP_1)
	v_lshrrev_b64 v[4:5], v69, v[4:5]
	v_and_b32_e32 v4, s33, v4
	s_delay_alu instid0(VALU_DEP_1)
	v_and_b32_e32 v5, 1, v4
	v_lshlrev_b32_e32 v6, 30, v4
	v_lshlrev_b32_e32 v7, 29, v4
	;; [unrolled: 1-line block ×4, first 2 shown]
	v_add_co_u32 v5, s21, v5, -1
	s_wait_alu 0xf1ff
	v_cndmask_b32_e64 v9, 0, 1, s21
	v_not_b32_e32 v59, v6
	v_cmp_gt_i32_e64 s21, 0, v6
	v_not_b32_e32 v6, v7
	v_lshlrev_b32_e32 v11, 26, v4
	v_cmp_ne_u32_e32 vcc_lo, 0, v9
	v_ashrrev_i32_e32 v59, 31, v59
	v_lshlrev_b32_e32 v58, 25, v4
	v_ashrrev_i32_e32 v6, 31, v6
	v_lshlrev_b32_e32 v9, 24, v4
	s_wait_alu 0xfffd
	v_xor_b32_e32 v5, vcc_lo, v5
	v_cmp_gt_i32_e32 vcc_lo, 0, v7
	v_not_b32_e32 v7, v8
	s_wait_alu 0xf1ff
	v_xor_b32_e32 v59, s21, v59
	v_cmp_gt_i32_e64 s21, 0, v8
	v_and_b32_e32 v5, exec_lo, v5
	v_not_b32_e32 v8, v10
	v_ashrrev_i32_e32 v7, 31, v7
	s_wait_alu 0xfffd
	v_xor_b32_e32 v6, vcc_lo, v6
	v_cmp_gt_i32_e32 vcc_lo, 0, v10
	v_and_b32_e32 v5, v5, v59
	v_not_b32_e32 v10, v11
	v_ashrrev_i32_e32 v8, 31, v8
	s_wait_alu 0xf1ff
	v_xor_b32_e32 v7, s21, v7
	v_cmp_gt_i32_e64 s21, 0, v11
	v_and_b32_e32 v5, v5, v6
	v_not_b32_e32 v6, v58
	v_ashrrev_i32_e32 v10, 31, v10
	s_wait_alu 0xfffd
	v_xor_b32_e32 v8, vcc_lo, v8
	v_cmp_gt_i32_e32 vcc_lo, 0, v58
	v_and_b32_e32 v5, v5, v7
	v_not_b32_e32 v7, v9
	v_ashrrev_i32_e32 v6, 31, v6
	s_wait_alu 0xf1ff
	v_xor_b32_e32 v10, s21, v10
	v_lshlrev_b32_e32 v4, 5, v4
	v_and_b32_e32 v5, v5, v8
	v_cmp_gt_i32_e64 s21, 0, v9
	v_ashrrev_i32_e32 v7, 31, v7
	s_wait_alu 0xfffd
	v_xor_b32_e32 v6, vcc_lo, v6
	v_add_nc_u32_e32 v60, v133, v4
	v_and_b32_e32 v5, v5, v10
	s_wait_alu 0xf1ff
	v_xor_b32_e32 v4, s21, v7
	ds_load_b32 v58, v60 offset:32
	v_and_b32_e32 v5, v5, v6
	; wave barrier
	s_delay_alu instid0(VALU_DEP_1) | instskip(NEXT) | instid1(VALU_DEP_1)
	v_and_b32_e32 v4, v5, v4
	v_mbcnt_lo_u32_b32 v59, v4, 0
	v_cmp_ne_u32_e64 s21, 0, v4
	s_delay_alu instid0(VALU_DEP_2)
	v_cmp_eq_u32_e32 vcc_lo, 0, v59
	s_and_b32 s36, s21, vcc_lo
	s_wait_alu 0xfffe
	s_and_saveexec_b32 s21, s36
	s_cbranch_execz .LBB191_47
; %bb.46:                               ;   in Loop: Header=BB191_35 Depth=1
	s_wait_dscnt 0x0
	v_bcnt_u32_b32 v4, v4, v58
	ds_store_b32 v60, v4 offset:32
.LBB191_47:                             ;   in Loop: Header=BB191_35 Depth=1
	s_wait_alu 0xfffe
	s_or_b32 exec_lo, exec_lo, s21
	v_cmp_ne_u64_e32 vcc_lo, s[26:27], v[78:79]
	; wave barrier
	s_wait_alu 0xfffd
	v_cndmask_b32_e32 v5, 0x80000000, v79, vcc_lo
	v_cndmask_b32_e32 v4, 0, v78, vcc_lo
	s_delay_alu instid0(VALU_DEP_1) | instskip(NEXT) | instid1(VALU_DEP_1)
	v_lshrrev_b64 v[4:5], v69, v[4:5]
	v_and_b32_e32 v4, s33, v4
	s_delay_alu instid0(VALU_DEP_1)
	v_and_b32_e32 v5, 1, v4
	v_lshlrev_b32_e32 v6, 30, v4
	v_lshlrev_b32_e32 v7, 29, v4
	;; [unrolled: 1-line block ×4, first 2 shown]
	v_add_co_u32 v5, s21, v5, -1
	s_wait_alu 0xf1ff
	v_cndmask_b32_e64 v9, 0, 1, s21
	v_not_b32_e32 v62, v6
	v_cmp_gt_i32_e64 s21, 0, v6
	v_not_b32_e32 v6, v7
	v_lshlrev_b32_e32 v11, 26, v4
	v_cmp_ne_u32_e32 vcc_lo, 0, v9
	v_ashrrev_i32_e32 v62, 31, v62
	v_lshlrev_b32_e32 v61, 25, v4
	v_ashrrev_i32_e32 v6, 31, v6
	v_lshlrev_b32_e32 v9, 24, v4
	s_wait_alu 0xfffd
	v_xor_b32_e32 v5, vcc_lo, v5
	v_cmp_gt_i32_e32 vcc_lo, 0, v7
	v_not_b32_e32 v7, v8
	s_wait_alu 0xf1ff
	v_xor_b32_e32 v62, s21, v62
	v_cmp_gt_i32_e64 s21, 0, v8
	v_and_b32_e32 v5, exec_lo, v5
	v_not_b32_e32 v8, v10
	v_ashrrev_i32_e32 v7, 31, v7
	s_wait_alu 0xfffd
	v_xor_b32_e32 v6, vcc_lo, v6
	v_cmp_gt_i32_e32 vcc_lo, 0, v10
	v_and_b32_e32 v5, v5, v62
	v_not_b32_e32 v10, v11
	v_ashrrev_i32_e32 v8, 31, v8
	s_wait_alu 0xf1ff
	v_xor_b32_e32 v7, s21, v7
	v_cmp_gt_i32_e64 s21, 0, v11
	v_and_b32_e32 v5, v5, v6
	v_not_b32_e32 v6, v61
	v_ashrrev_i32_e32 v10, 31, v10
	s_wait_alu 0xfffd
	v_xor_b32_e32 v8, vcc_lo, v8
	v_cmp_gt_i32_e32 vcc_lo, 0, v61
	v_and_b32_e32 v5, v5, v7
	v_not_b32_e32 v7, v9
	v_ashrrev_i32_e32 v6, 31, v6
	s_wait_alu 0xf1ff
	v_xor_b32_e32 v10, s21, v10
	v_lshlrev_b32_e32 v4, 5, v4
	v_and_b32_e32 v5, v5, v8
	v_cmp_gt_i32_e64 s21, 0, v9
	v_ashrrev_i32_e32 v7, 31, v7
	s_wait_alu 0xfffd
	v_xor_b32_e32 v6, vcc_lo, v6
	v_add_nc_u32_e32 v63, v133, v4
	v_and_b32_e32 v5, v5, v10
	s_wait_alu 0xf1ff
	v_xor_b32_e32 v4, s21, v7
	ds_load_b32 v61, v63 offset:32
	v_and_b32_e32 v5, v5, v6
	; wave barrier
	s_delay_alu instid0(VALU_DEP_1) | instskip(NEXT) | instid1(VALU_DEP_1)
	v_and_b32_e32 v4, v5, v4
	v_mbcnt_lo_u32_b32 v62, v4, 0
	v_cmp_ne_u32_e64 s21, 0, v4
	s_delay_alu instid0(VALU_DEP_2)
	v_cmp_eq_u32_e32 vcc_lo, 0, v62
	s_and_b32 s36, s21, vcc_lo
	s_wait_alu 0xfffe
	s_and_saveexec_b32 s21, s36
	s_cbranch_execz .LBB191_49
; %bb.48:                               ;   in Loop: Header=BB191_35 Depth=1
	s_wait_dscnt 0x0
	v_bcnt_u32_b32 v4, v4, v61
	ds_store_b32 v63, v4 offset:32
.LBB191_49:                             ;   in Loop: Header=BB191_35 Depth=1
	s_wait_alu 0xfffe
	s_or_b32 exec_lo, exec_lo, s21
	v_cmp_ne_u64_e32 vcc_lo, s[26:27], v[76:77]
	; wave barrier
	s_wait_alu 0xfffd
	v_cndmask_b32_e32 v5, 0x80000000, v77, vcc_lo
	v_cndmask_b32_e32 v4, 0, v76, vcc_lo
	s_delay_alu instid0(VALU_DEP_1) | instskip(NEXT) | instid1(VALU_DEP_1)
	v_lshrrev_b64 v[4:5], v69, v[4:5]
	v_and_b32_e32 v4, s33, v4
	s_delay_alu instid0(VALU_DEP_1)
	v_and_b32_e32 v5, 1, v4
	v_lshlrev_b32_e32 v6, 30, v4
	v_lshlrev_b32_e32 v7, 29, v4
	;; [unrolled: 1-line block ×4, first 2 shown]
	v_add_co_u32 v5, s21, v5, -1
	s_wait_alu 0xf1ff
	v_cndmask_b32_e64 v9, 0, 1, s21
	v_not_b32_e32 v65, v6
	v_cmp_gt_i32_e64 s21, 0, v6
	v_not_b32_e32 v6, v7
	v_lshlrev_b32_e32 v11, 26, v4
	v_cmp_ne_u32_e32 vcc_lo, 0, v9
	v_ashrrev_i32_e32 v65, 31, v65
	v_lshlrev_b32_e32 v64, 25, v4
	v_ashrrev_i32_e32 v6, 31, v6
	v_lshlrev_b32_e32 v9, 24, v4
	s_wait_alu 0xfffd
	v_xor_b32_e32 v5, vcc_lo, v5
	v_cmp_gt_i32_e32 vcc_lo, 0, v7
	v_not_b32_e32 v7, v8
	s_wait_alu 0xf1ff
	v_xor_b32_e32 v65, s21, v65
	v_cmp_gt_i32_e64 s21, 0, v8
	v_and_b32_e32 v5, exec_lo, v5
	v_not_b32_e32 v8, v10
	v_ashrrev_i32_e32 v7, 31, v7
	s_wait_alu 0xfffd
	v_xor_b32_e32 v6, vcc_lo, v6
	v_cmp_gt_i32_e32 vcc_lo, 0, v10
	v_and_b32_e32 v5, v5, v65
	v_not_b32_e32 v10, v11
	v_ashrrev_i32_e32 v8, 31, v8
	s_wait_alu 0xf1ff
	v_xor_b32_e32 v7, s21, v7
	v_cmp_gt_i32_e64 s21, 0, v11
	v_and_b32_e32 v5, v5, v6
	v_not_b32_e32 v6, v64
	v_ashrrev_i32_e32 v10, 31, v10
	s_wait_alu 0xfffd
	v_xor_b32_e32 v8, vcc_lo, v8
	v_cmp_gt_i32_e32 vcc_lo, 0, v64
	v_and_b32_e32 v5, v5, v7
	v_not_b32_e32 v7, v9
	v_ashrrev_i32_e32 v6, 31, v6
	s_wait_alu 0xf1ff
	v_xor_b32_e32 v10, s21, v10
	v_lshlrev_b32_e32 v4, 5, v4
	v_and_b32_e32 v5, v5, v8
	v_cmp_gt_i32_e64 s21, 0, v9
	v_ashrrev_i32_e32 v7, 31, v7
	s_wait_alu 0xfffd
	v_xor_b32_e32 v6, vcc_lo, v6
	v_add_nc_u32_e32 v66, v133, v4
	v_and_b32_e32 v5, v5, v10
	s_wait_alu 0xf1ff
	v_xor_b32_e32 v4, s21, v7
	ds_load_b32 v64, v66 offset:32
	v_and_b32_e32 v5, v5, v6
	; wave barrier
	s_delay_alu instid0(VALU_DEP_1) | instskip(NEXT) | instid1(VALU_DEP_1)
	v_and_b32_e32 v4, v5, v4
	v_mbcnt_lo_u32_b32 v65, v4, 0
	v_cmp_ne_u32_e64 s21, 0, v4
	s_delay_alu instid0(VALU_DEP_2)
	v_cmp_eq_u32_e32 vcc_lo, 0, v65
	s_and_b32 s33, s21, vcc_lo
	s_wait_alu 0xfffe
	s_and_saveexec_b32 s21, s33
	s_cbranch_execz .LBB191_51
; %bb.50:                               ;   in Loop: Header=BB191_35 Depth=1
	s_wait_dscnt 0x0
	v_bcnt_u32_b32 v4, v4, v64
	ds_store_b32 v66, v4 offset:32
.LBB191_51:                             ;   in Loop: Header=BB191_35 Depth=1
	s_wait_alu 0xfffe
	s_or_b32 exec_lo, exec_lo, s21
	; wave barrier
	s_wait_loadcnt_dscnt 0x0
	s_barrier_signal -1
	s_barrier_wait -1
	global_inv scope:SCOPE_SE
	ds_load_b128 v[8:11], v115 offset:32
	ds_load_b128 v[4:7], v115 offset:48
	s_wait_dscnt 0x1
	v_add_nc_u32_e32 v67, v9, v8
	s_delay_alu instid0(VALU_DEP_1) | instskip(SKIP_1) | instid1(VALU_DEP_1)
	v_add3_u32 v67, v67, v10, v11
	s_wait_dscnt 0x0
	v_add3_u32 v67, v67, v4, v5
	s_delay_alu instid0(VALU_DEP_1) | instskip(NEXT) | instid1(VALU_DEP_1)
	v_add3_u32 v7, v67, v6, v7
	v_mov_b32_dpp v67, v7 row_shr:1 row_mask:0xf bank_mask:0xf
	s_delay_alu instid0(VALU_DEP_1) | instskip(NEXT) | instid1(VALU_DEP_1)
	v_cndmask_b32_e64 v67, v67, 0, s11
	v_add_nc_u32_e32 v7, v67, v7
	s_delay_alu instid0(VALU_DEP_1) | instskip(NEXT) | instid1(VALU_DEP_1)
	v_mov_b32_dpp v67, v7 row_shr:2 row_mask:0xf bank_mask:0xf
	v_cndmask_b32_e64 v67, 0, v67, s13
	s_delay_alu instid0(VALU_DEP_1) | instskip(NEXT) | instid1(VALU_DEP_1)
	v_add_nc_u32_e32 v7, v7, v67
	v_mov_b32_dpp v67, v7 row_shr:4 row_mask:0xf bank_mask:0xf
	s_delay_alu instid0(VALU_DEP_1) | instskip(NEXT) | instid1(VALU_DEP_1)
	v_cndmask_b32_e64 v67, 0, v67, s14
	v_add_nc_u32_e32 v7, v7, v67
	s_delay_alu instid0(VALU_DEP_1) | instskip(NEXT) | instid1(VALU_DEP_1)
	v_mov_b32_dpp v67, v7 row_shr:8 row_mask:0xf bank_mask:0xf
	v_cndmask_b32_e64 v67, 0, v67, s15
	s_delay_alu instid0(VALU_DEP_1) | instskip(SKIP_3) | instid1(VALU_DEP_1)
	v_add_nc_u32_e32 v7, v7, v67
	ds_swizzle_b32 v67, v7 offset:swizzle(BROADCAST,32,15)
	s_wait_dscnt 0x0
	v_cndmask_b32_e64 v67, v67, 0, s16
	v_add_nc_u32_e32 v7, v7, v67
	s_and_saveexec_b32 s21, s17
; %bb.52:                               ;   in Loop: Header=BB191_35 Depth=1
	ds_store_b32 v116, v7
; %bb.53:                               ;   in Loop: Header=BB191_35 Depth=1
	s_wait_alu 0xfffe
	s_or_b32 exec_lo, exec_lo, s21
	s_wait_loadcnt_dscnt 0x0
	s_barrier_signal -1
	s_barrier_wait -1
	global_inv scope:SCOPE_SE
	s_and_saveexec_b32 s21, s1
	s_cbranch_execz .LBB191_55
; %bb.54:                               ;   in Loop: Header=BB191_35 Depth=1
	ds_load_b32 v67, v134
	s_wait_dscnt 0x0
	v_mov_b32_dpp v135, v67 row_shr:1 row_mask:0xf bank_mask:0xf
	s_delay_alu instid0(VALU_DEP_1) | instskip(NEXT) | instid1(VALU_DEP_1)
	v_cndmask_b32_e64 v135, v135, 0, s18
	v_add_nc_u32_e32 v67, v135, v67
	s_delay_alu instid0(VALU_DEP_1) | instskip(NEXT) | instid1(VALU_DEP_1)
	v_mov_b32_dpp v135, v67 row_shr:2 row_mask:0xf bank_mask:0xf
	v_cndmask_b32_e64 v135, 0, v135, s19
	s_delay_alu instid0(VALU_DEP_1) | instskip(NEXT) | instid1(VALU_DEP_1)
	v_add_nc_u32_e32 v67, v67, v135
	v_mov_b32_dpp v135, v67 row_shr:4 row_mask:0xf bank_mask:0xf
	s_delay_alu instid0(VALU_DEP_1) | instskip(NEXT) | instid1(VALU_DEP_1)
	v_cndmask_b32_e64 v135, 0, v135, s20
	v_add_nc_u32_e32 v67, v67, v135
	ds_store_b32 v134, v67
.LBB191_55:                             ;   in Loop: Header=BB191_35 Depth=1
	s_wait_alu 0xfffe
	s_or_b32 exec_lo, exec_lo, s21
	v_mov_b32_e32 v67, 0
	s_wait_loadcnt_dscnt 0x0
	s_barrier_signal -1
	s_barrier_wait -1
	global_inv scope:SCOPE_SE
	s_and_saveexec_b32 s21, s9
; %bb.56:                               ;   in Loop: Header=BB191_35 Depth=1
	ds_load_b32 v67, v132
; %bb.57:                               ;   in Loop: Header=BB191_35 Depth=1
	s_wait_alu 0xfffe
	s_or_b32 exec_lo, exec_lo, s21
	s_wait_dscnt 0x0
	v_add_nc_u32_e32 v7, v67, v7
	v_cmp_lt_u32_e32 vcc_lo, 55, v69
	s_mov_b32 s21, -1
	ds_bpermute_b32 v7, v131, v7
	s_and_b32 vcc_lo, exec_lo, vcc_lo
	s_wait_dscnt 0x0
	v_cndmask_b32_e64 v7, v7, v67, s12
	s_delay_alu instid0(VALU_DEP_1) | instskip(NEXT) | instid1(VALU_DEP_1)
	v_cndmask_b32_e64 v7, v7, 0, s10
	v_add_nc_u32_e32 v8, v7, v8
	s_delay_alu instid0(VALU_DEP_1) | instskip(NEXT) | instid1(VALU_DEP_1)
	v_add_nc_u32_e32 v9, v8, v9
	v_add_nc_u32_e32 v10, v9, v10
	s_delay_alu instid0(VALU_DEP_1) | instskip(NEXT) | instid1(VALU_DEP_1)
	v_add_nc_u32_e32 v135, v10, v11
	;; [unrolled: 3-line block ×3, first 2 shown]
	v_add_nc_u32_e32 v138, v137, v6
	ds_store_b128 v115, v[7:10] offset:32
	ds_store_b128 v115, v[135:138] offset:48
	s_wait_loadcnt_dscnt 0x0
	s_barrier_signal -1
	s_barrier_wait -1
	global_inv scope:SCOPE_SE
	ds_load_b32 v4, v13 offset:32
	ds_load_b32 v5, v48 offset:32
	;; [unrolled: 1-line block ×8, first 2 shown]
	s_wait_dscnt 0x7
	v_add_nc_u32_e32 v142, v4, v12
	s_wait_dscnt 0x6
	v_add3_u32 v141, v15, v14, v5
	s_wait_dscnt 0x5
	v_add3_u32 v140, v50, v49, v6
	;; [unrolled: 2-line block ×7, first 2 shown]
                                        ; implicit-def: $vgpr66_vgpr67
                                        ; implicit-def: $vgpr14_vgpr15
                                        ; implicit-def: $vgpr10_vgpr11
                                        ; implicit-def: $vgpr6_vgpr7
                                        ; implicit-def: $vgpr62_vgpr63
                                        ; implicit-def: $vgpr58_vgpr59
                                        ; implicit-def: $vgpr54_vgpr55
                                        ; implicit-def: $vgpr50_vgpr51
	s_wait_alu 0xfffe
	s_cbranch_vccnz .LBB191_34
; %bb.58:                               ;   in Loop: Header=BB191_35 Depth=1
	v_lshlrev_b32_e32 v48, 3, v142
	v_lshlrev_b32_e32 v51, 3, v139
	;; [unrolled: 1-line block ×8, first 2 shown]
	s_wait_loadcnt 0x0
	s_barrier_signal -1
	s_barrier_wait -1
	global_inv scope:SCOPE_SE
	ds_store_b64 v48, v[74:75]
	ds_store_b64 v49, v[104:105]
	;; [unrolled: 1-line block ×8, first 2 shown]
	s_wait_loadcnt_dscnt 0x0
	s_barrier_signal -1
	s_barrier_wait -1
	global_inv scope:SCOPE_SE
	ds_load_2addr_b64 v[4:7], v130 offset1:32
	ds_load_2addr_b64 v[8:11], v130 offset0:64 offset1:96
	ds_load_2addr_b64 v[12:15], v130 offset0:128 offset1:160
	;; [unrolled: 1-line block ×3, first 2 shown]
	s_wait_loadcnt_dscnt 0x0
	s_barrier_signal -1
	s_barrier_wait -1
	global_inv scope:SCOPE_SE
	ds_store_b64 v48, v[96:97]
	ds_store_b64 v49, v[94:95]
	;; [unrolled: 1-line block ×8, first 2 shown]
	s_wait_loadcnt_dscnt 0x0
	s_barrier_signal -1
	s_barrier_wait -1
	global_inv scope:SCOPE_SE
	ds_load_2addr_b64 v[48:51], v130 offset1:32
	ds_load_2addr_b64 v[52:55], v130 offset0:64 offset1:96
	ds_load_2addr_b64 v[56:59], v130 offset0:128 offset1:160
	;; [unrolled: 1-line block ×3, first 2 shown]
	v_add_co_u32 v69, vcc_lo, v69, 8
	s_wait_alu 0xfffd
	v_add_co_ci_u32_e64 v70, null, 0, v70, vcc_lo
	s_add_co_i32 s29, s29, -8
	s_mov_b32 s21, 0
	s_wait_loadcnt_dscnt 0x0
	s_barrier_signal -1
	s_barrier_wait -1
	global_inv scope:SCOPE_SE
	s_branch .LBB191_34
.LBB191_59:
	v_lshlrev_b64_e32 v[1:2], 3, v[68:69]
	v_mov_b32_e32 v70, v69
	v_dual_mov_b32 v4, v69 :: v_dual_mov_b32 v5, v69
	v_dual_mov_b32 v6, v69 :: v_dual_mov_b32 v7, v69
	s_delay_alu instid0(VALU_DEP_4)
	v_add_co_u32 v1, vcc_lo, s34, v1
	s_wait_alu 0xfffd
	v_add_co_ci_u32_e64 v2, null, s35, v2, vcc_lo
	v_dual_mov_b32 v8, v69 :: v_dual_mov_b32 v9, v69
	v_dual_mov_b32 v10, v69 :: v_dual_mov_b32 v13, v69
	global_load_b64 v[11:12], v[1:2], off
	v_dual_mov_b32 v1, v69 :: v_dual_mov_b32 v2, v69
	v_dual_mov_b32 v3, v69 :: v_dual_mov_b32 v14, v69
	s_or_b32 exec_lo, exec_lo, s1
	s_and_saveexec_b32 s1, s3
	s_cbranch_execz .LBB191_25
.LBB191_60:
	v_mul_lo_u32 v39, s28, v32
	v_mov_b32_e32 v40, 0
	s_delay_alu instid0(VALU_DEP_1) | instskip(NEXT) | instid1(VALU_DEP_1)
	v_lshlrev_b64_e32 v[39:40], 3, v[39:40]
	v_add_co_u32 v39, vcc_lo, s34, v39
	s_wait_alu 0xfffd
	s_delay_alu instid0(VALU_DEP_2)
	v_add_co_ci_u32_e64 v40, null, s35, v40, vcc_lo
	global_load_b64 v[69:70], v[39:40], off
	s_or_b32 exec_lo, exec_lo, s1
	s_and_saveexec_b32 s1, s4
	s_cbranch_execz .LBB191_26
.LBB191_61:
	v_mul_lo_u32 v1, s28, v33
	v_mov_b32_e32 v2, 0
	s_delay_alu instid0(VALU_DEP_1) | instskip(NEXT) | instid1(VALU_DEP_1)
	v_lshlrev_b64_e32 v[1:2], 3, v[1:2]
	v_add_co_u32 v1, vcc_lo, s34, v1
	s_wait_alu 0xfffd
	s_delay_alu instid0(VALU_DEP_2)
	v_add_co_ci_u32_e64 v2, null, s35, v2, vcc_lo
	global_load_b64 v[1:2], v[1:2], off
	s_or_b32 exec_lo, exec_lo, s1
	s_and_saveexec_b32 s1, s5
	s_cbranch_execz .LBB191_27
.LBB191_62:
	v_mul_lo_u32 v3, s28, v34
	v_mov_b32_e32 v4, 0
	s_delay_alu instid0(VALU_DEP_1) | instskip(NEXT) | instid1(VALU_DEP_1)
	v_lshlrev_b64_e32 v[3:4], 3, v[3:4]
	v_add_co_u32 v3, vcc_lo, s34, v3
	s_wait_alu 0xfffd
	s_delay_alu instid0(VALU_DEP_2)
	v_add_co_ci_u32_e64 v4, null, s35, v4, vcc_lo
	global_load_b64 v[3:4], v[3:4], off
	s_or_b32 exec_lo, exec_lo, s1
	s_and_saveexec_b32 s1, s6
	s_cbranch_execz .LBB191_28
.LBB191_63:
	v_mul_lo_u32 v5, s28, v35
	v_mov_b32_e32 v6, 0
	s_delay_alu instid0(VALU_DEP_1) | instskip(NEXT) | instid1(VALU_DEP_1)
	v_lshlrev_b64_e32 v[5:6], 3, v[5:6]
	v_add_co_u32 v5, vcc_lo, s34, v5
	s_wait_alu 0xfffd
	s_delay_alu instid0(VALU_DEP_2)
	v_add_co_ci_u32_e64 v6, null, s35, v6, vcc_lo
	global_load_b64 v[5:6], v[5:6], off
	s_or_b32 exec_lo, exec_lo, s1
	s_and_saveexec_b32 s1, s7
	s_cbranch_execz .LBB191_29
.LBB191_64:
	v_mul_lo_u32 v7, s28, v36
	v_mov_b32_e32 v8, 0
	s_delay_alu instid0(VALU_DEP_1) | instskip(NEXT) | instid1(VALU_DEP_1)
	v_lshlrev_b64_e32 v[7:8], 3, v[7:8]
	v_add_co_u32 v7, vcc_lo, s34, v7
	s_wait_alu 0xfffd
	s_delay_alu instid0(VALU_DEP_2)
	v_add_co_ci_u32_e64 v8, null, s35, v8, vcc_lo
	global_load_b64 v[7:8], v[7:8], off
	s_or_b32 exec_lo, exec_lo, s1
	s_and_saveexec_b32 s1, s8
	s_cbranch_execz .LBB191_30
.LBB191_65:
	v_mul_lo_u32 v9, s28, v37
	v_mov_b32_e32 v10, 0
	s_delay_alu instid0(VALU_DEP_1) | instskip(NEXT) | instid1(VALU_DEP_1)
	v_lshlrev_b64_e32 v[9:10], 3, v[9:10]
	v_add_co_u32 v9, vcc_lo, s34, v9
	s_wait_alu 0xfffd
	s_delay_alu instid0(VALU_DEP_2)
	v_add_co_ci_u32_e64 v10, null, s35, v10, vcc_lo
	global_load_b64 v[9:10], v[9:10], off
	s_or_b32 exec_lo, exec_lo, s1
	s_xor_b32 s1, s20, -1
	s_and_saveexec_b32 s9, s0
	s_cbranch_execnz .LBB191_31
	s_branch .LBB191_32
.LBB191_66:
                                        ; implicit-def: $vgpr58_vgpr59
                                        ; implicit-def: $vgpr62_vgpr63
                                        ; implicit-def: $vgpr50_vgpr51
                                        ; implicit-def: $vgpr54_vgpr55
                                        ; implicit-def: $vgpr0_vgpr1_vgpr2_vgpr3_vgpr4_vgpr5_vgpr6_vgpr7_vgpr8_vgpr9_vgpr10_vgpr11_vgpr12_vgpr13_vgpr14_vgpr15
	s_cbranch_execnz .LBB191_68
	s_branch .LBB191_95
.LBB191_67:
	v_lshlrev_b32_e32 v48, 3, v142
	v_lshlrev_b32_e32 v51, 3, v139
	;; [unrolled: 1-line block ×9, first 2 shown]
	s_wait_loadcnt 0x0
	s_barrier_signal -1
	s_barrier_wait -1
	global_inv scope:SCOPE_SE
	ds_store_b64 v48, v[74:75]
	ds_store_b64 v49, v[104:105]
	;; [unrolled: 1-line block ×8, first 2 shown]
	s_wait_loadcnt_dscnt 0x0
	s_barrier_signal -1
	s_barrier_wait -1
	global_inv scope:SCOPE_SE
	ds_load_b128 v[0:3], v56
	ds_load_b128 v[4:7], v56 offset:16
	ds_load_b128 v[8:11], v56 offset:32
	;; [unrolled: 1-line block ×3, first 2 shown]
	s_wait_loadcnt_dscnt 0x0
	s_barrier_signal -1
	s_barrier_wait -1
	global_inv scope:SCOPE_SE
	ds_store_b64 v48, v[96:97]
	ds_store_b64 v49, v[94:95]
	ds_store_b64 v50, v[92:93]
	ds_store_b64 v51, v[90:91]
	ds_store_b64 v52, v[88:89]
	ds_store_b64 v53, v[86:87]
	ds_store_b64 v54, v[84:85]
	ds_store_b64 v55, v[82:83]
	s_wait_loadcnt_dscnt 0x0
	s_barrier_signal -1
	s_barrier_wait -1
	global_inv scope:SCOPE_SE
	ds_load_b128 v[52:55], v56
	ds_load_b128 v[48:51], v56 offset:16
	v_cmp_lt_i64_e32 vcc_lo, -1, v[0:1]
	v_ashrrev_i32_e32 v66, 31, v3
	v_ashrrev_i32_e32 v57, 31, v1
	s_wait_alu 0xfffd
	v_cndmask_b32_e64 v64, 0x80000000, -1, vcc_lo
	v_cmp_lt_i64_e32 vcc_lo, -1, v[2:3]
	v_not_b32_e32 v66, v66
	v_not_b32_e32 v65, v57
	ds_load_b128 v[60:63], v56 offset:32
	ds_load_b128 v[56:59], v56 offset:48
	v_xor_b32_e32 v1, v64, v1
	v_ashrrev_i32_e32 v64, 31, v5
	s_wait_alu 0xfffd
	v_cndmask_b32_e64 v67, 0x80000000, -1, vcc_lo
	v_cmp_lt_i64_e32 vcc_lo, -1, v[4:5]
	v_xor_b32_e32 v2, v66, v2
	v_xor_b32_e32 v0, v65, v0
	v_ashrrev_i32_e32 v65, 31, v7
	v_xor_b32_e32 v3, v67, v3
	v_not_b32_e32 v64, v64
	s_wait_alu 0xfffd
	v_cndmask_b32_e64 v66, 0x80000000, -1, vcc_lo
	v_cmp_lt_i64_e32 vcc_lo, -1, v[6:7]
	v_not_b32_e32 v65, v65
	v_xor_b32_e32 v4, v64, v4
	v_ashrrev_i32_e32 v64, 31, v9
	v_xor_b32_e32 v5, v66, v5
	s_wait_alu 0xfffd
	v_cndmask_b32_e64 v67, 0x80000000, -1, vcc_lo
	v_cmp_lt_i64_e32 vcc_lo, -1, v[8:9]
	v_xor_b32_e32 v6, v65, v6
	v_not_b32_e32 v64, v64
	v_ashrrev_i32_e32 v66, 31, v11
	v_xor_b32_e32 v7, v67, v7
	s_wait_alu 0xfffd
	v_cndmask_b32_e64 v65, 0x80000000, -1, vcc_lo
	v_cmp_lt_i64_e32 vcc_lo, -1, v[10:11]
	v_xor_b32_e32 v8, v64, v8
	v_not_b32_e32 v64, v66
	v_ashrrev_i32_e32 v66, 31, v15
	v_xor_b32_e32 v9, v65, v9
	v_ashrrev_i32_e32 v65, 31, v13
	s_wait_alu 0xfffd
	v_cndmask_b32_e64 v67, 0x80000000, -1, vcc_lo
	v_cmp_lt_i64_e32 vcc_lo, -1, v[12:13]
	v_not_b32_e32 v66, v66
	v_xor_b32_e32 v10, v64, v10
	v_not_b32_e32 v65, v65
	v_xor_b32_e32 v11, v67, v11
	s_wait_alu 0xfffd
	v_cndmask_b32_e64 v67, 0x80000000, -1, vcc_lo
	v_cmp_lt_i64_e32 vcc_lo, -1, v[14:15]
	v_xor_b32_e32 v12, v65, v12
	v_xor_b32_e32 v14, v66, v14
	s_delay_alu instid0(VALU_DEP_4) | instskip(SKIP_2) | instid1(VALU_DEP_1)
	v_xor_b32_e32 v13, v67, v13
	s_wait_alu 0xfffd
	v_cndmask_b32_e64 v69, 0x80000000, -1, vcc_lo
	v_xor_b32_e32 v15, v69, v15
	s_branch .LBB191_95
.LBB191_68:
	v_cmp_gt_i64_e32 vcc_lo, 0, v[28:29]
	v_not_b32_e32 v12, v124
	v_not_b32_e32 v8, v126
	;; [unrolled: 1-line block ×4, first 2 shown]
	v_or_b32_e32 v14, v118, v119
	s_wait_alu 0xfffd
	v_cndmask_b32_e64 v0, 0x7fffffff, 0, vcc_lo
	v_cmp_gt_i64_e32 vcc_lo, 0, v[30:31]
	s_getpc_b64 s[10:11]
	s_wait_alu 0xfffe
	s_sext_i32_i16 s11, s11
	s_add_co_u32 s10, s10, _ZN7rocprim17ROCPRIM_400000_NS16block_radix_sortIdLj256ELj8ElLj1ELj1ELj0ELNS0_26block_radix_rank_algorithmE1ELNS0_18block_padding_hintE2ELNS0_4arch9wavefront6targetE0EE19radix_bits_per_passE@rel32@lo+12
	s_wait_alu 0xfffe
	s_add_co_ci_u32 s11, s11, _ZN7rocprim17ROCPRIM_400000_NS16block_radix_sortIdLj256ELj8ElLj1ELj1ELj0ELNS0_26block_radix_rank_algorithmE1ELNS0_18block_padding_hintE2ELNS0_4arch9wavefront6targetE0EE19radix_bits_per_passE@rel32@hi+24
	v_cmp_gt_u32_e64 s15, 8, v73
	s_load_b32 s23, s[10:11], 0x0
	v_xor_b32_e32 v1, v0, v29
	v_xor_b32_e32 v0, v2, v28
	v_cndmask_b32_e64 v3, 0x7fffffff, 0, vcc_lo
	v_cmp_gt_i64_e32 vcc_lo, 0, v[24:25]
	v_xor_b32_e32 v2, v4, v30
	v_not_b32_e32 v4, v127
	v_cmp_lt_u32_e64 s16, 31, v73
	v_xor_b32_e32 v3, v3, v31
	v_cmp_eq_u32_e64 s17, 0, v73
	s_wait_alu 0xfffd
	v_cndmask_b32_e64 v5, 0x7fffffff, 0, vcc_lo
	v_cmp_gt_i64_e32 vcc_lo, 0, v[26:27]
	v_xor_b32_e32 v4, v4, v24
	v_add_nc_u32_e32 v77, v115, v117
	s_delay_alu instid0(VALU_DEP_4) | instskip(SKIP_3) | instid1(VALU_DEP_2)
	v_xor_b32_e32 v5, v5, v25
	s_wait_alu 0xfffd
	v_cndmask_b32_e64 v6, 0x7fffffff, 0, vcc_lo
	v_cmp_gt_i64_e32 vcc_lo, 0, v[20:21]
	v_xor_b32_e32 v7, v6, v27
	v_xor_b32_e32 v6, v8, v26
	s_wait_alu 0xfffd
	v_cndmask_b32_e64 v9, 0x7fffffff, 0, vcc_lo
	v_cmp_gt_i64_e32 vcc_lo, 0, v[22:23]
	v_not_b32_e32 v8, v125
	s_delay_alu instid0(VALU_DEP_3)
	v_xor_b32_e32 v9, v9, v21
	s_wait_alu 0xfffd
	v_cndmask_b32_e64 v10, 0x7fffffff, 0, vcc_lo
	v_cmp_gt_i64_e32 vcc_lo, 0, v[16:17]
	v_xor_b32_e32 v8, v8, v20
	v_lshlrev_b32_e32 v20, 6, v14
	ds_store_b128 v20, v[0:3]
	ds_store_b128 v20, v[4:7] offset:16
	s_wait_alu 0xfffd
	v_cndmask_b32_e64 v13, 0x7fffffff, 0, vcc_lo
	v_xor_b32_e32 v11, v10, v23
	v_xor_b32_e32 v10, v12, v22
	v_not_b32_e32 v12, v123
	v_cmp_gt_i64_e32 vcc_lo, 0, v[18:19]
	v_xor_b32_e32 v13, v13, v17
	v_not_b32_e32 v17, v122
	v_and_b32_e32 v3, 16, v118
	v_xor_b32_e32 v12, v12, v16
	v_and_or_b32 v16, 0x1f00, v72, v118
	s_wait_alu 0xfffd
	v_cndmask_b32_e64 v15, 0x7fffffff, 0, vcc_lo
	v_xor_b32_e32 v14, v17, v18
	s_delay_alu instid0(VALU_DEP_3) | instskip(NEXT) | instid1(VALU_DEP_3)
	v_lshlrev_b32_e32 v74, 3, v16
	v_xor_b32_e32 v15, v15, v19
	ds_store_b128 v20, v[8:11] offset:32
	ds_store_b128 v20, v[12:15] offset:48
	; wave barrier
	ds_load_2addr_b64 v[4:7], v74 offset1:32
	ds_load_2addr_b64 v[8:11], v74 offset0:64 offset1:96
	ds_load_2addr_b64 v[12:15], v74 offset0:128 offset1:160
	s_wait_dscnt 0x9
	ds_load_2addr_b64 v[48:51], v74 offset0:192 offset1:224
	; wave barrier
	ds_store_b128 v20, v[44:47]
	ds_store_b128 v20, v[40:43] offset:16
	ds_store_b128 v20, v[36:39] offset:32
	;; [unrolled: 1-line block ×3, first 2 shown]
	; wave barrier
	ds_load_2addr_b64 v[16:19], v74 offset1:32
	ds_load_2addr_b64 v[20:23], v74 offset0:64 offset1:96
	ds_load_2addr_b64 v[24:27], v74 offset0:128 offset1:160
	;; [unrolled: 1-line block ×3, first 2 shown]
	s_wait_loadcnt_dscnt 0x0
	s_barrier_signal -1
	s_barrier_wait -1
	global_inv scope:SCOPE_SE
	s_load_b32 s1, s[24:25], 0xc
	v_sub_co_u32 v32, s10, v118, 1
	s_mov_b32 s24, 0
	s_delay_alu instid0(SALU_CYCLE_1) | instskip(SKIP_4) | instid1(VALU_DEP_1)
	s_mov_b32 s25, s24
	v_cmp_gt_i32_e32 vcc_lo, 0, v32
	s_mov_b32 s26, s24
	s_mov_b32 s27, s24
	v_and_b32_e32 v2, 15, v118
	v_cmp_lt_u32_e64 s11, 3, v2
	v_cmp_lt_u32_e64 s12, 7, v2
	s_wait_kmcnt 0x0
	s_lshr_b32 s9, s1, 16
	s_and_b32 s1, s1, 0xffff
	s_wait_alu 0xfffe
	v_mad_u32_u24 v0, v121, s9, v120
	v_cmp_lt_u32_e64 s9, 1, v2
	s_delay_alu instid0(VALU_DEP_2)
	v_mad_co_u64_u32 v[0:1], null, v0, s1, v[73:74]
	v_min_u32_e32 v1, 0xe0, v119
	v_cmp_eq_u32_e64 s1, 0, v2
	s_wait_alu 0xfffd
	v_cndmask_b32_e32 v2, v32, v118, vcc_lo
	v_mov_b32_e32 v32, 0
	v_cmp_eq_u32_e64 s13, 0, v3
	v_or_b32_e32 v1, 31, v1
	v_lshrrev_b32_e32 v0, 3, v0
	v_mov_b32_e32 v33, 0
	s_delay_alu instid0(VALU_DEP_3) | instskip(SKIP_4) | instid1(VALU_DEP_4)
	v_cmp_eq_u32_e64 s14, v73, v1
	v_and_b32_e32 v1, 7, v118
	v_add_nc_u32_e32 v73, -4, v116
	v_lshlrev_b32_e32 v75, 2, v2
	v_and_b32_e32 v76, 0x1ffffffc, v0
	v_cmp_eq_u32_e64 s18, 0, v1
	v_cmp_lt_u32_e64 s19, 1, v1
	v_cmp_lt_u32_e64 s20, 3, v1
	v_dual_mov_b32 v0, s24 :: v_dual_mov_b32 v1, s25
	v_dual_mov_b32 v2, s26 :: v_dual_mov_b32 v3, s27
	s_mov_b32 s26, 64
	s_brev_b32 s25, 1
	s_branch .LBB191_70
.LBB191_69:                             ;   in Loop: Header=BB191_70 Depth=1
	s_wait_alu 0xfffe
	s_and_not1_b32 vcc_lo, exec_lo, s21
	s_wait_alu 0xfffe
	s_cbranch_vccz .LBB191_94
.LBB191_70:                             ; =>This Inner Loop Header: Depth=1
	v_dual_mov_b32 v35, v5 :: v_dual_mov_b32 v34, v4
	s_wait_alu 0xfffe
	s_min_u32 s21, s23, s26
	v_dual_mov_b32 v70, v7 :: v_dual_mov_b32 v59, v19
	s_wait_alu 0xfffe
	s_lshl_b32 s21, -1, s21
	v_cmp_ne_u64_e32 vcc_lo, s[24:25], v[34:35]
	s_wait_alu 0xfffe
	s_not_b32 s27, s21
	v_mov_b32_e32 v58, v18
	ds_store_b128 v115, v[0:3] offset:32
	ds_store_b128 v115, v[0:3] offset:48
	s_wait_loadcnt_dscnt 0x0
	s_wait_alu 0xfffd
	v_dual_mov_b32 v36, v50 :: v_dual_cndmask_b32 v5, 0x7fffffff, v35
	v_dual_cndmask_b32 v4, -1, v34 :: v_dual_mov_b32 v37, v51
	s_barrier_signal -1
	s_barrier_wait -1
	global_inv scope:SCOPE_SE
	v_lshrrev_b64 v[4:5], v32, v[4:5]
	; wave barrier
	v_dual_mov_b32 v38, v48 :: v_dual_mov_b32 v39, v49
	v_mov_b32_e32 v63, v13
	s_wait_alu 0xfffe
	s_delay_alu instid0(VALU_DEP_3) | instskip(SKIP_2) | instid1(VALU_DEP_3)
	v_and_b32_e32 v5, s27, v4
	v_dual_mov_b32 v41, v15 :: v_dual_mov_b32 v40, v14
	v_dual_mov_b32 v65, v11 :: v_dual_mov_b32 v62, v12
	v_lshlrev_b32_e32 v15, 29, v5
	v_and_b32_e32 v4, 1, v5
	v_lshlrev_b32_e32 v14, 30, v5
	v_lshlrev_b32_e32 v42, 28, v5
	v_dual_mov_b32 v67, v9 :: v_dual_lshlrev_b32 v44, 27, v5
	s_delay_alu instid0(VALU_DEP_4)
	v_add_co_u32 v4, s21, v4, -1
	s_wait_alu 0xf1ff
	v_cndmask_b32_e64 v43, 0, 1, s21
	v_not_b32_e32 v47, v14
	v_cmp_gt_i32_e64 s21, 0, v14
	v_not_b32_e32 v14, v15
	v_dual_mov_b32 v64, v10 :: v_dual_lshlrev_b32 v45, 26, v5
	v_cmp_ne_u32_e32 vcc_lo, 0, v43
	v_ashrrev_i32_e32 v47, 31, v47
	s_delay_alu instid0(VALU_DEP_4)
	v_ashrrev_i32_e32 v14, 31, v14
	v_dual_mov_b32 v69, v6 :: v_dual_lshlrev_b32 v46, 25, v5
	s_wait_alu 0xfffd
	v_xor_b32_e32 v4, vcc_lo, v4
	v_cmp_gt_i32_e32 vcc_lo, 0, v15
	v_not_b32_e32 v15, v42
	s_wait_alu 0xf1ff
	v_xor_b32_e32 v47, s21, v47
	v_cmp_gt_i32_e64 s21, 0, v42
	v_and_b32_e32 v4, exec_lo, v4
	v_not_b32_e32 v42, v44
	v_ashrrev_i32_e32 v15, 31, v15
	s_wait_alu 0xfffd
	v_xor_b32_e32 v14, vcc_lo, v14
	v_cmp_gt_i32_e32 vcc_lo, 0, v44
	v_and_b32_e32 v4, v4, v47
	v_not_b32_e32 v44, v45
	v_ashrrev_i32_e32 v42, 31, v42
	s_wait_alu 0xf1ff
	v_xor_b32_e32 v15, s21, v15
	v_dual_mov_b32 v66, v8 :: v_dual_lshlrev_b32 v43, 24, v5
	v_and_b32_e32 v4, v4, v14
	v_cmp_gt_i32_e64 s21, 0, v45
	v_not_b32_e32 v14, v46
	v_ashrrev_i32_e32 v44, 31, v44
	s_wait_alu 0xfffd
	v_xor_b32_e32 v42, vcc_lo, v42
	v_cmp_gt_i32_e32 vcc_lo, 0, v46
	v_dual_mov_b32 v47, v27 :: v_dual_and_b32 v4, v4, v15
	v_mov_b32_e32 v53, v25
	v_not_b32_e32 v15, v43
	v_ashrrev_i32_e32 v14, 31, v14
	s_wait_alu 0xf1ff
	v_xor_b32_e32 v44, s21, v44
	v_dual_mov_b32 v55, v23 :: v_dual_and_b32 v4, v4, v42
	v_cmp_gt_i32_e64 s21, 0, v43
	v_ashrrev_i32_e32 v12, 31, v15
	s_wait_alu 0xfffd
	v_xor_b32_e32 v13, vcc_lo, v14
	v_dual_mov_b32 v57, v21 :: v_dual_and_b32 v4, v4, v44
	v_mov_b32_e32 v61, v17
	s_wait_alu 0xf1ff
	v_xor_b32_e32 v6, s21, v12
	s_delay_alu instid0(VALU_DEP_3) | instskip(SKIP_2) | instid1(VALU_DEP_3)
	v_dual_mov_b32 v43, v31 :: v_dual_and_b32 v4, v4, v13
	v_dual_mov_b32 v42, v30 :: v_dual_lshlrev_b32 v5, 5, v5
	v_dual_mov_b32 v45, v29 :: v_dual_mov_b32 v44, v28
	v_and_b32_e32 v4, v4, v6
	s_delay_alu instid0(VALU_DEP_3) | instskip(SKIP_2) | instid1(VALU_DEP_4)
	v_dual_mov_b32 v46, v26 :: v_dual_add_nc_u32 v13, v76, v5
	v_mov_b32_e32 v52, v24
	v_mov_b32_e32 v54, v22
	v_mbcnt_lo_u32_b32 v12, v4, 0
	v_cmp_ne_u32_e64 s21, 0, v4
	v_mov_b32_e32 v56, v20
	v_mov_b32_e32 v60, v16
	s_delay_alu instid0(VALU_DEP_4)
	v_cmp_eq_u32_e32 vcc_lo, 0, v12
	s_and_b32 s29, s21, vcc_lo
	s_wait_alu 0xfffe
	s_and_saveexec_b32 s21, s29
; %bb.71:                               ;   in Loop: Header=BB191_70 Depth=1
	v_bcnt_u32_b32 v4, v4, 0
	ds_store_b32 v13, v4 offset:32
; %bb.72:                               ;   in Loop: Header=BB191_70 Depth=1
	s_wait_alu 0xfffe
	s_or_b32 exec_lo, exec_lo, s21
	v_cmp_ne_u64_e32 vcc_lo, s[24:25], v[69:70]
	; wave barrier
	s_wait_alu 0xfffd
	v_cndmask_b32_e32 v5, 0x7fffffff, v70, vcc_lo
	v_cndmask_b32_e32 v4, -1, v69, vcc_lo
	s_delay_alu instid0(VALU_DEP_1) | instskip(NEXT) | instid1(VALU_DEP_1)
	v_lshrrev_b64 v[4:5], v32, v[4:5]
	v_and_b32_e32 v4, s27, v4
	s_delay_alu instid0(VALU_DEP_1)
	v_and_b32_e32 v5, 1, v4
	v_lshlrev_b32_e32 v6, 30, v4
	v_lshlrev_b32_e32 v7, 29, v4
	;; [unrolled: 1-line block ×4, first 2 shown]
	v_add_co_u32 v5, s21, v5, -1
	s_wait_alu 0xf1ff
	v_cndmask_b32_e64 v9, 0, 1, s21
	v_not_b32_e32 v15, v6
	v_cmp_gt_i32_e64 s21, 0, v6
	v_not_b32_e32 v6, v7
	v_lshlrev_b32_e32 v11, 26, v4
	v_cmp_ne_u32_e32 vcc_lo, 0, v9
	v_ashrrev_i32_e32 v15, 31, v15
	v_lshlrev_b32_e32 v14, 25, v4
	v_ashrrev_i32_e32 v6, 31, v6
	v_lshlrev_b32_e32 v9, 24, v4
	s_wait_alu 0xfffd
	v_xor_b32_e32 v5, vcc_lo, v5
	v_cmp_gt_i32_e32 vcc_lo, 0, v7
	v_not_b32_e32 v7, v8
	s_wait_alu 0xf1ff
	v_xor_b32_e32 v15, s21, v15
	v_cmp_gt_i32_e64 s21, 0, v8
	v_and_b32_e32 v5, exec_lo, v5
	v_not_b32_e32 v8, v10
	v_ashrrev_i32_e32 v7, 31, v7
	s_wait_alu 0xfffd
	v_xor_b32_e32 v6, vcc_lo, v6
	v_cmp_gt_i32_e32 vcc_lo, 0, v10
	v_and_b32_e32 v5, v5, v15
	v_not_b32_e32 v10, v11
	v_ashrrev_i32_e32 v8, 31, v8
	s_wait_alu 0xf1ff
	v_xor_b32_e32 v7, s21, v7
	v_cmp_gt_i32_e64 s21, 0, v11
	v_and_b32_e32 v5, v5, v6
	v_not_b32_e32 v6, v14
	v_ashrrev_i32_e32 v10, 31, v10
	s_wait_alu 0xfffd
	v_xor_b32_e32 v8, vcc_lo, v8
	v_cmp_gt_i32_e32 vcc_lo, 0, v14
	v_and_b32_e32 v5, v5, v7
	v_not_b32_e32 v7, v9
	v_ashrrev_i32_e32 v6, 31, v6
	s_wait_alu 0xf1ff
	v_xor_b32_e32 v10, s21, v10
	v_lshlrev_b32_e32 v4, 5, v4
	v_and_b32_e32 v5, v5, v8
	v_cmp_gt_i32_e64 s21, 0, v9
	v_ashrrev_i32_e32 v7, 31, v7
	s_wait_alu 0xfffd
	v_xor_b32_e32 v6, vcc_lo, v6
	v_add_nc_u32_e32 v16, v76, v4
	v_and_b32_e32 v5, v5, v10
	s_wait_alu 0xf1ff
	v_xor_b32_e32 v4, s21, v7
	ds_load_b32 v14, v16 offset:32
	v_and_b32_e32 v5, v5, v6
	; wave barrier
	s_delay_alu instid0(VALU_DEP_1) | instskip(NEXT) | instid1(VALU_DEP_1)
	v_and_b32_e32 v4, v5, v4
	v_mbcnt_lo_u32_b32 v15, v4, 0
	v_cmp_ne_u32_e64 s21, 0, v4
	s_delay_alu instid0(VALU_DEP_2)
	v_cmp_eq_u32_e32 vcc_lo, 0, v15
	s_and_b32 s29, s21, vcc_lo
	s_wait_alu 0xfffe
	s_and_saveexec_b32 s21, s29
	s_cbranch_execz .LBB191_74
; %bb.73:                               ;   in Loop: Header=BB191_70 Depth=1
	s_wait_dscnt 0x0
	v_bcnt_u32_b32 v4, v4, v14
	ds_store_b32 v16, v4 offset:32
.LBB191_74:                             ;   in Loop: Header=BB191_70 Depth=1
	s_wait_alu 0xfffe
	s_or_b32 exec_lo, exec_lo, s21
	v_cmp_ne_u64_e32 vcc_lo, s[24:25], v[66:67]
	; wave barrier
	s_wait_alu 0xfffd
	v_cndmask_b32_e32 v5, 0x7fffffff, v67, vcc_lo
	v_cndmask_b32_e32 v4, -1, v66, vcc_lo
	s_delay_alu instid0(VALU_DEP_1) | instskip(NEXT) | instid1(VALU_DEP_1)
	v_lshrrev_b64 v[4:5], v32, v[4:5]
	v_and_b32_e32 v4, s27, v4
	s_delay_alu instid0(VALU_DEP_1)
	v_and_b32_e32 v5, 1, v4
	v_lshlrev_b32_e32 v6, 30, v4
	v_lshlrev_b32_e32 v7, 29, v4
	;; [unrolled: 1-line block ×4, first 2 shown]
	v_add_co_u32 v5, s21, v5, -1
	s_wait_alu 0xf1ff
	v_cndmask_b32_e64 v9, 0, 1, s21
	v_not_b32_e32 v18, v6
	v_cmp_gt_i32_e64 s21, 0, v6
	v_not_b32_e32 v6, v7
	v_lshlrev_b32_e32 v11, 26, v4
	v_cmp_ne_u32_e32 vcc_lo, 0, v9
	v_ashrrev_i32_e32 v18, 31, v18
	v_lshlrev_b32_e32 v17, 25, v4
	v_ashrrev_i32_e32 v6, 31, v6
	v_lshlrev_b32_e32 v9, 24, v4
	s_wait_alu 0xfffd
	v_xor_b32_e32 v5, vcc_lo, v5
	v_cmp_gt_i32_e32 vcc_lo, 0, v7
	v_not_b32_e32 v7, v8
	s_wait_alu 0xf1ff
	v_xor_b32_e32 v18, s21, v18
	v_cmp_gt_i32_e64 s21, 0, v8
	v_and_b32_e32 v5, exec_lo, v5
	v_not_b32_e32 v8, v10
	v_ashrrev_i32_e32 v7, 31, v7
	s_wait_alu 0xfffd
	v_xor_b32_e32 v6, vcc_lo, v6
	v_cmp_gt_i32_e32 vcc_lo, 0, v10
	v_and_b32_e32 v5, v5, v18
	v_not_b32_e32 v10, v11
	v_ashrrev_i32_e32 v8, 31, v8
	s_wait_alu 0xf1ff
	v_xor_b32_e32 v7, s21, v7
	v_cmp_gt_i32_e64 s21, 0, v11
	v_and_b32_e32 v5, v5, v6
	v_not_b32_e32 v6, v17
	v_ashrrev_i32_e32 v10, 31, v10
	s_wait_alu 0xfffd
	v_xor_b32_e32 v8, vcc_lo, v8
	v_cmp_gt_i32_e32 vcc_lo, 0, v17
	v_and_b32_e32 v5, v5, v7
	v_not_b32_e32 v7, v9
	v_ashrrev_i32_e32 v6, 31, v6
	s_wait_alu 0xf1ff
	v_xor_b32_e32 v10, s21, v10
	v_lshlrev_b32_e32 v4, 5, v4
	v_and_b32_e32 v5, v5, v8
	v_cmp_gt_i32_e64 s21, 0, v9
	v_ashrrev_i32_e32 v7, 31, v7
	s_wait_alu 0xfffd
	v_xor_b32_e32 v6, vcc_lo, v6
	v_add_nc_u32_e32 v19, v76, v4
	v_and_b32_e32 v5, v5, v10
	s_wait_alu 0xf1ff
	v_xor_b32_e32 v4, s21, v7
	ds_load_b32 v17, v19 offset:32
	v_and_b32_e32 v5, v5, v6
	; wave barrier
	s_delay_alu instid0(VALU_DEP_1) | instskip(NEXT) | instid1(VALU_DEP_1)
	v_and_b32_e32 v4, v5, v4
	v_mbcnt_lo_u32_b32 v18, v4, 0
	v_cmp_ne_u32_e64 s21, 0, v4
	s_delay_alu instid0(VALU_DEP_2)
	v_cmp_eq_u32_e32 vcc_lo, 0, v18
	s_and_b32 s29, s21, vcc_lo
	s_wait_alu 0xfffe
	s_and_saveexec_b32 s21, s29
	s_cbranch_execz .LBB191_76
; %bb.75:                               ;   in Loop: Header=BB191_70 Depth=1
	s_wait_dscnt 0x0
	v_bcnt_u32_b32 v4, v4, v17
	ds_store_b32 v19, v4 offset:32
.LBB191_76:                             ;   in Loop: Header=BB191_70 Depth=1
	s_wait_alu 0xfffe
	s_or_b32 exec_lo, exec_lo, s21
	v_cmp_ne_u64_e32 vcc_lo, s[24:25], v[64:65]
	; wave barrier
	s_wait_alu 0xfffd
	v_cndmask_b32_e32 v5, 0x7fffffff, v65, vcc_lo
	v_cndmask_b32_e32 v4, -1, v64, vcc_lo
	s_delay_alu instid0(VALU_DEP_1) | instskip(NEXT) | instid1(VALU_DEP_1)
	v_lshrrev_b64 v[4:5], v32, v[4:5]
	v_and_b32_e32 v4, s27, v4
	s_delay_alu instid0(VALU_DEP_1)
	v_and_b32_e32 v5, 1, v4
	v_lshlrev_b32_e32 v6, 30, v4
	v_lshlrev_b32_e32 v7, 29, v4
	;; [unrolled: 1-line block ×4, first 2 shown]
	v_add_co_u32 v5, s21, v5, -1
	s_wait_alu 0xf1ff
	v_cndmask_b32_e64 v9, 0, 1, s21
	v_not_b32_e32 v21, v6
	v_cmp_gt_i32_e64 s21, 0, v6
	v_not_b32_e32 v6, v7
	v_lshlrev_b32_e32 v11, 26, v4
	v_cmp_ne_u32_e32 vcc_lo, 0, v9
	v_ashrrev_i32_e32 v21, 31, v21
	v_lshlrev_b32_e32 v20, 25, v4
	v_ashrrev_i32_e32 v6, 31, v6
	v_lshlrev_b32_e32 v9, 24, v4
	s_wait_alu 0xfffd
	v_xor_b32_e32 v5, vcc_lo, v5
	v_cmp_gt_i32_e32 vcc_lo, 0, v7
	v_not_b32_e32 v7, v8
	s_wait_alu 0xf1ff
	v_xor_b32_e32 v21, s21, v21
	v_cmp_gt_i32_e64 s21, 0, v8
	v_and_b32_e32 v5, exec_lo, v5
	v_not_b32_e32 v8, v10
	v_ashrrev_i32_e32 v7, 31, v7
	s_wait_alu 0xfffd
	v_xor_b32_e32 v6, vcc_lo, v6
	v_cmp_gt_i32_e32 vcc_lo, 0, v10
	v_and_b32_e32 v5, v5, v21
	v_not_b32_e32 v10, v11
	v_ashrrev_i32_e32 v8, 31, v8
	s_wait_alu 0xf1ff
	v_xor_b32_e32 v7, s21, v7
	v_cmp_gt_i32_e64 s21, 0, v11
	v_and_b32_e32 v5, v5, v6
	v_not_b32_e32 v6, v20
	v_ashrrev_i32_e32 v10, 31, v10
	s_wait_alu 0xfffd
	v_xor_b32_e32 v8, vcc_lo, v8
	v_cmp_gt_i32_e32 vcc_lo, 0, v20
	v_and_b32_e32 v5, v5, v7
	v_not_b32_e32 v7, v9
	v_ashrrev_i32_e32 v6, 31, v6
	s_wait_alu 0xf1ff
	v_xor_b32_e32 v10, s21, v10
	v_lshlrev_b32_e32 v4, 5, v4
	v_and_b32_e32 v5, v5, v8
	v_cmp_gt_i32_e64 s21, 0, v9
	v_ashrrev_i32_e32 v7, 31, v7
	s_wait_alu 0xfffd
	v_xor_b32_e32 v6, vcc_lo, v6
	v_add_nc_u32_e32 v22, v76, v4
	v_and_b32_e32 v5, v5, v10
	s_wait_alu 0xf1ff
	v_xor_b32_e32 v4, s21, v7
	ds_load_b32 v20, v22 offset:32
	v_and_b32_e32 v5, v5, v6
	; wave barrier
	s_delay_alu instid0(VALU_DEP_1) | instskip(NEXT) | instid1(VALU_DEP_1)
	v_and_b32_e32 v4, v5, v4
	v_mbcnt_lo_u32_b32 v21, v4, 0
	v_cmp_ne_u32_e64 s21, 0, v4
	s_delay_alu instid0(VALU_DEP_2)
	v_cmp_eq_u32_e32 vcc_lo, 0, v21
	s_and_b32 s29, s21, vcc_lo
	s_wait_alu 0xfffe
	s_and_saveexec_b32 s21, s29
	s_cbranch_execz .LBB191_78
; %bb.77:                               ;   in Loop: Header=BB191_70 Depth=1
	s_wait_dscnt 0x0
	v_bcnt_u32_b32 v4, v4, v20
	ds_store_b32 v22, v4 offset:32
.LBB191_78:                             ;   in Loop: Header=BB191_70 Depth=1
	s_wait_alu 0xfffe
	s_or_b32 exec_lo, exec_lo, s21
	v_cmp_ne_u64_e32 vcc_lo, s[24:25], v[62:63]
	; wave barrier
	s_wait_alu 0xfffd
	v_cndmask_b32_e32 v5, 0x7fffffff, v63, vcc_lo
	v_cndmask_b32_e32 v4, -1, v62, vcc_lo
	s_delay_alu instid0(VALU_DEP_1) | instskip(NEXT) | instid1(VALU_DEP_1)
	v_lshrrev_b64 v[4:5], v32, v[4:5]
	v_and_b32_e32 v4, s27, v4
	s_delay_alu instid0(VALU_DEP_1)
	v_and_b32_e32 v5, 1, v4
	v_lshlrev_b32_e32 v6, 30, v4
	v_lshlrev_b32_e32 v7, 29, v4
	;; [unrolled: 1-line block ×4, first 2 shown]
	v_add_co_u32 v5, s21, v5, -1
	s_wait_alu 0xf1ff
	v_cndmask_b32_e64 v9, 0, 1, s21
	v_not_b32_e32 v24, v6
	v_cmp_gt_i32_e64 s21, 0, v6
	v_not_b32_e32 v6, v7
	v_lshlrev_b32_e32 v11, 26, v4
	v_cmp_ne_u32_e32 vcc_lo, 0, v9
	v_ashrrev_i32_e32 v24, 31, v24
	v_lshlrev_b32_e32 v23, 25, v4
	v_ashrrev_i32_e32 v6, 31, v6
	v_lshlrev_b32_e32 v9, 24, v4
	s_wait_alu 0xfffd
	v_xor_b32_e32 v5, vcc_lo, v5
	v_cmp_gt_i32_e32 vcc_lo, 0, v7
	v_not_b32_e32 v7, v8
	s_wait_alu 0xf1ff
	v_xor_b32_e32 v24, s21, v24
	v_cmp_gt_i32_e64 s21, 0, v8
	v_and_b32_e32 v5, exec_lo, v5
	v_not_b32_e32 v8, v10
	v_ashrrev_i32_e32 v7, 31, v7
	s_wait_alu 0xfffd
	v_xor_b32_e32 v6, vcc_lo, v6
	v_cmp_gt_i32_e32 vcc_lo, 0, v10
	v_and_b32_e32 v5, v5, v24
	v_not_b32_e32 v10, v11
	v_ashrrev_i32_e32 v8, 31, v8
	s_wait_alu 0xf1ff
	v_xor_b32_e32 v7, s21, v7
	v_cmp_gt_i32_e64 s21, 0, v11
	v_and_b32_e32 v5, v5, v6
	v_not_b32_e32 v6, v23
	v_ashrrev_i32_e32 v10, 31, v10
	s_wait_alu 0xfffd
	v_xor_b32_e32 v8, vcc_lo, v8
	v_cmp_gt_i32_e32 vcc_lo, 0, v23
	v_and_b32_e32 v5, v5, v7
	v_not_b32_e32 v7, v9
	v_ashrrev_i32_e32 v6, 31, v6
	s_wait_alu 0xf1ff
	v_xor_b32_e32 v10, s21, v10
	v_lshlrev_b32_e32 v4, 5, v4
	v_and_b32_e32 v5, v5, v8
	v_cmp_gt_i32_e64 s21, 0, v9
	v_ashrrev_i32_e32 v7, 31, v7
	s_wait_alu 0xfffd
	v_xor_b32_e32 v6, vcc_lo, v6
	v_add_nc_u32_e32 v25, v76, v4
	v_and_b32_e32 v5, v5, v10
	s_wait_alu 0xf1ff
	v_xor_b32_e32 v4, s21, v7
	ds_load_b32 v23, v25 offset:32
	v_and_b32_e32 v5, v5, v6
	; wave barrier
	s_delay_alu instid0(VALU_DEP_1) | instskip(NEXT) | instid1(VALU_DEP_1)
	v_and_b32_e32 v4, v5, v4
	v_mbcnt_lo_u32_b32 v24, v4, 0
	v_cmp_ne_u32_e64 s21, 0, v4
	s_delay_alu instid0(VALU_DEP_2)
	v_cmp_eq_u32_e32 vcc_lo, 0, v24
	s_and_b32 s29, s21, vcc_lo
	s_wait_alu 0xfffe
	s_and_saveexec_b32 s21, s29
	s_cbranch_execz .LBB191_80
; %bb.79:                               ;   in Loop: Header=BB191_70 Depth=1
	s_wait_dscnt 0x0
	v_bcnt_u32_b32 v4, v4, v23
	ds_store_b32 v25, v4 offset:32
.LBB191_80:                             ;   in Loop: Header=BB191_70 Depth=1
	s_wait_alu 0xfffe
	s_or_b32 exec_lo, exec_lo, s21
	v_cmp_ne_u64_e32 vcc_lo, s[24:25], v[40:41]
	; wave barrier
	s_wait_alu 0xfffd
	v_cndmask_b32_e32 v5, 0x7fffffff, v41, vcc_lo
	v_cndmask_b32_e32 v4, -1, v40, vcc_lo
	s_delay_alu instid0(VALU_DEP_1) | instskip(NEXT) | instid1(VALU_DEP_1)
	v_lshrrev_b64 v[4:5], v32, v[4:5]
	v_and_b32_e32 v4, s27, v4
	s_delay_alu instid0(VALU_DEP_1)
	v_and_b32_e32 v5, 1, v4
	v_lshlrev_b32_e32 v6, 30, v4
	v_lshlrev_b32_e32 v7, 29, v4
	;; [unrolled: 1-line block ×4, first 2 shown]
	v_add_co_u32 v5, s21, v5, -1
	s_wait_alu 0xf1ff
	v_cndmask_b32_e64 v9, 0, 1, s21
	v_not_b32_e32 v27, v6
	v_cmp_gt_i32_e64 s21, 0, v6
	v_not_b32_e32 v6, v7
	v_lshlrev_b32_e32 v11, 26, v4
	v_cmp_ne_u32_e32 vcc_lo, 0, v9
	v_ashrrev_i32_e32 v27, 31, v27
	v_lshlrev_b32_e32 v26, 25, v4
	v_ashrrev_i32_e32 v6, 31, v6
	v_lshlrev_b32_e32 v9, 24, v4
	s_wait_alu 0xfffd
	v_xor_b32_e32 v5, vcc_lo, v5
	v_cmp_gt_i32_e32 vcc_lo, 0, v7
	v_not_b32_e32 v7, v8
	s_wait_alu 0xf1ff
	v_xor_b32_e32 v27, s21, v27
	v_cmp_gt_i32_e64 s21, 0, v8
	v_and_b32_e32 v5, exec_lo, v5
	v_not_b32_e32 v8, v10
	v_ashrrev_i32_e32 v7, 31, v7
	s_wait_alu 0xfffd
	v_xor_b32_e32 v6, vcc_lo, v6
	v_cmp_gt_i32_e32 vcc_lo, 0, v10
	v_and_b32_e32 v5, v5, v27
	v_not_b32_e32 v10, v11
	v_ashrrev_i32_e32 v8, 31, v8
	s_wait_alu 0xf1ff
	v_xor_b32_e32 v7, s21, v7
	v_cmp_gt_i32_e64 s21, 0, v11
	v_and_b32_e32 v5, v5, v6
	v_not_b32_e32 v6, v26
	v_ashrrev_i32_e32 v10, 31, v10
	s_wait_alu 0xfffd
	v_xor_b32_e32 v8, vcc_lo, v8
	v_cmp_gt_i32_e32 vcc_lo, 0, v26
	v_and_b32_e32 v5, v5, v7
	v_not_b32_e32 v7, v9
	v_ashrrev_i32_e32 v6, 31, v6
	s_wait_alu 0xf1ff
	v_xor_b32_e32 v10, s21, v10
	v_lshlrev_b32_e32 v4, 5, v4
	v_and_b32_e32 v5, v5, v8
	v_cmp_gt_i32_e64 s21, 0, v9
	v_ashrrev_i32_e32 v7, 31, v7
	s_wait_alu 0xfffd
	v_xor_b32_e32 v6, vcc_lo, v6
	v_add_nc_u32_e32 v28, v76, v4
	v_and_b32_e32 v5, v5, v10
	s_wait_alu 0xf1ff
	v_xor_b32_e32 v4, s21, v7
	ds_load_b32 v26, v28 offset:32
	v_and_b32_e32 v5, v5, v6
	; wave barrier
	s_delay_alu instid0(VALU_DEP_1) | instskip(NEXT) | instid1(VALU_DEP_1)
	v_and_b32_e32 v4, v5, v4
	v_mbcnt_lo_u32_b32 v27, v4, 0
	v_cmp_ne_u32_e64 s21, 0, v4
	s_delay_alu instid0(VALU_DEP_2)
	v_cmp_eq_u32_e32 vcc_lo, 0, v27
	s_and_b32 s29, s21, vcc_lo
	s_wait_alu 0xfffe
	s_and_saveexec_b32 s21, s29
	s_cbranch_execz .LBB191_82
; %bb.81:                               ;   in Loop: Header=BB191_70 Depth=1
	s_wait_dscnt 0x0
	v_bcnt_u32_b32 v4, v4, v26
	ds_store_b32 v28, v4 offset:32
.LBB191_82:                             ;   in Loop: Header=BB191_70 Depth=1
	s_wait_alu 0xfffe
	s_or_b32 exec_lo, exec_lo, s21
	v_cmp_ne_u64_e32 vcc_lo, s[24:25], v[38:39]
	; wave barrier
	s_wait_alu 0xfffd
	v_cndmask_b32_e32 v5, 0x7fffffff, v39, vcc_lo
	v_cndmask_b32_e32 v4, -1, v38, vcc_lo
	s_delay_alu instid0(VALU_DEP_1) | instskip(NEXT) | instid1(VALU_DEP_1)
	v_lshrrev_b64 v[4:5], v32, v[4:5]
	v_and_b32_e32 v4, s27, v4
	s_delay_alu instid0(VALU_DEP_1)
	v_and_b32_e32 v5, 1, v4
	v_lshlrev_b32_e32 v6, 30, v4
	v_lshlrev_b32_e32 v7, 29, v4
	;; [unrolled: 1-line block ×4, first 2 shown]
	v_add_co_u32 v5, s21, v5, -1
	s_wait_alu 0xf1ff
	v_cndmask_b32_e64 v9, 0, 1, s21
	v_not_b32_e32 v30, v6
	v_cmp_gt_i32_e64 s21, 0, v6
	v_not_b32_e32 v6, v7
	v_lshlrev_b32_e32 v11, 26, v4
	v_cmp_ne_u32_e32 vcc_lo, 0, v9
	v_ashrrev_i32_e32 v30, 31, v30
	v_lshlrev_b32_e32 v29, 25, v4
	v_ashrrev_i32_e32 v6, 31, v6
	v_lshlrev_b32_e32 v9, 24, v4
	s_wait_alu 0xfffd
	v_xor_b32_e32 v5, vcc_lo, v5
	v_cmp_gt_i32_e32 vcc_lo, 0, v7
	v_not_b32_e32 v7, v8
	s_wait_alu 0xf1ff
	v_xor_b32_e32 v30, s21, v30
	v_cmp_gt_i32_e64 s21, 0, v8
	v_and_b32_e32 v5, exec_lo, v5
	v_not_b32_e32 v8, v10
	v_ashrrev_i32_e32 v7, 31, v7
	s_wait_alu 0xfffd
	v_xor_b32_e32 v6, vcc_lo, v6
	v_cmp_gt_i32_e32 vcc_lo, 0, v10
	v_and_b32_e32 v5, v5, v30
	v_not_b32_e32 v10, v11
	v_ashrrev_i32_e32 v8, 31, v8
	s_wait_alu 0xf1ff
	v_xor_b32_e32 v7, s21, v7
	v_cmp_gt_i32_e64 s21, 0, v11
	v_and_b32_e32 v5, v5, v6
	v_not_b32_e32 v6, v29
	v_ashrrev_i32_e32 v10, 31, v10
	s_wait_alu 0xfffd
	v_xor_b32_e32 v8, vcc_lo, v8
	v_cmp_gt_i32_e32 vcc_lo, 0, v29
	v_and_b32_e32 v5, v5, v7
	v_not_b32_e32 v7, v9
	v_ashrrev_i32_e32 v6, 31, v6
	s_wait_alu 0xf1ff
	v_xor_b32_e32 v10, s21, v10
	v_lshlrev_b32_e32 v4, 5, v4
	v_and_b32_e32 v5, v5, v8
	v_cmp_gt_i32_e64 s21, 0, v9
	v_ashrrev_i32_e32 v7, 31, v7
	s_wait_alu 0xfffd
	v_xor_b32_e32 v6, vcc_lo, v6
	v_add_nc_u32_e32 v31, v76, v4
	v_and_b32_e32 v5, v5, v10
	s_wait_alu 0xf1ff
	v_xor_b32_e32 v4, s21, v7
	ds_load_b32 v29, v31 offset:32
	v_and_b32_e32 v5, v5, v6
	; wave barrier
	s_delay_alu instid0(VALU_DEP_1) | instskip(NEXT) | instid1(VALU_DEP_1)
	v_and_b32_e32 v4, v5, v4
	v_mbcnt_lo_u32_b32 v30, v4, 0
	v_cmp_ne_u32_e64 s21, 0, v4
	s_delay_alu instid0(VALU_DEP_2)
	v_cmp_eq_u32_e32 vcc_lo, 0, v30
	s_and_b32 s29, s21, vcc_lo
	s_wait_alu 0xfffe
	s_and_saveexec_b32 s21, s29
	s_cbranch_execz .LBB191_84
; %bb.83:                               ;   in Loop: Header=BB191_70 Depth=1
	s_wait_dscnt 0x0
	v_bcnt_u32_b32 v4, v4, v29
	ds_store_b32 v31, v4 offset:32
.LBB191_84:                             ;   in Loop: Header=BB191_70 Depth=1
	s_wait_alu 0xfffe
	s_or_b32 exec_lo, exec_lo, s21
	v_cmp_ne_u64_e32 vcc_lo, s[24:25], v[36:37]
	; wave barrier
	s_wait_alu 0xfffd
	v_cndmask_b32_e32 v5, 0x7fffffff, v37, vcc_lo
	v_cndmask_b32_e32 v4, -1, v36, vcc_lo
	s_delay_alu instid0(VALU_DEP_1) | instskip(NEXT) | instid1(VALU_DEP_1)
	v_lshrrev_b64 v[4:5], v32, v[4:5]
	v_and_b32_e32 v4, s27, v4
	s_delay_alu instid0(VALU_DEP_1)
	v_and_b32_e32 v5, 1, v4
	v_lshlrev_b32_e32 v6, 30, v4
	v_lshlrev_b32_e32 v7, 29, v4
	;; [unrolled: 1-line block ×4, first 2 shown]
	v_add_co_u32 v5, s21, v5, -1
	s_wait_alu 0xf1ff
	v_cndmask_b32_e64 v9, 0, 1, s21
	v_not_b32_e32 v49, v6
	v_cmp_gt_i32_e64 s21, 0, v6
	v_not_b32_e32 v6, v7
	v_lshlrev_b32_e32 v11, 26, v4
	v_cmp_ne_u32_e32 vcc_lo, 0, v9
	v_ashrrev_i32_e32 v49, 31, v49
	v_lshlrev_b32_e32 v48, 25, v4
	v_ashrrev_i32_e32 v6, 31, v6
	v_lshlrev_b32_e32 v9, 24, v4
	s_wait_alu 0xfffd
	v_xor_b32_e32 v5, vcc_lo, v5
	v_cmp_gt_i32_e32 vcc_lo, 0, v7
	v_not_b32_e32 v7, v8
	s_wait_alu 0xf1ff
	v_xor_b32_e32 v49, s21, v49
	v_cmp_gt_i32_e64 s21, 0, v8
	v_and_b32_e32 v5, exec_lo, v5
	v_not_b32_e32 v8, v10
	v_ashrrev_i32_e32 v7, 31, v7
	s_wait_alu 0xfffd
	v_xor_b32_e32 v6, vcc_lo, v6
	v_cmp_gt_i32_e32 vcc_lo, 0, v10
	v_and_b32_e32 v5, v5, v49
	v_not_b32_e32 v10, v11
	v_ashrrev_i32_e32 v8, 31, v8
	s_wait_alu 0xf1ff
	v_xor_b32_e32 v7, s21, v7
	v_cmp_gt_i32_e64 s21, 0, v11
	v_and_b32_e32 v5, v5, v6
	v_not_b32_e32 v6, v48
	v_ashrrev_i32_e32 v10, 31, v10
	s_wait_alu 0xfffd
	v_xor_b32_e32 v8, vcc_lo, v8
	v_cmp_gt_i32_e32 vcc_lo, 0, v48
	v_and_b32_e32 v5, v5, v7
	v_not_b32_e32 v7, v9
	v_ashrrev_i32_e32 v6, 31, v6
	s_wait_alu 0xf1ff
	v_xor_b32_e32 v10, s21, v10
	v_lshlrev_b32_e32 v4, 5, v4
	v_and_b32_e32 v5, v5, v8
	v_cmp_gt_i32_e64 s21, 0, v9
	v_ashrrev_i32_e32 v7, 31, v7
	s_wait_alu 0xfffd
	v_xor_b32_e32 v6, vcc_lo, v6
	v_add_nc_u32_e32 v50, v76, v4
	v_and_b32_e32 v5, v5, v10
	s_wait_alu 0xf1ff
	v_xor_b32_e32 v4, s21, v7
	ds_load_b32 v48, v50 offset:32
	v_and_b32_e32 v5, v5, v6
	; wave barrier
	s_delay_alu instid0(VALU_DEP_1) | instskip(NEXT) | instid1(VALU_DEP_1)
	v_and_b32_e32 v4, v5, v4
	v_mbcnt_lo_u32_b32 v49, v4, 0
	v_cmp_ne_u32_e64 s21, 0, v4
	s_delay_alu instid0(VALU_DEP_2)
	v_cmp_eq_u32_e32 vcc_lo, 0, v49
	s_and_b32 s27, s21, vcc_lo
	s_wait_alu 0xfffe
	s_and_saveexec_b32 s21, s27
	s_cbranch_execz .LBB191_86
; %bb.85:                               ;   in Loop: Header=BB191_70 Depth=1
	s_wait_dscnt 0x0
	v_bcnt_u32_b32 v4, v4, v48
	ds_store_b32 v50, v4 offset:32
.LBB191_86:                             ;   in Loop: Header=BB191_70 Depth=1
	s_wait_alu 0xfffe
	s_or_b32 exec_lo, exec_lo, s21
	; wave barrier
	s_wait_loadcnt_dscnt 0x0
	s_barrier_signal -1
	s_barrier_wait -1
	global_inv scope:SCOPE_SE
	ds_load_b128 v[8:11], v115 offset:32
	ds_load_b128 v[4:7], v115 offset:48
	s_wait_dscnt 0x1
	v_add_nc_u32_e32 v51, v9, v8
	s_delay_alu instid0(VALU_DEP_1) | instskip(SKIP_1) | instid1(VALU_DEP_1)
	v_add3_u32 v51, v51, v10, v11
	s_wait_dscnt 0x0
	v_add3_u32 v51, v51, v4, v5
	s_delay_alu instid0(VALU_DEP_1) | instskip(NEXT) | instid1(VALU_DEP_1)
	v_add3_u32 v7, v51, v6, v7
	v_mov_b32_dpp v51, v7 row_shr:1 row_mask:0xf bank_mask:0xf
	s_delay_alu instid0(VALU_DEP_1) | instskip(NEXT) | instid1(VALU_DEP_1)
	v_cndmask_b32_e64 v51, v51, 0, s1
	v_add_nc_u32_e32 v7, v51, v7
	s_delay_alu instid0(VALU_DEP_1) | instskip(NEXT) | instid1(VALU_DEP_1)
	v_mov_b32_dpp v51, v7 row_shr:2 row_mask:0xf bank_mask:0xf
	v_cndmask_b32_e64 v51, 0, v51, s9
	s_delay_alu instid0(VALU_DEP_1) | instskip(NEXT) | instid1(VALU_DEP_1)
	v_add_nc_u32_e32 v7, v7, v51
	v_mov_b32_dpp v51, v7 row_shr:4 row_mask:0xf bank_mask:0xf
	s_delay_alu instid0(VALU_DEP_1) | instskip(NEXT) | instid1(VALU_DEP_1)
	v_cndmask_b32_e64 v51, 0, v51, s11
	v_add_nc_u32_e32 v7, v7, v51
	s_delay_alu instid0(VALU_DEP_1) | instskip(NEXT) | instid1(VALU_DEP_1)
	v_mov_b32_dpp v51, v7 row_shr:8 row_mask:0xf bank_mask:0xf
	v_cndmask_b32_e64 v51, 0, v51, s12
	s_delay_alu instid0(VALU_DEP_1) | instskip(SKIP_3) | instid1(VALU_DEP_1)
	v_add_nc_u32_e32 v7, v7, v51
	ds_swizzle_b32 v51, v7 offset:swizzle(BROADCAST,32,15)
	s_wait_dscnt 0x0
	v_cndmask_b32_e64 v51, v51, 0, s13
	v_add_nc_u32_e32 v7, v7, v51
	s_and_saveexec_b32 s21, s14
; %bb.87:                               ;   in Loop: Header=BB191_70 Depth=1
	ds_store_b32 v116, v7
; %bb.88:                               ;   in Loop: Header=BB191_70 Depth=1
	s_wait_alu 0xfffe
	s_or_b32 exec_lo, exec_lo, s21
	s_wait_loadcnt_dscnt 0x0
	s_barrier_signal -1
	s_barrier_wait -1
	global_inv scope:SCOPE_SE
	s_and_saveexec_b32 s21, s15
	s_cbranch_execz .LBB191_90
; %bb.89:                               ;   in Loop: Header=BB191_70 Depth=1
	ds_load_b32 v51, v77
	s_wait_dscnt 0x0
	v_mov_b32_dpp v78, v51 row_shr:1 row_mask:0xf bank_mask:0xf
	s_delay_alu instid0(VALU_DEP_1) | instskip(NEXT) | instid1(VALU_DEP_1)
	v_cndmask_b32_e64 v78, v78, 0, s18
	v_add_nc_u32_e32 v51, v78, v51
	s_delay_alu instid0(VALU_DEP_1) | instskip(NEXT) | instid1(VALU_DEP_1)
	v_mov_b32_dpp v78, v51 row_shr:2 row_mask:0xf bank_mask:0xf
	v_cndmask_b32_e64 v78, 0, v78, s19
	s_delay_alu instid0(VALU_DEP_1) | instskip(NEXT) | instid1(VALU_DEP_1)
	v_add_nc_u32_e32 v51, v51, v78
	v_mov_b32_dpp v78, v51 row_shr:4 row_mask:0xf bank_mask:0xf
	s_delay_alu instid0(VALU_DEP_1) | instskip(NEXT) | instid1(VALU_DEP_1)
	v_cndmask_b32_e64 v78, 0, v78, s20
	v_add_nc_u32_e32 v51, v51, v78
	ds_store_b32 v77, v51
.LBB191_90:                             ;   in Loop: Header=BB191_70 Depth=1
	s_wait_alu 0xfffe
	s_or_b32 exec_lo, exec_lo, s21
	v_mov_b32_e32 v51, 0
	s_wait_loadcnt_dscnt 0x0
	s_barrier_signal -1
	s_barrier_wait -1
	global_inv scope:SCOPE_SE
	s_and_saveexec_b32 s21, s16
; %bb.91:                               ;   in Loop: Header=BB191_70 Depth=1
	ds_load_b32 v51, v73
; %bb.92:                               ;   in Loop: Header=BB191_70 Depth=1
	s_wait_alu 0xfffe
	s_or_b32 exec_lo, exec_lo, s21
	s_wait_dscnt 0x0
	v_add_nc_u32_e32 v7, v51, v7
	v_cmp_lt_u32_e32 vcc_lo, 55, v32
	s_mov_b32 s21, -1
	ds_bpermute_b32 v7, v75, v7
	s_and_b32 vcc_lo, exec_lo, vcc_lo
	s_wait_dscnt 0x0
	v_cndmask_b32_e64 v7, v7, v51, s10
	s_delay_alu instid0(VALU_DEP_1) | instskip(NEXT) | instid1(VALU_DEP_1)
	v_cndmask_b32_e64 v7, v7, 0, s17
	v_add_nc_u32_e32 v8, v7, v8
	s_delay_alu instid0(VALU_DEP_1) | instskip(NEXT) | instid1(VALU_DEP_1)
	v_add_nc_u32_e32 v9, v8, v9
	v_add_nc_u32_e32 v10, v9, v10
	s_delay_alu instid0(VALU_DEP_1) | instskip(NEXT) | instid1(VALU_DEP_1)
	v_add_nc_u32_e32 v78, v10, v11
	;; [unrolled: 3-line block ×3, first 2 shown]
	v_add_nc_u32_e32 v81, v80, v6
	ds_store_b128 v115, v[7:10] offset:32
	ds_store_b128 v115, v[78:81] offset:48
	s_wait_loadcnt_dscnt 0x0
	s_barrier_signal -1
	s_barrier_wait -1
	global_inv scope:SCOPE_SE
	ds_load_b32 v4, v13 offset:32
	ds_load_b32 v5, v16 offset:32
	;; [unrolled: 1-line block ×8, first 2 shown]
	s_wait_dscnt 0x7
	v_add_nc_u32_e32 v85, v4, v12
	s_wait_dscnt 0x6
	v_add3_u32 v84, v15, v14, v5
	s_wait_dscnt 0x5
	v_add3_u32 v83, v18, v17, v6
	;; [unrolled: 2-line block ×7, first 2 shown]
                                        ; implicit-def: $vgpr50_vgpr51
                                        ; implicit-def: $vgpr14_vgpr15
                                        ; implicit-def: $vgpr10_vgpr11
                                        ; implicit-def: $vgpr6_vgpr7
                                        ; implicit-def: $vgpr30_vgpr31
                                        ; implicit-def: $vgpr26_vgpr27
                                        ; implicit-def: $vgpr22_vgpr23
                                        ; implicit-def: $vgpr18_vgpr19
	s_wait_alu 0xfffe
	s_cbranch_vccnz .LBB191_69
; %bb.93:                               ;   in Loop: Header=BB191_70 Depth=1
	v_lshlrev_b32_e32 v16, 3, v85
	v_lshlrev_b32_e32 v19, 3, v82
	;; [unrolled: 1-line block ×8, first 2 shown]
	s_wait_loadcnt 0x0
	s_barrier_signal -1
	s_barrier_wait -1
	global_inv scope:SCOPE_SE
	ds_store_b64 v16, v[34:35]
	ds_store_b64 v17, v[69:70]
	;; [unrolled: 1-line block ×8, first 2 shown]
	s_wait_loadcnt_dscnt 0x0
	s_barrier_signal -1
	s_barrier_wait -1
	global_inv scope:SCOPE_SE
	ds_load_2addr_b64 v[4:7], v74 offset1:32
	ds_load_2addr_b64 v[8:11], v74 offset0:64 offset1:96
	ds_load_2addr_b64 v[12:15], v74 offset0:128 offset1:160
	;; [unrolled: 1-line block ×3, first 2 shown]
	s_wait_loadcnt_dscnt 0x0
	s_barrier_signal -1
	s_barrier_wait -1
	global_inv scope:SCOPE_SE
	ds_store_b64 v16, v[60:61]
	ds_store_b64 v17, v[58:59]
	;; [unrolled: 1-line block ×8, first 2 shown]
	s_wait_loadcnt_dscnt 0x0
	s_barrier_signal -1
	s_barrier_wait -1
	global_inv scope:SCOPE_SE
	ds_load_2addr_b64 v[16:19], v74 offset1:32
	ds_load_2addr_b64 v[20:23], v74 offset0:64 offset1:96
	ds_load_2addr_b64 v[24:27], v74 offset0:128 offset1:160
	ds_load_2addr_b64 v[28:31], v74 offset0:192 offset1:224
	v_add_co_u32 v32, vcc_lo, v32, 8
	s_wait_alu 0xfffd
	v_add_co_ci_u32_e64 v33, null, 0, v33, vcc_lo
	s_add_co_i32 s26, s26, -8
	s_mov_b32 s21, 0
	s_wait_loadcnt_dscnt 0x0
	s_barrier_signal -1
	s_barrier_wait -1
	global_inv scope:SCOPE_SE
	s_branch .LBB191_69
.LBB191_94:
	v_lshlrev_b32_e32 v16, 3, v85
	v_lshlrev_b32_e32 v19, 3, v82
	;; [unrolled: 1-line block ×9, first 2 shown]
	s_wait_loadcnt 0x0
	s_barrier_signal -1
	s_barrier_wait -1
	global_inv scope:SCOPE_SE
	ds_store_b64 v16, v[34:35]
	ds_store_b64 v17, v[69:70]
	;; [unrolled: 1-line block ×8, first 2 shown]
	s_wait_loadcnt_dscnt 0x0
	s_barrier_signal -1
	s_barrier_wait -1
	global_inv scope:SCOPE_SE
	ds_load_b128 v[0:3], v24
	ds_load_b128 v[4:7], v24 offset:16
	ds_load_b128 v[8:11], v24 offset:32
	;; [unrolled: 1-line block ×3, first 2 shown]
	s_wait_loadcnt_dscnt 0x0
	s_barrier_signal -1
	s_barrier_wait -1
	global_inv scope:SCOPE_SE
	ds_store_b64 v16, v[60:61]
	ds_store_b64 v17, v[58:59]
	;; [unrolled: 1-line block ×8, first 2 shown]
	s_wait_loadcnt_dscnt 0x0
	s_barrier_signal -1
	s_barrier_wait -1
	global_inv scope:SCOPE_SE
	ds_load_b128 v[52:55], v24
	ds_load_b128 v[48:51], v24 offset:16
	ds_load_b128 v[60:63], v24 offset:32
	;; [unrolled: 1-line block ×3, first 2 shown]
	v_cmp_gt_i64_e32 vcc_lo, 0, v[0:1]
	v_ashrrev_i32_e32 v18, 31, v3
	v_ashrrev_i32_e32 v16, 31, v1
	s_wait_alu 0xfffd
	v_cndmask_b32_e64 v17, 0x7fffffff, 0, vcc_lo
	v_cmp_gt_i64_e32 vcc_lo, 0, v[2:3]
	v_not_b32_e32 v18, v18
	v_not_b32_e32 v16, v16
	s_delay_alu instid0(VALU_DEP_4)
	v_xor_b32_e32 v1, v17, v1
	v_ashrrev_i32_e32 v17, 31, v7
	s_wait_alu 0xfffd
	v_cndmask_b32_e64 v19, 0x7fffffff, 0, vcc_lo
	v_cmp_gt_i64_e32 vcc_lo, 0, v[4:5]
	v_xor_b32_e32 v2, v18, v2
	v_xor_b32_e32 v0, v16, v0
	v_ashrrev_i32_e32 v16, 31, v5
	v_xor_b32_e32 v3, v19, v3
	v_not_b32_e32 v17, v17
	s_wait_alu 0xfffd
	v_cndmask_b32_e64 v18, 0x7fffffff, 0, vcc_lo
	v_cmp_gt_i64_e32 vcc_lo, 0, v[6:7]
	v_not_b32_e32 v16, v16
	v_xor_b32_e32 v6, v17, v6
	s_delay_alu instid0(VALU_DEP_4)
	v_xor_b32_e32 v5, v18, v5
	v_ashrrev_i32_e32 v18, 31, v11
	s_wait_alu 0xfffd
	v_cndmask_b32_e64 v19, 0x7fffffff, 0, vcc_lo
	v_cmp_gt_i64_e32 vcc_lo, 0, v[8:9]
	v_xor_b32_e32 v4, v16, v4
	v_ashrrev_i32_e32 v16, 31, v9
	s_delay_alu instid0(VALU_DEP_4) | instskip(SKIP_4) | instid1(VALU_DEP_3)
	v_xor_b32_e32 v7, v19, v7
	s_wait_alu 0xfffd
	v_cndmask_b32_e64 v17, 0x7fffffff, 0, vcc_lo
	v_cmp_gt_i64_e32 vcc_lo, 0, v[10:11]
	v_not_b32_e32 v16, v16
	v_xor_b32_e32 v9, v17, v9
	v_ashrrev_i32_e32 v17, 31, v13
	s_wait_alu 0xfffd
	v_cndmask_b32_e64 v19, 0x7fffffff, 0, vcc_lo
	v_cmp_gt_i64_e32 vcc_lo, 0, v[12:13]
	v_xor_b32_e32 v8, v16, v8
	v_not_b32_e32 v16, v18
	v_ashrrev_i32_e32 v18, 31, v15
	v_xor_b32_e32 v11, v19, v11
	v_not_b32_e32 v17, v17
	s_wait_alu 0xfffd
	v_cndmask_b32_e64 v19, 0x7fffffff, 0, vcc_lo
	v_cmp_gt_i64_e32 vcc_lo, 0, v[14:15]
	v_not_b32_e32 v18, v18
	v_xor_b32_e32 v10, v16, v10
	v_xor_b32_e32 v12, v17, v12
	;; [unrolled: 1-line block ×3, first 2 shown]
	s_wait_alu 0xfffd
	v_cndmask_b32_e64 v20, 0x7fffffff, 0, vcc_lo
	v_xor_b32_e32 v14, v18, v14
	s_delay_alu instid0(VALU_DEP_2)
	v_xor_b32_e32 v15, v20, v15
.LBB191_95:
	s_wait_loadcnt_dscnt 0x0
	s_barrier_signal -1
	s_barrier_wait -1
	global_inv scope:SCOPE_SE
	ds_store_2addr_b64 v114, v[0:1], v[2:3] offset1:1
	ds_store_2addr_b64 v114, v[4:5], v[6:7] offset0:2 offset1:3
	ds_store_2addr_b64 v114, v[8:9], v[10:11] offset0:4 offset1:5
	;; [unrolled: 1-line block ×3, first 2 shown]
	s_wait_loadcnt_dscnt 0x0
	s_barrier_signal -1
	s_barrier_wait -1
	global_inv scope:SCOPE_SE
	ds_load_b64 v[14:15], v107 offset:2048
	ds_load_b64 v[12:13], v108 offset:4096
	;; [unrolled: 1-line block ×7, first 2 shown]
	v_mov_b32_e32 v72, 0
	s_delay_alu instid0(VALU_DEP_1) | instskip(NEXT) | instid1(VALU_DEP_1)
	v_lshlrev_b64_e32 v[2:3], 3, v[71:72]
	v_add_co_u32 v2, vcc_lo, s30, v2
	s_wait_alu 0xfffd
	s_delay_alu instid0(VALU_DEP_2)
	v_add_co_ci_u32_e64 v3, null, s31, v3, vcc_lo
	s_and_saveexec_b32 s1, s2
	s_cbranch_execnz .LBB191_114
; %bb.96:
	s_wait_alu 0xfffe
	s_or_b32 exec_lo, exec_lo, s1
	s_and_saveexec_b32 s1, s3
	s_cbranch_execnz .LBB191_115
.LBB191_97:
	s_wait_alu 0xfffe
	s_or_b32 exec_lo, exec_lo, s1
	s_and_saveexec_b32 s1, s4
	s_cbranch_execnz .LBB191_116
.LBB191_98:
	s_wait_alu 0xfffe
	s_or_b32 exec_lo, exec_lo, s1
	s_and_saveexec_b32 s1, s5
	s_cbranch_execnz .LBB191_117
.LBB191_99:
	s_wait_alu 0xfffe
	s_or_b32 exec_lo, exec_lo, s1
	s_and_saveexec_b32 s1, s6
	s_cbranch_execnz .LBB191_118
.LBB191_100:
	s_wait_alu 0xfffe
	s_or_b32 exec_lo, exec_lo, s1
	s_and_saveexec_b32 s1, s7
	s_cbranch_execnz .LBB191_119
.LBB191_101:
	s_wait_alu 0xfffe
	s_or_b32 exec_lo, exec_lo, s1
	s_and_saveexec_b32 s1, s8
	s_cbranch_execnz .LBB191_120
.LBB191_102:
	s_wait_alu 0xfffe
	s_or_b32 exec_lo, exec_lo, s1
	s_and_saveexec_b32 s1, s0
	s_cbranch_execz .LBB191_104
.LBB191_103:
	s_mul_i32 s10, s22, 0x700
	s_mov_b32 s11, 0
	s_wait_alu 0xfffe
	s_lshl_b64 s[10:11], s[10:11], 3
	s_wait_alu 0xfffe
	v_add_co_u32 v2, vcc_lo, v2, s10
	s_wait_alu 0xfffd
	v_add_co_ci_u32_e64 v3, null, s11, v3, vcc_lo
	s_wait_dscnt 0x0
	global_store_b64 v[2:3], v[0:1], off
.LBB191_104:
	s_wait_alu 0xfffe
	s_or_b32 exec_lo, exec_lo, s1
	s_wait_storecnt 0x0
	s_wait_loadcnt_dscnt 0x0
	s_barrier_signal -1
	s_barrier_wait -1
	global_inv scope:SCOPE_SE
	ds_store_2addr_b64 v114, v[52:53], v[54:55] offset1:1
	ds_store_2addr_b64 v114, v[48:49], v[50:51] offset0:2 offset1:3
	ds_store_2addr_b64 v114, v[60:61], v[62:63] offset0:4 offset1:5
	;; [unrolled: 1-line block ×3, first 2 shown]
	s_wait_loadcnt_dscnt 0x0
	s_barrier_signal -1
	s_barrier_wait -1
	global_inv scope:SCOPE_SE
	ds_load_b64 v[14:15], v107 offset:2048
	ds_load_b64 v[12:13], v108 offset:4096
	;; [unrolled: 1-line block ×7, first 2 shown]
	v_mov_b32_e32 v69, 0
	s_delay_alu instid0(VALU_DEP_1) | instskip(NEXT) | instid1(VALU_DEP_1)
	v_lshlrev_b64_e32 v[2:3], 3, v[68:69]
	v_add_co_u32 v2, vcc_lo, s34, v2
	s_wait_alu 0xfffd
	s_delay_alu instid0(VALU_DEP_2)
	v_add_co_ci_u32_e64 v3, null, s35, v3, vcc_lo
	s_and_saveexec_b32 s1, s2
	s_cbranch_execnz .LBB191_121
; %bb.105:
	s_wait_alu 0xfffe
	s_or_b32 exec_lo, exec_lo, s1
	s_and_saveexec_b32 s1, s3
	s_cbranch_execnz .LBB191_122
.LBB191_106:
	s_wait_alu 0xfffe
	s_or_b32 exec_lo, exec_lo, s1
	s_and_saveexec_b32 s1, s4
	s_cbranch_execnz .LBB191_123
.LBB191_107:
	s_wait_alu 0xfffe
	s_or_b32 exec_lo, exec_lo, s1
	s_and_saveexec_b32 s1, s5
	s_cbranch_execnz .LBB191_124
.LBB191_108:
	s_wait_alu 0xfffe
	s_or_b32 exec_lo, exec_lo, s1
	s_and_saveexec_b32 s1, s6
	s_cbranch_execnz .LBB191_125
.LBB191_109:
	s_wait_alu 0xfffe
	s_or_b32 exec_lo, exec_lo, s1
	s_and_saveexec_b32 s1, s7
	s_cbranch_execnz .LBB191_126
.LBB191_110:
	s_wait_alu 0xfffe
	s_or_b32 exec_lo, exec_lo, s1
	s_and_saveexec_b32 s1, s8
	s_cbranch_execnz .LBB191_127
.LBB191_111:
	s_wait_alu 0xfffe
	s_or_b32 exec_lo, exec_lo, s1
	s_and_saveexec_b32 s1, s0
	s_cbranch_execz .LBB191_113
.LBB191_112:
	s_mul_i32 s0, s28, 0x700
	s_mov_b32 s1, 0
	s_wait_alu 0xfffe
	s_lshl_b64 s[0:1], s[0:1], 3
	s_wait_alu 0xfffe
	v_add_co_u32 v2, vcc_lo, v2, s0
	s_wait_alu 0xfffd
	v_add_co_ci_u32_e64 v3, null, s1, v3, vcc_lo
	s_wait_dscnt 0x0
	global_store_b64 v[2:3], v[0:1], off
.LBB191_113:
	s_nop 0
	s_sendmsg sendmsg(MSG_DEALLOC_VGPRS)
	s_endpgm
.LBB191_114:
	ds_load_b64 v[16:17], v106
	s_wait_dscnt 0x0
	global_store_b64 v[2:3], v[16:17], off
	s_wait_alu 0xfffe
	s_or_b32 exec_lo, exec_lo, s1
	s_and_saveexec_b32 s1, s3
	s_cbranch_execz .LBB191_97
.LBB191_115:
	s_lshl_b32 s10, s22, 8
	s_mov_b32 s11, 0
	s_wait_alu 0xfffe
	s_lshl_b64 s[10:11], s[10:11], 3
	s_wait_alu 0xfffe
	v_add_co_u32 v16, vcc_lo, v2, s10
	s_wait_alu 0xfffd
	v_add_co_ci_u32_e64 v17, null, s11, v3, vcc_lo
	s_wait_dscnt 0x6
	global_store_b64 v[16:17], v[14:15], off
	s_or_b32 exec_lo, exec_lo, s1
	s_and_saveexec_b32 s1, s4
	s_cbranch_execz .LBB191_98
.LBB191_116:
	s_lshl_b32 s10, s22, 9
	s_mov_b32 s11, 0
	s_wait_alu 0xfffe
	s_lshl_b64 s[10:11], s[10:11], 3
	s_wait_dscnt 0x6
	s_wait_alu 0xfffe
	v_add_co_u32 v14, vcc_lo, v2, s10
	s_wait_alu 0xfffd
	v_add_co_ci_u32_e64 v15, null, s11, v3, vcc_lo
	s_wait_dscnt 0x5
	global_store_b64 v[14:15], v[12:13], off
	s_or_b32 exec_lo, exec_lo, s1
	s_and_saveexec_b32 s1, s5
	s_cbranch_execz .LBB191_99
.LBB191_117:
	s_mul_i32 s10, s22, 0x300
	s_mov_b32 s11, 0
	s_wait_alu 0xfffe
	s_lshl_b64 s[10:11], s[10:11], 3
	s_wait_dscnt 0x5
	s_wait_alu 0xfffe
	v_add_co_u32 v12, vcc_lo, v2, s10
	s_wait_alu 0xfffd
	v_add_co_ci_u32_e64 v13, null, s11, v3, vcc_lo
	s_wait_dscnt 0x4
	global_store_b64 v[12:13], v[10:11], off
	s_or_b32 exec_lo, exec_lo, s1
	s_and_saveexec_b32 s1, s6
	s_cbranch_execz .LBB191_100
.LBB191_118:
	s_lshl_b32 s10, s22, 10
	s_mov_b32 s11, 0
	s_wait_alu 0xfffe
	s_lshl_b64 s[10:11], s[10:11], 3
	s_wait_dscnt 0x4
	s_wait_alu 0xfffe
	v_add_co_u32 v10, vcc_lo, v2, s10
	s_wait_alu 0xfffd
	v_add_co_ci_u32_e64 v11, null, s11, v3, vcc_lo
	s_wait_dscnt 0x3
	global_store_b64 v[10:11], v[8:9], off
	s_or_b32 exec_lo, exec_lo, s1
	s_and_saveexec_b32 s1, s7
	s_cbranch_execz .LBB191_101
.LBB191_119:
	s_mul_i32 s10, s22, 0x500
	s_mov_b32 s11, 0
	s_wait_alu 0xfffe
	s_lshl_b64 s[10:11], s[10:11], 3
	s_wait_dscnt 0x3
	s_wait_alu 0xfffe
	v_add_co_u32 v8, vcc_lo, v2, s10
	s_wait_alu 0xfffd
	v_add_co_ci_u32_e64 v9, null, s11, v3, vcc_lo
	s_wait_dscnt 0x2
	global_store_b64 v[8:9], v[6:7], off
	s_or_b32 exec_lo, exec_lo, s1
	s_and_saveexec_b32 s1, s8
	s_cbranch_execz .LBB191_102
.LBB191_120:
	s_mul_i32 s10, s22, 0x600
	s_mov_b32 s11, 0
	s_wait_alu 0xfffe
	s_lshl_b64 s[10:11], s[10:11], 3
	s_wait_dscnt 0x2
	s_wait_alu 0xfffe
	v_add_co_u32 v6, vcc_lo, v2, s10
	s_wait_alu 0xfffd
	v_add_co_ci_u32_e64 v7, null, s11, v3, vcc_lo
	s_wait_dscnt 0x1
	global_store_b64 v[6:7], v[4:5], off
	s_or_b32 exec_lo, exec_lo, s1
	s_and_saveexec_b32 s1, s0
	s_cbranch_execnz .LBB191_103
	s_branch .LBB191_104
.LBB191_121:
	ds_load_b64 v[16:17], v106
	s_wait_dscnt 0x0
	global_store_b64 v[2:3], v[16:17], off
	s_wait_alu 0xfffe
	s_or_b32 exec_lo, exec_lo, s1
	s_and_saveexec_b32 s1, s3
	s_cbranch_execz .LBB191_106
.LBB191_122:
	s_lshl_b32 s2, s28, 8
	s_mov_b32 s3, 0
	s_delay_alu instid0(SALU_CYCLE_1) | instskip(NEXT) | instid1(SALU_CYCLE_1)
	s_lshl_b64 s[2:3], s[2:3], 3
	v_add_co_u32 v16, vcc_lo, v2, s2
	s_wait_alu 0xfffd
	v_add_co_ci_u32_e64 v17, null, s3, v3, vcc_lo
	s_wait_dscnt 0x6
	global_store_b64 v[16:17], v[14:15], off
	s_wait_alu 0xfffe
	s_or_b32 exec_lo, exec_lo, s1
	s_and_saveexec_b32 s1, s4
	s_cbranch_execz .LBB191_107
.LBB191_123:
	s_lshl_b32 s2, s28, 9
	s_mov_b32 s3, 0
	s_wait_alu 0xfffe
	s_lshl_b64 s[2:3], s[2:3], 3
	s_wait_dscnt 0x6
	s_wait_alu 0xfffe
	v_add_co_u32 v14, vcc_lo, v2, s2
	s_wait_alu 0xfffd
	v_add_co_ci_u32_e64 v15, null, s3, v3, vcc_lo
	s_wait_dscnt 0x5
	global_store_b64 v[14:15], v[12:13], off
	s_or_b32 exec_lo, exec_lo, s1
	s_and_saveexec_b32 s1, s5
	s_cbranch_execz .LBB191_108
.LBB191_124:
	s_mul_i32 s2, s28, 0x300
	s_mov_b32 s3, 0
	s_wait_alu 0xfffe
	s_lshl_b64 s[2:3], s[2:3], 3
	s_wait_dscnt 0x5
	s_wait_alu 0xfffe
	v_add_co_u32 v12, vcc_lo, v2, s2
	s_wait_alu 0xfffd
	v_add_co_ci_u32_e64 v13, null, s3, v3, vcc_lo
	s_wait_dscnt 0x4
	global_store_b64 v[12:13], v[10:11], off
	s_or_b32 exec_lo, exec_lo, s1
	s_and_saveexec_b32 s1, s6
	s_cbranch_execz .LBB191_109
.LBB191_125:
	s_lshl_b32 s2, s28, 10
	s_mov_b32 s3, 0
	s_wait_alu 0xfffe
	s_lshl_b64 s[2:3], s[2:3], 3
	s_wait_dscnt 0x4
	s_wait_alu 0xfffe
	v_add_co_u32 v10, vcc_lo, v2, s2
	s_wait_alu 0xfffd
	v_add_co_ci_u32_e64 v11, null, s3, v3, vcc_lo
	s_wait_dscnt 0x3
	global_store_b64 v[10:11], v[8:9], off
	s_or_b32 exec_lo, exec_lo, s1
	s_and_saveexec_b32 s1, s7
	s_cbranch_execz .LBB191_110
.LBB191_126:
	s_mul_i32 s2, s28, 0x500
	s_mov_b32 s3, 0
	s_wait_alu 0xfffe
	s_lshl_b64 s[2:3], s[2:3], 3
	s_wait_dscnt 0x3
	s_wait_alu 0xfffe
	v_add_co_u32 v8, vcc_lo, v2, s2
	s_wait_alu 0xfffd
	v_add_co_ci_u32_e64 v9, null, s3, v3, vcc_lo
	s_wait_dscnt 0x2
	global_store_b64 v[8:9], v[6:7], off
	s_or_b32 exec_lo, exec_lo, s1
	s_and_saveexec_b32 s1, s8
	s_cbranch_execz .LBB191_111
.LBB191_127:
	s_mul_i32 s2, s28, 0x600
	s_mov_b32 s3, 0
	s_wait_alu 0xfffe
	s_lshl_b64 s[2:3], s[2:3], 3
	s_wait_dscnt 0x2
	s_wait_alu 0xfffe
	v_add_co_u32 v6, vcc_lo, v2, s2
	s_wait_alu 0xfffd
	v_add_co_ci_u32_e64 v7, null, s3, v3, vcc_lo
	s_wait_dscnt 0x1
	global_store_b64 v[6:7], v[4:5], off
	s_or_b32 exec_lo, exec_lo, s1
	s_and_saveexec_b32 s1, s0
	s_cbranch_execnz .LBB191_112
	s_branch .LBB191_113
	.section	.rodata,"a",@progbits
	.p2align	6, 0x0
	.amdhsa_kernel _ZN2at6native18radixSortKVInPlaceILin1ELin1ELi256ELi8EdljEEvNS_4cuda6detail10TensorInfoIT3_T5_EES6_S6_S6_NS4_IT4_S6_EES6_b
		.amdhsa_group_segment_fixed_size 16896
		.amdhsa_private_segment_fixed_size 0
		.amdhsa_kernarg_size 712
		.amdhsa_user_sgpr_count 2
		.amdhsa_user_sgpr_dispatch_ptr 0
		.amdhsa_user_sgpr_queue_ptr 0
		.amdhsa_user_sgpr_kernarg_segment_ptr 1
		.amdhsa_user_sgpr_dispatch_id 0
		.amdhsa_user_sgpr_private_segment_size 0
		.amdhsa_wavefront_size32 1
		.amdhsa_uses_dynamic_stack 0
		.amdhsa_enable_private_segment 0
		.amdhsa_system_sgpr_workgroup_id_x 1
		.amdhsa_system_sgpr_workgroup_id_y 1
		.amdhsa_system_sgpr_workgroup_id_z 1
		.amdhsa_system_sgpr_workgroup_info 0
		.amdhsa_system_vgpr_workitem_id 2
		.amdhsa_next_free_vgpr 143
		.amdhsa_next_free_sgpr 40
		.amdhsa_reserve_vcc 1
		.amdhsa_float_round_mode_32 0
		.amdhsa_float_round_mode_16_64 0
		.amdhsa_float_denorm_mode_32 3
		.amdhsa_float_denorm_mode_16_64 3
		.amdhsa_fp16_overflow 0
		.amdhsa_workgroup_processor_mode 1
		.amdhsa_memory_ordered 1
		.amdhsa_forward_progress 1
		.amdhsa_inst_pref_size 125
		.amdhsa_round_robin_scheduling 0
		.amdhsa_exception_fp_ieee_invalid_op 0
		.amdhsa_exception_fp_denorm_src 0
		.amdhsa_exception_fp_ieee_div_zero 0
		.amdhsa_exception_fp_ieee_overflow 0
		.amdhsa_exception_fp_ieee_underflow 0
		.amdhsa_exception_fp_ieee_inexact 0
		.amdhsa_exception_int_div_zero 0
	.end_amdhsa_kernel
	.section	.text._ZN2at6native18radixSortKVInPlaceILin1ELin1ELi256ELi8EdljEEvNS_4cuda6detail10TensorInfoIT3_T5_EES6_S6_S6_NS4_IT4_S6_EES6_b,"axG",@progbits,_ZN2at6native18radixSortKVInPlaceILin1ELin1ELi256ELi8EdljEEvNS_4cuda6detail10TensorInfoIT3_T5_EES6_S6_S6_NS4_IT4_S6_EES6_b,comdat
.Lfunc_end191:
	.size	_ZN2at6native18radixSortKVInPlaceILin1ELin1ELi256ELi8EdljEEvNS_4cuda6detail10TensorInfoIT3_T5_EES6_S6_S6_NS4_IT4_S6_EES6_b, .Lfunc_end191-_ZN2at6native18radixSortKVInPlaceILin1ELin1ELi256ELi8EdljEEvNS_4cuda6detail10TensorInfoIT3_T5_EES6_S6_S6_NS4_IT4_S6_EES6_b
                                        ; -- End function
	.set _ZN2at6native18radixSortKVInPlaceILin1ELin1ELi256ELi8EdljEEvNS_4cuda6detail10TensorInfoIT3_T5_EES6_S6_S6_NS4_IT4_S6_EES6_b.num_vgpr, 143
	.set _ZN2at6native18radixSortKVInPlaceILin1ELin1ELi256ELi8EdljEEvNS_4cuda6detail10TensorInfoIT3_T5_EES6_S6_S6_NS4_IT4_S6_EES6_b.num_agpr, 0
	.set _ZN2at6native18radixSortKVInPlaceILin1ELin1ELi256ELi8EdljEEvNS_4cuda6detail10TensorInfoIT3_T5_EES6_S6_S6_NS4_IT4_S6_EES6_b.numbered_sgpr, 40
	.set _ZN2at6native18radixSortKVInPlaceILin1ELin1ELi256ELi8EdljEEvNS_4cuda6detail10TensorInfoIT3_T5_EES6_S6_S6_NS4_IT4_S6_EES6_b.num_named_barrier, 0
	.set _ZN2at6native18radixSortKVInPlaceILin1ELin1ELi256ELi8EdljEEvNS_4cuda6detail10TensorInfoIT3_T5_EES6_S6_S6_NS4_IT4_S6_EES6_b.private_seg_size, 0
	.set _ZN2at6native18radixSortKVInPlaceILin1ELin1ELi256ELi8EdljEEvNS_4cuda6detail10TensorInfoIT3_T5_EES6_S6_S6_NS4_IT4_S6_EES6_b.uses_vcc, 1
	.set _ZN2at6native18radixSortKVInPlaceILin1ELin1ELi256ELi8EdljEEvNS_4cuda6detail10TensorInfoIT3_T5_EES6_S6_S6_NS4_IT4_S6_EES6_b.uses_flat_scratch, 0
	.set _ZN2at6native18radixSortKVInPlaceILin1ELin1ELi256ELi8EdljEEvNS_4cuda6detail10TensorInfoIT3_T5_EES6_S6_S6_NS4_IT4_S6_EES6_b.has_dyn_sized_stack, 0
	.set _ZN2at6native18radixSortKVInPlaceILin1ELin1ELi256ELi8EdljEEvNS_4cuda6detail10TensorInfoIT3_T5_EES6_S6_S6_NS4_IT4_S6_EES6_b.has_recursion, 0
	.set _ZN2at6native18radixSortKVInPlaceILin1ELin1ELi256ELi8EdljEEvNS_4cuda6detail10TensorInfoIT3_T5_EES6_S6_S6_NS4_IT4_S6_EES6_b.has_indirect_call, 0
	.section	.AMDGPU.csdata,"",@progbits
; Kernel info:
; codeLenInByte = 15988
; TotalNumSgprs: 42
; NumVgprs: 143
; ScratchSize: 0
; MemoryBound: 0
; FloatMode: 240
; IeeeMode: 1
; LDSByteSize: 16896 bytes/workgroup (compile time only)
; SGPRBlocks: 0
; VGPRBlocks: 17
; NumSGPRsForWavesPerEU: 42
; NumVGPRsForWavesPerEU: 143
; Occupancy: 10
; WaveLimiterHint : 1
; COMPUTE_PGM_RSRC2:SCRATCH_EN: 0
; COMPUTE_PGM_RSRC2:USER_SGPR: 2
; COMPUTE_PGM_RSRC2:TRAP_HANDLER: 0
; COMPUTE_PGM_RSRC2:TGID_X_EN: 1
; COMPUTE_PGM_RSRC2:TGID_Y_EN: 1
; COMPUTE_PGM_RSRC2:TGID_Z_EN: 1
; COMPUTE_PGM_RSRC2:TIDIG_COMP_CNT: 2
	.section	.text._ZN2at6native18radixSortKVInPlaceILin1ELin1ELi128ELi8EdljEEvNS_4cuda6detail10TensorInfoIT3_T5_EES6_S6_S6_NS4_IT4_S6_EES6_b,"axG",@progbits,_ZN2at6native18radixSortKVInPlaceILin1ELin1ELi128ELi8EdljEEvNS_4cuda6detail10TensorInfoIT3_T5_EES6_S6_S6_NS4_IT4_S6_EES6_b,comdat
	.protected	_ZN2at6native18radixSortKVInPlaceILin1ELin1ELi128ELi8EdljEEvNS_4cuda6detail10TensorInfoIT3_T5_EES6_S6_S6_NS4_IT4_S6_EES6_b ; -- Begin function _ZN2at6native18radixSortKVInPlaceILin1ELin1ELi128ELi8EdljEEvNS_4cuda6detail10TensorInfoIT3_T5_EES6_S6_S6_NS4_IT4_S6_EES6_b
	.globl	_ZN2at6native18radixSortKVInPlaceILin1ELin1ELi128ELi8EdljEEvNS_4cuda6detail10TensorInfoIT3_T5_EES6_S6_S6_NS4_IT4_S6_EES6_b
	.p2align	8
	.type	_ZN2at6native18radixSortKVInPlaceILin1ELin1ELi128ELi8EdljEEvNS_4cuda6detail10TensorInfoIT3_T5_EES6_S6_S6_NS4_IT4_S6_EES6_b,@function
_ZN2at6native18radixSortKVInPlaceILin1ELin1ELi128ELi8EdljEEvNS_4cuda6detail10TensorInfoIT3_T5_EES6_S6_S6_NS4_IT4_S6_EES6_b: ; @_ZN2at6native18radixSortKVInPlaceILin1ELin1ELi128ELi8EdljEEvNS_4cuda6detail10TensorInfoIT3_T5_EES6_S6_S6_NS4_IT4_S6_EES6_b
; %bb.0:
	s_clause 0x1
	s_load_b64 s[2:3], s[0:1], 0x1c8
	s_load_b96 s[20:22], s[0:1], 0xd8
	s_lshr_b32 s4, ttmp7, 16
	s_wait_kmcnt 0x0
	s_mul_i32 s3, s3, s4
	s_and_b32 s4, ttmp7, 0xffff
	s_delay_alu instid0(SALU_CYCLE_1) | instskip(NEXT) | instid1(SALU_CYCLE_1)
	s_add_co_i32 s3, s3, s4
	s_mul_i32 s2, s3, s2
	s_delay_alu instid0(SALU_CYCLE_1) | instskip(NEXT) | instid1(SALU_CYCLE_1)
	s_add_co_i32 s23, s2, ttmp9
	s_cmp_ge_u32 s23, s20
	s_cbranch_scc1 .LBB192_113
; %bb.1:
	s_load_b32 s4, s[0:1], 0xd0
	s_mov_b32 s3, 0
	s_mov_b32 s2, s23
	s_wait_kmcnt 0x0
	s_cmp_lt_i32 s4, 2
	s_cbranch_scc1 .LBB192_4
; %bb.2:
	s_add_co_i32 s2, s4, -1
	s_delay_alu instid0(SALU_CYCLE_1)
	s_lshl_b64 s[6:7], s[2:3], 2
	s_mov_b32 s2, s23
	s_add_nc_u64 s[8:9], s[0:1], s[6:7]
	s_add_co_i32 s6, s4, 1
	s_add_nc_u64 s[4:5], s[8:9], 8
.LBB192_3:                              ; =>This Inner Loop Header: Depth=1
	s_clause 0x1
	s_load_b32 s7, s[4:5], 0x0
	s_load_b32 s8, s[4:5], 0x64
	s_mov_b32 s11, s2
	s_add_nc_u64 s[4:5], s[4:5], -4
	s_wait_kmcnt 0x0
	s_cvt_f32_u32 s9, s7
	s_sub_co_i32 s10, 0, s7
	s_wait_alu 0xfffe
	s_delay_alu instid0(SALU_CYCLE_1) | instskip(NEXT) | instid1(TRANS32_DEP_1)
	v_rcp_iflag_f32_e32 v1, s9
	v_readfirstlane_b32 s9, v1
	s_mul_f32 s9, s9, 0x4f7ffffe
	s_wait_alu 0xfffe
	s_delay_alu instid0(SALU_CYCLE_2) | instskip(SKIP_1) | instid1(SALU_CYCLE_2)
	s_cvt_u32_f32 s9, s9
	s_wait_alu 0xfffe
	s_mul_i32 s10, s10, s9
	s_delay_alu instid0(SALU_CYCLE_1) | instskip(NEXT) | instid1(SALU_CYCLE_1)
	s_mul_hi_u32 s10, s9, s10
	s_add_co_i32 s9, s9, s10
	s_wait_alu 0xfffe
	s_mul_hi_u32 s2, s2, s9
	s_delay_alu instid0(SALU_CYCLE_1)
	s_mul_i32 s9, s2, s7
	s_add_co_i32 s10, s2, 1
	s_wait_alu 0xfffe
	s_sub_co_i32 s9, s11, s9
	s_wait_alu 0xfffe
	s_sub_co_i32 s12, s9, s7
	s_cmp_ge_u32 s9, s7
	s_cselect_b32 s2, s10, s2
	s_cselect_b32 s9, s12, s9
	s_add_co_i32 s10, s2, 1
	s_wait_alu 0xfffe
	s_cmp_ge_u32 s9, s7
	s_cselect_b32 s2, s10, s2
	s_add_co_i32 s6, s6, -1
	s_mul_i32 s7, s2, s7
	s_delay_alu instid0(SALU_CYCLE_1) | instskip(NEXT) | instid1(SALU_CYCLE_1)
	s_sub_co_i32 s7, s11, s7
	s_mul_i32 s7, s8, s7
	s_delay_alu instid0(SALU_CYCLE_1)
	s_add_co_i32 s3, s7, s3
	s_cmp_gt_u32 s6, 2
	s_cbranch_scc1 .LBB192_3
.LBB192_4:
	s_load_b32 s4, s[0:1], 0x1b8
	s_add_nc_u64 s[24:25], s[0:1], 0x1c8
	s_mov_b32 s27, 0
	s_wait_kmcnt 0x0
	s_cmp_lt_i32 s4, 2
	s_cbranch_scc1 .LBB192_7
; %bb.5:
	s_add_co_i32 s26, s4, -1
	s_delay_alu instid0(SALU_CYCLE_1) | instskip(NEXT) | instid1(SALU_CYCLE_1)
	s_lshl_b64 s[6:7], s[26:27], 2
	s_add_nc_u64 s[8:9], s[0:1], s[6:7]
	s_add_co_i32 s6, s4, 1
	s_wait_alu 0xfffe
	s_add_nc_u64 s[4:5], s[8:9], 0xf0
.LBB192_6:                              ; =>This Inner Loop Header: Depth=1
	s_clause 0x1
	s_load_b32 s7, s[4:5], 0x0
	s_load_b32 s8, s[4:5], 0x64
	s_mov_b32 s11, s23
	s_add_nc_u64 s[4:5], s[4:5], -4
	s_wait_kmcnt 0x0
	s_cvt_f32_u32 s9, s7
	s_sub_co_i32 s10, 0, s7
	s_wait_alu 0xfffe
	s_delay_alu instid0(SALU_CYCLE_1) | instskip(NEXT) | instid1(TRANS32_DEP_1)
	v_rcp_iflag_f32_e32 v1, s9
	v_readfirstlane_b32 s9, v1
	s_mul_f32 s9, s9, 0x4f7ffffe
	s_wait_alu 0xfffe
	s_delay_alu instid0(SALU_CYCLE_2) | instskip(SKIP_1) | instid1(SALU_CYCLE_2)
	s_cvt_u32_f32 s9, s9
	s_wait_alu 0xfffe
	s_mul_i32 s10, s10, s9
	s_delay_alu instid0(SALU_CYCLE_1) | instskip(NEXT) | instid1(SALU_CYCLE_1)
	s_mul_hi_u32 s10, s9, s10
	s_add_co_i32 s9, s9, s10
	s_wait_alu 0xfffe
	s_mul_hi_u32 s9, s23, s9
	s_wait_alu 0xfffe
	s_mul_i32 s10, s9, s7
	s_add_co_i32 s12, s9, 1
	s_sub_co_i32 s10, s23, s10
	s_delay_alu instid0(SALU_CYCLE_1)
	s_sub_co_i32 s13, s10, s7
	s_cmp_ge_u32 s10, s7
	s_cselect_b32 s9, s12, s9
	s_cselect_b32 s10, s13, s10
	s_wait_alu 0xfffe
	s_add_co_i32 s12, s9, 1
	s_cmp_ge_u32 s10, s7
	s_cselect_b32 s23, s12, s9
	s_add_co_i32 s6, s6, -1
	s_mul_i32 s7, s23, s7
	s_delay_alu instid0(SALU_CYCLE_1) | instskip(NEXT) | instid1(SALU_CYCLE_1)
	s_sub_co_i32 s7, s11, s7
	s_mul_i32 s7, s8, s7
	s_delay_alu instid0(SALU_CYCLE_1)
	s_add_co_i32 s27, s7, s27
	s_cmp_gt_u32 s6, 2
	s_cbranch_scc1 .LBB192_6
.LBB192_7:
	s_clause 0x2
	s_load_b32 s4, s[0:1], 0x6c
	s_load_b64 s[28:29], s[0:1], 0x1c0
	s_load_b64 s[30:31], s[0:1], 0x0
	s_mov_b32 s19, 0
	s_wait_kmcnt 0x0
	s_mul_i32 s2, s4, s2
	s_mov_b32 s4, -1
	s_add_co_i32 s18, s2, s3
	s_bitcmp1_b32 s29, 0
	s_mov_b32 s6, s4
	s_cselect_b32 s20, -1, 0
	s_lshl_b64 s[34:35], s[18:19], 3
	s_and_b32 s2, s20, exec_lo
	s_cselect_b32 s5, -1, 0x7fffffff
	s_mov_b32 s8, s4
	s_mov_b32 s10, s4
	;; [unrolled: 1-line block ×13, first 2 shown]
	v_and_b32_e32 v73, 0x3ff, v0
	v_dual_mov_b32 v1, s4 :: v_dual_mov_b32 v4, s7
	v_dual_mov_b32 v2, s5 :: v_dual_mov_b32 v15, s18
	v_mov_b32_e32 v18, s5
	s_delay_alu instid0(VALU_DEP_4)
	v_mul_lo_u32 v71, s22, v73
	v_cmp_gt_u32_e64 s2, s21, v73
	s_wait_alu 0xfffe
	v_dual_mov_b32 v3, s6 :: v_dual_mov_b32 v6, s9
	v_dual_mov_b32 v5, s8 :: v_dual_mov_b32 v8, s11
	;; [unrolled: 1-line block ×6, first 2 shown]
	v_mov_b32_e32 v17, s4
	s_add_nc_u64 s[30:31], s[30:31], s[34:35]
	s_and_saveexec_b32 s3, s2
	s_cbranch_execz .LBB192_9
; %bb.8:
	v_mov_b32_e32 v72, 0
	s_delay_alu instid0(VALU_DEP_1) | instskip(NEXT) | instid1(VALU_DEP_1)
	v_lshlrev_b64_e32 v[1:2], 3, v[71:72]
	v_add_co_u32 v1, vcc_lo, s30, v1
	s_delay_alu instid0(VALU_DEP_1)
	v_add_co_ci_u32_e64 v2, null, s31, v2, vcc_lo
	global_load_b64 v[17:18], v[1:2], off
	v_dual_mov_b32 v1, s4 :: v_dual_mov_b32 v2, s5
	v_dual_mov_b32 v3, s6 :: v_dual_mov_b32 v4, s7
	;; [unrolled: 1-line block ×8, first 2 shown]
.LBB192_9:
	s_or_b32 exec_lo, exec_lo, s3
	v_add_nc_u32_e32 v32, 0x80, v73
	s_delay_alu instid0(VALU_DEP_1)
	v_cmp_gt_u32_e64 s3, s21, v32
	s_and_saveexec_b32 s4, s3
	s_cbranch_execz .LBB192_11
; %bb.10:
	v_mul_lo_u32 v1, s22, v32
	v_mov_b32_e32 v2, 0
	s_delay_alu instid0(VALU_DEP_1) | instskip(NEXT) | instid1(VALU_DEP_1)
	v_lshlrev_b64_e32 v[1:2], 3, v[1:2]
	v_add_co_u32 v1, vcc_lo, s30, v1
	s_wait_alu 0xfffd
	s_delay_alu instid0(VALU_DEP_2)
	v_add_co_ci_u32_e64 v2, null, s31, v2, vcc_lo
	global_load_b64 v[3:4], v[1:2], off
.LBB192_11:
	s_wait_alu 0xfffe
	s_or_b32 exec_lo, exec_lo, s4
	v_add_nc_u32_e32 v33, 0x100, v73
	s_delay_alu instid0(VALU_DEP_1)
	v_cmp_gt_u32_e64 s4, s21, v33
	s_and_saveexec_b32 s5, s4
	s_cbranch_execz .LBB192_13
; %bb.12:
	v_mul_lo_u32 v1, s22, v33
	v_mov_b32_e32 v2, 0
	s_delay_alu instid0(VALU_DEP_1) | instskip(NEXT) | instid1(VALU_DEP_1)
	v_lshlrev_b64_e32 v[1:2], 3, v[1:2]
	v_add_co_u32 v1, vcc_lo, s30, v1
	s_wait_alu 0xfffd
	s_delay_alu instid0(VALU_DEP_2)
	v_add_co_ci_u32_e64 v2, null, s31, v2, vcc_lo
	global_load_b64 v[5:6], v[1:2], off
.LBB192_13:
	s_wait_alu 0xfffe
	;; [unrolled: 18-line block ×6, first 2 shown]
	s_or_b32 exec_lo, exec_lo, s9
	s_clause 0x1
	s_load_b32 s9, s[0:1], 0x154
	s_load_b64 s[10:11], s[0:1], 0xe8
	v_add_nc_u32_e32 v38, 0x380, v73
	s_delay_alu instid0(VALU_DEP_1)
	v_cmp_gt_u32_e64 s0, s21, v38
	s_and_saveexec_b32 s1, s0
	s_cbranch_execz .LBB192_23
; %bb.22:
	v_mul_lo_u32 v1, s22, v38
	v_mov_b32_e32 v2, 0
	s_delay_alu instid0(VALU_DEP_1) | instskip(NEXT) | instid1(VALU_DEP_1)
	v_lshlrev_b64_e32 v[1:2], 3, v[1:2]
	v_add_co_u32 v1, vcc_lo, s30, v1
	s_wait_alu 0xfffd
	s_delay_alu instid0(VALU_DEP_2)
	v_add_co_ci_u32_e64 v2, null, s31, v2, vcc_lo
	global_load_b64 v[15:16], v[1:2], off
.LBB192_23:
	s_or_b32 exec_lo, exec_lo, s1
	v_lshrrev_b32_e32 v2, 2, v33
	v_dual_mov_b32 v69, 0 :: v_dual_lshlrev_b32 v72, 3, v73
	v_lshrrev_b32_e32 v1, 2, v32
	v_lshrrev_b32_e32 v19, 2, v34
	s_delay_alu instid0(VALU_DEP_4) | instskip(SKIP_1) | instid1(VALU_DEP_4)
	v_and_b32_e32 v2, 0x1f8, v2
	v_lshrrev_b32_e32 v48, 5, v73
	v_dual_mov_b32 v70, v69 :: v_dual_and_b32 v1, 0x1f8, v1
	s_delay_alu instid0(VALU_DEP_4) | instskip(NEXT) | instid1(VALU_DEP_4)
	v_and_b32_e32 v19, 0x1f8, v19
	v_add_nc_u32_e32 v108, v2, v72
	v_lshrrev_b32_e32 v2, 2, v36
	v_lshl_add_u32 v106, v48, 3, v72
	v_add_nc_u32_e32 v107, v1, v72
	v_lshrrev_b32_e32 v1, 2, v35
	v_lshrrev_b32_e32 v20, 2, v38
	v_and_b32_e32 v2, 0x1f8, v2
	s_wait_kmcnt 0x0
	s_mul_i32 s1, s9, s23
	v_mul_lo_u32 v68, s28, v73
	v_and_b32_e32 v1, 0x1f8, v1
	s_mov_b32 s13, 0
	v_dual_mov_b32 v2, v69 :: v_dual_add_nc_u32 v111, v2, v72
	v_add_nc_u32_e32 v109, v19, v72
	v_lshrrev_b32_e32 v19, 2, v37
	s_wait_loadcnt 0x0
	ds_store_b64 v106, v[17:18]
	ds_store_b64 v107, v[3:4] offset:1024
	ds_store_b64 v108, v[5:6] offset:2048
	;; [unrolled: 1-line block ×3, first 2 shown]
	v_dual_mov_b32 v7, v69 :: v_dual_and_b32 v4, 0x1f8, v20
	v_lshlrev_b32_e32 v5, 1, v73
	v_dual_mov_b32 v8, v69 :: v_dual_and_b32 v3, 0x1f8, v19
	v_mov_b32_e32 v6, v69
	v_add_nc_u32_e32 v110, v1, v72
	v_add_nc_u32_e32 v113, v4, v72
	s_delay_alu instid0(VALU_DEP_4)
	v_add_nc_u32_e32 v112, v3, v72
	ds_store_b64 v110, v[9:10] offset:4096
	ds_store_b64 v111, v[11:12] offset:5120
	;; [unrolled: 1-line block ×4, first 2 shown]
	v_dual_mov_b32 v10, v69 :: v_dual_and_b32 v1, 0x7f8, v5
	s_wait_dscnt 0x0
	s_barrier_signal -1
	s_barrier_wait -1
	global_inv scope:SCOPE_SE
	v_lshl_add_u32 v114, v73, 6, v1
	ds_load_2addr_b64 v[28:31], v114 offset1:1
	ds_load_2addr_b64 v[24:27], v114 offset0:2 offset1:3
	ds_load_2addr_b64 v[20:23], v114 offset0:4 offset1:5
	;; [unrolled: 1-line block ×3, first 2 shown]
	s_add_co_i32 s12, s1, s27
	v_mov_b32_e32 v11, 0
	v_mov_b32_e32 v1, v69
	v_dual_mov_b32 v3, v69 :: v_dual_mov_b32 v4, v69
	v_mov_b32_e32 v5, v69
	v_mov_b32_e32 v9, v69
	v_dual_mov_b32 v13, v69 :: v_dual_mov_b32 v12, 0
	v_mov_b32_e32 v14, v69
	s_wait_alu 0xfffe
	s_lshl_b64 s[12:13], s[12:13], 3
	s_wait_loadcnt_dscnt 0x0
	s_wait_alu 0xfffe
	s_add_nc_u64 s[34:35], s[10:11], s[12:13]
	s_barrier_signal -1
	s_barrier_wait -1
	global_inv scope:SCOPE_SE
	s_and_saveexec_b32 s1, s2
	s_cbranch_execnz .LBB192_59
; %bb.24:
	s_or_b32 exec_lo, exec_lo, s1
	s_and_saveexec_b32 s1, s3
	s_cbranch_execnz .LBB192_60
.LBB192_25:
	s_or_b32 exec_lo, exec_lo, s1
	s_and_saveexec_b32 s1, s4
	s_cbranch_execnz .LBB192_61
.LBB192_26:
	s_or_b32 exec_lo, exec_lo, s1
	s_and_saveexec_b32 s1, s5
	s_cbranch_execnz .LBB192_62
.LBB192_27:
	s_or_b32 exec_lo, exec_lo, s1
	s_and_saveexec_b32 s1, s6
	s_cbranch_execnz .LBB192_63
.LBB192_28:
	s_or_b32 exec_lo, exec_lo, s1
	s_and_saveexec_b32 s1, s7
	s_cbranch_execnz .LBB192_64
.LBB192_29:
	s_or_b32 exec_lo, exec_lo, s1
	s_and_saveexec_b32 s1, s8
	s_cbranch_execnz .LBB192_65
.LBB192_30:
	s_or_b32 exec_lo, exec_lo, s1
	s_xor_b32 s1, s20, -1
	s_and_saveexec_b32 s9, s0
	s_cbranch_execz .LBB192_32
.LBB192_31:
	v_mul_lo_u32 v13, s28, v38
	v_mov_b32_e32 v14, 0
	s_delay_alu instid0(VALU_DEP_1) | instskip(NEXT) | instid1(VALU_DEP_1)
	v_lshlrev_b64_e32 v[13:14], 3, v[13:14]
	v_add_co_u32 v13, vcc_lo, s34, v13
	s_wait_alu 0xfffd
	s_delay_alu instid0(VALU_DEP_2)
	v_add_co_ci_u32_e64 v14, null, s35, v14, vcc_lo
	global_load_b64 v[13:14], v[13:14], off
.LBB192_32:
	s_wait_alu 0xfffe
	s_or_b32 exec_lo, exec_lo, s9
	s_wait_loadcnt 0x0
	ds_store_b64 v106, v[11:12]
	ds_store_b64 v107, v[69:70] offset:1024
	ds_store_b64 v108, v[1:2] offset:2048
	;; [unrolled: 1-line block ×7, first 2 shown]
	s_wait_dscnt 0x0
	s_barrier_signal -1
	s_barrier_wait -1
	global_inv scope:SCOPE_SE
	ds_load_2addr_b64 v[44:47], v114 offset1:1
	ds_load_2addr_b64 v[40:43], v114 offset0:2 offset1:3
	ds_load_2addr_b64 v[36:39], v114 offset0:4 offset1:5
	ds_load_2addr_b64 v[32:35], v114 offset0:6 offset1:7
	s_and_b32 vcc_lo, exec_lo, s1
	v_bfe_u32 v120, v0, 10, 10
	v_bfe_u32 v121, v0, 20, 10
	v_ashrrev_i32_e32 v129, 31, v29
	v_ashrrev_i32_e32 v128, 31, v31
	;; [unrolled: 1-line block ×8, first 2 shown]
	v_mbcnt_lo_u32_b32 v118, -1, 0
	v_and_b32_e32 v119, 0x3e0, v73
	v_lshlrev_b32_e32 v115, 2, v72
	v_cmp_gt_u32_e64 s1, 4, v73
	v_cmp_lt_u32_e64 s9, 31, v73
	v_cmp_eq_u32_e64 s10, 0, v73
	v_lshlrev_b32_e32 v116, 2, v48
	v_mul_i32_i24_e32 v117, 0xffffffe4, v73
	s_wait_loadcnt_dscnt 0x0
	s_barrier_signal -1
	s_barrier_wait -1
	global_inv scope:SCOPE_SE
	s_wait_alu 0xfffe
	s_cbranch_vccz .LBB192_66
; %bb.33:
	v_cmp_lt_i64_e32 vcc_lo, -1, v[28:29]
	v_or_b32_e32 v14, v118, v119
	s_mov_b32 s36, 0
	s_getpc_b64 s[12:13]
	s_wait_alu 0xfffe
	s_sext_i32_i16 s13, s13
	s_add_co_u32 s12, s12, _ZN7rocprim17ROCPRIM_400000_NS16block_radix_sortIdLj128ELj8ElLj1ELj1ELj0ELNS0_26block_radix_rank_algorithmE1ELNS0_18block_padding_hintE2ELNS0_4arch9wavefront6targetE0EE19radix_bits_per_passE@rel32@lo+12
	s_wait_alu 0xfffe
	s_add_co_ci_u32 s13, s13, _ZN7rocprim17ROCPRIM_400000_NS16block_radix_sortIdLj128ELj8ElLj1ELj1ELj0ELNS0_26block_radix_rank_algorithmE1ELNS0_18block_padding_hintE2ELNS0_4arch9wavefront6targetE0EE19radix_bits_per_passE@rel32@hi+24
	s_mov_b32 s37, s36
	s_mov_b32 s38, s36
	s_wait_alu 0xfffd
	v_cndmask_b32_e64 v0, -1, 0x80000000, vcc_lo
	v_cmp_lt_i64_e32 vcc_lo, -1, v[30:31]
	v_lshlrev_b32_e32 v48, 6, v14
	s_mov_b32 s39, s36
	v_and_b32_e32 v69, 3, v118
	v_xor_b32_e32 v1, v0, v29
	v_xor_b32_e32 v0, v129, v28
	s_wait_alu 0xfffd
	v_cndmask_b32_e64 v2, -1, 0x80000000, vcc_lo
	v_cmp_lt_i64_e32 vcc_lo, -1, v[24:25]
	v_and_or_b32 v49, 0x1f00, v72, v118
	s_load_b32 s21, s[12:13], 0x0
	v_cmp_eq_u32_e64 s18, 0, v69
	v_xor_b32_e32 v3, v2, v31
	v_xor_b32_e32 v2, v128, v30
	v_cndmask_b32_e64 v4, -1, 0x80000000, vcc_lo
	v_cmp_lt_i64_e32 vcc_lo, -1, v[26:27]
	v_cmp_lt_u32_e64 s19, 1, v69
	v_mov_b32_e32 v69, 0
	v_xor_b32_e32 v14, v122, v18
	v_xor_b32_e32 v5, v4, v25
	;; [unrolled: 1-line block ×3, first 2 shown]
	s_wait_alu 0xfffd
	v_cndmask_b32_e64 v6, -1, 0x80000000, vcc_lo
	v_cmp_lt_i64_e32 vcc_lo, -1, v[20:21]
	v_add_nc_u32_e32 v132, -4, v116
	v_add_nc_u32_e32 v134, v115, v117
	s_mov_b32 s26, -1
	v_xor_b32_e32 v7, v6, v27
	v_xor_b32_e32 v6, v126, v26
	s_wait_alu 0xfffd
	v_cndmask_b32_e64 v8, -1, 0x80000000, vcc_lo
	v_cmp_lt_i64_e32 vcc_lo, -1, v[22:23]
	ds_store_b128 v48, v[0:3]
	ds_store_b128 v48, v[4:7] offset:16
	v_sub_co_u32 v3, s13, v118, 1
	v_xor_b32_e32 v9, v8, v21
	s_wait_alu 0xfffd
	v_cndmask_b32_e64 v10, -1, 0x80000000, vcc_lo
	v_cmp_lt_i64_e32 vcc_lo, -1, v[16:17]
	v_xor_b32_e32 v8, v125, v20
	v_and_b32_e32 v2, 15, v118
	s_brev_b32 s27, -2
	v_xor_b32_e32 v11, v10, v23
	v_xor_b32_e32 v10, v124, v22
	s_wait_alu 0xfffd
	v_cndmask_b32_e64 v12, -1, 0x80000000, vcc_lo
	v_cmp_lt_i64_e32 vcc_lo, -1, v[18:19]
	v_cmp_lt_u32_e64 s12, 1, v2
	v_cmp_lt_u32_e64 s15, 7, v2
	s_mov_b32 s23, 64
	v_xor_b32_e32 v13, v12, v17
	v_xor_b32_e32 v12, v123, v16
	s_wait_alu 0xfffd
	v_cndmask_b32_e64 v15, -1, 0x80000000, vcc_lo
	v_cmp_gt_i32_e32 vcc_lo, 0, v3
	v_lshlrev_b32_e32 v130, 3, v49
	v_mov_b32_e32 v70, 0
	s_delay_alu instid0(VALU_DEP_4)
	v_xor_b32_e32 v15, v15, v19
	ds_store_b128 v48, v[8:11] offset:32
	ds_store_b128 v48, v[12:15] offset:48
	; wave barrier
	s_wait_alu 0xfffd
	v_cndmask_b32_e32 v3, v3, v118, vcc_lo
	ds_load_2addr_b64 v[4:7], v130 offset1:32
	ds_load_2addr_b64 v[8:11], v130 offset0:64 offset1:96
	ds_load_2addr_b64 v[12:15], v130 offset0:128 offset1:160
	ds_load_2addr_b64 v[64:67], v130 offset0:192 offset1:224
	; wave barrier
	ds_store_b128 v48, v[44:47]
	ds_store_b128 v48, v[40:43] offset:16
	ds_store_b128 v48, v[36:39] offset:32
	;; [unrolled: 1-line block ×3, first 2 shown]
	; wave barrier
	ds_load_2addr_b64 v[48:51], v130 offset1:32
	ds_load_2addr_b64 v[52:55], v130 offset0:64 offset1:96
	ds_load_2addr_b64 v[56:59], v130 offset0:128 offset1:160
	;; [unrolled: 1-line block ×3, first 2 shown]
	s_wait_loadcnt_dscnt 0x0
	s_barrier_signal -1
	s_barrier_wait -1
	global_inv scope:SCOPE_SE
	s_load_b32 s11, s[24:25], 0xc
	v_lshlrev_b32_e32 v131, 2, v3
	s_wait_kmcnt 0x0
	s_lshr_b32 s14, s11, 16
	s_and_b32 s11, s11, 0xffff
	s_wait_alu 0xfffe
	v_mad_u32_u24 v0, v121, s14, v120
	v_cmp_lt_u32_e64 s14, 3, v2
	s_delay_alu instid0(VALU_DEP_2) | instskip(SKIP_3) | instid1(VALU_DEP_3)
	v_mad_co_u64_u32 v[0:1], null, v0, s11, v[73:74]
	v_min_u32_e32 v1, 0x60, v119
	v_cmp_eq_u32_e64 s11, 0, v2
	v_and_b32_e32 v2, 16, v118
	v_or_b32_e32 v1, 31, v1
	v_lshrrev_b32_e32 v0, 3, v0
	s_delay_alu instid0(VALU_DEP_3) | instskip(NEXT) | instid1(VALU_DEP_3)
	v_cmp_eq_u32_e64 s16, 0, v2
	v_cmp_eq_u32_e64 s17, v73, v1
	s_delay_alu instid0(VALU_DEP_3)
	v_dual_mov_b32 v0, s36 :: v_dual_and_b32 v133, 0x1ffffffc, v0
	v_dual_mov_b32 v1, s37 :: v_dual_mov_b32 v2, s38
	v_mov_b32_e32 v3, s39
	s_branch .LBB192_35
.LBB192_34:                             ;   in Loop: Header=BB192_35 Depth=1
	s_wait_alu 0xfffe
	s_and_not1_b32 vcc_lo, exec_lo, s20
	s_wait_alu 0xfffe
	s_cbranch_vccz .LBB192_67
.LBB192_35:                             ; =>This Inner Loop Header: Depth=1
	v_dual_mov_b32 v75, v5 :: v_dual_mov_b32 v74, v4
	s_min_u32 s20, s21, s23
	v_mov_b32_e32 v79, v65
	s_wait_alu 0xfffe
	s_lshl_b32 s20, -1, s20
	ds_store_b128 v115, v[0:3] offset:16
	ds_store_b128 v115, v[0:3] offset:32
	v_cmp_ne_u64_e32 vcc_lo, s[26:27], v[74:75]
	s_wait_alu 0xfffe
	s_not_b32 s29, s20
	s_wait_loadcnt_dscnt 0x0
	s_barrier_signal -1
	s_barrier_wait -1
	s_wait_alu 0xfffd
	v_dual_mov_b32 v77, v67 :: v_dual_cndmask_b32 v4, 0, v74
	v_dual_cndmask_b32 v5, 0x80000000, v75 :: v_dual_mov_b32 v76, v66
	global_inv scope:SCOPE_SE
	; wave barrier
	v_lshrrev_b64 v[4:5], v69, v[4:5]
	v_dual_mov_b32 v78, v64 :: v_dual_mov_b32 v99, v13
	v_mov_b32_e32 v101, v11
	v_mov_b32_e32 v103, v9
	v_mov_b32_e32 v105, v7
	s_wait_alu 0xfffe
	v_and_b32_e32 v5, s29, v4
	v_dual_mov_b32 v81, v15 :: v_dual_mov_b32 v80, v14
	v_mov_b32_e32 v98, v12
	s_delay_alu instid0(VALU_DEP_3)
	v_dual_mov_b32 v100, v10 :: v_dual_lshlrev_b32 v67, 26, v5
	v_and_b32_e32 v4, 1, v5
	v_lshlrev_b32_e32 v14, 30, v5
	v_lshlrev_b32_e32 v15, 29, v5
	;; [unrolled: 1-line block ×4, first 2 shown]
	v_add_co_u32 v4, s20, v4, -1
	s_wait_alu 0xf1ff
	v_cndmask_b32_e64 v65, 0, 1, s20
	v_not_b32_e32 v83, v14
	v_cmp_gt_i32_e64 s20, 0, v14
	v_not_b32_e32 v14, v15
	v_lshlrev_b32_e32 v82, 25, v5
	v_cmp_ne_u32_e32 vcc_lo, 0, v65
	v_ashrrev_i32_e32 v83, 31, v83
	v_dual_mov_b32 v102, v8 :: v_dual_lshlrev_b32 v65, 24, v5
	v_ashrrev_i32_e32 v14, 31, v14
	s_wait_alu 0xfffd
	v_xor_b32_e32 v4, vcc_lo, v4
	v_cmp_gt_i32_e32 vcc_lo, 0, v15
	v_not_b32_e32 v15, v64
	s_wait_alu 0xf1ff
	v_xor_b32_e32 v83, s20, v83
	v_cmp_gt_i32_e64 s20, 0, v64
	v_and_b32_e32 v4, exec_lo, v4
	v_not_b32_e32 v64, v66
	v_ashrrev_i32_e32 v15, 31, v15
	s_wait_alu 0xfffd
	v_xor_b32_e32 v14, vcc_lo, v14
	v_cmp_gt_i32_e32 vcc_lo, 0, v66
	v_dual_mov_b32 v85, v61 :: v_dual_and_b32 v4, v4, v83
	v_not_b32_e32 v66, v67
	v_ashrrev_i32_e32 v64, 31, v64
	s_wait_alu 0xf1ff
	v_xor_b32_e32 v15, s20, v15
	v_dual_mov_b32 v87, v59 :: v_dual_and_b32 v4, v4, v14
	v_cmp_gt_i32_e64 s20, 0, v67
	v_not_b32_e32 v14, v82
	v_ashrrev_i32_e32 v66, 31, v66
	s_wait_alu 0xfffd
	v_xor_b32_e32 v64, vcc_lo, v64
	v_dual_mov_b32 v89, v57 :: v_dual_and_b32 v4, v4, v15
	v_cmp_gt_i32_e32 vcc_lo, 0, v82
	v_not_b32_e32 v15, v65
	v_ashrrev_i32_e32 v14, 31, v14
	s_wait_alu 0xf1ff
	v_xor_b32_e32 v66, s20, v66
	v_dual_mov_b32 v91, v55 :: v_dual_and_b32 v4, v4, v64
	v_cmp_gt_i32_e64 s20, 0, v65
	v_ashrrev_i32_e32 v12, 31, v15
	s_wait_alu 0xfffd
	v_xor_b32_e32 v13, vcc_lo, v14
	v_dual_mov_b32 v93, v53 :: v_dual_and_b32 v4, v4, v66
	v_dual_mov_b32 v104, v6 :: v_dual_mov_b32 v95, v51
	s_wait_alu 0xf1ff
	v_xor_b32_e32 v6, s20, v12
	s_delay_alu instid0(VALU_DEP_3) | instskip(SKIP_2) | instid1(VALU_DEP_3)
	v_dual_mov_b32 v97, v49 :: v_dual_and_b32 v4, v4, v13
	v_dual_mov_b32 v83, v63 :: v_dual_mov_b32 v82, v62
	v_lshlrev_b32_e32 v5, 4, v5
	v_and_b32_e32 v4, v4, v6
	v_mov_b32_e32 v84, v60
	v_mov_b32_e32 v86, v58
	;; [unrolled: 1-line block ×4, first 2 shown]
	v_mbcnt_lo_u32_b32 v12, v4, 0
	v_cmp_ne_u32_e64 s20, 0, v4
	v_mov_b32_e32 v92, v52
	v_mov_b32_e32 v94, v50
	v_mov_b32_e32 v96, v48
	v_cmp_eq_u32_e32 vcc_lo, 0, v12
	v_add_nc_u32_e32 v13, v133, v5
	s_and_b32 s33, s20, vcc_lo
	s_delay_alu instid0(SALU_CYCLE_1)
	s_and_saveexec_b32 s20, s33
; %bb.36:                               ;   in Loop: Header=BB192_35 Depth=1
	v_bcnt_u32_b32 v4, v4, 0
	ds_store_b32 v13, v4 offset:16
; %bb.37:                               ;   in Loop: Header=BB192_35 Depth=1
	s_wait_alu 0xfffe
	s_or_b32 exec_lo, exec_lo, s20
	v_cmp_ne_u64_e32 vcc_lo, s[26:27], v[104:105]
	; wave barrier
	s_wait_alu 0xfffd
	v_cndmask_b32_e32 v5, 0x80000000, v105, vcc_lo
	v_cndmask_b32_e32 v4, 0, v104, vcc_lo
	s_delay_alu instid0(VALU_DEP_1) | instskip(NEXT) | instid1(VALU_DEP_1)
	v_lshrrev_b64 v[4:5], v69, v[4:5]
	v_and_b32_e32 v4, s29, v4
	s_delay_alu instid0(VALU_DEP_1)
	v_and_b32_e32 v5, 1, v4
	v_lshlrev_b32_e32 v6, 30, v4
	v_lshlrev_b32_e32 v7, 29, v4
	;; [unrolled: 1-line block ×4, first 2 shown]
	v_add_co_u32 v5, s20, v5, -1
	s_wait_alu 0xf1ff
	v_cndmask_b32_e64 v9, 0, 1, s20
	v_not_b32_e32 v15, v6
	v_cmp_gt_i32_e64 s20, 0, v6
	v_not_b32_e32 v6, v7
	v_lshlrev_b32_e32 v11, 26, v4
	v_cmp_ne_u32_e32 vcc_lo, 0, v9
	v_ashrrev_i32_e32 v15, 31, v15
	v_lshlrev_b32_e32 v14, 25, v4
	v_ashrrev_i32_e32 v6, 31, v6
	v_lshlrev_b32_e32 v9, 24, v4
	s_wait_alu 0xfffd
	v_xor_b32_e32 v5, vcc_lo, v5
	v_cmp_gt_i32_e32 vcc_lo, 0, v7
	v_not_b32_e32 v7, v8
	s_wait_alu 0xf1ff
	v_xor_b32_e32 v15, s20, v15
	v_cmp_gt_i32_e64 s20, 0, v8
	v_and_b32_e32 v5, exec_lo, v5
	v_not_b32_e32 v8, v10
	v_ashrrev_i32_e32 v7, 31, v7
	s_wait_alu 0xfffd
	v_xor_b32_e32 v6, vcc_lo, v6
	v_cmp_gt_i32_e32 vcc_lo, 0, v10
	v_and_b32_e32 v5, v5, v15
	v_not_b32_e32 v10, v11
	v_ashrrev_i32_e32 v8, 31, v8
	s_wait_alu 0xf1ff
	v_xor_b32_e32 v7, s20, v7
	v_cmp_gt_i32_e64 s20, 0, v11
	v_and_b32_e32 v5, v5, v6
	v_not_b32_e32 v6, v14
	v_ashrrev_i32_e32 v10, 31, v10
	s_wait_alu 0xfffd
	v_xor_b32_e32 v8, vcc_lo, v8
	v_cmp_gt_i32_e32 vcc_lo, 0, v14
	v_and_b32_e32 v5, v5, v7
	v_not_b32_e32 v7, v9
	v_ashrrev_i32_e32 v6, 31, v6
	s_wait_alu 0xf1ff
	v_xor_b32_e32 v10, s20, v10
	v_lshlrev_b32_e32 v4, 4, v4
	v_and_b32_e32 v5, v5, v8
	v_cmp_gt_i32_e64 s20, 0, v9
	v_ashrrev_i32_e32 v7, 31, v7
	s_wait_alu 0xfffd
	v_xor_b32_e32 v6, vcc_lo, v6
	v_add_nc_u32_e32 v48, v133, v4
	v_and_b32_e32 v5, v5, v10
	s_wait_alu 0xf1ff
	v_xor_b32_e32 v4, s20, v7
	ds_load_b32 v14, v48 offset:16
	v_and_b32_e32 v5, v5, v6
	; wave barrier
	s_delay_alu instid0(VALU_DEP_1) | instskip(NEXT) | instid1(VALU_DEP_1)
	v_and_b32_e32 v4, v5, v4
	v_mbcnt_lo_u32_b32 v15, v4, 0
	v_cmp_ne_u32_e64 s20, 0, v4
	s_delay_alu instid0(VALU_DEP_2) | instskip(SKIP_1) | instid1(SALU_CYCLE_1)
	v_cmp_eq_u32_e32 vcc_lo, 0, v15
	s_and_b32 s33, s20, vcc_lo
	s_and_saveexec_b32 s20, s33
	s_cbranch_execz .LBB192_39
; %bb.38:                               ;   in Loop: Header=BB192_35 Depth=1
	s_wait_dscnt 0x0
	v_bcnt_u32_b32 v4, v4, v14
	ds_store_b32 v48, v4 offset:16
.LBB192_39:                             ;   in Loop: Header=BB192_35 Depth=1
	s_wait_alu 0xfffe
	s_or_b32 exec_lo, exec_lo, s20
	v_cmp_ne_u64_e32 vcc_lo, s[26:27], v[102:103]
	; wave barrier
	s_wait_alu 0xfffd
	v_cndmask_b32_e32 v5, 0x80000000, v103, vcc_lo
	v_cndmask_b32_e32 v4, 0, v102, vcc_lo
	s_delay_alu instid0(VALU_DEP_1) | instskip(NEXT) | instid1(VALU_DEP_1)
	v_lshrrev_b64 v[4:5], v69, v[4:5]
	v_and_b32_e32 v4, s29, v4
	s_delay_alu instid0(VALU_DEP_1)
	v_and_b32_e32 v5, 1, v4
	v_lshlrev_b32_e32 v6, 30, v4
	v_lshlrev_b32_e32 v7, 29, v4
	;; [unrolled: 1-line block ×4, first 2 shown]
	v_add_co_u32 v5, s20, v5, -1
	s_wait_alu 0xf1ff
	v_cndmask_b32_e64 v9, 0, 1, s20
	v_not_b32_e32 v50, v6
	v_cmp_gt_i32_e64 s20, 0, v6
	v_not_b32_e32 v6, v7
	v_lshlrev_b32_e32 v11, 26, v4
	v_cmp_ne_u32_e32 vcc_lo, 0, v9
	v_ashrrev_i32_e32 v50, 31, v50
	v_lshlrev_b32_e32 v49, 25, v4
	v_ashrrev_i32_e32 v6, 31, v6
	v_lshlrev_b32_e32 v9, 24, v4
	s_wait_alu 0xfffd
	v_xor_b32_e32 v5, vcc_lo, v5
	v_cmp_gt_i32_e32 vcc_lo, 0, v7
	v_not_b32_e32 v7, v8
	s_wait_alu 0xf1ff
	v_xor_b32_e32 v50, s20, v50
	v_cmp_gt_i32_e64 s20, 0, v8
	v_and_b32_e32 v5, exec_lo, v5
	v_not_b32_e32 v8, v10
	v_ashrrev_i32_e32 v7, 31, v7
	s_wait_alu 0xfffd
	v_xor_b32_e32 v6, vcc_lo, v6
	v_cmp_gt_i32_e32 vcc_lo, 0, v10
	v_and_b32_e32 v5, v5, v50
	v_not_b32_e32 v10, v11
	v_ashrrev_i32_e32 v8, 31, v8
	s_wait_alu 0xf1ff
	v_xor_b32_e32 v7, s20, v7
	v_cmp_gt_i32_e64 s20, 0, v11
	v_and_b32_e32 v5, v5, v6
	v_not_b32_e32 v6, v49
	v_ashrrev_i32_e32 v10, 31, v10
	s_wait_alu 0xfffd
	v_xor_b32_e32 v8, vcc_lo, v8
	v_cmp_gt_i32_e32 vcc_lo, 0, v49
	v_and_b32_e32 v5, v5, v7
	v_not_b32_e32 v7, v9
	v_ashrrev_i32_e32 v6, 31, v6
	s_wait_alu 0xf1ff
	v_xor_b32_e32 v10, s20, v10
	v_lshlrev_b32_e32 v4, 4, v4
	v_and_b32_e32 v5, v5, v8
	v_cmp_gt_i32_e64 s20, 0, v9
	v_ashrrev_i32_e32 v7, 31, v7
	s_wait_alu 0xfffd
	v_xor_b32_e32 v6, vcc_lo, v6
	v_add_nc_u32_e32 v51, v133, v4
	v_and_b32_e32 v5, v5, v10
	s_wait_alu 0xf1ff
	v_xor_b32_e32 v4, s20, v7
	ds_load_b32 v49, v51 offset:16
	v_and_b32_e32 v5, v5, v6
	; wave barrier
	s_delay_alu instid0(VALU_DEP_1) | instskip(NEXT) | instid1(VALU_DEP_1)
	v_and_b32_e32 v4, v5, v4
	v_mbcnt_lo_u32_b32 v50, v4, 0
	v_cmp_ne_u32_e64 s20, 0, v4
	s_delay_alu instid0(VALU_DEP_2) | instskip(SKIP_1) | instid1(SALU_CYCLE_1)
	v_cmp_eq_u32_e32 vcc_lo, 0, v50
	s_and_b32 s33, s20, vcc_lo
	s_and_saveexec_b32 s20, s33
	s_cbranch_execz .LBB192_41
; %bb.40:                               ;   in Loop: Header=BB192_35 Depth=1
	s_wait_dscnt 0x0
	v_bcnt_u32_b32 v4, v4, v49
	ds_store_b32 v51, v4 offset:16
.LBB192_41:                             ;   in Loop: Header=BB192_35 Depth=1
	s_wait_alu 0xfffe
	s_or_b32 exec_lo, exec_lo, s20
	v_cmp_ne_u64_e32 vcc_lo, s[26:27], v[100:101]
	; wave barrier
	s_wait_alu 0xfffd
	v_cndmask_b32_e32 v5, 0x80000000, v101, vcc_lo
	v_cndmask_b32_e32 v4, 0, v100, vcc_lo
	s_delay_alu instid0(VALU_DEP_1) | instskip(NEXT) | instid1(VALU_DEP_1)
	v_lshrrev_b64 v[4:5], v69, v[4:5]
	v_and_b32_e32 v4, s29, v4
	s_delay_alu instid0(VALU_DEP_1)
	v_and_b32_e32 v5, 1, v4
	v_lshlrev_b32_e32 v6, 30, v4
	v_lshlrev_b32_e32 v7, 29, v4
	;; [unrolled: 1-line block ×4, first 2 shown]
	v_add_co_u32 v5, s20, v5, -1
	s_wait_alu 0xf1ff
	v_cndmask_b32_e64 v9, 0, 1, s20
	v_not_b32_e32 v53, v6
	v_cmp_gt_i32_e64 s20, 0, v6
	v_not_b32_e32 v6, v7
	v_lshlrev_b32_e32 v11, 26, v4
	v_cmp_ne_u32_e32 vcc_lo, 0, v9
	v_ashrrev_i32_e32 v53, 31, v53
	v_lshlrev_b32_e32 v52, 25, v4
	v_ashrrev_i32_e32 v6, 31, v6
	v_lshlrev_b32_e32 v9, 24, v4
	s_wait_alu 0xfffd
	v_xor_b32_e32 v5, vcc_lo, v5
	v_cmp_gt_i32_e32 vcc_lo, 0, v7
	v_not_b32_e32 v7, v8
	s_wait_alu 0xf1ff
	v_xor_b32_e32 v53, s20, v53
	v_cmp_gt_i32_e64 s20, 0, v8
	v_and_b32_e32 v5, exec_lo, v5
	v_not_b32_e32 v8, v10
	v_ashrrev_i32_e32 v7, 31, v7
	s_wait_alu 0xfffd
	v_xor_b32_e32 v6, vcc_lo, v6
	v_cmp_gt_i32_e32 vcc_lo, 0, v10
	v_and_b32_e32 v5, v5, v53
	v_not_b32_e32 v10, v11
	v_ashrrev_i32_e32 v8, 31, v8
	s_wait_alu 0xf1ff
	v_xor_b32_e32 v7, s20, v7
	v_cmp_gt_i32_e64 s20, 0, v11
	v_and_b32_e32 v5, v5, v6
	v_not_b32_e32 v6, v52
	v_ashrrev_i32_e32 v10, 31, v10
	s_wait_alu 0xfffd
	v_xor_b32_e32 v8, vcc_lo, v8
	v_cmp_gt_i32_e32 vcc_lo, 0, v52
	v_and_b32_e32 v5, v5, v7
	v_not_b32_e32 v7, v9
	v_ashrrev_i32_e32 v6, 31, v6
	s_wait_alu 0xf1ff
	v_xor_b32_e32 v10, s20, v10
	v_lshlrev_b32_e32 v4, 4, v4
	v_and_b32_e32 v5, v5, v8
	v_cmp_gt_i32_e64 s20, 0, v9
	v_ashrrev_i32_e32 v7, 31, v7
	s_wait_alu 0xfffd
	v_xor_b32_e32 v6, vcc_lo, v6
	v_add_nc_u32_e32 v54, v133, v4
	v_and_b32_e32 v5, v5, v10
	s_wait_alu 0xf1ff
	v_xor_b32_e32 v4, s20, v7
	ds_load_b32 v52, v54 offset:16
	v_and_b32_e32 v5, v5, v6
	; wave barrier
	s_delay_alu instid0(VALU_DEP_1) | instskip(NEXT) | instid1(VALU_DEP_1)
	v_and_b32_e32 v4, v5, v4
	v_mbcnt_lo_u32_b32 v53, v4, 0
	v_cmp_ne_u32_e64 s20, 0, v4
	s_delay_alu instid0(VALU_DEP_2) | instskip(SKIP_1) | instid1(SALU_CYCLE_1)
	v_cmp_eq_u32_e32 vcc_lo, 0, v53
	s_and_b32 s33, s20, vcc_lo
	s_and_saveexec_b32 s20, s33
	s_cbranch_execz .LBB192_43
; %bb.42:                               ;   in Loop: Header=BB192_35 Depth=1
	s_wait_dscnt 0x0
	v_bcnt_u32_b32 v4, v4, v52
	ds_store_b32 v54, v4 offset:16
.LBB192_43:                             ;   in Loop: Header=BB192_35 Depth=1
	s_wait_alu 0xfffe
	s_or_b32 exec_lo, exec_lo, s20
	v_cmp_ne_u64_e32 vcc_lo, s[26:27], v[98:99]
	; wave barrier
	s_wait_alu 0xfffd
	v_cndmask_b32_e32 v5, 0x80000000, v99, vcc_lo
	v_cndmask_b32_e32 v4, 0, v98, vcc_lo
	s_delay_alu instid0(VALU_DEP_1) | instskip(NEXT) | instid1(VALU_DEP_1)
	v_lshrrev_b64 v[4:5], v69, v[4:5]
	v_and_b32_e32 v4, s29, v4
	s_delay_alu instid0(VALU_DEP_1)
	v_and_b32_e32 v5, 1, v4
	v_lshlrev_b32_e32 v6, 30, v4
	v_lshlrev_b32_e32 v7, 29, v4
	;; [unrolled: 1-line block ×4, first 2 shown]
	v_add_co_u32 v5, s20, v5, -1
	s_wait_alu 0xf1ff
	v_cndmask_b32_e64 v9, 0, 1, s20
	v_not_b32_e32 v56, v6
	v_cmp_gt_i32_e64 s20, 0, v6
	v_not_b32_e32 v6, v7
	v_lshlrev_b32_e32 v11, 26, v4
	v_cmp_ne_u32_e32 vcc_lo, 0, v9
	v_ashrrev_i32_e32 v56, 31, v56
	v_lshlrev_b32_e32 v55, 25, v4
	v_ashrrev_i32_e32 v6, 31, v6
	v_lshlrev_b32_e32 v9, 24, v4
	s_wait_alu 0xfffd
	v_xor_b32_e32 v5, vcc_lo, v5
	v_cmp_gt_i32_e32 vcc_lo, 0, v7
	v_not_b32_e32 v7, v8
	s_wait_alu 0xf1ff
	v_xor_b32_e32 v56, s20, v56
	v_cmp_gt_i32_e64 s20, 0, v8
	v_and_b32_e32 v5, exec_lo, v5
	v_not_b32_e32 v8, v10
	v_ashrrev_i32_e32 v7, 31, v7
	s_wait_alu 0xfffd
	v_xor_b32_e32 v6, vcc_lo, v6
	v_cmp_gt_i32_e32 vcc_lo, 0, v10
	v_and_b32_e32 v5, v5, v56
	v_not_b32_e32 v10, v11
	v_ashrrev_i32_e32 v8, 31, v8
	s_wait_alu 0xf1ff
	v_xor_b32_e32 v7, s20, v7
	v_cmp_gt_i32_e64 s20, 0, v11
	v_and_b32_e32 v5, v5, v6
	v_not_b32_e32 v6, v55
	v_ashrrev_i32_e32 v10, 31, v10
	s_wait_alu 0xfffd
	v_xor_b32_e32 v8, vcc_lo, v8
	v_cmp_gt_i32_e32 vcc_lo, 0, v55
	v_and_b32_e32 v5, v5, v7
	v_not_b32_e32 v7, v9
	v_ashrrev_i32_e32 v6, 31, v6
	s_wait_alu 0xf1ff
	v_xor_b32_e32 v10, s20, v10
	v_lshlrev_b32_e32 v4, 4, v4
	v_and_b32_e32 v5, v5, v8
	v_cmp_gt_i32_e64 s20, 0, v9
	v_ashrrev_i32_e32 v7, 31, v7
	s_wait_alu 0xfffd
	v_xor_b32_e32 v6, vcc_lo, v6
	v_add_nc_u32_e32 v57, v133, v4
	v_and_b32_e32 v5, v5, v10
	s_wait_alu 0xf1ff
	v_xor_b32_e32 v4, s20, v7
	ds_load_b32 v55, v57 offset:16
	v_and_b32_e32 v5, v5, v6
	; wave barrier
	s_delay_alu instid0(VALU_DEP_1) | instskip(NEXT) | instid1(VALU_DEP_1)
	v_and_b32_e32 v4, v5, v4
	v_mbcnt_lo_u32_b32 v56, v4, 0
	v_cmp_ne_u32_e64 s20, 0, v4
	s_delay_alu instid0(VALU_DEP_2) | instskip(SKIP_1) | instid1(SALU_CYCLE_1)
	v_cmp_eq_u32_e32 vcc_lo, 0, v56
	s_and_b32 s33, s20, vcc_lo
	s_and_saveexec_b32 s20, s33
	s_cbranch_execz .LBB192_45
; %bb.44:                               ;   in Loop: Header=BB192_35 Depth=1
	s_wait_dscnt 0x0
	v_bcnt_u32_b32 v4, v4, v55
	ds_store_b32 v57, v4 offset:16
.LBB192_45:                             ;   in Loop: Header=BB192_35 Depth=1
	s_wait_alu 0xfffe
	s_or_b32 exec_lo, exec_lo, s20
	v_cmp_ne_u64_e32 vcc_lo, s[26:27], v[80:81]
	; wave barrier
	s_wait_alu 0xfffd
	v_cndmask_b32_e32 v5, 0x80000000, v81, vcc_lo
	v_cndmask_b32_e32 v4, 0, v80, vcc_lo
	s_delay_alu instid0(VALU_DEP_1) | instskip(NEXT) | instid1(VALU_DEP_1)
	v_lshrrev_b64 v[4:5], v69, v[4:5]
	v_and_b32_e32 v4, s29, v4
	s_delay_alu instid0(VALU_DEP_1)
	v_and_b32_e32 v5, 1, v4
	v_lshlrev_b32_e32 v6, 30, v4
	v_lshlrev_b32_e32 v7, 29, v4
	v_lshlrev_b32_e32 v8, 28, v4
	v_lshlrev_b32_e32 v10, 27, v4
	v_add_co_u32 v5, s20, v5, -1
	s_wait_alu 0xf1ff
	v_cndmask_b32_e64 v9, 0, 1, s20
	v_not_b32_e32 v59, v6
	v_cmp_gt_i32_e64 s20, 0, v6
	v_not_b32_e32 v6, v7
	v_lshlrev_b32_e32 v11, 26, v4
	v_cmp_ne_u32_e32 vcc_lo, 0, v9
	v_ashrrev_i32_e32 v59, 31, v59
	v_lshlrev_b32_e32 v58, 25, v4
	v_ashrrev_i32_e32 v6, 31, v6
	v_lshlrev_b32_e32 v9, 24, v4
	s_wait_alu 0xfffd
	v_xor_b32_e32 v5, vcc_lo, v5
	v_cmp_gt_i32_e32 vcc_lo, 0, v7
	v_not_b32_e32 v7, v8
	s_wait_alu 0xf1ff
	v_xor_b32_e32 v59, s20, v59
	v_cmp_gt_i32_e64 s20, 0, v8
	v_and_b32_e32 v5, exec_lo, v5
	v_not_b32_e32 v8, v10
	v_ashrrev_i32_e32 v7, 31, v7
	s_wait_alu 0xfffd
	v_xor_b32_e32 v6, vcc_lo, v6
	v_cmp_gt_i32_e32 vcc_lo, 0, v10
	v_and_b32_e32 v5, v5, v59
	v_not_b32_e32 v10, v11
	v_ashrrev_i32_e32 v8, 31, v8
	s_wait_alu 0xf1ff
	v_xor_b32_e32 v7, s20, v7
	v_cmp_gt_i32_e64 s20, 0, v11
	v_and_b32_e32 v5, v5, v6
	v_not_b32_e32 v6, v58
	v_ashrrev_i32_e32 v10, 31, v10
	s_wait_alu 0xfffd
	v_xor_b32_e32 v8, vcc_lo, v8
	v_cmp_gt_i32_e32 vcc_lo, 0, v58
	v_and_b32_e32 v5, v5, v7
	v_not_b32_e32 v7, v9
	v_ashrrev_i32_e32 v6, 31, v6
	s_wait_alu 0xf1ff
	v_xor_b32_e32 v10, s20, v10
	v_lshlrev_b32_e32 v4, 4, v4
	v_and_b32_e32 v5, v5, v8
	v_cmp_gt_i32_e64 s20, 0, v9
	v_ashrrev_i32_e32 v7, 31, v7
	s_wait_alu 0xfffd
	v_xor_b32_e32 v6, vcc_lo, v6
	v_add_nc_u32_e32 v60, v133, v4
	v_and_b32_e32 v5, v5, v10
	s_wait_alu 0xf1ff
	v_xor_b32_e32 v4, s20, v7
	ds_load_b32 v58, v60 offset:16
	v_and_b32_e32 v5, v5, v6
	; wave barrier
	s_delay_alu instid0(VALU_DEP_1) | instskip(NEXT) | instid1(VALU_DEP_1)
	v_and_b32_e32 v4, v5, v4
	v_mbcnt_lo_u32_b32 v59, v4, 0
	v_cmp_ne_u32_e64 s20, 0, v4
	s_delay_alu instid0(VALU_DEP_2) | instskip(SKIP_1) | instid1(SALU_CYCLE_1)
	v_cmp_eq_u32_e32 vcc_lo, 0, v59
	s_and_b32 s33, s20, vcc_lo
	s_and_saveexec_b32 s20, s33
	s_cbranch_execz .LBB192_47
; %bb.46:                               ;   in Loop: Header=BB192_35 Depth=1
	s_wait_dscnt 0x0
	v_bcnt_u32_b32 v4, v4, v58
	ds_store_b32 v60, v4 offset:16
.LBB192_47:                             ;   in Loop: Header=BB192_35 Depth=1
	s_wait_alu 0xfffe
	s_or_b32 exec_lo, exec_lo, s20
	v_cmp_ne_u64_e32 vcc_lo, s[26:27], v[78:79]
	; wave barrier
	s_wait_alu 0xfffd
	v_cndmask_b32_e32 v5, 0x80000000, v79, vcc_lo
	v_cndmask_b32_e32 v4, 0, v78, vcc_lo
	s_delay_alu instid0(VALU_DEP_1) | instskip(NEXT) | instid1(VALU_DEP_1)
	v_lshrrev_b64 v[4:5], v69, v[4:5]
	v_and_b32_e32 v4, s29, v4
	s_delay_alu instid0(VALU_DEP_1)
	v_and_b32_e32 v5, 1, v4
	v_lshlrev_b32_e32 v6, 30, v4
	v_lshlrev_b32_e32 v7, 29, v4
	;; [unrolled: 1-line block ×4, first 2 shown]
	v_add_co_u32 v5, s20, v5, -1
	s_wait_alu 0xf1ff
	v_cndmask_b32_e64 v9, 0, 1, s20
	v_not_b32_e32 v62, v6
	v_cmp_gt_i32_e64 s20, 0, v6
	v_not_b32_e32 v6, v7
	v_lshlrev_b32_e32 v11, 26, v4
	v_cmp_ne_u32_e32 vcc_lo, 0, v9
	v_ashrrev_i32_e32 v62, 31, v62
	v_lshlrev_b32_e32 v61, 25, v4
	v_ashrrev_i32_e32 v6, 31, v6
	v_lshlrev_b32_e32 v9, 24, v4
	s_wait_alu 0xfffd
	v_xor_b32_e32 v5, vcc_lo, v5
	v_cmp_gt_i32_e32 vcc_lo, 0, v7
	v_not_b32_e32 v7, v8
	s_wait_alu 0xf1ff
	v_xor_b32_e32 v62, s20, v62
	v_cmp_gt_i32_e64 s20, 0, v8
	v_and_b32_e32 v5, exec_lo, v5
	v_not_b32_e32 v8, v10
	v_ashrrev_i32_e32 v7, 31, v7
	s_wait_alu 0xfffd
	v_xor_b32_e32 v6, vcc_lo, v6
	v_cmp_gt_i32_e32 vcc_lo, 0, v10
	v_and_b32_e32 v5, v5, v62
	v_not_b32_e32 v10, v11
	v_ashrrev_i32_e32 v8, 31, v8
	s_wait_alu 0xf1ff
	v_xor_b32_e32 v7, s20, v7
	v_cmp_gt_i32_e64 s20, 0, v11
	v_and_b32_e32 v5, v5, v6
	v_not_b32_e32 v6, v61
	v_ashrrev_i32_e32 v10, 31, v10
	s_wait_alu 0xfffd
	v_xor_b32_e32 v8, vcc_lo, v8
	v_cmp_gt_i32_e32 vcc_lo, 0, v61
	v_and_b32_e32 v5, v5, v7
	v_not_b32_e32 v7, v9
	v_ashrrev_i32_e32 v6, 31, v6
	s_wait_alu 0xf1ff
	v_xor_b32_e32 v10, s20, v10
	v_lshlrev_b32_e32 v4, 4, v4
	v_and_b32_e32 v5, v5, v8
	v_cmp_gt_i32_e64 s20, 0, v9
	v_ashrrev_i32_e32 v7, 31, v7
	s_wait_alu 0xfffd
	v_xor_b32_e32 v6, vcc_lo, v6
	v_add_nc_u32_e32 v63, v133, v4
	v_and_b32_e32 v5, v5, v10
	s_wait_alu 0xf1ff
	v_xor_b32_e32 v4, s20, v7
	ds_load_b32 v61, v63 offset:16
	v_and_b32_e32 v5, v5, v6
	; wave barrier
	s_delay_alu instid0(VALU_DEP_1) | instskip(NEXT) | instid1(VALU_DEP_1)
	v_and_b32_e32 v4, v5, v4
	v_mbcnt_lo_u32_b32 v62, v4, 0
	v_cmp_ne_u32_e64 s20, 0, v4
	s_delay_alu instid0(VALU_DEP_2) | instskip(SKIP_1) | instid1(SALU_CYCLE_1)
	v_cmp_eq_u32_e32 vcc_lo, 0, v62
	s_and_b32 s33, s20, vcc_lo
	s_and_saveexec_b32 s20, s33
	s_cbranch_execz .LBB192_49
; %bb.48:                               ;   in Loop: Header=BB192_35 Depth=1
	s_wait_dscnt 0x0
	v_bcnt_u32_b32 v4, v4, v61
	ds_store_b32 v63, v4 offset:16
.LBB192_49:                             ;   in Loop: Header=BB192_35 Depth=1
	s_wait_alu 0xfffe
	s_or_b32 exec_lo, exec_lo, s20
	v_cmp_ne_u64_e32 vcc_lo, s[26:27], v[76:77]
	; wave barrier
	s_wait_alu 0xfffd
	v_cndmask_b32_e32 v5, 0x80000000, v77, vcc_lo
	v_cndmask_b32_e32 v4, 0, v76, vcc_lo
	s_delay_alu instid0(VALU_DEP_1) | instskip(NEXT) | instid1(VALU_DEP_1)
	v_lshrrev_b64 v[4:5], v69, v[4:5]
	v_and_b32_e32 v4, s29, v4
	s_delay_alu instid0(VALU_DEP_1)
	v_and_b32_e32 v5, 1, v4
	v_lshlrev_b32_e32 v6, 30, v4
	v_lshlrev_b32_e32 v7, 29, v4
	;; [unrolled: 1-line block ×4, first 2 shown]
	v_add_co_u32 v5, s20, v5, -1
	s_wait_alu 0xf1ff
	v_cndmask_b32_e64 v9, 0, 1, s20
	v_not_b32_e32 v65, v6
	v_cmp_gt_i32_e64 s20, 0, v6
	v_not_b32_e32 v6, v7
	v_lshlrev_b32_e32 v11, 26, v4
	v_cmp_ne_u32_e32 vcc_lo, 0, v9
	v_ashrrev_i32_e32 v65, 31, v65
	v_lshlrev_b32_e32 v64, 25, v4
	v_ashrrev_i32_e32 v6, 31, v6
	v_lshlrev_b32_e32 v9, 24, v4
	s_wait_alu 0xfffd
	v_xor_b32_e32 v5, vcc_lo, v5
	v_cmp_gt_i32_e32 vcc_lo, 0, v7
	v_not_b32_e32 v7, v8
	s_wait_alu 0xf1ff
	v_xor_b32_e32 v65, s20, v65
	v_cmp_gt_i32_e64 s20, 0, v8
	v_and_b32_e32 v5, exec_lo, v5
	v_not_b32_e32 v8, v10
	v_ashrrev_i32_e32 v7, 31, v7
	s_wait_alu 0xfffd
	v_xor_b32_e32 v6, vcc_lo, v6
	v_cmp_gt_i32_e32 vcc_lo, 0, v10
	v_and_b32_e32 v5, v5, v65
	v_not_b32_e32 v10, v11
	v_ashrrev_i32_e32 v8, 31, v8
	s_wait_alu 0xf1ff
	v_xor_b32_e32 v7, s20, v7
	v_cmp_gt_i32_e64 s20, 0, v11
	v_and_b32_e32 v5, v5, v6
	v_not_b32_e32 v6, v64
	v_ashrrev_i32_e32 v10, 31, v10
	s_wait_alu 0xfffd
	v_xor_b32_e32 v8, vcc_lo, v8
	v_cmp_gt_i32_e32 vcc_lo, 0, v64
	v_and_b32_e32 v5, v5, v7
	v_not_b32_e32 v7, v9
	v_ashrrev_i32_e32 v6, 31, v6
	s_wait_alu 0xf1ff
	v_xor_b32_e32 v10, s20, v10
	v_lshlrev_b32_e32 v4, 4, v4
	v_and_b32_e32 v5, v5, v8
	v_cmp_gt_i32_e64 s20, 0, v9
	v_ashrrev_i32_e32 v7, 31, v7
	s_wait_alu 0xfffd
	v_xor_b32_e32 v6, vcc_lo, v6
	v_add_nc_u32_e32 v66, v133, v4
	v_and_b32_e32 v5, v5, v10
	s_wait_alu 0xf1ff
	v_xor_b32_e32 v4, s20, v7
	ds_load_b32 v64, v66 offset:16
	v_and_b32_e32 v5, v5, v6
	; wave barrier
	s_delay_alu instid0(VALU_DEP_1) | instskip(NEXT) | instid1(VALU_DEP_1)
	v_and_b32_e32 v4, v5, v4
	v_mbcnt_lo_u32_b32 v65, v4, 0
	v_cmp_ne_u32_e64 s20, 0, v4
	s_delay_alu instid0(VALU_DEP_2)
	v_cmp_eq_u32_e32 vcc_lo, 0, v65
	s_and_b32 s29, s20, vcc_lo
	s_wait_alu 0xfffe
	s_and_saveexec_b32 s20, s29
	s_cbranch_execz .LBB192_51
; %bb.50:                               ;   in Loop: Header=BB192_35 Depth=1
	s_wait_dscnt 0x0
	v_bcnt_u32_b32 v4, v4, v64
	ds_store_b32 v66, v4 offset:16
.LBB192_51:                             ;   in Loop: Header=BB192_35 Depth=1
	s_wait_alu 0xfffe
	s_or_b32 exec_lo, exec_lo, s20
	; wave barrier
	s_wait_loadcnt_dscnt 0x0
	s_barrier_signal -1
	s_barrier_wait -1
	global_inv scope:SCOPE_SE
	ds_load_b128 v[8:11], v115 offset:16
	ds_load_b128 v[4:7], v115 offset:32
	s_wait_dscnt 0x1
	v_add_nc_u32_e32 v67, v9, v8
	s_delay_alu instid0(VALU_DEP_1) | instskip(SKIP_1) | instid1(VALU_DEP_1)
	v_add3_u32 v67, v67, v10, v11
	s_wait_dscnt 0x0
	v_add3_u32 v67, v67, v4, v5
	s_delay_alu instid0(VALU_DEP_1) | instskip(NEXT) | instid1(VALU_DEP_1)
	v_add3_u32 v7, v67, v6, v7
	v_mov_b32_dpp v67, v7 row_shr:1 row_mask:0xf bank_mask:0xf
	s_delay_alu instid0(VALU_DEP_1) | instskip(NEXT) | instid1(VALU_DEP_1)
	v_cndmask_b32_e64 v67, v67, 0, s11
	v_add_nc_u32_e32 v7, v67, v7
	s_delay_alu instid0(VALU_DEP_1) | instskip(NEXT) | instid1(VALU_DEP_1)
	v_mov_b32_dpp v67, v7 row_shr:2 row_mask:0xf bank_mask:0xf
	v_cndmask_b32_e64 v67, 0, v67, s12
	s_delay_alu instid0(VALU_DEP_1) | instskip(NEXT) | instid1(VALU_DEP_1)
	v_add_nc_u32_e32 v7, v7, v67
	v_mov_b32_dpp v67, v7 row_shr:4 row_mask:0xf bank_mask:0xf
	s_delay_alu instid0(VALU_DEP_1) | instskip(NEXT) | instid1(VALU_DEP_1)
	v_cndmask_b32_e64 v67, 0, v67, s14
	v_add_nc_u32_e32 v7, v7, v67
	s_delay_alu instid0(VALU_DEP_1) | instskip(NEXT) | instid1(VALU_DEP_1)
	v_mov_b32_dpp v67, v7 row_shr:8 row_mask:0xf bank_mask:0xf
	v_cndmask_b32_e64 v67, 0, v67, s15
	s_delay_alu instid0(VALU_DEP_1) | instskip(SKIP_3) | instid1(VALU_DEP_1)
	v_add_nc_u32_e32 v7, v7, v67
	ds_swizzle_b32 v67, v7 offset:swizzle(BROADCAST,32,15)
	s_wait_dscnt 0x0
	v_cndmask_b32_e64 v67, v67, 0, s16
	v_add_nc_u32_e32 v7, v7, v67
	s_and_saveexec_b32 s20, s17
; %bb.52:                               ;   in Loop: Header=BB192_35 Depth=1
	ds_store_b32 v116, v7
; %bb.53:                               ;   in Loop: Header=BB192_35 Depth=1
	s_wait_alu 0xfffe
	s_or_b32 exec_lo, exec_lo, s20
	s_wait_loadcnt_dscnt 0x0
	s_barrier_signal -1
	s_barrier_wait -1
	global_inv scope:SCOPE_SE
	s_and_saveexec_b32 s20, s1
	s_cbranch_execz .LBB192_55
; %bb.54:                               ;   in Loop: Header=BB192_35 Depth=1
	ds_load_b32 v67, v134
	s_wait_dscnt 0x0
	v_mov_b32_dpp v135, v67 row_shr:1 row_mask:0xf bank_mask:0xf
	s_delay_alu instid0(VALU_DEP_1) | instskip(NEXT) | instid1(VALU_DEP_1)
	v_cndmask_b32_e64 v135, v135, 0, s18
	v_add_nc_u32_e32 v67, v135, v67
	s_delay_alu instid0(VALU_DEP_1) | instskip(NEXT) | instid1(VALU_DEP_1)
	v_mov_b32_dpp v135, v67 row_shr:2 row_mask:0xf bank_mask:0xf
	v_cndmask_b32_e64 v135, 0, v135, s19
	s_delay_alu instid0(VALU_DEP_1)
	v_add_nc_u32_e32 v67, v67, v135
	ds_store_b32 v134, v67
.LBB192_55:                             ;   in Loop: Header=BB192_35 Depth=1
	s_wait_alu 0xfffe
	s_or_b32 exec_lo, exec_lo, s20
	v_mov_b32_e32 v67, 0
	s_wait_loadcnt_dscnt 0x0
	s_barrier_signal -1
	s_barrier_wait -1
	global_inv scope:SCOPE_SE
	s_and_saveexec_b32 s20, s9
; %bb.56:                               ;   in Loop: Header=BB192_35 Depth=1
	ds_load_b32 v67, v132
; %bb.57:                               ;   in Loop: Header=BB192_35 Depth=1
	s_wait_alu 0xfffe
	s_or_b32 exec_lo, exec_lo, s20
	s_wait_dscnt 0x0
	v_add_nc_u32_e32 v7, v67, v7
	v_cmp_lt_u32_e32 vcc_lo, 55, v69
	s_mov_b32 s20, -1
	ds_bpermute_b32 v7, v131, v7
	s_and_b32 vcc_lo, exec_lo, vcc_lo
	s_wait_dscnt 0x0
	v_cndmask_b32_e64 v7, v7, v67, s13
	s_delay_alu instid0(VALU_DEP_1) | instskip(NEXT) | instid1(VALU_DEP_1)
	v_cndmask_b32_e64 v7, v7, 0, s10
	v_add_nc_u32_e32 v8, v7, v8
	s_delay_alu instid0(VALU_DEP_1) | instskip(NEXT) | instid1(VALU_DEP_1)
	v_add_nc_u32_e32 v9, v8, v9
	v_add_nc_u32_e32 v10, v9, v10
	s_delay_alu instid0(VALU_DEP_1) | instskip(NEXT) | instid1(VALU_DEP_1)
	v_add_nc_u32_e32 v135, v10, v11
	;; [unrolled: 3-line block ×3, first 2 shown]
	v_add_nc_u32_e32 v138, v137, v6
	ds_store_b128 v115, v[7:10] offset:16
	ds_store_b128 v115, v[135:138] offset:32
	s_wait_loadcnt_dscnt 0x0
	s_barrier_signal -1
	s_barrier_wait -1
	global_inv scope:SCOPE_SE
	ds_load_b32 v4, v13 offset:16
	ds_load_b32 v5, v48 offset:16
	ds_load_b32 v6, v51 offset:16
	ds_load_b32 v7, v54 offset:16
	ds_load_b32 v8, v57 offset:16
	ds_load_b32 v9, v60 offset:16
	ds_load_b32 v10, v63 offset:16
	ds_load_b32 v11, v66 offset:16
	s_wait_dscnt 0x7
	v_add_nc_u32_e32 v142, v4, v12
	s_wait_dscnt 0x6
	v_add3_u32 v141, v15, v14, v5
	s_wait_dscnt 0x5
	v_add3_u32 v140, v50, v49, v6
	s_wait_dscnt 0x4
	v_add3_u32 v139, v53, v52, v7
	s_wait_dscnt 0x3
	v_add3_u32 v138, v56, v55, v8
	s_wait_dscnt 0x2
	v_add3_u32 v137, v59, v58, v9
	s_wait_dscnt 0x1
	v_add3_u32 v136, v62, v61, v10
	s_wait_dscnt 0x0
	v_add3_u32 v135, v65, v64, v11
                                        ; implicit-def: $vgpr66_vgpr67
                                        ; implicit-def: $vgpr14_vgpr15
                                        ; implicit-def: $vgpr10_vgpr11
                                        ; implicit-def: $vgpr6_vgpr7
                                        ; implicit-def: $vgpr62_vgpr63
                                        ; implicit-def: $vgpr58_vgpr59
                                        ; implicit-def: $vgpr54_vgpr55
                                        ; implicit-def: $vgpr50_vgpr51
	s_wait_alu 0xfffe
	s_cbranch_vccnz .LBB192_34
; %bb.58:                               ;   in Loop: Header=BB192_35 Depth=1
	v_lshlrev_b32_e32 v48, 3, v142
	v_lshlrev_b32_e32 v51, 3, v139
	;; [unrolled: 1-line block ×8, first 2 shown]
	s_wait_loadcnt 0x0
	s_barrier_signal -1
	s_barrier_wait -1
	global_inv scope:SCOPE_SE
	ds_store_b64 v48, v[74:75]
	ds_store_b64 v49, v[104:105]
	;; [unrolled: 1-line block ×8, first 2 shown]
	s_wait_loadcnt_dscnt 0x0
	s_barrier_signal -1
	s_barrier_wait -1
	global_inv scope:SCOPE_SE
	ds_load_2addr_b64 v[4:7], v130 offset1:32
	ds_load_2addr_b64 v[8:11], v130 offset0:64 offset1:96
	ds_load_2addr_b64 v[12:15], v130 offset0:128 offset1:160
	;; [unrolled: 1-line block ×3, first 2 shown]
	s_wait_loadcnt_dscnt 0x0
	s_barrier_signal -1
	s_barrier_wait -1
	global_inv scope:SCOPE_SE
	ds_store_b64 v48, v[96:97]
	ds_store_b64 v49, v[94:95]
	;; [unrolled: 1-line block ×8, first 2 shown]
	s_wait_loadcnt_dscnt 0x0
	s_barrier_signal -1
	s_barrier_wait -1
	global_inv scope:SCOPE_SE
	ds_load_2addr_b64 v[48:51], v130 offset1:32
	ds_load_2addr_b64 v[52:55], v130 offset0:64 offset1:96
	ds_load_2addr_b64 v[56:59], v130 offset0:128 offset1:160
	;; [unrolled: 1-line block ×3, first 2 shown]
	v_add_co_u32 v69, vcc_lo, v69, 8
	s_wait_alu 0xfffd
	v_add_co_ci_u32_e64 v70, null, 0, v70, vcc_lo
	s_add_co_i32 s23, s23, -8
	s_mov_b32 s20, 0
	s_wait_loadcnt_dscnt 0x0
	s_barrier_signal -1
	s_barrier_wait -1
	global_inv scope:SCOPE_SE
	s_branch .LBB192_34
.LBB192_59:
	v_lshlrev_b64_e32 v[1:2], 3, v[68:69]
	v_mov_b32_e32 v70, v69
	v_dual_mov_b32 v4, v69 :: v_dual_mov_b32 v5, v69
	v_dual_mov_b32 v6, v69 :: v_dual_mov_b32 v7, v69
	s_delay_alu instid0(VALU_DEP_4)
	v_add_co_u32 v1, vcc_lo, s34, v1
	s_wait_alu 0xfffd
	v_add_co_ci_u32_e64 v2, null, s35, v2, vcc_lo
	v_dual_mov_b32 v8, v69 :: v_dual_mov_b32 v9, v69
	v_dual_mov_b32 v10, v69 :: v_dual_mov_b32 v13, v69
	global_load_b64 v[11:12], v[1:2], off
	v_dual_mov_b32 v1, v69 :: v_dual_mov_b32 v2, v69
	v_dual_mov_b32 v3, v69 :: v_dual_mov_b32 v14, v69
	s_or_b32 exec_lo, exec_lo, s1
	s_and_saveexec_b32 s1, s3
	s_cbranch_execz .LBB192_25
.LBB192_60:
	v_mul_lo_u32 v39, s28, v32
	v_mov_b32_e32 v40, 0
	s_delay_alu instid0(VALU_DEP_1) | instskip(NEXT) | instid1(VALU_DEP_1)
	v_lshlrev_b64_e32 v[39:40], 3, v[39:40]
	v_add_co_u32 v39, vcc_lo, s34, v39
	s_wait_alu 0xfffd
	s_delay_alu instid0(VALU_DEP_2)
	v_add_co_ci_u32_e64 v40, null, s35, v40, vcc_lo
	global_load_b64 v[69:70], v[39:40], off
	s_or_b32 exec_lo, exec_lo, s1
	s_and_saveexec_b32 s1, s4
	s_cbranch_execz .LBB192_26
.LBB192_61:
	v_mul_lo_u32 v1, s28, v33
	v_mov_b32_e32 v2, 0
	s_delay_alu instid0(VALU_DEP_1) | instskip(NEXT) | instid1(VALU_DEP_1)
	v_lshlrev_b64_e32 v[1:2], 3, v[1:2]
	v_add_co_u32 v1, vcc_lo, s34, v1
	s_wait_alu 0xfffd
	s_delay_alu instid0(VALU_DEP_2)
	v_add_co_ci_u32_e64 v2, null, s35, v2, vcc_lo
	global_load_b64 v[1:2], v[1:2], off
	s_or_b32 exec_lo, exec_lo, s1
	s_and_saveexec_b32 s1, s5
	s_cbranch_execz .LBB192_27
.LBB192_62:
	v_mul_lo_u32 v3, s28, v34
	v_mov_b32_e32 v4, 0
	s_delay_alu instid0(VALU_DEP_1) | instskip(NEXT) | instid1(VALU_DEP_1)
	v_lshlrev_b64_e32 v[3:4], 3, v[3:4]
	v_add_co_u32 v3, vcc_lo, s34, v3
	s_wait_alu 0xfffd
	s_delay_alu instid0(VALU_DEP_2)
	v_add_co_ci_u32_e64 v4, null, s35, v4, vcc_lo
	global_load_b64 v[3:4], v[3:4], off
	s_or_b32 exec_lo, exec_lo, s1
	s_and_saveexec_b32 s1, s6
	s_cbranch_execz .LBB192_28
.LBB192_63:
	v_mul_lo_u32 v5, s28, v35
	v_mov_b32_e32 v6, 0
	s_delay_alu instid0(VALU_DEP_1) | instskip(NEXT) | instid1(VALU_DEP_1)
	v_lshlrev_b64_e32 v[5:6], 3, v[5:6]
	v_add_co_u32 v5, vcc_lo, s34, v5
	s_wait_alu 0xfffd
	s_delay_alu instid0(VALU_DEP_2)
	v_add_co_ci_u32_e64 v6, null, s35, v6, vcc_lo
	global_load_b64 v[5:6], v[5:6], off
	s_or_b32 exec_lo, exec_lo, s1
	s_and_saveexec_b32 s1, s7
	s_cbranch_execz .LBB192_29
.LBB192_64:
	v_mul_lo_u32 v7, s28, v36
	v_mov_b32_e32 v8, 0
	s_delay_alu instid0(VALU_DEP_1) | instskip(NEXT) | instid1(VALU_DEP_1)
	v_lshlrev_b64_e32 v[7:8], 3, v[7:8]
	v_add_co_u32 v7, vcc_lo, s34, v7
	s_wait_alu 0xfffd
	s_delay_alu instid0(VALU_DEP_2)
	v_add_co_ci_u32_e64 v8, null, s35, v8, vcc_lo
	global_load_b64 v[7:8], v[7:8], off
	s_or_b32 exec_lo, exec_lo, s1
	s_and_saveexec_b32 s1, s8
	s_cbranch_execz .LBB192_30
.LBB192_65:
	v_mul_lo_u32 v9, s28, v37
	v_mov_b32_e32 v10, 0
	s_delay_alu instid0(VALU_DEP_1) | instskip(NEXT) | instid1(VALU_DEP_1)
	v_lshlrev_b64_e32 v[9:10], 3, v[9:10]
	v_add_co_u32 v9, vcc_lo, s34, v9
	s_wait_alu 0xfffd
	s_delay_alu instid0(VALU_DEP_2)
	v_add_co_ci_u32_e64 v10, null, s35, v10, vcc_lo
	global_load_b64 v[9:10], v[9:10], off
	s_or_b32 exec_lo, exec_lo, s1
	s_xor_b32 s1, s20, -1
	s_and_saveexec_b32 s9, s0
	s_cbranch_execnz .LBB192_31
	s_branch .LBB192_32
.LBB192_66:
                                        ; implicit-def: $vgpr58_vgpr59
                                        ; implicit-def: $vgpr62_vgpr63
                                        ; implicit-def: $vgpr50_vgpr51
                                        ; implicit-def: $vgpr54_vgpr55
                                        ; implicit-def: $vgpr0_vgpr1_vgpr2_vgpr3_vgpr4_vgpr5_vgpr6_vgpr7_vgpr8_vgpr9_vgpr10_vgpr11_vgpr12_vgpr13_vgpr14_vgpr15
	s_cbranch_execnz .LBB192_68
	s_branch .LBB192_95
.LBB192_67:
	v_lshlrev_b32_e32 v48, 3, v142
	v_lshlrev_b32_e32 v51, 3, v139
	;; [unrolled: 1-line block ×9, first 2 shown]
	s_wait_loadcnt 0x0
	s_barrier_signal -1
	s_barrier_wait -1
	global_inv scope:SCOPE_SE
	ds_store_b64 v48, v[74:75]
	ds_store_b64 v49, v[104:105]
	;; [unrolled: 1-line block ×8, first 2 shown]
	s_wait_loadcnt_dscnt 0x0
	s_barrier_signal -1
	s_barrier_wait -1
	global_inv scope:SCOPE_SE
	ds_load_b128 v[0:3], v56
	ds_load_b128 v[4:7], v56 offset:16
	ds_load_b128 v[8:11], v56 offset:32
	;; [unrolled: 1-line block ×3, first 2 shown]
	s_wait_loadcnt_dscnt 0x0
	s_barrier_signal -1
	s_barrier_wait -1
	global_inv scope:SCOPE_SE
	ds_store_b64 v48, v[96:97]
	ds_store_b64 v49, v[94:95]
	;; [unrolled: 1-line block ×8, first 2 shown]
	s_wait_loadcnt_dscnt 0x0
	s_barrier_signal -1
	s_barrier_wait -1
	global_inv scope:SCOPE_SE
	ds_load_b128 v[52:55], v56
	ds_load_b128 v[48:51], v56 offset:16
	v_cmp_lt_i64_e32 vcc_lo, -1, v[0:1]
	v_ashrrev_i32_e32 v66, 31, v3
	v_ashrrev_i32_e32 v57, 31, v1
	s_wait_alu 0xfffd
	v_cndmask_b32_e64 v64, 0x80000000, -1, vcc_lo
	v_cmp_lt_i64_e32 vcc_lo, -1, v[2:3]
	v_not_b32_e32 v66, v66
	v_not_b32_e32 v65, v57
	ds_load_b128 v[60:63], v56 offset:32
	ds_load_b128 v[56:59], v56 offset:48
	v_xor_b32_e32 v1, v64, v1
	v_ashrrev_i32_e32 v64, 31, v5
	s_wait_alu 0xfffd
	v_cndmask_b32_e64 v67, 0x80000000, -1, vcc_lo
	v_cmp_lt_i64_e32 vcc_lo, -1, v[4:5]
	v_xor_b32_e32 v2, v66, v2
	v_xor_b32_e32 v0, v65, v0
	v_ashrrev_i32_e32 v65, 31, v7
	v_xor_b32_e32 v3, v67, v3
	v_not_b32_e32 v64, v64
	s_wait_alu 0xfffd
	v_cndmask_b32_e64 v66, 0x80000000, -1, vcc_lo
	v_cmp_lt_i64_e32 vcc_lo, -1, v[6:7]
	v_not_b32_e32 v65, v65
	v_xor_b32_e32 v4, v64, v4
	v_ashrrev_i32_e32 v64, 31, v9
	v_xor_b32_e32 v5, v66, v5
	s_wait_alu 0xfffd
	v_cndmask_b32_e64 v67, 0x80000000, -1, vcc_lo
	v_cmp_lt_i64_e32 vcc_lo, -1, v[8:9]
	v_xor_b32_e32 v6, v65, v6
	v_not_b32_e32 v64, v64
	v_ashrrev_i32_e32 v66, 31, v11
	v_xor_b32_e32 v7, v67, v7
	s_wait_alu 0xfffd
	v_cndmask_b32_e64 v65, 0x80000000, -1, vcc_lo
	v_cmp_lt_i64_e32 vcc_lo, -1, v[10:11]
	v_xor_b32_e32 v8, v64, v8
	v_not_b32_e32 v64, v66
	v_ashrrev_i32_e32 v66, 31, v15
	v_xor_b32_e32 v9, v65, v9
	v_ashrrev_i32_e32 v65, 31, v13
	s_wait_alu 0xfffd
	v_cndmask_b32_e64 v67, 0x80000000, -1, vcc_lo
	v_cmp_lt_i64_e32 vcc_lo, -1, v[12:13]
	v_not_b32_e32 v66, v66
	v_xor_b32_e32 v10, v64, v10
	v_not_b32_e32 v65, v65
	v_xor_b32_e32 v11, v67, v11
	s_wait_alu 0xfffd
	v_cndmask_b32_e64 v67, 0x80000000, -1, vcc_lo
	v_cmp_lt_i64_e32 vcc_lo, -1, v[14:15]
	v_xor_b32_e32 v12, v65, v12
	v_xor_b32_e32 v14, v66, v14
	s_delay_alu instid0(VALU_DEP_4) | instskip(SKIP_2) | instid1(VALU_DEP_1)
	v_xor_b32_e32 v13, v67, v13
	s_wait_alu 0xfffd
	v_cndmask_b32_e64 v69, 0x80000000, -1, vcc_lo
	v_xor_b32_e32 v15, v69, v15
	s_branch .LBB192_95
.LBB192_68:
	v_cmp_gt_i64_e32 vcc_lo, 0, v[28:29]
	v_not_b32_e32 v12, v124
	v_not_b32_e32 v8, v126
	v_not_b32_e32 v2, v129
	v_not_b32_e32 v4, v128
	v_or_b32_e32 v14, v118, v119
	s_wait_alu 0xfffd
	v_cndmask_b32_e64 v0, 0x7fffffff, 0, vcc_lo
	v_cmp_gt_i64_e32 vcc_lo, 0, v[30:31]
	s_getpc_b64 s[10:11]
	s_wait_alu 0xfffe
	s_sext_i32_i16 s11, s11
	s_add_co_u32 s10, s10, _ZN7rocprim17ROCPRIM_400000_NS16block_radix_sortIdLj128ELj8ElLj1ELj1ELj0ELNS0_26block_radix_rank_algorithmE1ELNS0_18block_padding_hintE2ELNS0_4arch9wavefront6targetE0EE19radix_bits_per_passE@rel32@lo+12
	s_wait_alu 0xfffe
	s_add_co_ci_u32 s11, s11, _ZN7rocprim17ROCPRIM_400000_NS16block_radix_sortIdLj128ELj8ElLj1ELj1ELj0ELNS0_26block_radix_rank_algorithmE1ELNS0_18block_padding_hintE2ELNS0_4arch9wavefront6targetE0EE19radix_bits_per_passE@rel32@hi+24
	v_cmp_gt_u32_e64 s15, 4, v73
	s_load_b32 s21, s[10:11], 0x0
	v_xor_b32_e32 v1, v0, v29
	v_xor_b32_e32 v0, v2, v28
	v_cndmask_b32_e64 v3, 0x7fffffff, 0, vcc_lo
	v_cmp_gt_i64_e32 vcc_lo, 0, v[24:25]
	v_xor_b32_e32 v2, v4, v30
	v_not_b32_e32 v4, v127
	v_cmp_lt_u32_e64 s16, 31, v73
	v_xor_b32_e32 v3, v3, v31
	v_cmp_eq_u32_e64 s17, 0, v73
	s_wait_alu 0xfffd
	v_cndmask_b32_e64 v5, 0x7fffffff, 0, vcc_lo
	v_cmp_gt_i64_e32 vcc_lo, 0, v[26:27]
	v_xor_b32_e32 v4, v4, v24
	v_add_nc_u32_e32 v77, v115, v117
	s_mov_b32 s23, 64
	v_xor_b32_e32 v5, v5, v25
	s_wait_alu 0xfffd
	v_cndmask_b32_e64 v6, 0x7fffffff, 0, vcc_lo
	v_cmp_gt_i64_e32 vcc_lo, 0, v[20:21]
	s_delay_alu instid0(VALU_DEP_2)
	v_xor_b32_e32 v7, v6, v27
	v_xor_b32_e32 v6, v8, v26
	s_wait_alu 0xfffd
	v_cndmask_b32_e64 v9, 0x7fffffff, 0, vcc_lo
	v_cmp_gt_i64_e32 vcc_lo, 0, v[22:23]
	v_not_b32_e32 v8, v125
	s_delay_alu instid0(VALU_DEP_3)
	v_xor_b32_e32 v9, v9, v21
	s_wait_alu 0xfffd
	v_cndmask_b32_e64 v10, 0x7fffffff, 0, vcc_lo
	v_cmp_gt_i64_e32 vcc_lo, 0, v[16:17]
	v_xor_b32_e32 v8, v8, v20
	v_lshlrev_b32_e32 v20, 6, v14
	ds_store_b128 v20, v[0:3]
	ds_store_b128 v20, v[4:7] offset:16
	s_wait_alu 0xfffd
	v_cndmask_b32_e64 v13, 0x7fffffff, 0, vcc_lo
	v_xor_b32_e32 v11, v10, v23
	v_xor_b32_e32 v10, v12, v22
	v_not_b32_e32 v12, v123
	v_cmp_gt_i64_e32 vcc_lo, 0, v[18:19]
	v_xor_b32_e32 v13, v13, v17
	v_not_b32_e32 v17, v122
	v_and_b32_e32 v3, 16, v118
	v_xor_b32_e32 v12, v12, v16
	v_and_or_b32 v16, 0x1f00, v72, v118
	s_wait_alu 0xfffd
	v_cndmask_b32_e64 v15, 0x7fffffff, 0, vcc_lo
	v_xor_b32_e32 v14, v17, v18
	s_delay_alu instid0(VALU_DEP_3) | instskip(NEXT) | instid1(VALU_DEP_3)
	v_lshlrev_b32_e32 v74, 3, v16
	v_xor_b32_e32 v15, v15, v19
	ds_store_b128 v20, v[8:11] offset:32
	ds_store_b128 v20, v[12:15] offset:48
	; wave barrier
	ds_load_2addr_b64 v[4:7], v74 offset1:32
	ds_load_2addr_b64 v[8:11], v74 offset0:64 offset1:96
	ds_load_2addr_b64 v[12:15], v74 offset0:128 offset1:160
	s_wait_dscnt 0x9
	ds_load_2addr_b64 v[48:51], v74 offset0:192 offset1:224
	; wave barrier
	ds_store_b128 v20, v[44:47]
	ds_store_b128 v20, v[40:43] offset:16
	ds_store_b128 v20, v[36:39] offset:32
	;; [unrolled: 1-line block ×3, first 2 shown]
	; wave barrier
	ds_load_2addr_b64 v[16:19], v74 offset1:32
	ds_load_2addr_b64 v[20:23], v74 offset0:64 offset1:96
	ds_load_2addr_b64 v[24:27], v74 offset0:128 offset1:160
	;; [unrolled: 1-line block ×3, first 2 shown]
	s_wait_loadcnt_dscnt 0x0
	s_barrier_signal -1
	s_barrier_wait -1
	global_inv scope:SCOPE_SE
	s_load_b32 s1, s[24:25], 0xc
	v_sub_co_u32 v32, s10, v118, 1
	s_mov_b32 s24, 0
	s_delay_alu instid0(SALU_CYCLE_1) | instskip(SKIP_4) | instid1(VALU_DEP_1)
	s_mov_b32 s25, s24
	v_cmp_gt_i32_e32 vcc_lo, 0, v32
	s_mov_b32 s26, s24
	s_mov_b32 s27, s24
	v_and_b32_e32 v2, 15, v118
	v_cmp_lt_u32_e64 s11, 3, v2
	v_cmp_lt_u32_e64 s12, 7, v2
	s_wait_kmcnt 0x0
	s_lshr_b32 s9, s1, 16
	s_and_b32 s1, s1, 0xffff
	s_wait_alu 0xfffe
	v_mad_u32_u24 v0, v121, s9, v120
	v_cmp_lt_u32_e64 s9, 1, v2
	s_delay_alu instid0(VALU_DEP_2)
	v_mad_co_u64_u32 v[0:1], null, v0, s1, v[73:74]
	v_min_u32_e32 v1, 0x60, v119
	v_cmp_eq_u32_e64 s1, 0, v2
	s_wait_alu 0xfffd
	v_cndmask_b32_e32 v2, v32, v118, vcc_lo
	v_mov_b32_e32 v32, 0
	v_cmp_eq_u32_e64 s13, 0, v3
	v_or_b32_e32 v1, 31, v1
	v_lshrrev_b32_e32 v0, 3, v0
	v_mov_b32_e32 v33, 0
	s_delay_alu instid0(VALU_DEP_3) | instskip(SKIP_4) | instid1(VALU_DEP_4)
	v_cmp_eq_u32_e64 s14, v73, v1
	v_and_b32_e32 v1, 3, v118
	v_add_nc_u32_e32 v73, -4, v116
	v_lshlrev_b32_e32 v75, 2, v2
	v_and_b32_e32 v76, 0x1ffffffc, v0
	v_cmp_eq_u32_e64 s18, 0, v1
	v_cmp_lt_u32_e64 s19, 1, v1
	v_dual_mov_b32 v0, s24 :: v_dual_mov_b32 v1, s25
	v_dual_mov_b32 v2, s26 :: v_dual_mov_b32 v3, s27
	s_brev_b32 s25, 1
	s_branch .LBB192_70
.LBB192_69:                             ;   in Loop: Header=BB192_70 Depth=1
	s_wait_alu 0xfffe
	s_and_not1_b32 vcc_lo, exec_lo, s20
	s_wait_alu 0xfffe
	s_cbranch_vccz .LBB192_94
.LBB192_70:                             ; =>This Inner Loop Header: Depth=1
	v_dual_mov_b32 v35, v5 :: v_dual_mov_b32 v34, v4
	s_min_u32 s20, s21, s23
	v_dual_mov_b32 v70, v7 :: v_dual_mov_b32 v59, v19
	s_wait_alu 0xfffe
	s_lshl_b32 s20, -1, s20
	v_cmp_ne_u64_e32 vcc_lo, s[24:25], v[34:35]
	s_wait_alu 0xfffe
	s_not_b32 s26, s20
	v_mov_b32_e32 v58, v18
	ds_store_b128 v115, v[0:3] offset:16
	ds_store_b128 v115, v[0:3] offset:32
	s_wait_loadcnt_dscnt 0x0
	s_wait_alu 0xfffd
	v_dual_mov_b32 v36, v50 :: v_dual_cndmask_b32 v5, 0x7fffffff, v35
	v_dual_cndmask_b32 v4, -1, v34 :: v_dual_mov_b32 v37, v51
	s_barrier_signal -1
	s_barrier_wait -1
	global_inv scope:SCOPE_SE
	v_lshrrev_b64 v[4:5], v32, v[4:5]
	; wave barrier
	v_dual_mov_b32 v38, v48 :: v_dual_mov_b32 v39, v49
	v_mov_b32_e32 v63, v13
	s_wait_alu 0xfffe
	s_delay_alu instid0(VALU_DEP_3) | instskip(SKIP_2) | instid1(VALU_DEP_3)
	v_and_b32_e32 v5, s26, v4
	v_dual_mov_b32 v41, v15 :: v_dual_mov_b32 v40, v14
	v_dual_mov_b32 v65, v11 :: v_dual_mov_b32 v62, v12
	v_lshlrev_b32_e32 v15, 29, v5
	v_and_b32_e32 v4, 1, v5
	v_lshlrev_b32_e32 v14, 30, v5
	v_lshlrev_b32_e32 v42, 28, v5
	v_dual_mov_b32 v67, v9 :: v_dual_lshlrev_b32 v44, 27, v5
	s_delay_alu instid0(VALU_DEP_4)
	v_add_co_u32 v4, s20, v4, -1
	s_wait_alu 0xf1ff
	v_cndmask_b32_e64 v43, 0, 1, s20
	v_not_b32_e32 v47, v14
	v_cmp_gt_i32_e64 s20, 0, v14
	v_not_b32_e32 v14, v15
	v_dual_mov_b32 v64, v10 :: v_dual_lshlrev_b32 v45, 26, v5
	v_cmp_ne_u32_e32 vcc_lo, 0, v43
	v_ashrrev_i32_e32 v47, 31, v47
	s_delay_alu instid0(VALU_DEP_4)
	v_ashrrev_i32_e32 v14, 31, v14
	v_dual_mov_b32 v69, v6 :: v_dual_lshlrev_b32 v46, 25, v5
	s_wait_alu 0xfffd
	v_xor_b32_e32 v4, vcc_lo, v4
	v_cmp_gt_i32_e32 vcc_lo, 0, v15
	v_not_b32_e32 v15, v42
	s_wait_alu 0xf1ff
	v_xor_b32_e32 v47, s20, v47
	v_cmp_gt_i32_e64 s20, 0, v42
	v_and_b32_e32 v4, exec_lo, v4
	v_not_b32_e32 v42, v44
	v_ashrrev_i32_e32 v15, 31, v15
	s_wait_alu 0xfffd
	v_xor_b32_e32 v14, vcc_lo, v14
	v_cmp_gt_i32_e32 vcc_lo, 0, v44
	v_and_b32_e32 v4, v4, v47
	v_not_b32_e32 v44, v45
	v_ashrrev_i32_e32 v42, 31, v42
	s_wait_alu 0xf1ff
	v_xor_b32_e32 v15, s20, v15
	v_dual_mov_b32 v66, v8 :: v_dual_lshlrev_b32 v43, 24, v5
	v_and_b32_e32 v4, v4, v14
	v_cmp_gt_i32_e64 s20, 0, v45
	v_not_b32_e32 v14, v46
	v_ashrrev_i32_e32 v44, 31, v44
	s_wait_alu 0xfffd
	v_xor_b32_e32 v42, vcc_lo, v42
	v_cmp_gt_i32_e32 vcc_lo, 0, v46
	v_dual_mov_b32 v47, v27 :: v_dual_and_b32 v4, v4, v15
	v_mov_b32_e32 v53, v25
	v_not_b32_e32 v15, v43
	v_ashrrev_i32_e32 v14, 31, v14
	s_wait_alu 0xf1ff
	v_xor_b32_e32 v44, s20, v44
	v_dual_mov_b32 v55, v23 :: v_dual_and_b32 v4, v4, v42
	v_cmp_gt_i32_e64 s20, 0, v43
	v_ashrrev_i32_e32 v12, 31, v15
	s_wait_alu 0xfffd
	v_xor_b32_e32 v13, vcc_lo, v14
	v_dual_mov_b32 v57, v21 :: v_dual_and_b32 v4, v4, v44
	v_mov_b32_e32 v61, v17
	s_wait_alu 0xf1ff
	v_xor_b32_e32 v6, s20, v12
	s_delay_alu instid0(VALU_DEP_3) | instskip(SKIP_2) | instid1(VALU_DEP_3)
	v_dual_mov_b32 v43, v31 :: v_dual_and_b32 v4, v4, v13
	v_dual_mov_b32 v42, v30 :: v_dual_lshlrev_b32 v5, 4, v5
	v_dual_mov_b32 v45, v29 :: v_dual_mov_b32 v44, v28
	v_and_b32_e32 v4, v4, v6
	s_delay_alu instid0(VALU_DEP_3) | instskip(SKIP_2) | instid1(VALU_DEP_4)
	v_dual_mov_b32 v46, v26 :: v_dual_add_nc_u32 v13, v76, v5
	v_mov_b32_e32 v52, v24
	v_mov_b32_e32 v54, v22
	v_mbcnt_lo_u32_b32 v12, v4, 0
	v_cmp_ne_u32_e64 s20, 0, v4
	v_mov_b32_e32 v56, v20
	v_mov_b32_e32 v60, v16
	s_delay_alu instid0(VALU_DEP_4)
	v_cmp_eq_u32_e32 vcc_lo, 0, v12
	s_and_b32 s27, s20, vcc_lo
	s_wait_alu 0xfffe
	s_and_saveexec_b32 s20, s27
; %bb.71:                               ;   in Loop: Header=BB192_70 Depth=1
	v_bcnt_u32_b32 v4, v4, 0
	ds_store_b32 v13, v4 offset:16
; %bb.72:                               ;   in Loop: Header=BB192_70 Depth=1
	s_wait_alu 0xfffe
	s_or_b32 exec_lo, exec_lo, s20
	v_cmp_ne_u64_e32 vcc_lo, s[24:25], v[69:70]
	; wave barrier
	s_wait_alu 0xfffd
	v_cndmask_b32_e32 v5, 0x7fffffff, v70, vcc_lo
	v_cndmask_b32_e32 v4, -1, v69, vcc_lo
	s_delay_alu instid0(VALU_DEP_1) | instskip(NEXT) | instid1(VALU_DEP_1)
	v_lshrrev_b64 v[4:5], v32, v[4:5]
	v_and_b32_e32 v4, s26, v4
	s_delay_alu instid0(VALU_DEP_1)
	v_and_b32_e32 v5, 1, v4
	v_lshlrev_b32_e32 v6, 30, v4
	v_lshlrev_b32_e32 v7, 29, v4
	;; [unrolled: 1-line block ×4, first 2 shown]
	v_add_co_u32 v5, s20, v5, -1
	s_wait_alu 0xf1ff
	v_cndmask_b32_e64 v9, 0, 1, s20
	v_not_b32_e32 v15, v6
	v_cmp_gt_i32_e64 s20, 0, v6
	v_not_b32_e32 v6, v7
	v_lshlrev_b32_e32 v11, 26, v4
	v_cmp_ne_u32_e32 vcc_lo, 0, v9
	v_ashrrev_i32_e32 v15, 31, v15
	v_lshlrev_b32_e32 v14, 25, v4
	v_ashrrev_i32_e32 v6, 31, v6
	v_lshlrev_b32_e32 v9, 24, v4
	s_wait_alu 0xfffd
	v_xor_b32_e32 v5, vcc_lo, v5
	v_cmp_gt_i32_e32 vcc_lo, 0, v7
	v_not_b32_e32 v7, v8
	s_wait_alu 0xf1ff
	v_xor_b32_e32 v15, s20, v15
	v_cmp_gt_i32_e64 s20, 0, v8
	v_and_b32_e32 v5, exec_lo, v5
	v_not_b32_e32 v8, v10
	v_ashrrev_i32_e32 v7, 31, v7
	s_wait_alu 0xfffd
	v_xor_b32_e32 v6, vcc_lo, v6
	v_cmp_gt_i32_e32 vcc_lo, 0, v10
	v_and_b32_e32 v5, v5, v15
	v_not_b32_e32 v10, v11
	v_ashrrev_i32_e32 v8, 31, v8
	s_wait_alu 0xf1ff
	v_xor_b32_e32 v7, s20, v7
	v_cmp_gt_i32_e64 s20, 0, v11
	v_and_b32_e32 v5, v5, v6
	v_not_b32_e32 v6, v14
	v_ashrrev_i32_e32 v10, 31, v10
	s_wait_alu 0xfffd
	v_xor_b32_e32 v8, vcc_lo, v8
	v_cmp_gt_i32_e32 vcc_lo, 0, v14
	v_and_b32_e32 v5, v5, v7
	v_not_b32_e32 v7, v9
	v_ashrrev_i32_e32 v6, 31, v6
	s_wait_alu 0xf1ff
	v_xor_b32_e32 v10, s20, v10
	v_lshlrev_b32_e32 v4, 4, v4
	v_and_b32_e32 v5, v5, v8
	v_cmp_gt_i32_e64 s20, 0, v9
	v_ashrrev_i32_e32 v7, 31, v7
	s_wait_alu 0xfffd
	v_xor_b32_e32 v6, vcc_lo, v6
	v_add_nc_u32_e32 v16, v76, v4
	v_and_b32_e32 v5, v5, v10
	s_wait_alu 0xf1ff
	v_xor_b32_e32 v4, s20, v7
	ds_load_b32 v14, v16 offset:16
	v_and_b32_e32 v5, v5, v6
	; wave barrier
	s_delay_alu instid0(VALU_DEP_1) | instskip(NEXT) | instid1(VALU_DEP_1)
	v_and_b32_e32 v4, v5, v4
	v_mbcnt_lo_u32_b32 v15, v4, 0
	v_cmp_ne_u32_e64 s20, 0, v4
	s_delay_alu instid0(VALU_DEP_2)
	v_cmp_eq_u32_e32 vcc_lo, 0, v15
	s_and_b32 s27, s20, vcc_lo
	s_wait_alu 0xfffe
	s_and_saveexec_b32 s20, s27
	s_cbranch_execz .LBB192_74
; %bb.73:                               ;   in Loop: Header=BB192_70 Depth=1
	s_wait_dscnt 0x0
	v_bcnt_u32_b32 v4, v4, v14
	ds_store_b32 v16, v4 offset:16
.LBB192_74:                             ;   in Loop: Header=BB192_70 Depth=1
	s_wait_alu 0xfffe
	s_or_b32 exec_lo, exec_lo, s20
	v_cmp_ne_u64_e32 vcc_lo, s[24:25], v[66:67]
	; wave barrier
	s_wait_alu 0xfffd
	v_cndmask_b32_e32 v5, 0x7fffffff, v67, vcc_lo
	v_cndmask_b32_e32 v4, -1, v66, vcc_lo
	s_delay_alu instid0(VALU_DEP_1) | instskip(NEXT) | instid1(VALU_DEP_1)
	v_lshrrev_b64 v[4:5], v32, v[4:5]
	v_and_b32_e32 v4, s26, v4
	s_delay_alu instid0(VALU_DEP_1)
	v_and_b32_e32 v5, 1, v4
	v_lshlrev_b32_e32 v6, 30, v4
	v_lshlrev_b32_e32 v7, 29, v4
	;; [unrolled: 1-line block ×4, first 2 shown]
	v_add_co_u32 v5, s20, v5, -1
	s_wait_alu 0xf1ff
	v_cndmask_b32_e64 v9, 0, 1, s20
	v_not_b32_e32 v18, v6
	v_cmp_gt_i32_e64 s20, 0, v6
	v_not_b32_e32 v6, v7
	v_lshlrev_b32_e32 v11, 26, v4
	v_cmp_ne_u32_e32 vcc_lo, 0, v9
	v_ashrrev_i32_e32 v18, 31, v18
	v_lshlrev_b32_e32 v17, 25, v4
	v_ashrrev_i32_e32 v6, 31, v6
	v_lshlrev_b32_e32 v9, 24, v4
	s_wait_alu 0xfffd
	v_xor_b32_e32 v5, vcc_lo, v5
	v_cmp_gt_i32_e32 vcc_lo, 0, v7
	v_not_b32_e32 v7, v8
	s_wait_alu 0xf1ff
	v_xor_b32_e32 v18, s20, v18
	v_cmp_gt_i32_e64 s20, 0, v8
	v_and_b32_e32 v5, exec_lo, v5
	v_not_b32_e32 v8, v10
	v_ashrrev_i32_e32 v7, 31, v7
	s_wait_alu 0xfffd
	v_xor_b32_e32 v6, vcc_lo, v6
	v_cmp_gt_i32_e32 vcc_lo, 0, v10
	v_and_b32_e32 v5, v5, v18
	v_not_b32_e32 v10, v11
	v_ashrrev_i32_e32 v8, 31, v8
	s_wait_alu 0xf1ff
	v_xor_b32_e32 v7, s20, v7
	v_cmp_gt_i32_e64 s20, 0, v11
	v_and_b32_e32 v5, v5, v6
	v_not_b32_e32 v6, v17
	v_ashrrev_i32_e32 v10, 31, v10
	s_wait_alu 0xfffd
	v_xor_b32_e32 v8, vcc_lo, v8
	v_cmp_gt_i32_e32 vcc_lo, 0, v17
	v_and_b32_e32 v5, v5, v7
	v_not_b32_e32 v7, v9
	v_ashrrev_i32_e32 v6, 31, v6
	s_wait_alu 0xf1ff
	v_xor_b32_e32 v10, s20, v10
	v_lshlrev_b32_e32 v4, 4, v4
	v_and_b32_e32 v5, v5, v8
	v_cmp_gt_i32_e64 s20, 0, v9
	v_ashrrev_i32_e32 v7, 31, v7
	s_wait_alu 0xfffd
	v_xor_b32_e32 v6, vcc_lo, v6
	v_add_nc_u32_e32 v19, v76, v4
	v_and_b32_e32 v5, v5, v10
	s_wait_alu 0xf1ff
	v_xor_b32_e32 v4, s20, v7
	ds_load_b32 v17, v19 offset:16
	v_and_b32_e32 v5, v5, v6
	; wave barrier
	s_delay_alu instid0(VALU_DEP_1) | instskip(NEXT) | instid1(VALU_DEP_1)
	v_and_b32_e32 v4, v5, v4
	v_mbcnt_lo_u32_b32 v18, v4, 0
	v_cmp_ne_u32_e64 s20, 0, v4
	s_delay_alu instid0(VALU_DEP_2)
	v_cmp_eq_u32_e32 vcc_lo, 0, v18
	s_and_b32 s27, s20, vcc_lo
	s_wait_alu 0xfffe
	s_and_saveexec_b32 s20, s27
	s_cbranch_execz .LBB192_76
; %bb.75:                               ;   in Loop: Header=BB192_70 Depth=1
	s_wait_dscnt 0x0
	v_bcnt_u32_b32 v4, v4, v17
	ds_store_b32 v19, v4 offset:16
.LBB192_76:                             ;   in Loop: Header=BB192_70 Depth=1
	s_wait_alu 0xfffe
	s_or_b32 exec_lo, exec_lo, s20
	v_cmp_ne_u64_e32 vcc_lo, s[24:25], v[64:65]
	; wave barrier
	s_wait_alu 0xfffd
	v_cndmask_b32_e32 v5, 0x7fffffff, v65, vcc_lo
	v_cndmask_b32_e32 v4, -1, v64, vcc_lo
	s_delay_alu instid0(VALU_DEP_1) | instskip(NEXT) | instid1(VALU_DEP_1)
	v_lshrrev_b64 v[4:5], v32, v[4:5]
	v_and_b32_e32 v4, s26, v4
	s_delay_alu instid0(VALU_DEP_1)
	v_and_b32_e32 v5, 1, v4
	v_lshlrev_b32_e32 v6, 30, v4
	v_lshlrev_b32_e32 v7, 29, v4
	;; [unrolled: 1-line block ×4, first 2 shown]
	v_add_co_u32 v5, s20, v5, -1
	s_wait_alu 0xf1ff
	v_cndmask_b32_e64 v9, 0, 1, s20
	v_not_b32_e32 v21, v6
	v_cmp_gt_i32_e64 s20, 0, v6
	v_not_b32_e32 v6, v7
	v_lshlrev_b32_e32 v11, 26, v4
	v_cmp_ne_u32_e32 vcc_lo, 0, v9
	v_ashrrev_i32_e32 v21, 31, v21
	v_lshlrev_b32_e32 v20, 25, v4
	v_ashrrev_i32_e32 v6, 31, v6
	v_lshlrev_b32_e32 v9, 24, v4
	s_wait_alu 0xfffd
	v_xor_b32_e32 v5, vcc_lo, v5
	v_cmp_gt_i32_e32 vcc_lo, 0, v7
	v_not_b32_e32 v7, v8
	s_wait_alu 0xf1ff
	v_xor_b32_e32 v21, s20, v21
	v_cmp_gt_i32_e64 s20, 0, v8
	v_and_b32_e32 v5, exec_lo, v5
	v_not_b32_e32 v8, v10
	v_ashrrev_i32_e32 v7, 31, v7
	s_wait_alu 0xfffd
	v_xor_b32_e32 v6, vcc_lo, v6
	v_cmp_gt_i32_e32 vcc_lo, 0, v10
	v_and_b32_e32 v5, v5, v21
	v_not_b32_e32 v10, v11
	v_ashrrev_i32_e32 v8, 31, v8
	s_wait_alu 0xf1ff
	v_xor_b32_e32 v7, s20, v7
	v_cmp_gt_i32_e64 s20, 0, v11
	v_and_b32_e32 v5, v5, v6
	v_not_b32_e32 v6, v20
	v_ashrrev_i32_e32 v10, 31, v10
	s_wait_alu 0xfffd
	v_xor_b32_e32 v8, vcc_lo, v8
	v_cmp_gt_i32_e32 vcc_lo, 0, v20
	v_and_b32_e32 v5, v5, v7
	v_not_b32_e32 v7, v9
	v_ashrrev_i32_e32 v6, 31, v6
	s_wait_alu 0xf1ff
	v_xor_b32_e32 v10, s20, v10
	v_lshlrev_b32_e32 v4, 4, v4
	v_and_b32_e32 v5, v5, v8
	v_cmp_gt_i32_e64 s20, 0, v9
	v_ashrrev_i32_e32 v7, 31, v7
	s_wait_alu 0xfffd
	v_xor_b32_e32 v6, vcc_lo, v6
	v_add_nc_u32_e32 v22, v76, v4
	v_and_b32_e32 v5, v5, v10
	s_wait_alu 0xf1ff
	v_xor_b32_e32 v4, s20, v7
	ds_load_b32 v20, v22 offset:16
	v_and_b32_e32 v5, v5, v6
	; wave barrier
	s_delay_alu instid0(VALU_DEP_1) | instskip(NEXT) | instid1(VALU_DEP_1)
	v_and_b32_e32 v4, v5, v4
	v_mbcnt_lo_u32_b32 v21, v4, 0
	v_cmp_ne_u32_e64 s20, 0, v4
	s_delay_alu instid0(VALU_DEP_2)
	v_cmp_eq_u32_e32 vcc_lo, 0, v21
	s_and_b32 s27, s20, vcc_lo
	s_wait_alu 0xfffe
	s_and_saveexec_b32 s20, s27
	s_cbranch_execz .LBB192_78
; %bb.77:                               ;   in Loop: Header=BB192_70 Depth=1
	s_wait_dscnt 0x0
	v_bcnt_u32_b32 v4, v4, v20
	ds_store_b32 v22, v4 offset:16
.LBB192_78:                             ;   in Loop: Header=BB192_70 Depth=1
	s_wait_alu 0xfffe
	s_or_b32 exec_lo, exec_lo, s20
	v_cmp_ne_u64_e32 vcc_lo, s[24:25], v[62:63]
	; wave barrier
	s_wait_alu 0xfffd
	v_cndmask_b32_e32 v5, 0x7fffffff, v63, vcc_lo
	v_cndmask_b32_e32 v4, -1, v62, vcc_lo
	s_delay_alu instid0(VALU_DEP_1) | instskip(NEXT) | instid1(VALU_DEP_1)
	v_lshrrev_b64 v[4:5], v32, v[4:5]
	v_and_b32_e32 v4, s26, v4
	s_delay_alu instid0(VALU_DEP_1)
	v_and_b32_e32 v5, 1, v4
	v_lshlrev_b32_e32 v6, 30, v4
	v_lshlrev_b32_e32 v7, 29, v4
	;; [unrolled: 1-line block ×4, first 2 shown]
	v_add_co_u32 v5, s20, v5, -1
	s_wait_alu 0xf1ff
	v_cndmask_b32_e64 v9, 0, 1, s20
	v_not_b32_e32 v24, v6
	v_cmp_gt_i32_e64 s20, 0, v6
	v_not_b32_e32 v6, v7
	v_lshlrev_b32_e32 v11, 26, v4
	v_cmp_ne_u32_e32 vcc_lo, 0, v9
	v_ashrrev_i32_e32 v24, 31, v24
	v_lshlrev_b32_e32 v23, 25, v4
	v_ashrrev_i32_e32 v6, 31, v6
	v_lshlrev_b32_e32 v9, 24, v4
	s_wait_alu 0xfffd
	v_xor_b32_e32 v5, vcc_lo, v5
	v_cmp_gt_i32_e32 vcc_lo, 0, v7
	v_not_b32_e32 v7, v8
	s_wait_alu 0xf1ff
	v_xor_b32_e32 v24, s20, v24
	v_cmp_gt_i32_e64 s20, 0, v8
	v_and_b32_e32 v5, exec_lo, v5
	v_not_b32_e32 v8, v10
	v_ashrrev_i32_e32 v7, 31, v7
	s_wait_alu 0xfffd
	v_xor_b32_e32 v6, vcc_lo, v6
	v_cmp_gt_i32_e32 vcc_lo, 0, v10
	v_and_b32_e32 v5, v5, v24
	v_not_b32_e32 v10, v11
	v_ashrrev_i32_e32 v8, 31, v8
	s_wait_alu 0xf1ff
	v_xor_b32_e32 v7, s20, v7
	v_cmp_gt_i32_e64 s20, 0, v11
	v_and_b32_e32 v5, v5, v6
	v_not_b32_e32 v6, v23
	v_ashrrev_i32_e32 v10, 31, v10
	s_wait_alu 0xfffd
	v_xor_b32_e32 v8, vcc_lo, v8
	v_cmp_gt_i32_e32 vcc_lo, 0, v23
	v_and_b32_e32 v5, v5, v7
	v_not_b32_e32 v7, v9
	v_ashrrev_i32_e32 v6, 31, v6
	s_wait_alu 0xf1ff
	v_xor_b32_e32 v10, s20, v10
	v_lshlrev_b32_e32 v4, 4, v4
	v_and_b32_e32 v5, v5, v8
	v_cmp_gt_i32_e64 s20, 0, v9
	v_ashrrev_i32_e32 v7, 31, v7
	s_wait_alu 0xfffd
	v_xor_b32_e32 v6, vcc_lo, v6
	v_add_nc_u32_e32 v25, v76, v4
	v_and_b32_e32 v5, v5, v10
	s_wait_alu 0xf1ff
	v_xor_b32_e32 v4, s20, v7
	ds_load_b32 v23, v25 offset:16
	v_and_b32_e32 v5, v5, v6
	; wave barrier
	s_delay_alu instid0(VALU_DEP_1) | instskip(NEXT) | instid1(VALU_DEP_1)
	v_and_b32_e32 v4, v5, v4
	v_mbcnt_lo_u32_b32 v24, v4, 0
	v_cmp_ne_u32_e64 s20, 0, v4
	s_delay_alu instid0(VALU_DEP_2)
	v_cmp_eq_u32_e32 vcc_lo, 0, v24
	s_and_b32 s27, s20, vcc_lo
	s_wait_alu 0xfffe
	s_and_saveexec_b32 s20, s27
	s_cbranch_execz .LBB192_80
; %bb.79:                               ;   in Loop: Header=BB192_70 Depth=1
	s_wait_dscnt 0x0
	v_bcnt_u32_b32 v4, v4, v23
	ds_store_b32 v25, v4 offset:16
.LBB192_80:                             ;   in Loop: Header=BB192_70 Depth=1
	s_wait_alu 0xfffe
	s_or_b32 exec_lo, exec_lo, s20
	v_cmp_ne_u64_e32 vcc_lo, s[24:25], v[40:41]
	; wave barrier
	s_wait_alu 0xfffd
	v_cndmask_b32_e32 v5, 0x7fffffff, v41, vcc_lo
	v_cndmask_b32_e32 v4, -1, v40, vcc_lo
	s_delay_alu instid0(VALU_DEP_1) | instskip(NEXT) | instid1(VALU_DEP_1)
	v_lshrrev_b64 v[4:5], v32, v[4:5]
	v_and_b32_e32 v4, s26, v4
	s_delay_alu instid0(VALU_DEP_1)
	v_and_b32_e32 v5, 1, v4
	v_lshlrev_b32_e32 v6, 30, v4
	v_lshlrev_b32_e32 v7, 29, v4
	;; [unrolled: 1-line block ×4, first 2 shown]
	v_add_co_u32 v5, s20, v5, -1
	s_wait_alu 0xf1ff
	v_cndmask_b32_e64 v9, 0, 1, s20
	v_not_b32_e32 v27, v6
	v_cmp_gt_i32_e64 s20, 0, v6
	v_not_b32_e32 v6, v7
	v_lshlrev_b32_e32 v11, 26, v4
	v_cmp_ne_u32_e32 vcc_lo, 0, v9
	v_ashrrev_i32_e32 v27, 31, v27
	v_lshlrev_b32_e32 v26, 25, v4
	v_ashrrev_i32_e32 v6, 31, v6
	v_lshlrev_b32_e32 v9, 24, v4
	s_wait_alu 0xfffd
	v_xor_b32_e32 v5, vcc_lo, v5
	v_cmp_gt_i32_e32 vcc_lo, 0, v7
	v_not_b32_e32 v7, v8
	s_wait_alu 0xf1ff
	v_xor_b32_e32 v27, s20, v27
	v_cmp_gt_i32_e64 s20, 0, v8
	v_and_b32_e32 v5, exec_lo, v5
	v_not_b32_e32 v8, v10
	v_ashrrev_i32_e32 v7, 31, v7
	s_wait_alu 0xfffd
	v_xor_b32_e32 v6, vcc_lo, v6
	v_cmp_gt_i32_e32 vcc_lo, 0, v10
	v_and_b32_e32 v5, v5, v27
	v_not_b32_e32 v10, v11
	v_ashrrev_i32_e32 v8, 31, v8
	s_wait_alu 0xf1ff
	v_xor_b32_e32 v7, s20, v7
	v_cmp_gt_i32_e64 s20, 0, v11
	v_and_b32_e32 v5, v5, v6
	v_not_b32_e32 v6, v26
	v_ashrrev_i32_e32 v10, 31, v10
	s_wait_alu 0xfffd
	v_xor_b32_e32 v8, vcc_lo, v8
	v_cmp_gt_i32_e32 vcc_lo, 0, v26
	v_and_b32_e32 v5, v5, v7
	v_not_b32_e32 v7, v9
	v_ashrrev_i32_e32 v6, 31, v6
	s_wait_alu 0xf1ff
	v_xor_b32_e32 v10, s20, v10
	v_lshlrev_b32_e32 v4, 4, v4
	v_and_b32_e32 v5, v5, v8
	v_cmp_gt_i32_e64 s20, 0, v9
	v_ashrrev_i32_e32 v7, 31, v7
	s_wait_alu 0xfffd
	v_xor_b32_e32 v6, vcc_lo, v6
	v_add_nc_u32_e32 v28, v76, v4
	v_and_b32_e32 v5, v5, v10
	s_wait_alu 0xf1ff
	v_xor_b32_e32 v4, s20, v7
	ds_load_b32 v26, v28 offset:16
	v_and_b32_e32 v5, v5, v6
	; wave barrier
	s_delay_alu instid0(VALU_DEP_1) | instskip(NEXT) | instid1(VALU_DEP_1)
	v_and_b32_e32 v4, v5, v4
	v_mbcnt_lo_u32_b32 v27, v4, 0
	v_cmp_ne_u32_e64 s20, 0, v4
	s_delay_alu instid0(VALU_DEP_2)
	v_cmp_eq_u32_e32 vcc_lo, 0, v27
	s_and_b32 s27, s20, vcc_lo
	s_wait_alu 0xfffe
	s_and_saveexec_b32 s20, s27
	s_cbranch_execz .LBB192_82
; %bb.81:                               ;   in Loop: Header=BB192_70 Depth=1
	s_wait_dscnt 0x0
	v_bcnt_u32_b32 v4, v4, v26
	ds_store_b32 v28, v4 offset:16
.LBB192_82:                             ;   in Loop: Header=BB192_70 Depth=1
	s_wait_alu 0xfffe
	s_or_b32 exec_lo, exec_lo, s20
	v_cmp_ne_u64_e32 vcc_lo, s[24:25], v[38:39]
	; wave barrier
	s_wait_alu 0xfffd
	v_cndmask_b32_e32 v5, 0x7fffffff, v39, vcc_lo
	v_cndmask_b32_e32 v4, -1, v38, vcc_lo
	s_delay_alu instid0(VALU_DEP_1) | instskip(NEXT) | instid1(VALU_DEP_1)
	v_lshrrev_b64 v[4:5], v32, v[4:5]
	v_and_b32_e32 v4, s26, v4
	s_delay_alu instid0(VALU_DEP_1)
	v_and_b32_e32 v5, 1, v4
	v_lshlrev_b32_e32 v6, 30, v4
	v_lshlrev_b32_e32 v7, 29, v4
	;; [unrolled: 1-line block ×4, first 2 shown]
	v_add_co_u32 v5, s20, v5, -1
	s_wait_alu 0xf1ff
	v_cndmask_b32_e64 v9, 0, 1, s20
	v_not_b32_e32 v30, v6
	v_cmp_gt_i32_e64 s20, 0, v6
	v_not_b32_e32 v6, v7
	v_lshlrev_b32_e32 v11, 26, v4
	v_cmp_ne_u32_e32 vcc_lo, 0, v9
	v_ashrrev_i32_e32 v30, 31, v30
	v_lshlrev_b32_e32 v29, 25, v4
	v_ashrrev_i32_e32 v6, 31, v6
	v_lshlrev_b32_e32 v9, 24, v4
	s_wait_alu 0xfffd
	v_xor_b32_e32 v5, vcc_lo, v5
	v_cmp_gt_i32_e32 vcc_lo, 0, v7
	v_not_b32_e32 v7, v8
	s_wait_alu 0xf1ff
	v_xor_b32_e32 v30, s20, v30
	v_cmp_gt_i32_e64 s20, 0, v8
	v_and_b32_e32 v5, exec_lo, v5
	v_not_b32_e32 v8, v10
	v_ashrrev_i32_e32 v7, 31, v7
	s_wait_alu 0xfffd
	v_xor_b32_e32 v6, vcc_lo, v6
	v_cmp_gt_i32_e32 vcc_lo, 0, v10
	v_and_b32_e32 v5, v5, v30
	v_not_b32_e32 v10, v11
	v_ashrrev_i32_e32 v8, 31, v8
	s_wait_alu 0xf1ff
	v_xor_b32_e32 v7, s20, v7
	v_cmp_gt_i32_e64 s20, 0, v11
	v_and_b32_e32 v5, v5, v6
	v_not_b32_e32 v6, v29
	v_ashrrev_i32_e32 v10, 31, v10
	s_wait_alu 0xfffd
	v_xor_b32_e32 v8, vcc_lo, v8
	v_cmp_gt_i32_e32 vcc_lo, 0, v29
	v_and_b32_e32 v5, v5, v7
	v_not_b32_e32 v7, v9
	v_ashrrev_i32_e32 v6, 31, v6
	s_wait_alu 0xf1ff
	v_xor_b32_e32 v10, s20, v10
	v_lshlrev_b32_e32 v4, 4, v4
	v_and_b32_e32 v5, v5, v8
	v_cmp_gt_i32_e64 s20, 0, v9
	v_ashrrev_i32_e32 v7, 31, v7
	s_wait_alu 0xfffd
	v_xor_b32_e32 v6, vcc_lo, v6
	v_add_nc_u32_e32 v31, v76, v4
	v_and_b32_e32 v5, v5, v10
	s_wait_alu 0xf1ff
	v_xor_b32_e32 v4, s20, v7
	ds_load_b32 v29, v31 offset:16
	v_and_b32_e32 v5, v5, v6
	; wave barrier
	s_delay_alu instid0(VALU_DEP_1) | instskip(NEXT) | instid1(VALU_DEP_1)
	v_and_b32_e32 v4, v5, v4
	v_mbcnt_lo_u32_b32 v30, v4, 0
	v_cmp_ne_u32_e64 s20, 0, v4
	s_delay_alu instid0(VALU_DEP_2)
	v_cmp_eq_u32_e32 vcc_lo, 0, v30
	s_and_b32 s27, s20, vcc_lo
	s_wait_alu 0xfffe
	s_and_saveexec_b32 s20, s27
	s_cbranch_execz .LBB192_84
; %bb.83:                               ;   in Loop: Header=BB192_70 Depth=1
	s_wait_dscnt 0x0
	v_bcnt_u32_b32 v4, v4, v29
	ds_store_b32 v31, v4 offset:16
.LBB192_84:                             ;   in Loop: Header=BB192_70 Depth=1
	s_wait_alu 0xfffe
	s_or_b32 exec_lo, exec_lo, s20
	v_cmp_ne_u64_e32 vcc_lo, s[24:25], v[36:37]
	; wave barrier
	s_wait_alu 0xfffd
	v_cndmask_b32_e32 v5, 0x7fffffff, v37, vcc_lo
	v_cndmask_b32_e32 v4, -1, v36, vcc_lo
	s_delay_alu instid0(VALU_DEP_1) | instskip(NEXT) | instid1(VALU_DEP_1)
	v_lshrrev_b64 v[4:5], v32, v[4:5]
	v_and_b32_e32 v4, s26, v4
	s_delay_alu instid0(VALU_DEP_1)
	v_and_b32_e32 v5, 1, v4
	v_lshlrev_b32_e32 v6, 30, v4
	v_lshlrev_b32_e32 v7, 29, v4
	v_lshlrev_b32_e32 v8, 28, v4
	v_lshlrev_b32_e32 v10, 27, v4
	v_add_co_u32 v5, s20, v5, -1
	s_wait_alu 0xf1ff
	v_cndmask_b32_e64 v9, 0, 1, s20
	v_not_b32_e32 v49, v6
	v_cmp_gt_i32_e64 s20, 0, v6
	v_not_b32_e32 v6, v7
	v_lshlrev_b32_e32 v11, 26, v4
	v_cmp_ne_u32_e32 vcc_lo, 0, v9
	v_ashrrev_i32_e32 v49, 31, v49
	v_lshlrev_b32_e32 v48, 25, v4
	v_ashrrev_i32_e32 v6, 31, v6
	v_lshlrev_b32_e32 v9, 24, v4
	s_wait_alu 0xfffd
	v_xor_b32_e32 v5, vcc_lo, v5
	v_cmp_gt_i32_e32 vcc_lo, 0, v7
	v_not_b32_e32 v7, v8
	s_wait_alu 0xf1ff
	v_xor_b32_e32 v49, s20, v49
	v_cmp_gt_i32_e64 s20, 0, v8
	v_and_b32_e32 v5, exec_lo, v5
	v_not_b32_e32 v8, v10
	v_ashrrev_i32_e32 v7, 31, v7
	s_wait_alu 0xfffd
	v_xor_b32_e32 v6, vcc_lo, v6
	v_cmp_gt_i32_e32 vcc_lo, 0, v10
	v_and_b32_e32 v5, v5, v49
	v_not_b32_e32 v10, v11
	v_ashrrev_i32_e32 v8, 31, v8
	s_wait_alu 0xf1ff
	v_xor_b32_e32 v7, s20, v7
	v_cmp_gt_i32_e64 s20, 0, v11
	v_and_b32_e32 v5, v5, v6
	v_not_b32_e32 v6, v48
	v_ashrrev_i32_e32 v10, 31, v10
	s_wait_alu 0xfffd
	v_xor_b32_e32 v8, vcc_lo, v8
	v_cmp_gt_i32_e32 vcc_lo, 0, v48
	v_and_b32_e32 v5, v5, v7
	v_not_b32_e32 v7, v9
	v_ashrrev_i32_e32 v6, 31, v6
	s_wait_alu 0xf1ff
	v_xor_b32_e32 v10, s20, v10
	v_lshlrev_b32_e32 v4, 4, v4
	v_and_b32_e32 v5, v5, v8
	v_cmp_gt_i32_e64 s20, 0, v9
	v_ashrrev_i32_e32 v7, 31, v7
	s_wait_alu 0xfffd
	v_xor_b32_e32 v6, vcc_lo, v6
	v_add_nc_u32_e32 v50, v76, v4
	v_and_b32_e32 v5, v5, v10
	s_wait_alu 0xf1ff
	v_xor_b32_e32 v4, s20, v7
	ds_load_b32 v48, v50 offset:16
	v_and_b32_e32 v5, v5, v6
	; wave barrier
	s_delay_alu instid0(VALU_DEP_1) | instskip(NEXT) | instid1(VALU_DEP_1)
	v_and_b32_e32 v4, v5, v4
	v_mbcnt_lo_u32_b32 v49, v4, 0
	v_cmp_ne_u32_e64 s20, 0, v4
	s_delay_alu instid0(VALU_DEP_2)
	v_cmp_eq_u32_e32 vcc_lo, 0, v49
	s_and_b32 s26, s20, vcc_lo
	s_wait_alu 0xfffe
	s_and_saveexec_b32 s20, s26
	s_cbranch_execz .LBB192_86
; %bb.85:                               ;   in Loop: Header=BB192_70 Depth=1
	s_wait_dscnt 0x0
	v_bcnt_u32_b32 v4, v4, v48
	ds_store_b32 v50, v4 offset:16
.LBB192_86:                             ;   in Loop: Header=BB192_70 Depth=1
	s_wait_alu 0xfffe
	s_or_b32 exec_lo, exec_lo, s20
	; wave barrier
	s_wait_loadcnt_dscnt 0x0
	s_barrier_signal -1
	s_barrier_wait -1
	global_inv scope:SCOPE_SE
	ds_load_b128 v[8:11], v115 offset:16
	ds_load_b128 v[4:7], v115 offset:32
	s_wait_dscnt 0x1
	v_add_nc_u32_e32 v51, v9, v8
	s_delay_alu instid0(VALU_DEP_1) | instskip(SKIP_1) | instid1(VALU_DEP_1)
	v_add3_u32 v51, v51, v10, v11
	s_wait_dscnt 0x0
	v_add3_u32 v51, v51, v4, v5
	s_delay_alu instid0(VALU_DEP_1) | instskip(NEXT) | instid1(VALU_DEP_1)
	v_add3_u32 v7, v51, v6, v7
	v_mov_b32_dpp v51, v7 row_shr:1 row_mask:0xf bank_mask:0xf
	s_delay_alu instid0(VALU_DEP_1) | instskip(NEXT) | instid1(VALU_DEP_1)
	v_cndmask_b32_e64 v51, v51, 0, s1
	v_add_nc_u32_e32 v7, v51, v7
	s_delay_alu instid0(VALU_DEP_1) | instskip(NEXT) | instid1(VALU_DEP_1)
	v_mov_b32_dpp v51, v7 row_shr:2 row_mask:0xf bank_mask:0xf
	v_cndmask_b32_e64 v51, 0, v51, s9
	s_delay_alu instid0(VALU_DEP_1) | instskip(NEXT) | instid1(VALU_DEP_1)
	v_add_nc_u32_e32 v7, v7, v51
	v_mov_b32_dpp v51, v7 row_shr:4 row_mask:0xf bank_mask:0xf
	s_delay_alu instid0(VALU_DEP_1) | instskip(NEXT) | instid1(VALU_DEP_1)
	v_cndmask_b32_e64 v51, 0, v51, s11
	v_add_nc_u32_e32 v7, v7, v51
	s_delay_alu instid0(VALU_DEP_1) | instskip(NEXT) | instid1(VALU_DEP_1)
	v_mov_b32_dpp v51, v7 row_shr:8 row_mask:0xf bank_mask:0xf
	v_cndmask_b32_e64 v51, 0, v51, s12
	s_delay_alu instid0(VALU_DEP_1) | instskip(SKIP_3) | instid1(VALU_DEP_1)
	v_add_nc_u32_e32 v7, v7, v51
	ds_swizzle_b32 v51, v7 offset:swizzle(BROADCAST,32,15)
	s_wait_dscnt 0x0
	v_cndmask_b32_e64 v51, v51, 0, s13
	v_add_nc_u32_e32 v7, v7, v51
	s_and_saveexec_b32 s20, s14
; %bb.87:                               ;   in Loop: Header=BB192_70 Depth=1
	ds_store_b32 v116, v7
; %bb.88:                               ;   in Loop: Header=BB192_70 Depth=1
	s_wait_alu 0xfffe
	s_or_b32 exec_lo, exec_lo, s20
	s_wait_loadcnt_dscnt 0x0
	s_barrier_signal -1
	s_barrier_wait -1
	global_inv scope:SCOPE_SE
	s_and_saveexec_b32 s20, s15
	s_cbranch_execz .LBB192_90
; %bb.89:                               ;   in Loop: Header=BB192_70 Depth=1
	ds_load_b32 v51, v77
	s_wait_dscnt 0x0
	v_mov_b32_dpp v78, v51 row_shr:1 row_mask:0xf bank_mask:0xf
	s_delay_alu instid0(VALU_DEP_1) | instskip(NEXT) | instid1(VALU_DEP_1)
	v_cndmask_b32_e64 v78, v78, 0, s18
	v_add_nc_u32_e32 v51, v78, v51
	s_delay_alu instid0(VALU_DEP_1) | instskip(NEXT) | instid1(VALU_DEP_1)
	v_mov_b32_dpp v78, v51 row_shr:2 row_mask:0xf bank_mask:0xf
	v_cndmask_b32_e64 v78, 0, v78, s19
	s_delay_alu instid0(VALU_DEP_1)
	v_add_nc_u32_e32 v51, v51, v78
	ds_store_b32 v77, v51
.LBB192_90:                             ;   in Loop: Header=BB192_70 Depth=1
	s_wait_alu 0xfffe
	s_or_b32 exec_lo, exec_lo, s20
	v_mov_b32_e32 v51, 0
	s_wait_loadcnt_dscnt 0x0
	s_barrier_signal -1
	s_barrier_wait -1
	global_inv scope:SCOPE_SE
	s_and_saveexec_b32 s20, s16
; %bb.91:                               ;   in Loop: Header=BB192_70 Depth=1
	ds_load_b32 v51, v73
; %bb.92:                               ;   in Loop: Header=BB192_70 Depth=1
	s_wait_alu 0xfffe
	s_or_b32 exec_lo, exec_lo, s20
	s_wait_dscnt 0x0
	v_add_nc_u32_e32 v7, v51, v7
	v_cmp_lt_u32_e32 vcc_lo, 55, v32
	s_mov_b32 s20, -1
	ds_bpermute_b32 v7, v75, v7
	s_and_b32 vcc_lo, exec_lo, vcc_lo
	s_wait_dscnt 0x0
	v_cndmask_b32_e64 v7, v7, v51, s10
	s_delay_alu instid0(VALU_DEP_1) | instskip(NEXT) | instid1(VALU_DEP_1)
	v_cndmask_b32_e64 v7, v7, 0, s17
	v_add_nc_u32_e32 v8, v7, v8
	s_delay_alu instid0(VALU_DEP_1) | instskip(NEXT) | instid1(VALU_DEP_1)
	v_add_nc_u32_e32 v9, v8, v9
	v_add_nc_u32_e32 v10, v9, v10
	s_delay_alu instid0(VALU_DEP_1) | instskip(NEXT) | instid1(VALU_DEP_1)
	v_add_nc_u32_e32 v78, v10, v11
	;; [unrolled: 3-line block ×3, first 2 shown]
	v_add_nc_u32_e32 v81, v80, v6
	ds_store_b128 v115, v[7:10] offset:16
	ds_store_b128 v115, v[78:81] offset:32
	s_wait_loadcnt_dscnt 0x0
	s_barrier_signal -1
	s_barrier_wait -1
	global_inv scope:SCOPE_SE
	ds_load_b32 v4, v13 offset:16
	ds_load_b32 v5, v16 offset:16
	;; [unrolled: 1-line block ×8, first 2 shown]
	s_wait_dscnt 0x7
	v_add_nc_u32_e32 v85, v4, v12
	s_wait_dscnt 0x6
	v_add3_u32 v84, v15, v14, v5
	s_wait_dscnt 0x5
	v_add3_u32 v83, v18, v17, v6
	;; [unrolled: 2-line block ×7, first 2 shown]
                                        ; implicit-def: $vgpr50_vgpr51
                                        ; implicit-def: $vgpr14_vgpr15
                                        ; implicit-def: $vgpr10_vgpr11
                                        ; implicit-def: $vgpr6_vgpr7
                                        ; implicit-def: $vgpr30_vgpr31
                                        ; implicit-def: $vgpr26_vgpr27
                                        ; implicit-def: $vgpr22_vgpr23
                                        ; implicit-def: $vgpr18_vgpr19
	s_wait_alu 0xfffe
	s_cbranch_vccnz .LBB192_69
; %bb.93:                               ;   in Loop: Header=BB192_70 Depth=1
	v_lshlrev_b32_e32 v16, 3, v85
	v_lshlrev_b32_e32 v19, 3, v82
	;; [unrolled: 1-line block ×8, first 2 shown]
	s_wait_loadcnt 0x0
	s_barrier_signal -1
	s_barrier_wait -1
	global_inv scope:SCOPE_SE
	ds_store_b64 v16, v[34:35]
	ds_store_b64 v17, v[69:70]
	ds_store_b64 v18, v[66:67]
	ds_store_b64 v19, v[64:65]
	ds_store_b64 v20, v[62:63]
	ds_store_b64 v21, v[40:41]
	ds_store_b64 v22, v[38:39]
	ds_store_b64 v23, v[36:37]
	s_wait_loadcnt_dscnt 0x0
	s_barrier_signal -1
	s_barrier_wait -1
	global_inv scope:SCOPE_SE
	ds_load_2addr_b64 v[4:7], v74 offset1:32
	ds_load_2addr_b64 v[8:11], v74 offset0:64 offset1:96
	ds_load_2addr_b64 v[12:15], v74 offset0:128 offset1:160
	;; [unrolled: 1-line block ×3, first 2 shown]
	s_wait_loadcnt_dscnt 0x0
	s_barrier_signal -1
	s_barrier_wait -1
	global_inv scope:SCOPE_SE
	ds_store_b64 v16, v[60:61]
	ds_store_b64 v17, v[58:59]
	;; [unrolled: 1-line block ×8, first 2 shown]
	s_wait_loadcnt_dscnt 0x0
	s_barrier_signal -1
	s_barrier_wait -1
	global_inv scope:SCOPE_SE
	ds_load_2addr_b64 v[16:19], v74 offset1:32
	ds_load_2addr_b64 v[20:23], v74 offset0:64 offset1:96
	ds_load_2addr_b64 v[24:27], v74 offset0:128 offset1:160
	;; [unrolled: 1-line block ×3, first 2 shown]
	v_add_co_u32 v32, vcc_lo, v32, 8
	s_wait_alu 0xfffd
	v_add_co_ci_u32_e64 v33, null, 0, v33, vcc_lo
	s_add_co_i32 s23, s23, -8
	s_mov_b32 s20, 0
	s_wait_loadcnt_dscnt 0x0
	s_barrier_signal -1
	s_barrier_wait -1
	global_inv scope:SCOPE_SE
	s_branch .LBB192_69
.LBB192_94:
	v_lshlrev_b32_e32 v16, 3, v85
	v_lshlrev_b32_e32 v19, 3, v82
	;; [unrolled: 1-line block ×9, first 2 shown]
	s_wait_loadcnt 0x0
	s_barrier_signal -1
	s_barrier_wait -1
	global_inv scope:SCOPE_SE
	ds_store_b64 v16, v[34:35]
	ds_store_b64 v17, v[69:70]
	;; [unrolled: 1-line block ×8, first 2 shown]
	s_wait_loadcnt_dscnt 0x0
	s_barrier_signal -1
	s_barrier_wait -1
	global_inv scope:SCOPE_SE
	ds_load_b128 v[0:3], v24
	ds_load_b128 v[4:7], v24 offset:16
	ds_load_b128 v[8:11], v24 offset:32
	;; [unrolled: 1-line block ×3, first 2 shown]
	s_wait_loadcnt_dscnt 0x0
	s_barrier_signal -1
	s_barrier_wait -1
	global_inv scope:SCOPE_SE
	ds_store_b64 v16, v[60:61]
	ds_store_b64 v17, v[58:59]
	;; [unrolled: 1-line block ×8, first 2 shown]
	s_wait_loadcnt_dscnt 0x0
	s_barrier_signal -1
	s_barrier_wait -1
	global_inv scope:SCOPE_SE
	ds_load_b128 v[52:55], v24
	ds_load_b128 v[48:51], v24 offset:16
	ds_load_b128 v[60:63], v24 offset:32
	;; [unrolled: 1-line block ×3, first 2 shown]
	v_cmp_gt_i64_e32 vcc_lo, 0, v[0:1]
	v_ashrrev_i32_e32 v18, 31, v3
	v_ashrrev_i32_e32 v16, 31, v1
	s_wait_alu 0xfffd
	v_cndmask_b32_e64 v17, 0x7fffffff, 0, vcc_lo
	v_cmp_gt_i64_e32 vcc_lo, 0, v[2:3]
	v_not_b32_e32 v18, v18
	v_not_b32_e32 v16, v16
	s_delay_alu instid0(VALU_DEP_4)
	v_xor_b32_e32 v1, v17, v1
	v_ashrrev_i32_e32 v17, 31, v7
	s_wait_alu 0xfffd
	v_cndmask_b32_e64 v19, 0x7fffffff, 0, vcc_lo
	v_cmp_gt_i64_e32 vcc_lo, 0, v[4:5]
	v_xor_b32_e32 v2, v18, v2
	v_xor_b32_e32 v0, v16, v0
	v_ashrrev_i32_e32 v16, 31, v5
	v_xor_b32_e32 v3, v19, v3
	v_not_b32_e32 v17, v17
	s_wait_alu 0xfffd
	v_cndmask_b32_e64 v18, 0x7fffffff, 0, vcc_lo
	v_cmp_gt_i64_e32 vcc_lo, 0, v[6:7]
	v_not_b32_e32 v16, v16
	v_xor_b32_e32 v6, v17, v6
	s_delay_alu instid0(VALU_DEP_4)
	v_xor_b32_e32 v5, v18, v5
	v_ashrrev_i32_e32 v18, 31, v11
	s_wait_alu 0xfffd
	v_cndmask_b32_e64 v19, 0x7fffffff, 0, vcc_lo
	v_cmp_gt_i64_e32 vcc_lo, 0, v[8:9]
	v_xor_b32_e32 v4, v16, v4
	v_ashrrev_i32_e32 v16, 31, v9
	s_delay_alu instid0(VALU_DEP_4) | instskip(SKIP_4) | instid1(VALU_DEP_3)
	v_xor_b32_e32 v7, v19, v7
	s_wait_alu 0xfffd
	v_cndmask_b32_e64 v17, 0x7fffffff, 0, vcc_lo
	v_cmp_gt_i64_e32 vcc_lo, 0, v[10:11]
	v_not_b32_e32 v16, v16
	v_xor_b32_e32 v9, v17, v9
	v_ashrrev_i32_e32 v17, 31, v13
	s_wait_alu 0xfffd
	v_cndmask_b32_e64 v19, 0x7fffffff, 0, vcc_lo
	v_cmp_gt_i64_e32 vcc_lo, 0, v[12:13]
	v_xor_b32_e32 v8, v16, v8
	v_not_b32_e32 v16, v18
	v_ashrrev_i32_e32 v18, 31, v15
	v_xor_b32_e32 v11, v19, v11
	v_not_b32_e32 v17, v17
	s_wait_alu 0xfffd
	v_cndmask_b32_e64 v19, 0x7fffffff, 0, vcc_lo
	v_cmp_gt_i64_e32 vcc_lo, 0, v[14:15]
	v_not_b32_e32 v18, v18
	v_xor_b32_e32 v10, v16, v10
	v_xor_b32_e32 v12, v17, v12
	v_xor_b32_e32 v13, v19, v13
	s_wait_alu 0xfffd
	v_cndmask_b32_e64 v20, 0x7fffffff, 0, vcc_lo
	v_xor_b32_e32 v14, v18, v14
	s_delay_alu instid0(VALU_DEP_2)
	v_xor_b32_e32 v15, v20, v15
.LBB192_95:
	s_wait_loadcnt_dscnt 0x0
	s_barrier_signal -1
	s_barrier_wait -1
	global_inv scope:SCOPE_SE
	ds_store_2addr_b64 v114, v[0:1], v[2:3] offset1:1
	ds_store_2addr_b64 v114, v[4:5], v[6:7] offset0:2 offset1:3
	ds_store_2addr_b64 v114, v[8:9], v[10:11] offset0:4 offset1:5
	;; [unrolled: 1-line block ×3, first 2 shown]
	s_wait_loadcnt_dscnt 0x0
	s_barrier_signal -1
	s_barrier_wait -1
	global_inv scope:SCOPE_SE
	ds_load_b64 v[14:15], v107 offset:1024
	ds_load_b64 v[12:13], v108 offset:2048
	;; [unrolled: 1-line block ×7, first 2 shown]
	v_mov_b32_e32 v72, 0
	s_delay_alu instid0(VALU_DEP_1) | instskip(NEXT) | instid1(VALU_DEP_1)
	v_lshlrev_b64_e32 v[2:3], 3, v[71:72]
	v_add_co_u32 v2, vcc_lo, s30, v2
	s_wait_alu 0xfffd
	s_delay_alu instid0(VALU_DEP_2)
	v_add_co_ci_u32_e64 v3, null, s31, v3, vcc_lo
	s_and_saveexec_b32 s1, s2
	s_cbranch_execnz .LBB192_114
; %bb.96:
	s_wait_alu 0xfffe
	s_or_b32 exec_lo, exec_lo, s1
	s_and_saveexec_b32 s1, s3
	s_cbranch_execnz .LBB192_115
.LBB192_97:
	s_wait_alu 0xfffe
	s_or_b32 exec_lo, exec_lo, s1
	s_and_saveexec_b32 s1, s4
	s_cbranch_execnz .LBB192_116
.LBB192_98:
	s_wait_alu 0xfffe
	s_or_b32 exec_lo, exec_lo, s1
	s_and_saveexec_b32 s1, s5
	s_cbranch_execnz .LBB192_117
.LBB192_99:
	s_wait_alu 0xfffe
	s_or_b32 exec_lo, exec_lo, s1
	s_and_saveexec_b32 s1, s6
	s_cbranch_execnz .LBB192_118
.LBB192_100:
	s_wait_alu 0xfffe
	s_or_b32 exec_lo, exec_lo, s1
	s_and_saveexec_b32 s1, s7
	s_cbranch_execnz .LBB192_119
.LBB192_101:
	s_wait_alu 0xfffe
	s_or_b32 exec_lo, exec_lo, s1
	s_and_saveexec_b32 s1, s8
	s_cbranch_execnz .LBB192_120
.LBB192_102:
	s_wait_alu 0xfffe
	s_or_b32 exec_lo, exec_lo, s1
	s_and_saveexec_b32 s1, s0
	s_cbranch_execz .LBB192_104
.LBB192_103:
	s_mul_i32 s10, s22, 0x380
	s_mov_b32 s11, 0
	s_wait_alu 0xfffe
	s_lshl_b64 s[10:11], s[10:11], 3
	s_wait_alu 0xfffe
	v_add_co_u32 v2, vcc_lo, v2, s10
	s_wait_alu 0xfffd
	v_add_co_ci_u32_e64 v3, null, s11, v3, vcc_lo
	s_wait_dscnt 0x0
	global_store_b64 v[2:3], v[0:1], off
.LBB192_104:
	s_wait_alu 0xfffe
	s_or_b32 exec_lo, exec_lo, s1
	s_wait_storecnt 0x0
	s_wait_loadcnt_dscnt 0x0
	s_barrier_signal -1
	s_barrier_wait -1
	global_inv scope:SCOPE_SE
	ds_store_2addr_b64 v114, v[52:53], v[54:55] offset1:1
	ds_store_2addr_b64 v114, v[48:49], v[50:51] offset0:2 offset1:3
	ds_store_2addr_b64 v114, v[60:61], v[62:63] offset0:4 offset1:5
	;; [unrolled: 1-line block ×3, first 2 shown]
	s_wait_loadcnt_dscnt 0x0
	s_barrier_signal -1
	s_barrier_wait -1
	global_inv scope:SCOPE_SE
	ds_load_b64 v[14:15], v107 offset:1024
	ds_load_b64 v[12:13], v108 offset:2048
	;; [unrolled: 1-line block ×7, first 2 shown]
	v_mov_b32_e32 v69, 0
	s_delay_alu instid0(VALU_DEP_1) | instskip(NEXT) | instid1(VALU_DEP_1)
	v_lshlrev_b64_e32 v[2:3], 3, v[68:69]
	v_add_co_u32 v2, vcc_lo, s34, v2
	s_wait_alu 0xfffd
	s_delay_alu instid0(VALU_DEP_2)
	v_add_co_ci_u32_e64 v3, null, s35, v3, vcc_lo
	s_and_saveexec_b32 s1, s2
	s_cbranch_execnz .LBB192_121
; %bb.105:
	s_wait_alu 0xfffe
	s_or_b32 exec_lo, exec_lo, s1
	s_and_saveexec_b32 s1, s3
	s_cbranch_execnz .LBB192_122
.LBB192_106:
	s_wait_alu 0xfffe
	s_or_b32 exec_lo, exec_lo, s1
	s_and_saveexec_b32 s1, s4
	s_cbranch_execnz .LBB192_123
.LBB192_107:
	s_wait_alu 0xfffe
	s_or_b32 exec_lo, exec_lo, s1
	s_and_saveexec_b32 s1, s5
	s_cbranch_execnz .LBB192_124
.LBB192_108:
	s_wait_alu 0xfffe
	s_or_b32 exec_lo, exec_lo, s1
	s_and_saveexec_b32 s1, s6
	s_cbranch_execnz .LBB192_125
.LBB192_109:
	s_wait_alu 0xfffe
	s_or_b32 exec_lo, exec_lo, s1
	s_and_saveexec_b32 s1, s7
	s_cbranch_execnz .LBB192_126
.LBB192_110:
	s_wait_alu 0xfffe
	s_or_b32 exec_lo, exec_lo, s1
	s_and_saveexec_b32 s1, s8
	s_cbranch_execnz .LBB192_127
.LBB192_111:
	s_wait_alu 0xfffe
	s_or_b32 exec_lo, exec_lo, s1
	s_and_saveexec_b32 s1, s0
	s_cbranch_execz .LBB192_113
.LBB192_112:
	s_mul_i32 s0, s28, 0x380
	s_mov_b32 s1, 0
	s_wait_alu 0xfffe
	s_lshl_b64 s[0:1], s[0:1], 3
	s_wait_alu 0xfffe
	v_add_co_u32 v2, vcc_lo, v2, s0
	s_wait_alu 0xfffd
	v_add_co_ci_u32_e64 v3, null, s1, v3, vcc_lo
	s_wait_dscnt 0x0
	global_store_b64 v[2:3], v[0:1], off
.LBB192_113:
	s_nop 0
	s_sendmsg sendmsg(MSG_DEALLOC_VGPRS)
	s_endpgm
.LBB192_114:
	ds_load_b64 v[16:17], v106
	s_wait_dscnt 0x0
	global_store_b64 v[2:3], v[16:17], off
	s_wait_alu 0xfffe
	s_or_b32 exec_lo, exec_lo, s1
	s_and_saveexec_b32 s1, s3
	s_cbranch_execz .LBB192_97
.LBB192_115:
	s_lshl_b32 s10, s22, 7
	s_mov_b32 s11, 0
	s_wait_alu 0xfffe
	s_lshl_b64 s[10:11], s[10:11], 3
	s_wait_alu 0xfffe
	v_add_co_u32 v16, vcc_lo, v2, s10
	s_wait_alu 0xfffd
	v_add_co_ci_u32_e64 v17, null, s11, v3, vcc_lo
	s_wait_dscnt 0x6
	global_store_b64 v[16:17], v[14:15], off
	s_or_b32 exec_lo, exec_lo, s1
	s_and_saveexec_b32 s1, s4
	s_cbranch_execz .LBB192_98
.LBB192_116:
	s_lshl_b32 s10, s22, 8
	s_mov_b32 s11, 0
	s_wait_alu 0xfffe
	s_lshl_b64 s[10:11], s[10:11], 3
	s_wait_dscnt 0x6
	s_wait_alu 0xfffe
	v_add_co_u32 v14, vcc_lo, v2, s10
	s_wait_alu 0xfffd
	v_add_co_ci_u32_e64 v15, null, s11, v3, vcc_lo
	s_wait_dscnt 0x5
	global_store_b64 v[14:15], v[12:13], off
	s_or_b32 exec_lo, exec_lo, s1
	s_and_saveexec_b32 s1, s5
	s_cbranch_execz .LBB192_99
.LBB192_117:
	s_mul_i32 s10, s22, 0x180
	s_mov_b32 s11, 0
	s_wait_alu 0xfffe
	s_lshl_b64 s[10:11], s[10:11], 3
	s_wait_dscnt 0x5
	s_wait_alu 0xfffe
	v_add_co_u32 v12, vcc_lo, v2, s10
	s_wait_alu 0xfffd
	v_add_co_ci_u32_e64 v13, null, s11, v3, vcc_lo
	s_wait_dscnt 0x4
	global_store_b64 v[12:13], v[10:11], off
	s_or_b32 exec_lo, exec_lo, s1
	s_and_saveexec_b32 s1, s6
	s_cbranch_execz .LBB192_100
.LBB192_118:
	s_lshl_b32 s10, s22, 9
	s_mov_b32 s11, 0
	s_wait_alu 0xfffe
	s_lshl_b64 s[10:11], s[10:11], 3
	s_wait_dscnt 0x4
	s_wait_alu 0xfffe
	v_add_co_u32 v10, vcc_lo, v2, s10
	s_wait_alu 0xfffd
	v_add_co_ci_u32_e64 v11, null, s11, v3, vcc_lo
	s_wait_dscnt 0x3
	global_store_b64 v[10:11], v[8:9], off
	s_or_b32 exec_lo, exec_lo, s1
	s_and_saveexec_b32 s1, s7
	s_cbranch_execz .LBB192_101
.LBB192_119:
	s_mul_i32 s10, s22, 0x280
	s_mov_b32 s11, 0
	s_wait_alu 0xfffe
	s_lshl_b64 s[10:11], s[10:11], 3
	s_wait_dscnt 0x3
	s_wait_alu 0xfffe
	v_add_co_u32 v8, vcc_lo, v2, s10
	s_wait_alu 0xfffd
	v_add_co_ci_u32_e64 v9, null, s11, v3, vcc_lo
	s_wait_dscnt 0x2
	global_store_b64 v[8:9], v[6:7], off
	s_or_b32 exec_lo, exec_lo, s1
	s_and_saveexec_b32 s1, s8
	s_cbranch_execz .LBB192_102
.LBB192_120:
	s_mul_i32 s10, s22, 0x300
	s_mov_b32 s11, 0
	s_wait_alu 0xfffe
	s_lshl_b64 s[10:11], s[10:11], 3
	s_wait_dscnt 0x2
	s_wait_alu 0xfffe
	v_add_co_u32 v6, vcc_lo, v2, s10
	s_wait_alu 0xfffd
	v_add_co_ci_u32_e64 v7, null, s11, v3, vcc_lo
	s_wait_dscnt 0x1
	global_store_b64 v[6:7], v[4:5], off
	s_or_b32 exec_lo, exec_lo, s1
	s_and_saveexec_b32 s1, s0
	s_cbranch_execnz .LBB192_103
	s_branch .LBB192_104
.LBB192_121:
	ds_load_b64 v[16:17], v106
	s_wait_dscnt 0x0
	global_store_b64 v[2:3], v[16:17], off
	s_wait_alu 0xfffe
	s_or_b32 exec_lo, exec_lo, s1
	s_and_saveexec_b32 s1, s3
	s_cbranch_execz .LBB192_106
.LBB192_122:
	s_lshl_b32 s2, s28, 7
	s_mov_b32 s3, 0
	s_delay_alu instid0(SALU_CYCLE_1) | instskip(NEXT) | instid1(SALU_CYCLE_1)
	s_lshl_b64 s[2:3], s[2:3], 3
	v_add_co_u32 v16, vcc_lo, v2, s2
	s_wait_alu 0xfffd
	v_add_co_ci_u32_e64 v17, null, s3, v3, vcc_lo
	s_wait_dscnt 0x6
	global_store_b64 v[16:17], v[14:15], off
	s_wait_alu 0xfffe
	s_or_b32 exec_lo, exec_lo, s1
	s_and_saveexec_b32 s1, s4
	s_cbranch_execz .LBB192_107
.LBB192_123:
	s_lshl_b32 s2, s28, 8
	s_mov_b32 s3, 0
	s_wait_alu 0xfffe
	s_lshl_b64 s[2:3], s[2:3], 3
	s_wait_dscnt 0x6
	s_wait_alu 0xfffe
	v_add_co_u32 v14, vcc_lo, v2, s2
	s_wait_alu 0xfffd
	v_add_co_ci_u32_e64 v15, null, s3, v3, vcc_lo
	s_wait_dscnt 0x5
	global_store_b64 v[14:15], v[12:13], off
	s_or_b32 exec_lo, exec_lo, s1
	s_and_saveexec_b32 s1, s5
	s_cbranch_execz .LBB192_108
.LBB192_124:
	s_mul_i32 s2, s28, 0x180
	s_mov_b32 s3, 0
	s_wait_alu 0xfffe
	s_lshl_b64 s[2:3], s[2:3], 3
	s_wait_dscnt 0x5
	s_wait_alu 0xfffe
	v_add_co_u32 v12, vcc_lo, v2, s2
	s_wait_alu 0xfffd
	v_add_co_ci_u32_e64 v13, null, s3, v3, vcc_lo
	s_wait_dscnt 0x4
	global_store_b64 v[12:13], v[10:11], off
	s_or_b32 exec_lo, exec_lo, s1
	s_and_saveexec_b32 s1, s6
	s_cbranch_execz .LBB192_109
.LBB192_125:
	s_lshl_b32 s2, s28, 9
	s_mov_b32 s3, 0
	s_wait_alu 0xfffe
	s_lshl_b64 s[2:3], s[2:3], 3
	s_wait_dscnt 0x4
	s_wait_alu 0xfffe
	v_add_co_u32 v10, vcc_lo, v2, s2
	s_wait_alu 0xfffd
	v_add_co_ci_u32_e64 v11, null, s3, v3, vcc_lo
	s_wait_dscnt 0x3
	global_store_b64 v[10:11], v[8:9], off
	s_or_b32 exec_lo, exec_lo, s1
	s_and_saveexec_b32 s1, s7
	s_cbranch_execz .LBB192_110
.LBB192_126:
	s_mul_i32 s2, s28, 0x280
	s_mov_b32 s3, 0
	s_wait_alu 0xfffe
	s_lshl_b64 s[2:3], s[2:3], 3
	s_wait_dscnt 0x3
	s_wait_alu 0xfffe
	v_add_co_u32 v8, vcc_lo, v2, s2
	s_wait_alu 0xfffd
	v_add_co_ci_u32_e64 v9, null, s3, v3, vcc_lo
	s_wait_dscnt 0x2
	global_store_b64 v[8:9], v[6:7], off
	s_or_b32 exec_lo, exec_lo, s1
	s_and_saveexec_b32 s1, s8
	s_cbranch_execz .LBB192_111
.LBB192_127:
	s_mul_i32 s2, s28, 0x300
	s_mov_b32 s3, 0
	s_wait_alu 0xfffe
	s_lshl_b64 s[2:3], s[2:3], 3
	s_wait_dscnt 0x2
	s_wait_alu 0xfffe
	v_add_co_u32 v6, vcc_lo, v2, s2
	s_wait_alu 0xfffd
	v_add_co_ci_u32_e64 v7, null, s3, v3, vcc_lo
	s_wait_dscnt 0x1
	global_store_b64 v[6:7], v[4:5], off
	s_or_b32 exec_lo, exec_lo, s1
	s_and_saveexec_b32 s1, s0
	s_cbranch_execnz .LBB192_112
	s_branch .LBB192_113
	.section	.rodata,"a",@progbits
	.p2align	6, 0x0
	.amdhsa_kernel _ZN2at6native18radixSortKVInPlaceILin1ELin1ELi128ELi8EdljEEvNS_4cuda6detail10TensorInfoIT3_T5_EES6_S6_S6_NS4_IT4_S6_EES6_b
		.amdhsa_group_segment_fixed_size 8448
		.amdhsa_private_segment_fixed_size 0
		.amdhsa_kernarg_size 712
		.amdhsa_user_sgpr_count 2
		.amdhsa_user_sgpr_dispatch_ptr 0
		.amdhsa_user_sgpr_queue_ptr 0
		.amdhsa_user_sgpr_kernarg_segment_ptr 1
		.amdhsa_user_sgpr_dispatch_id 0
		.amdhsa_user_sgpr_private_segment_size 0
		.amdhsa_wavefront_size32 1
		.amdhsa_uses_dynamic_stack 0
		.amdhsa_enable_private_segment 0
		.amdhsa_system_sgpr_workgroup_id_x 1
		.amdhsa_system_sgpr_workgroup_id_y 1
		.amdhsa_system_sgpr_workgroup_id_z 1
		.amdhsa_system_sgpr_workgroup_info 0
		.amdhsa_system_vgpr_workitem_id 2
		.amdhsa_next_free_vgpr 143
		.amdhsa_next_free_sgpr 40
		.amdhsa_reserve_vcc 1
		.amdhsa_float_round_mode_32 0
		.amdhsa_float_round_mode_16_64 0
		.amdhsa_float_denorm_mode_32 3
		.amdhsa_float_denorm_mode_16_64 3
		.amdhsa_fp16_overflow 0
		.amdhsa_workgroup_processor_mode 1
		.amdhsa_memory_ordered 1
		.amdhsa_forward_progress 1
		.amdhsa_inst_pref_size 125
		.amdhsa_round_robin_scheduling 0
		.amdhsa_exception_fp_ieee_invalid_op 0
		.amdhsa_exception_fp_denorm_src 0
		.amdhsa_exception_fp_ieee_div_zero 0
		.amdhsa_exception_fp_ieee_overflow 0
		.amdhsa_exception_fp_ieee_underflow 0
		.amdhsa_exception_fp_ieee_inexact 0
		.amdhsa_exception_int_div_zero 0
	.end_amdhsa_kernel
	.section	.text._ZN2at6native18radixSortKVInPlaceILin1ELin1ELi128ELi8EdljEEvNS_4cuda6detail10TensorInfoIT3_T5_EES6_S6_S6_NS4_IT4_S6_EES6_b,"axG",@progbits,_ZN2at6native18radixSortKVInPlaceILin1ELin1ELi128ELi8EdljEEvNS_4cuda6detail10TensorInfoIT3_T5_EES6_S6_S6_NS4_IT4_S6_EES6_b,comdat
.Lfunc_end192:
	.size	_ZN2at6native18radixSortKVInPlaceILin1ELin1ELi128ELi8EdljEEvNS_4cuda6detail10TensorInfoIT3_T5_EES6_S6_S6_NS4_IT4_S6_EES6_b, .Lfunc_end192-_ZN2at6native18radixSortKVInPlaceILin1ELin1ELi128ELi8EdljEEvNS_4cuda6detail10TensorInfoIT3_T5_EES6_S6_S6_NS4_IT4_S6_EES6_b
                                        ; -- End function
	.set _ZN2at6native18radixSortKVInPlaceILin1ELin1ELi128ELi8EdljEEvNS_4cuda6detail10TensorInfoIT3_T5_EES6_S6_S6_NS4_IT4_S6_EES6_b.num_vgpr, 143
	.set _ZN2at6native18radixSortKVInPlaceILin1ELin1ELi128ELi8EdljEEvNS_4cuda6detail10TensorInfoIT3_T5_EES6_S6_S6_NS4_IT4_S6_EES6_b.num_agpr, 0
	.set _ZN2at6native18radixSortKVInPlaceILin1ELin1ELi128ELi8EdljEEvNS_4cuda6detail10TensorInfoIT3_T5_EES6_S6_S6_NS4_IT4_S6_EES6_b.numbered_sgpr, 40
	.set _ZN2at6native18radixSortKVInPlaceILin1ELin1ELi128ELi8EdljEEvNS_4cuda6detail10TensorInfoIT3_T5_EES6_S6_S6_NS4_IT4_S6_EES6_b.num_named_barrier, 0
	.set _ZN2at6native18radixSortKVInPlaceILin1ELin1ELi128ELi8EdljEEvNS_4cuda6detail10TensorInfoIT3_T5_EES6_S6_S6_NS4_IT4_S6_EES6_b.private_seg_size, 0
	.set _ZN2at6native18radixSortKVInPlaceILin1ELin1ELi128ELi8EdljEEvNS_4cuda6detail10TensorInfoIT3_T5_EES6_S6_S6_NS4_IT4_S6_EES6_b.uses_vcc, 1
	.set _ZN2at6native18radixSortKVInPlaceILin1ELin1ELi128ELi8EdljEEvNS_4cuda6detail10TensorInfoIT3_T5_EES6_S6_S6_NS4_IT4_S6_EES6_b.uses_flat_scratch, 0
	.set _ZN2at6native18radixSortKVInPlaceILin1ELin1ELi128ELi8EdljEEvNS_4cuda6detail10TensorInfoIT3_T5_EES6_S6_S6_NS4_IT4_S6_EES6_b.has_dyn_sized_stack, 0
	.set _ZN2at6native18radixSortKVInPlaceILin1ELin1ELi128ELi8EdljEEvNS_4cuda6detail10TensorInfoIT3_T5_EES6_S6_S6_NS4_IT4_S6_EES6_b.has_recursion, 0
	.set _ZN2at6native18radixSortKVInPlaceILin1ELin1ELi128ELi8EdljEEvNS_4cuda6detail10TensorInfoIT3_T5_EES6_S6_S6_NS4_IT4_S6_EES6_b.has_indirect_call, 0
	.section	.AMDGPU.csdata,"",@progbits
; Kernel info:
; codeLenInByte = 15900
; TotalNumSgprs: 42
; NumVgprs: 143
; ScratchSize: 0
; MemoryBound: 0
; FloatMode: 240
; IeeeMode: 1
; LDSByteSize: 8448 bytes/workgroup (compile time only)
; SGPRBlocks: 0
; VGPRBlocks: 17
; NumSGPRsForWavesPerEU: 42
; NumVGPRsForWavesPerEU: 143
; Occupancy: 10
; WaveLimiterHint : 1
; COMPUTE_PGM_RSRC2:SCRATCH_EN: 0
; COMPUTE_PGM_RSRC2:USER_SGPR: 2
; COMPUTE_PGM_RSRC2:TRAP_HANDLER: 0
; COMPUTE_PGM_RSRC2:TGID_X_EN: 1
; COMPUTE_PGM_RSRC2:TGID_Y_EN: 1
; COMPUTE_PGM_RSRC2:TGID_Z_EN: 1
; COMPUTE_PGM_RSRC2:TIDIG_COMP_CNT: 2
	.section	.text._ZN2at6native18radixSortKVInPlaceILin1ELin1ELi32ELi4EdljEEvNS_4cuda6detail10TensorInfoIT3_T5_EES6_S6_S6_NS4_IT4_S6_EES6_b,"axG",@progbits,_ZN2at6native18radixSortKVInPlaceILin1ELin1ELi32ELi4EdljEEvNS_4cuda6detail10TensorInfoIT3_T5_EES6_S6_S6_NS4_IT4_S6_EES6_b,comdat
	.protected	_ZN2at6native18radixSortKVInPlaceILin1ELin1ELi32ELi4EdljEEvNS_4cuda6detail10TensorInfoIT3_T5_EES6_S6_S6_NS4_IT4_S6_EES6_b ; -- Begin function _ZN2at6native18radixSortKVInPlaceILin1ELin1ELi32ELi4EdljEEvNS_4cuda6detail10TensorInfoIT3_T5_EES6_S6_S6_NS4_IT4_S6_EES6_b
	.globl	_ZN2at6native18radixSortKVInPlaceILin1ELin1ELi32ELi4EdljEEvNS_4cuda6detail10TensorInfoIT3_T5_EES6_S6_S6_NS4_IT4_S6_EES6_b
	.p2align	8
	.type	_ZN2at6native18radixSortKVInPlaceILin1ELin1ELi32ELi4EdljEEvNS_4cuda6detail10TensorInfoIT3_T5_EES6_S6_S6_NS4_IT4_S6_EES6_b,@function
_ZN2at6native18radixSortKVInPlaceILin1ELin1ELi32ELi4EdljEEvNS_4cuda6detail10TensorInfoIT3_T5_EES6_S6_S6_NS4_IT4_S6_EES6_b: ; @_ZN2at6native18radixSortKVInPlaceILin1ELin1ELi32ELi4EdljEEvNS_4cuda6detail10TensorInfoIT3_T5_EES6_S6_S6_NS4_IT4_S6_EES6_b
; %bb.0:
	s_clause 0x1
	s_load_b64 s[2:3], s[0:1], 0x1c8
	s_load_b96 s[12:14], s[0:1], 0xd8
	s_lshr_b32 s4, ttmp7, 16
	s_wait_kmcnt 0x0
	s_mul_i32 s3, s3, s4
	s_and_b32 s4, ttmp7, 0xffff
	s_delay_alu instid0(SALU_CYCLE_1) | instskip(NEXT) | instid1(SALU_CYCLE_1)
	s_add_co_i32 s3, s3, s4
	s_mul_i32 s2, s3, s2
	s_delay_alu instid0(SALU_CYCLE_1) | instskip(NEXT) | instid1(SALU_CYCLE_1)
	s_add_co_i32 s15, s2, ttmp9
	s_cmp_ge_u32 s15, s12
	s_cbranch_scc1 .LBB193_65
; %bb.1:
	s_load_b32 s4, s[0:1], 0xd0
	s_mov_b32 s3, 0
	s_mov_b32 s2, s15
	s_wait_kmcnt 0x0
	s_cmp_lt_i32 s4, 2
	s_cbranch_scc1 .LBB193_4
; %bb.2:
	s_add_co_i32 s2, s4, -1
	s_delay_alu instid0(SALU_CYCLE_1)
	s_lshl_b64 s[6:7], s[2:3], 2
	s_mov_b32 s2, s15
	s_add_nc_u64 s[8:9], s[0:1], s[6:7]
	s_add_co_i32 s6, s4, 1
	s_add_nc_u64 s[4:5], s[8:9], 8
.LBB193_3:                              ; =>This Inner Loop Header: Depth=1
	s_clause 0x1
	s_load_b32 s7, s[4:5], 0x0
	s_load_b32 s8, s[4:5], 0x64
	s_mov_b32 s11, s2
	s_add_nc_u64 s[4:5], s[4:5], -4
	s_wait_kmcnt 0x0
	s_cvt_f32_u32 s9, s7
	s_sub_co_i32 s10, 0, s7
	s_wait_alu 0xfffe
	s_delay_alu instid0(SALU_CYCLE_1) | instskip(NEXT) | instid1(TRANS32_DEP_1)
	v_rcp_iflag_f32_e32 v1, s9
	v_readfirstlane_b32 s9, v1
	s_mul_f32 s9, s9, 0x4f7ffffe
	s_wait_alu 0xfffe
	s_delay_alu instid0(SALU_CYCLE_2) | instskip(SKIP_1) | instid1(SALU_CYCLE_2)
	s_cvt_u32_f32 s9, s9
	s_wait_alu 0xfffe
	s_mul_i32 s10, s10, s9
	s_delay_alu instid0(SALU_CYCLE_1) | instskip(NEXT) | instid1(SALU_CYCLE_1)
	s_mul_hi_u32 s10, s9, s10
	s_add_co_i32 s9, s9, s10
	s_wait_alu 0xfffe
	s_mul_hi_u32 s2, s2, s9
	s_delay_alu instid0(SALU_CYCLE_1)
	s_mul_i32 s9, s2, s7
	s_add_co_i32 s10, s2, 1
	s_wait_alu 0xfffe
	s_sub_co_i32 s9, s11, s9
	s_wait_alu 0xfffe
	s_sub_co_i32 s12, s9, s7
	s_cmp_ge_u32 s9, s7
	s_cselect_b32 s2, s10, s2
	s_cselect_b32 s9, s12, s9
	s_add_co_i32 s10, s2, 1
	s_wait_alu 0xfffe
	s_cmp_ge_u32 s9, s7
	s_cselect_b32 s2, s10, s2
	s_add_co_i32 s6, s6, -1
	s_mul_i32 s7, s2, s7
	s_delay_alu instid0(SALU_CYCLE_1) | instskip(NEXT) | instid1(SALU_CYCLE_1)
	s_sub_co_i32 s7, s11, s7
	s_mul_i32 s7, s8, s7
	s_delay_alu instid0(SALU_CYCLE_1)
	s_add_co_i32 s3, s7, s3
	s_cmp_gt_u32 s6, 2
	s_cbranch_scc1 .LBB193_3
.LBB193_4:
	s_load_b32 s4, s[0:1], 0x1b8
	s_add_nc_u64 s[20:21], s[0:1], 0x1c8
	s_mov_b32 s23, 0
	s_wait_kmcnt 0x0
	s_cmp_lt_i32 s4, 2
	s_cbranch_scc1 .LBB193_7
; %bb.5:
	s_add_co_i32 s22, s4, -1
	s_delay_alu instid0(SALU_CYCLE_1) | instskip(NEXT) | instid1(SALU_CYCLE_1)
	s_lshl_b64 s[6:7], s[22:23], 2
	s_add_nc_u64 s[8:9], s[0:1], s[6:7]
	s_add_co_i32 s6, s4, 1
	s_wait_alu 0xfffe
	s_add_nc_u64 s[4:5], s[8:9], 0xf0
.LBB193_6:                              ; =>This Inner Loop Header: Depth=1
	s_clause 0x1
	s_load_b32 s7, s[4:5], 0x0
	s_load_b32 s8, s[4:5], 0x64
	s_mov_b32 s11, s15
	s_add_nc_u64 s[4:5], s[4:5], -4
	s_wait_kmcnt 0x0
	s_cvt_f32_u32 s9, s7
	s_sub_co_i32 s10, 0, s7
	s_wait_alu 0xfffe
	s_delay_alu instid0(SALU_CYCLE_1) | instskip(NEXT) | instid1(TRANS32_DEP_1)
	v_rcp_iflag_f32_e32 v1, s9
	v_readfirstlane_b32 s9, v1
	s_mul_f32 s9, s9, 0x4f7ffffe
	s_wait_alu 0xfffe
	s_delay_alu instid0(SALU_CYCLE_2) | instskip(SKIP_1) | instid1(SALU_CYCLE_2)
	s_cvt_u32_f32 s9, s9
	s_wait_alu 0xfffe
	s_mul_i32 s10, s10, s9
	s_delay_alu instid0(SALU_CYCLE_1) | instskip(NEXT) | instid1(SALU_CYCLE_1)
	s_mul_hi_u32 s10, s9, s10
	s_add_co_i32 s9, s9, s10
	s_wait_alu 0xfffe
	s_mul_hi_u32 s9, s15, s9
	s_wait_alu 0xfffe
	s_mul_i32 s10, s9, s7
	s_add_co_i32 s12, s9, 1
	s_sub_co_i32 s10, s15, s10
	s_delay_alu instid0(SALU_CYCLE_1)
	s_sub_co_i32 s15, s10, s7
	s_cmp_ge_u32 s10, s7
	s_cselect_b32 s9, s12, s9
	s_cselect_b32 s10, s15, s10
	s_wait_alu 0xfffe
	s_add_co_i32 s12, s9, 1
	s_cmp_ge_u32 s10, s7
	s_cselect_b32 s15, s12, s9
	s_add_co_i32 s6, s6, -1
	s_mul_i32 s7, s15, s7
	s_delay_alu instid0(SALU_CYCLE_1) | instskip(NEXT) | instid1(SALU_CYCLE_1)
	s_sub_co_i32 s7, s11, s7
	s_mul_i32 s7, s8, s7
	s_delay_alu instid0(SALU_CYCLE_1)
	s_add_co_i32 s23, s7, s23
	s_cmp_gt_u32 s6, 2
	s_cbranch_scc1 .LBB193_6
.LBB193_7:
	s_clause 0x2
	s_load_b32 s4, s[0:1], 0x6c
	s_load_b64 s[16:17], s[0:1], 0x1c0
	s_load_b64 s[18:19], s[0:1], 0x0
	s_mov_b32 s25, 0
	s_wait_kmcnt 0x0
	s_mul_i32 s2, s4, s2
	s_mov_b32 s4, -1
	s_add_co_i32 s24, s2, s3
	s_bitcmp1_b32 s17, 0
	s_mov_b32 s6, s4
	s_cselect_b32 s17, -1, 0
	s_lshl_b64 s[24:25], s[24:25], 3
	s_and_b32 s2, s17, exec_lo
	s_cselect_b32 s5, -1, 0x7fffffff
	s_mov_b32 s8, s4
	s_mov_b32 s10, s4
	;; [unrolled: 1-line block ×5, first 2 shown]
	v_dual_mov_b32 v1, s4 :: v_dual_and_b32 v36, 0x3ff, v0
	v_mov_b32_e32 v10, s5
	v_dual_mov_b32 v2, s5 :: v_dual_mov_b32 v3, s6
	s_delay_alu instid0(VALU_DEP_3)
	v_mul_lo_u32 v32, s14, v36
	v_cmp_gt_u32_e64 s2, s13, v36
	s_wait_alu 0xfffe
	v_dual_mov_b32 v4, s7 :: v_dual_mov_b32 v5, s8
	v_dual_mov_b32 v6, s9 :: v_dual_mov_b32 v7, s10
	;; [unrolled: 1-line block ×3, first 2 shown]
	s_add_nc_u64 s[18:19], s[18:19], s[24:25]
	s_and_saveexec_b32 s3, s2
	s_cbranch_execz .LBB193_9
; %bb.8:
	v_mov_b32_e32 v33, 0
	s_delay_alu instid0(VALU_DEP_1) | instskip(NEXT) | instid1(VALU_DEP_1)
	v_lshlrev_b64_e32 v[1:2], 3, v[32:33]
	v_add_co_u32 v1, vcc_lo, s18, v1
	s_delay_alu instid0(VALU_DEP_1)
	v_add_co_ci_u32_e64 v2, null, s19, v2, vcc_lo
	global_load_b64 v[9:10], v[1:2], off
	v_dual_mov_b32 v1, s4 :: v_dual_mov_b32 v4, s7
	v_dual_mov_b32 v3, s6 :: v_dual_mov_b32 v6, s9
	;; [unrolled: 1-line block ×4, first 2 shown]
.LBB193_9:
	s_or_b32 exec_lo, exec_lo, s3
	v_add_nc_u32_e32 v11, 32, v36
	s_delay_alu instid0(VALU_DEP_1)
	v_cmp_gt_u32_e64 s3, s13, v11
	s_and_saveexec_b32 s4, s3
	s_cbranch_execz .LBB193_11
; %bb.10:
	v_mul_lo_u32 v1, s14, v11
	v_mov_b32_e32 v2, 0
	s_delay_alu instid0(VALU_DEP_1) | instskip(NEXT) | instid1(VALU_DEP_1)
	v_lshlrev_b64_e32 v[1:2], 3, v[1:2]
	v_add_co_u32 v1, vcc_lo, s18, v1
	s_wait_alu 0xfffd
	s_delay_alu instid0(VALU_DEP_2)
	v_add_co_ci_u32_e64 v2, null, s19, v2, vcc_lo
	global_load_b64 v[3:4], v[1:2], off
.LBB193_11:
	s_wait_alu 0xfffe
	s_or_b32 exec_lo, exec_lo, s4
	v_add_nc_u32_e32 v12, 64, v36
	s_delay_alu instid0(VALU_DEP_1)
	v_cmp_gt_u32_e64 s4, s13, v12
	s_and_saveexec_b32 s5, s4
	s_cbranch_execz .LBB193_13
; %bb.12:
	v_mul_lo_u32 v1, s14, v12
	v_mov_b32_e32 v2, 0
	s_delay_alu instid0(VALU_DEP_1) | instskip(NEXT) | instid1(VALU_DEP_1)
	v_lshlrev_b64_e32 v[1:2], 3, v[1:2]
	v_add_co_u32 v1, vcc_lo, s18, v1
	s_wait_alu 0xfffd
	s_delay_alu instid0(VALU_DEP_2)
	v_add_co_ci_u32_e64 v2, null, s19, v2, vcc_lo
	global_load_b64 v[5:6], v[1:2], off
.LBB193_13:
	s_wait_alu 0xfffe
	s_or_b32 exec_lo, exec_lo, s5
	s_clause 0x1
	s_load_b32 s5, s[0:1], 0x154
	s_load_b64 s[6:7], s[0:1], 0xe8
	v_add_nc_u32_e32 v13, 0x60, v36
	s_delay_alu instid0(VALU_DEP_1)
	v_cmp_gt_u32_e64 s0, s13, v13
	s_and_saveexec_b32 s1, s0
	s_cbranch_execz .LBB193_15
; %bb.14:
	v_mul_lo_u32 v1, s14, v13
	v_mov_b32_e32 v2, 0
	s_delay_alu instid0(VALU_DEP_1) | instskip(NEXT) | instid1(VALU_DEP_1)
	v_lshlrev_b64_e32 v[1:2], 3, v[1:2]
	v_add_co_u32 v1, vcc_lo, s18, v1
	s_wait_alu 0xfffd
	s_delay_alu instid0(VALU_DEP_2)
	v_add_co_ci_u32_e64 v2, null, s19, v2, vcc_lo
	global_load_b64 v[7:8], v[1:2], off
.LBB193_15:
	s_or_b32 exec_lo, exec_lo, s1
	v_lshrrev_b32_e32 v1, 2, v36
	v_lshrrev_b32_e32 v2, 2, v11
	v_lshlrev_b32_e32 v14, 3, v36
	v_lshrrev_b32_e32 v15, 2, v12
	v_lshrrev_b32_e32 v16, 2, v13
	v_and_b32_e32 v1, 0xf8, v1
	v_and_b32_e32 v2, 0x1f8, v2
	s_wait_kmcnt 0x0
	s_mul_i32 s1, s5, s15
	v_and_b32_e32 v15, 0x1f8, v15
	v_and_b32_e32 v16, 0x1f8, v16
	v_add_nc_u32_e32 v55, v1, v14
	v_and_b32_e32 v1, 0x3f8, v36
	v_add_nc_u32_e32 v56, v2, v14
	v_mul_lo_u32 v34, s16, v36
	s_add_co_i32 s8, s1, s23
	s_wait_loadcnt 0x0
	ds_store_b64 v55, v[9:10]
	ds_store_b64 v56, v[3:4] offset:256
	v_lshl_add_u32 v59, v36, 5, v1
	v_mov_b32_e32 v1, 0
	v_dual_mov_b32 v2, 0 :: v_dual_add_nc_u32 v57, v15, v14
	v_add_nc_u32_e32 v58, v16, v14
	ds_store_b64 v57, v[5:6] offset:512
	ds_store_b64 v58, v[7:8] offset:768
	s_wait_dscnt 0x0
	; wave barrier
	global_inv scope:SCOPE_SE
	ds_load_2addr_b64 v[20:23], v59 offset1:1
	ds_load_2addr_b64 v[16:19], v59 offset0:2 offset1:3
	s_mov_b32 s9, 0
	v_mov_b32_e32 v3, 0
	v_mov_b32_e32 v4, 0
	s_wait_alu 0xfffe
	s_lshl_b64 s[8:9], s[8:9], 3
	s_wait_loadcnt_dscnt 0x0
	s_wait_alu 0xfffe
	s_add_nc_u64 s[12:13], s[6:7], s[8:9]
	; wave barrier
	global_inv scope:SCOPE_SE
	s_and_saveexec_b32 s1, s2
	s_cbranch_execz .LBB193_17
; %bb.16:
	v_mov_b32_e32 v35, 0
	s_delay_alu instid0(VALU_DEP_1) | instskip(SKIP_1) | instid1(VALU_DEP_1)
	v_lshlrev_b64_e32 v[3:4], 3, v[34:35]
	s_wait_alu 0xfffe
	v_add_co_u32 v3, vcc_lo, s12, v3
	s_wait_alu 0xfffd
	s_delay_alu instid0(VALU_DEP_2)
	v_add_co_ci_u32_e64 v4, null, s13, v4, vcc_lo
	global_load_b64 v[3:4], v[3:4], off
.LBB193_17:
	s_or_b32 exec_lo, exec_lo, s1
	s_and_saveexec_b32 s1, s3
	s_cbranch_execz .LBB193_19
; %bb.18:
	v_mul_lo_u32 v1, s16, v11
	v_mov_b32_e32 v2, 0
	s_delay_alu instid0(VALU_DEP_1) | instskip(SKIP_1) | instid1(VALU_DEP_1)
	v_lshlrev_b64_e32 v[1:2], 3, v[1:2]
	s_wait_alu 0xfffe
	v_add_co_u32 v1, vcc_lo, s12, v1
	s_wait_alu 0xfffd
	s_delay_alu instid0(VALU_DEP_2)
	v_add_co_ci_u32_e64 v2, null, s13, v2, vcc_lo
	global_load_b64 v[1:2], v[1:2], off
.LBB193_19:
	s_or_b32 exec_lo, exec_lo, s1
	v_mov_b32_e32 v5, 0
	v_dual_mov_b32 v6, 0 :: v_dual_mov_b32 v7, 0
	v_mov_b32_e32 v8, 0
	s_and_saveexec_b32 s1, s4
	s_cbranch_execz .LBB193_21
; %bb.20:
	v_mul_lo_u32 v7, s16, v12
	v_mov_b32_e32 v8, 0
	s_delay_alu instid0(VALU_DEP_1) | instskip(SKIP_1) | instid1(VALU_DEP_1)
	v_lshlrev_b64_e32 v[7:8], 3, v[7:8]
	s_wait_alu 0xfffe
	v_add_co_u32 v7, vcc_lo, s12, v7
	s_wait_alu 0xfffd
	s_delay_alu instid0(VALU_DEP_2)
	v_add_co_ci_u32_e64 v8, null, s13, v8, vcc_lo
	global_load_b64 v[7:8], v[7:8], off
.LBB193_21:
	s_or_b32 exec_lo, exec_lo, s1
	s_xor_b32 s1, s17, -1
	s_and_saveexec_b32 s5, s0
	s_cbranch_execz .LBB193_23
; %bb.22:
	v_mul_lo_u32 v5, s16, v13
	v_mov_b32_e32 v6, 0
	s_delay_alu instid0(VALU_DEP_1) | instskip(SKIP_1) | instid1(VALU_DEP_1)
	v_lshlrev_b64_e32 v[5:6], 3, v[5:6]
	s_wait_alu 0xfffe
	v_add_co_u32 v5, vcc_lo, s12, v5
	s_wait_alu 0xfffd
	s_delay_alu instid0(VALU_DEP_2)
	v_add_co_ci_u32_e64 v6, null, s13, v6, vcc_lo
	global_load_b64 v[5:6], v[5:6], off
.LBB193_23:
	s_wait_alu 0xfffe
	s_or_b32 exec_lo, exec_lo, s5
	s_wait_loadcnt 0x0
	ds_store_b64 v55, v[3:4]
	ds_store_b64 v56, v[1:2] offset:256
	ds_store_b64 v57, v[7:8] offset:512
	;; [unrolled: 1-line block ×3, first 2 shown]
	s_wait_dscnt 0x0
	; wave barrier
	global_inv scope:SCOPE_SE
	ds_load_2addr_b64 v[12:15], v59 offset1:1
	ds_load_2addr_b64 v[8:11], v59 offset0:2 offset1:3
	v_mbcnt_lo_u32_b32 v35, -1, 0
	v_lshlrev_b32_e32 v33, 2, v36
	s_and_b32 vcc_lo, exec_lo, s1
	v_bfe_u32 v64, v0, 10, 10
	v_bfe_u32 v65, v0, 20, 10
	v_and_b32_e32 v67, 3, v35
	v_and_b32_e32 v66, 28, v35
	v_ashrrev_i32_e32 v71, 31, v21
	v_ashrrev_i32_e32 v70, 31, v23
	;; [unrolled: 1-line block ×4, first 2 shown]
	v_cmp_eq_u32_e64 s8, 0, v67
	v_cmp_eq_u32_e64 s7, 1, v67
	;; [unrolled: 1-line block ×4, first 2 shown]
	v_lshlrev_b32_e32 v60, 5, v36
	v_and_b32_e32 v62, 15, v35
	v_and_b32_e32 v63, 16, v35
	v_cmp_eq_u32_e64 s1, 31, v36
	v_cmp_eq_u32_e64 s10, 0, v36
	v_and_or_b32 v61, 0xf80, v33, v35
	s_mov_b32 s9, -1
	; wave barrier
	s_wait_loadcnt_dscnt 0x0
	global_inv scope:SCOPE_SE
	s_wait_alu 0xfffe
	s_cbranch_vccz .LBB193_38
; %bb.24:
	v_cmp_lt_i64_e32 vcc_lo, -1, v[20:21]
	v_xor_b32_e32 v2, v71, v20
	v_xor_b32_e32 v4, v70, v22
	;; [unrolled: 1-line block ×4, first 2 shown]
	ds_bpermute_b32 v47, v66, v14 offset:96
	s_wait_alu 0xfffd
	v_cndmask_b32_e64 v0, -1, 0x80000000, vcc_lo
	v_cmp_lt_i64_e32 vcc_lo, -1, v[22:23]
	ds_bpermute_b32 v3, v66, v2
	ds_bpermute_b32 v7, v66, v4
	;; [unrolled: 1-line block ×3, first 2 shown]
	v_xor_b32_e32 v0, v0, v21
	ds_bpermute_b32 v31, v66, v2 offset:32
	s_wait_alu 0xfffd
	v_cndmask_b32_e64 v1, -1, 0x80000000, vcc_lo
	v_cmp_lt_i64_e32 vcc_lo, -1, v[16:17]
	ds_bpermute_b32 v37, v66, v4 offset:32
	ds_bpermute_b32 v28, v66, v0 offset:32
	;; [unrolled: 1-line block ×3, first 2 shown]
	v_xor_b32_e32 v5, v1, v23
	ds_bpermute_b32 v1, v66, v0
	s_wait_alu 0xfffd
	v_cndmask_b32_e64 v24, -1, 0x80000000, vcc_lo
	v_cmp_lt_i64_e32 vcc_lo, -1, v[18:19]
	ds_bpermute_b32 v43, v66, v4 offset:64
	ds_bpermute_b32 v26, v66, v5
	ds_bpermute_b32 v38, v66, v5 offset:32
	v_xor_b32_e32 v24, v24, v17
	ds_bpermute_b32 v42, v66, v5 offset:64
	s_wait_alu 0xfffd
	v_cndmask_b32_e64 v27, -1, 0x80000000, vcc_lo
	s_wait_dscnt 0xb
	s_wait_alu 0xf1ff
	v_cndmask_b32_e64 v3, 0, v3, s8
	ds_bpermute_b32 v46, v66, v6 offset:64
	ds_bpermute_b32 v30, v66, v24
	ds_bpermute_b32 v40, v66, v24 offset:32
	v_xor_b32_e32 v27, v27, v19
	s_wait_dscnt 0xd
	v_cndmask_b32_e64 v3, v3, v7, s7
	ds_bpermute_b32 v7, v66, v2 offset:64
	s_wait_dscnt 0xc
	v_cndmask_b32_e64 v31, 0, v31, s8
	s_wait_dscnt 0xa
	v_cndmask_b32_e64 v28, 0, v28, s8
	ds_bpermute_b32 v39, v66, v27
	v_cndmask_b32_e64 v3, v3, v25, s6
	s_wait_dscnt 0x9
	v_cndmask_b32_e64 v1, 0, v1, s8
	ds_bpermute_b32 v25, v66, v29
	ds_bpermute_b32 v44, v66, v27 offset:32
	ds_bpermute_b32 v4, v66, v4 offset:96
	;; [unrolled: 1-line block ×3, first 2 shown]
	s_wait_dscnt 0xb
	v_cndmask_b32_e64 v1, v1, v26, s7
	ds_bpermute_b32 v26, v66, v6 offset:32
	s_wait_dscnt 0xb
	v_cndmask_b32_e64 v28, v28, v38, s7
	ds_bpermute_b32 v38, v66, v27 offset:64
	ds_bpermute_b32 v27, v66, v27 offset:96
	;; [unrolled: 1-line block ×3, first 2 shown]
	s_wait_dscnt 0xb
	v_cndmask_b32_e64 v1, v1, v30, s6
	ds_bpermute_b32 v30, v66, v24 offset:64
	s_wait_dscnt 0xb
	v_cndmask_b32_e64 v28, v28, v40, s6
	ds_bpermute_b32 v40, v66, v5 offset:96
	ds_bpermute_b32 v24, v66, v24 offset:96
	s_wait_dscnt 0xc
	v_cndmask_b32_e64 v7, 0, v7, s8
	ds_bpermute_b32 v48, v66, v15 offset:96
	s_wait_dscnt 0xc
	v_cndmask_b32_e64 v1, v1, v39, s5
	ds_bpermute_b32 v39, v66, v0 offset:96
	v_cndmask_b32_e64 v0, v31, v37, s7
	v_cndmask_b32_e64 v31, 0, v41, s8
	ds_bpermute_b32 v37, v66, v2 offset:96
	v_cndmask_b32_e64 v7, v7, v43, s7
	ds_bpermute_b32 v43, v66, v15 offset:32
	ds_bpermute_b32 v41, v66, v12 offset:32
	s_wait_dscnt 0xb
	v_cndmask_b32_e64 v2, v0, v26, s6
	v_cndmask_b32_e64 v5, v31, v42, s7
	ds_bpermute_b32 v26, v66, v13
	v_cndmask_b32_e64 v0, v3, v25, s5
	v_cndmask_b32_e64 v3, v28, v44, s5
	ds_bpermute_b32 v25, v66, v29 offset:64
	s_wait_dscnt 0x9
	v_cndmask_b32_e64 v5, v5, v30, s6
	ds_bpermute_b32 v30, v66, v12
	ds_bpermute_b32 v31, v66, v15
	ds_bpermute_b32 v29, v66, v29 offset:96
	ds_bpermute_b32 v42, v66, v8
	v_cndmask_b32_e64 v5, v5, v38, s5
	ds_bpermute_b32 v38, v66, v14
	s_wait_dscnt 0xa
	v_cndmask_b32_e64 v28, 0, v39, s8
	ds_bpermute_b32 v39, v66, v13 offset:32
	ds_bpermute_b32 v44, v66, v11
	s_wait_dscnt 0xb
	v_cndmask_b32_e64 v37, 0, v37, s8
	v_cndmask_b32_e64 v7, v7, v46, s6
	;; [unrolled: 1-line block ×3, first 2 shown]
	ds_bpermute_b32 v40, v66, v9
	v_cndmask_b32_e64 v2, v2, v45, s5
	v_cndmask_b32_e64 v37, v37, v4, s7
	s_wait_dscnt 0x9
	v_cndmask_b32_e64 v26, 0, v26, s8
	v_cndmask_b32_e64 v24, v28, v24, s6
	ds_bpermute_b32 v28, v66, v9 offset:32
	ds_bpermute_b32 v45, v66, v14 offset:32
	s_wait_dscnt 0xa
	v_cndmask_b32_e64 v4, v7, v25, s5
	s_wait_dscnt 0x9
	v_cndmask_b32_e64 v25, 0, v30, s8
	v_cndmask_b32_e64 v7, v24, v27, s5
	s_wait_dscnt 0x8
	v_cndmask_b32_e64 v24, v26, v31, s7
	v_cndmask_b32_e64 v6, v37, v6, s6
	ds_bpermute_b32 v26, v66, v12 offset:64
	ds_bpermute_b32 v27, v66, v13 offset:64
	s_wait_dscnt 0x7
	v_cndmask_b32_e64 v25, v25, v38, s7
	ds_bpermute_b32 v37, v66, v10
	v_cndmask_b32_e64 v6, v6, v29, s5
	s_wait_dscnt 0x7
	v_cndmask_b32_e64 v29, 0, v39, s8
	ds_bpermute_b32 v38, v66, v8 offset:32
	v_cndmask_b32_e64 v31, v25, v42, s6
	s_wait_dscnt 0x6
	v_cndmask_b32_e64 v24, v24, v40, s6
	ds_bpermute_b32 v40, v66, v14 offset:64
	v_cndmask_b32_e64 v29, v29, v43, s7
	ds_bpermute_b32 v42, v66, v12 offset:96
	v_cndmask_b32_e64 v30, 0, v41, s8
	v_cndmask_b32_e64 v25, v24, v44, s5
	ds_bpermute_b32 v24, v66, v15 offset:64
	ds_bpermute_b32 v44, v66, v13 offset:96
	;; [unrolled: 1-line block ×5, first 2 shown]
	s_wait_dscnt 0xc
	v_cndmask_b32_e64 v28, v29, v28, s6
	ds_bpermute_b32 v29, v66, v10 offset:32
	; wave barrier
	s_wait_loadcnt_dscnt 0x0
	global_inv scope:SCOPE_SE
	s_load_b32 s15, s[20:21], 0xc
	v_cndmask_b32_e64 v30, v30, v45, s7
	ds_bpermute_b32 v45, v66, v10 offset:64
	ds_bpermute_b32 v46, v66, v11 offset:64
	;; [unrolled: 1-line block ×4, first 2 shown]
	v_cndmask_b32_e64 v26, 0, v26, s8
	v_cndmask_b32_e64 v27, 0, v27, s8
	;; [unrolled: 1-line block ×3, first 2 shown]
	s_mov_b32 s22, -1
	s_brev_b32 s23, -2
	v_cndmask_b32_e64 v26, v26, v40, s7
	v_cndmask_b32_e64 v50, v27, v24, s7
	;; [unrolled: 1-line block ×8, first 2 shown]
	s_getpc_b64 s[8:9]
	s_wait_alu 0xfffe
	s_sext_i32_i16 s9, s9
	s_add_co_u32 s8, s8, _ZN7rocprim17ROCPRIM_400000_NS16block_radix_sortIdLj32ELj4ElLj1ELj1ELj0ELNS0_26block_radix_rank_algorithmE1ELNS0_18block_padding_hintE2ELNS0_4arch9wavefront6targetE0EE19radix_bits_per_passE@rel32@lo+12
	s_wait_alu 0xfffe
	s_add_co_ci_u32 s9, s9, _ZN7rocprim17ROCPRIM_400000_NS16block_radix_sortIdLj32ELj4ElLj1ELj1ELj0ELNS0_26block_radix_rank_algorithmE1ELNS0_18block_padding_hintE2ELNS0_4arch9wavefront6targetE0EE19radix_bits_per_passE@rel32@hi+24
	v_cndmask_b32_e64 v26, v30, v29, s5
	v_cndmask_b32_e64 v30, v31, v47, s7
	;; [unrolled: 1-line block ×3, first 2 shown]
	s_wait_kmcnt 0x0
	s_lshr_b32 s7, s15, 16
	s_wait_dscnt 0x2
	v_cndmask_b32_e64 v29, v28, v46, s5
	v_cndmask_b32_e64 v28, v37, v45, s5
	s_wait_alu 0xfffe
	v_mad_u32_u24 v37, v65, s7, v64
	ds_bpermute_b32 v39, v66, v11 offset:96
	ds_bpermute_b32 v40, v66, v10 offset:96
	s_wait_dscnt 0x3
	v_cndmask_b32_e64 v30, v30, v49, s6
	s_wait_dscnt 0x2
	v_cndmask_b32_e64 v31, v31, v51, s6
	s_and_b32 s6, s15, 0xffff
	s_load_b32 s11, s[8:9], 0x0
	v_mad_co_u64_u32 v[37:38], null, v37, s6, v[36:37]
	v_sub_co_u32 v38, s15, v35, 1
	v_lshlrev_b32_e32 v73, 3, v61
	v_cmp_lt_u32_e64 s6, 1, v62
	v_cmp_lt_u32_e64 s7, 3, v62
	s_delay_alu instid0(VALU_DEP_4)
	v_cmp_gt_i32_e32 vcc_lo, 0, v38
	v_lshrrev_b32_e32 v37, 3, v37
	v_cmp_lt_u32_e64 s8, 7, v62
	v_cmp_eq_u32_e64 s9, 0, v63
	s_wait_alu 0xfffd
	v_dual_mov_b32 v75, 0 :: v_dual_cndmask_b32 v38, v38, v35
	v_and_b32_e32 v74, 0x1ffffffc, v37
	s_wait_dscnt 0x1
	v_cndmask_b32_e64 v31, v31, v39, s5
	s_wait_dscnt 0x0
	v_cndmask_b32_e64 v30, v30, v40, s5
	v_cmp_eq_u32_e64 s5, 0, v62
	v_dual_mov_b32 v37, 0 :: v_dual_lshlrev_b32 v72, 2, v38
	v_mov_b32_e32 v38, 0
	s_or_b32 s15, s10, s15
	s_mov_b32 s17, 64
	s_branch .LBB193_26
.LBB193_25:                             ;   in Loop: Header=BB193_26 Depth=1
	s_wait_alu 0xfffe
	s_and_not1_b32 vcc_lo, exec_lo, s10
	s_wait_alu 0xfffe
	s_cbranch_vccz .LBB193_39
.LBB193_26:                             ; =>This Inner Loop Header: Depth=1
	v_dual_mov_b32 v40, v1 :: v_dual_mov_b32 v39, v0
	s_wait_kmcnt 0x0
	s_wait_alu 0xfffe
	s_min_u32 s10, s11, s17
	ds_store_2addr_b32 v60, v75, v75 offset0:1 offset1:2
	ds_store_2addr_b32 v60, v75, v75 offset0:3 offset1:4
	ds_store_2addr_b32 v60, v75, v75 offset0:5 offset1:6
	ds_store_2addr_b32 v60, v75, v75 offset0:7 offset1:8
	s_wait_alu 0xfffe
	s_lshl_b32 s10, -1, s10
	s_wait_loadcnt_dscnt 0x0
	v_cmp_ne_u64_e32 vcc_lo, s[22:23], v[39:40]
	s_wait_alu 0xfffe
	s_not_b32 s24, s10
	; wave barrier
	global_inv scope:SCOPE_SE
	; wave barrier
	s_wait_alu 0xfffd
	v_dual_mov_b32 v50, v7 :: v_dual_cndmask_b32 v1, 0x80000000, v40
	v_dual_cndmask_b32 v0, 0, v39 :: v_dual_mov_b32 v49, v6
	v_mov_b32_e32 v52, v5
	v_dual_mov_b32 v54, v3 :: v_dual_mov_b32 v51, v4
	s_delay_alu instid0(VALU_DEP_3) | instskip(SKIP_2) | instid1(VALU_DEP_2)
	v_lshrrev_b64 v[0:1], v37, v[0:1]
	v_mov_b32_e32 v53, v2
	s_wait_alu 0xfffe
	v_and_b32_e32 v1, s24, v0
	s_delay_alu instid0(VALU_DEP_1)
	v_and_b32_e32 v0, 1, v1
	v_lshlrev_b32_e32 v41, 30, v1
	v_lshlrev_b32_e32 v42, 29, v1
	;; [unrolled: 1-line block ×4, first 2 shown]
	v_add_co_u32 v0, s10, v0, -1
	s_wait_alu 0xf1ff
	v_cndmask_b32_e64 v44, 0, 1, s10
	v_not_b32_e32 v48, v41
	v_cmp_gt_i32_e64 s10, 0, v41
	v_not_b32_e32 v41, v42
	v_lshlrev_b32_e32 v46, 26, v1
	v_cmp_ne_u32_e32 vcc_lo, 0, v44
	v_ashrrev_i32_e32 v48, 31, v48
	v_lshlrev_b32_e32 v47, 25, v1
	v_ashrrev_i32_e32 v41, 31, v41
	v_lshlrev_b32_e32 v44, 24, v1
	s_wait_alu 0xfffd
	v_xor_b32_e32 v0, vcc_lo, v0
	v_cmp_gt_i32_e32 vcc_lo, 0, v42
	v_not_b32_e32 v42, v43
	s_wait_alu 0xf1ff
	v_xor_b32_e32 v48, s10, v48
	v_cmp_gt_i32_e64 s10, 0, v43
	v_and_b32_e32 v0, exec_lo, v0
	v_not_b32_e32 v43, v45
	v_ashrrev_i32_e32 v42, 31, v42
	s_wait_alu 0xfffd
	v_xor_b32_e32 v41, vcc_lo, v41
	v_cmp_gt_i32_e32 vcc_lo, 0, v45
	v_and_b32_e32 v0, v0, v48
	v_not_b32_e32 v45, v46
	v_ashrrev_i32_e32 v43, 31, v43
	s_wait_alu 0xf1ff
	v_xor_b32_e32 v42, s10, v42
	v_cmp_gt_i32_e64 s10, 0, v46
	v_and_b32_e32 v0, v0, v41
	v_ashrrev_i32_e32 v45, 31, v45
	s_wait_alu 0xfffd
	v_xor_b32_e32 v43, vcc_lo, v43
	s_delay_alu instid0(VALU_DEP_3) | instskip(SKIP_2) | instid1(VALU_DEP_2)
	v_and_b32_e32 v0, v0, v42
	s_wait_alu 0xf1ff
	v_xor_b32_e32 v45, s10, v45
	v_and_b32_e32 v0, v0, v43
	s_delay_alu instid0(VALU_DEP_1)
	v_and_b32_e32 v0, v0, v45
	v_mov_b32_e32 v46, v27
	v_not_b32_e32 v41, v47
	v_cmp_gt_i32_e32 vcc_lo, 0, v47
	v_dual_mov_b32 v48, v25 :: v_dual_mov_b32 v47, v24
	v_not_b32_e32 v42, v44
	s_delay_alu instid0(VALU_DEP_4) | instskip(SKIP_2) | instid1(VALU_DEP_4)
	v_ashrrev_i32_e32 v41, 31, v41
	v_cmp_gt_i32_e64 s10, 0, v44
	v_dual_mov_b32 v44, v29 :: v_dual_mov_b32 v45, v26
	v_ashrrev_i32_e32 v42, 31, v42
	s_wait_alu 0xfffd
	v_xor_b32_e32 v41, vcc_lo, v41
	v_mov_b32_e32 v43, v28
	v_lshl_add_u32 v25, v1, 2, v74
	s_wait_alu 0xf1ff
	v_xor_b32_e32 v42, s10, v42
	v_and_b32_e32 v0, v0, v41
	s_delay_alu instid0(VALU_DEP_1) | instskip(SKIP_1) | instid1(VALU_DEP_2)
	v_and_b32_e32 v0, v0, v42
	v_dual_mov_b32 v42, v31 :: v_dual_mov_b32 v41, v30
	v_mbcnt_lo_u32_b32 v24, v0, 0
	v_cmp_ne_u32_e64 s10, 0, v0
	s_delay_alu instid0(VALU_DEP_2)
	v_cmp_eq_u32_e32 vcc_lo, 0, v24
	s_and_b32 s25, s10, vcc_lo
	s_wait_alu 0xfffe
	s_and_saveexec_b32 s10, s25
; %bb.27:                               ;   in Loop: Header=BB193_26 Depth=1
	v_bcnt_u32_b32 v0, v0, 0
	ds_store_b32 v25, v0 offset:4
; %bb.28:                               ;   in Loop: Header=BB193_26 Depth=1
	s_wait_alu 0xfffe
	s_or_b32 exec_lo, exec_lo, s10
	v_cmp_ne_u64_e32 vcc_lo, s[22:23], v[53:54]
	; wave barrier
	s_wait_alu 0xfffd
	v_cndmask_b32_e32 v1, 0x80000000, v54, vcc_lo
	v_cndmask_b32_e32 v0, 0, v53, vcc_lo
	s_delay_alu instid0(VALU_DEP_1) | instskip(NEXT) | instid1(VALU_DEP_1)
	v_lshrrev_b64 v[0:1], v37, v[0:1]
	v_and_b32_e32 v0, s24, v0
	s_delay_alu instid0(VALU_DEP_1)
	v_and_b32_e32 v1, 1, v0
	v_lshlrev_b32_e32 v2, 30, v0
	v_lshlrev_b32_e32 v3, 29, v0
	;; [unrolled: 1-line block ×4, first 2 shown]
	v_add_co_u32 v1, s10, v1, -1
	s_wait_alu 0xf1ff
	v_cndmask_b32_e64 v5, 0, 1, s10
	v_not_b32_e32 v27, v2
	v_cmp_gt_i32_e64 s10, 0, v2
	v_not_b32_e32 v2, v3
	v_lshlrev_b32_e32 v7, 26, v0
	v_cmp_ne_u32_e32 vcc_lo, 0, v5
	v_ashrrev_i32_e32 v27, 31, v27
	v_lshlrev_b32_e32 v26, 25, v0
	v_ashrrev_i32_e32 v2, 31, v2
	v_lshlrev_b32_e32 v5, 24, v0
	s_wait_alu 0xfffd
	v_xor_b32_e32 v1, vcc_lo, v1
	v_cmp_gt_i32_e32 vcc_lo, 0, v3
	v_not_b32_e32 v3, v4
	s_wait_alu 0xf1ff
	v_xor_b32_e32 v27, s10, v27
	v_cmp_gt_i32_e64 s10, 0, v4
	v_and_b32_e32 v1, exec_lo, v1
	v_not_b32_e32 v4, v6
	v_ashrrev_i32_e32 v3, 31, v3
	s_wait_alu 0xfffd
	v_xor_b32_e32 v2, vcc_lo, v2
	v_cmp_gt_i32_e32 vcc_lo, 0, v6
	v_and_b32_e32 v1, v1, v27
	v_not_b32_e32 v6, v7
	v_ashrrev_i32_e32 v4, 31, v4
	s_wait_alu 0xf1ff
	v_xor_b32_e32 v3, s10, v3
	v_cmp_gt_i32_e64 s10, 0, v7
	v_and_b32_e32 v1, v1, v2
	v_not_b32_e32 v2, v26
	v_ashrrev_i32_e32 v6, 31, v6
	s_wait_alu 0xfffd
	v_xor_b32_e32 v4, vcc_lo, v4
	v_cmp_gt_i32_e32 vcc_lo, 0, v26
	v_and_b32_e32 v1, v1, v3
	v_not_b32_e32 v3, v5
	v_ashrrev_i32_e32 v2, 31, v2
	s_wait_alu 0xf1ff
	v_xor_b32_e32 v6, s10, v6
	v_cmp_gt_i32_e64 s10, 0, v5
	v_and_b32_e32 v1, v1, v4
	v_ashrrev_i32_e32 v3, 31, v3
	s_wait_alu 0xfffd
	v_xor_b32_e32 v2, vcc_lo, v2
	v_lshl_add_u32 v27, v0, 2, v74
	v_and_b32_e32 v1, v1, v6
	s_wait_alu 0xf1ff
	v_xor_b32_e32 v0, s10, v3
	ds_load_b32 v26, v27 offset:4
	v_and_b32_e32 v1, v1, v2
	; wave barrier
	s_delay_alu instid0(VALU_DEP_1) | instskip(NEXT) | instid1(VALU_DEP_1)
	v_and_b32_e32 v0, v1, v0
	v_mbcnt_lo_u32_b32 v28, v0, 0
	v_cmp_ne_u32_e64 s10, 0, v0
	s_delay_alu instid0(VALU_DEP_2)
	v_cmp_eq_u32_e32 vcc_lo, 0, v28
	s_and_b32 s25, s10, vcc_lo
	s_wait_alu 0xfffe
	s_and_saveexec_b32 s10, s25
	s_cbranch_execz .LBB193_30
; %bb.29:                               ;   in Loop: Header=BB193_26 Depth=1
	s_wait_dscnt 0x0
	v_bcnt_u32_b32 v0, v0, v26
	ds_store_b32 v27, v0 offset:4
.LBB193_30:                             ;   in Loop: Header=BB193_26 Depth=1
	s_wait_alu 0xfffe
	s_or_b32 exec_lo, exec_lo, s10
	v_cmp_ne_u64_e32 vcc_lo, s[22:23], v[51:52]
	; wave barrier
	s_wait_alu 0xfffd
	v_cndmask_b32_e32 v1, 0x80000000, v52, vcc_lo
	v_cndmask_b32_e32 v0, 0, v51, vcc_lo
	s_delay_alu instid0(VALU_DEP_1) | instskip(NEXT) | instid1(VALU_DEP_1)
	v_lshrrev_b64 v[0:1], v37, v[0:1]
	v_and_b32_e32 v0, s24, v0
	s_delay_alu instid0(VALU_DEP_1)
	v_and_b32_e32 v1, 1, v0
	v_lshlrev_b32_e32 v2, 30, v0
	v_lshlrev_b32_e32 v3, 29, v0
	v_lshlrev_b32_e32 v4, 28, v0
	v_lshlrev_b32_e32 v6, 27, v0
	v_add_co_u32 v1, s10, v1, -1
	s_wait_alu 0xf1ff
	v_cndmask_b32_e64 v5, 0, 1, s10
	v_not_b32_e32 v30, v2
	v_cmp_gt_i32_e64 s10, 0, v2
	v_not_b32_e32 v2, v3
	v_lshlrev_b32_e32 v7, 26, v0
	v_cmp_ne_u32_e32 vcc_lo, 0, v5
	v_ashrrev_i32_e32 v30, 31, v30
	v_lshlrev_b32_e32 v29, 25, v0
	v_ashrrev_i32_e32 v2, 31, v2
	v_lshlrev_b32_e32 v5, 24, v0
	s_wait_alu 0xfffd
	v_xor_b32_e32 v1, vcc_lo, v1
	v_cmp_gt_i32_e32 vcc_lo, 0, v3
	v_not_b32_e32 v3, v4
	s_wait_alu 0xf1ff
	v_xor_b32_e32 v30, s10, v30
	v_cmp_gt_i32_e64 s10, 0, v4
	v_and_b32_e32 v1, exec_lo, v1
	v_not_b32_e32 v4, v6
	v_ashrrev_i32_e32 v3, 31, v3
	s_wait_alu 0xfffd
	v_xor_b32_e32 v2, vcc_lo, v2
	v_cmp_gt_i32_e32 vcc_lo, 0, v6
	v_and_b32_e32 v1, v1, v30
	v_not_b32_e32 v6, v7
	v_ashrrev_i32_e32 v4, 31, v4
	s_wait_alu 0xf1ff
	v_xor_b32_e32 v3, s10, v3
	v_cmp_gt_i32_e64 s10, 0, v7
	v_and_b32_e32 v1, v1, v2
	v_not_b32_e32 v2, v29
	v_ashrrev_i32_e32 v6, 31, v6
	s_wait_alu 0xfffd
	v_xor_b32_e32 v4, vcc_lo, v4
	v_cmp_gt_i32_e32 vcc_lo, 0, v29
	v_and_b32_e32 v1, v1, v3
	v_not_b32_e32 v3, v5
	v_ashrrev_i32_e32 v2, 31, v2
	s_wait_alu 0xf1ff
	v_xor_b32_e32 v6, s10, v6
	v_cmp_gt_i32_e64 s10, 0, v5
	v_and_b32_e32 v1, v1, v4
	v_ashrrev_i32_e32 v3, 31, v3
	s_wait_alu 0xfffd
	v_xor_b32_e32 v2, vcc_lo, v2
	v_lshl_add_u32 v30, v0, 2, v74
	v_and_b32_e32 v1, v1, v6
	s_wait_alu 0xf1ff
	v_xor_b32_e32 v0, s10, v3
	ds_load_b32 v29, v30 offset:4
	v_and_b32_e32 v1, v1, v2
	; wave barrier
	s_delay_alu instid0(VALU_DEP_1) | instskip(NEXT) | instid1(VALU_DEP_1)
	v_and_b32_e32 v0, v1, v0
	v_mbcnt_lo_u32_b32 v31, v0, 0
	v_cmp_ne_u32_e64 s10, 0, v0
	s_delay_alu instid0(VALU_DEP_2)
	v_cmp_eq_u32_e32 vcc_lo, 0, v31
	s_and_b32 s25, s10, vcc_lo
	s_wait_alu 0xfffe
	s_and_saveexec_b32 s10, s25
	s_cbranch_execz .LBB193_32
; %bb.31:                               ;   in Loop: Header=BB193_26 Depth=1
	s_wait_dscnt 0x0
	v_bcnt_u32_b32 v0, v0, v29
	ds_store_b32 v30, v0 offset:4
.LBB193_32:                             ;   in Loop: Header=BB193_26 Depth=1
	s_wait_alu 0xfffe
	s_or_b32 exec_lo, exec_lo, s10
	v_cmp_ne_u64_e32 vcc_lo, s[22:23], v[49:50]
	; wave barrier
	s_wait_alu 0xfffd
	v_cndmask_b32_e32 v1, 0x80000000, v50, vcc_lo
	v_cndmask_b32_e32 v0, 0, v49, vcc_lo
	s_delay_alu instid0(VALU_DEP_1) | instskip(NEXT) | instid1(VALU_DEP_1)
	v_lshrrev_b64 v[0:1], v37, v[0:1]
	v_and_b32_e32 v0, s24, v0
	s_delay_alu instid0(VALU_DEP_1)
	v_and_b32_e32 v1, 1, v0
	v_lshlrev_b32_e32 v2, 30, v0
	v_lshlrev_b32_e32 v3, 29, v0
	;; [unrolled: 1-line block ×4, first 2 shown]
	v_add_co_u32 v1, s10, v1, -1
	s_wait_alu 0xf1ff
	v_cndmask_b32_e64 v5, 0, 1, s10
	v_not_b32_e32 v77, v2
	v_cmp_gt_i32_e64 s10, 0, v2
	v_not_b32_e32 v2, v3
	v_lshlrev_b32_e32 v7, 26, v0
	v_cmp_ne_u32_e32 vcc_lo, 0, v5
	v_ashrrev_i32_e32 v77, 31, v77
	v_lshlrev_b32_e32 v76, 25, v0
	v_ashrrev_i32_e32 v2, 31, v2
	v_lshlrev_b32_e32 v5, 24, v0
	s_wait_alu 0xfffd
	v_xor_b32_e32 v1, vcc_lo, v1
	v_cmp_gt_i32_e32 vcc_lo, 0, v3
	v_not_b32_e32 v3, v4
	s_wait_alu 0xf1ff
	v_xor_b32_e32 v77, s10, v77
	v_cmp_gt_i32_e64 s10, 0, v4
	v_and_b32_e32 v1, exec_lo, v1
	v_not_b32_e32 v4, v6
	v_ashrrev_i32_e32 v3, 31, v3
	s_wait_alu 0xfffd
	v_xor_b32_e32 v2, vcc_lo, v2
	v_cmp_gt_i32_e32 vcc_lo, 0, v6
	v_and_b32_e32 v1, v1, v77
	v_not_b32_e32 v6, v7
	v_ashrrev_i32_e32 v4, 31, v4
	s_wait_alu 0xf1ff
	v_xor_b32_e32 v3, s10, v3
	v_cmp_gt_i32_e64 s10, 0, v7
	v_and_b32_e32 v1, v1, v2
	v_not_b32_e32 v2, v76
	v_ashrrev_i32_e32 v6, 31, v6
	s_wait_alu 0xfffd
	v_xor_b32_e32 v4, vcc_lo, v4
	v_cmp_gt_i32_e32 vcc_lo, 0, v76
	v_and_b32_e32 v1, v1, v3
	v_not_b32_e32 v3, v5
	v_ashrrev_i32_e32 v2, 31, v2
	s_wait_alu 0xf1ff
	v_xor_b32_e32 v6, s10, v6
	v_cmp_gt_i32_e64 s10, 0, v5
	v_and_b32_e32 v1, v1, v4
	v_ashrrev_i32_e32 v3, 31, v3
	s_wait_alu 0xfffd
	v_xor_b32_e32 v2, vcc_lo, v2
	v_lshl_add_u32 v77, v0, 2, v74
	v_and_b32_e32 v1, v1, v6
	s_wait_alu 0xf1ff
	v_xor_b32_e32 v0, s10, v3
	ds_load_b32 v76, v77 offset:4
	v_and_b32_e32 v1, v1, v2
	; wave barrier
	s_delay_alu instid0(VALU_DEP_1) | instskip(NEXT) | instid1(VALU_DEP_1)
	v_and_b32_e32 v0, v1, v0
	v_mbcnt_lo_u32_b32 v80, v0, 0
	v_cmp_ne_u32_e64 s10, 0, v0
	s_delay_alu instid0(VALU_DEP_2)
	v_cmp_eq_u32_e32 vcc_lo, 0, v80
	s_and_b32 s24, s10, vcc_lo
	s_wait_alu 0xfffe
	s_and_saveexec_b32 s10, s24
	s_cbranch_execz .LBB193_34
; %bb.33:                               ;   in Loop: Header=BB193_26 Depth=1
	s_wait_dscnt 0x0
	v_bcnt_u32_b32 v0, v0, v76
	ds_store_b32 v77, v0 offset:4
.LBB193_34:                             ;   in Loop: Header=BB193_26 Depth=1
	s_wait_alu 0xfffe
	s_or_b32 exec_lo, exec_lo, s10
	; wave barrier
	; wave barrier
	s_wait_loadcnt_dscnt 0x0
	global_inv scope:SCOPE_SE
	ds_load_2addr_b32 v[6:7], v60 offset0:1 offset1:2
	ds_load_2addr_b32 v[4:5], v60 offset0:3 offset1:4
	;; [unrolled: 1-line block ×4, first 2 shown]
	s_wait_dscnt 0x3
	v_add_nc_u32_e32 v78, v7, v6
	s_wait_dscnt 0x2
	s_delay_alu instid0(VALU_DEP_1) | instskip(SKIP_1) | instid1(VALU_DEP_1)
	v_add3_u32 v78, v78, v4, v5
	s_wait_dscnt 0x1
	v_add3_u32 v78, v78, v2, v3
	s_wait_dscnt 0x0
	s_delay_alu instid0(VALU_DEP_1) | instskip(NEXT) | instid1(VALU_DEP_1)
	v_add3_u32 v1, v78, v0, v1
	v_mov_b32_dpp v78, v1 row_shr:1 row_mask:0xf bank_mask:0xf
	s_delay_alu instid0(VALU_DEP_1) | instskip(NEXT) | instid1(VALU_DEP_1)
	v_cndmask_b32_e64 v78, v78, 0, s5
	v_add_nc_u32_e32 v1, v78, v1
	s_delay_alu instid0(VALU_DEP_1) | instskip(NEXT) | instid1(VALU_DEP_1)
	v_mov_b32_dpp v78, v1 row_shr:2 row_mask:0xf bank_mask:0xf
	v_cndmask_b32_e64 v78, 0, v78, s6
	s_delay_alu instid0(VALU_DEP_1) | instskip(NEXT) | instid1(VALU_DEP_1)
	v_add_nc_u32_e32 v1, v1, v78
	v_mov_b32_dpp v78, v1 row_shr:4 row_mask:0xf bank_mask:0xf
	s_delay_alu instid0(VALU_DEP_1) | instskip(NEXT) | instid1(VALU_DEP_1)
	v_cndmask_b32_e64 v78, 0, v78, s7
	v_add_nc_u32_e32 v1, v1, v78
	s_delay_alu instid0(VALU_DEP_1) | instskip(NEXT) | instid1(VALU_DEP_1)
	v_mov_b32_dpp v78, v1 row_shr:8 row_mask:0xf bank_mask:0xf
	v_cndmask_b32_e64 v78, 0, v78, s8
	s_delay_alu instid0(VALU_DEP_1) | instskip(SKIP_3) | instid1(VALU_DEP_1)
	v_add_nc_u32_e32 v1, v1, v78
	ds_swizzle_b32 v78, v1 offset:swizzle(BROADCAST,32,15)
	s_wait_dscnt 0x0
	v_cndmask_b32_e64 v78, v78, 0, s9
	v_add_nc_u32_e32 v1, v1, v78
	s_and_saveexec_b32 s10, s1
; %bb.35:                               ;   in Loop: Header=BB193_26 Depth=1
	ds_store_b32 v75, v1
; %bb.36:                               ;   in Loop: Header=BB193_26 Depth=1
	s_wait_alu 0xfffe
	s_or_b32 exec_lo, exec_lo, s10
	ds_bpermute_b32 v1, v72, v1
	; wave barrier
	s_wait_loadcnt_dscnt 0x0
	global_inv scope:SCOPE_SE
	v_cmp_lt_u32_e32 vcc_lo, 55, v37
	s_mov_b32 s10, -1
	s_and_b32 vcc_lo, exec_lo, vcc_lo
	v_cndmask_b32_e64 v1, v1, 0, s15
	s_delay_alu instid0(VALU_DEP_1) | instskip(NEXT) | instid1(VALU_DEP_1)
	v_add_nc_u32_e32 v6, v1, v6
	v_add_nc_u32_e32 v7, v6, v7
	s_delay_alu instid0(VALU_DEP_1) | instskip(NEXT) | instid1(VALU_DEP_1)
	v_add_nc_u32_e32 v4, v7, v4
	v_add_nc_u32_e32 v5, v4, v5
	;; [unrolled: 3-line block ×3, first 2 shown]
	s_delay_alu instid0(VALU_DEP_1)
	v_add_nc_u32_e32 v0, v3, v0
	ds_store_2addr_b32 v60, v1, v6 offset0:1 offset1:2
	ds_store_2addr_b32 v60, v7, v4 offset0:3 offset1:4
	;; [unrolled: 1-line block ×4, first 2 shown]
	; wave barrier
	s_wait_loadcnt_dscnt 0x0
	global_inv scope:SCOPE_SE
	ds_load_b32 v0, v25 offset:4
	ds_load_b32 v1, v27 offset:4
	ds_load_b32 v2, v30 offset:4
	ds_load_b32 v3, v77 offset:4
                                        ; implicit-def: $vgpr6_vgpr7
	s_wait_dscnt 0x3
	v_add_nc_u32_e32 v79, v0, v24
	s_wait_dscnt 0x2
	v_add3_u32 v78, v28, v26, v1
	s_wait_dscnt 0x1
	v_add3_u32 v77, v31, v29, v2
	;; [unrolled: 2-line block ×3, first 2 shown]
                                        ; implicit-def: $vgpr2_vgpr3
                                        ; implicit-def: $vgpr24_vgpr25
                                        ; implicit-def: $vgpr28_vgpr29
	s_wait_alu 0xfffe
	s_cbranch_vccnz .LBB193_25
; %bb.37:                               ;   in Loop: Header=BB193_26 Depth=1
	v_lshlrev_b32_e32 v24, 3, v79
	v_lshlrev_b32_e32 v25, 3, v78
	;; [unrolled: 1-line block ×4, first 2 shown]
	s_wait_loadcnt 0x0
	; wave barrier
	global_inv scope:SCOPE_SE
	ds_store_b64 v24, v[39:40]
	ds_store_b64 v25, v[53:54]
	;; [unrolled: 1-line block ×4, first 2 shown]
	; wave barrier
	s_wait_loadcnt_dscnt 0x0
	global_inv scope:SCOPE_SE
	ds_load_2addr_b64 v[0:3], v73 offset1:32
	ds_load_2addr_b64 v[4:7], v73 offset0:64 offset1:96
	; wave barrier
	s_wait_loadcnt_dscnt 0x0
	global_inv scope:SCOPE_SE
	ds_store_b64 v24, v[47:48]
	ds_store_b64 v25, v[45:46]
	ds_store_b64 v26, v[43:44]
	ds_store_b64 v27, v[41:42]
	; wave barrier
	s_wait_loadcnt_dscnt 0x0
	global_inv scope:SCOPE_SE
	ds_load_2addr_b64 v[24:27], v73 offset1:32
	ds_load_2addr_b64 v[28:31], v73 offset0:64 offset1:96
	v_add_co_u32 v37, vcc_lo, v37, 8
	s_wait_alu 0xfffd
	v_add_co_ci_u32_e64 v38, null, 0, v38, vcc_lo
	s_add_co_i32 s17, s17, -8
	s_mov_b32 s10, 0
	; wave barrier
	s_wait_loadcnt_dscnt 0x0
	global_inv scope:SCOPE_SE
	s_branch .LBB193_25
.LBB193_38:
                                        ; implicit-def: $vgpr37
                                        ; implicit-def: $vgpr0_vgpr1_vgpr2_vgpr3_vgpr4_vgpr5_vgpr6_vgpr7
	s_and_b32 vcc_lo, exec_lo, s9
	s_wait_alu 0xfffe
	s_cbranch_vccnz .LBB193_40
	s_branch .LBB193_55
.LBB193_39:
	v_lshlrev_b32_e32 v24, 3, v79
	v_lshlrev_b32_e32 v26, 3, v77
	;; [unrolled: 1-line block ×5, first 2 shown]
	s_wait_loadcnt 0x0
	; wave barrier
	global_inv scope:SCOPE_SE
	ds_store_b64 v24, v[39:40]
	ds_store_b64 v25, v[53:54]
	;; [unrolled: 1-line block ×4, first 2 shown]
	; wave barrier
	s_wait_loadcnt_dscnt 0x0
	global_inv scope:SCOPE_SE
	ds_load_b128 v[0:3], v37
	ds_load_b128 v[4:7], v37 offset:16
	; wave barrier
	s_wait_loadcnt_dscnt 0x0
	global_inv scope:SCOPE_SE
	ds_store_b64 v24, v[47:48]
	ds_store_b64 v25, v[45:46]
	;; [unrolled: 1-line block ×4, first 2 shown]
	; wave barrier
	s_wait_loadcnt_dscnt 0x0
	global_inv scope:SCOPE_SE
	v_cmp_lt_i64_e32 vcc_lo, -1, v[0:1]
	v_ashrrev_i32_e32 v25, 31, v1
	v_ashrrev_i32_e32 v28, 31, v3
	;; [unrolled: 1-line block ×4, first 2 shown]
	s_wait_alu 0xfffd
	v_cndmask_b32_e64 v24, 0x80000000, -1, vcc_lo
	v_cmp_lt_i64_e32 vcc_lo, -1, v[2:3]
	v_not_b32_e32 v25, v25
	s_delay_alu instid0(VALU_DEP_3)
	v_xor_b32_e32 v1, v24, v1
	v_not_b32_e32 v24, v28
	s_wait_alu 0xfffd
	v_cndmask_b32_e64 v26, 0x80000000, -1, vcc_lo
	v_cmp_lt_i64_e32 vcc_lo, -1, v[4:5]
	v_xor_b32_e32 v0, v25, v0
	v_not_b32_e32 v28, v31
	v_xor_b32_e32 v2, v24, v2
	v_xor_b32_e32 v3, v26, v3
	v_not_b32_e32 v26, v30
	s_wait_alu 0xfffd
	v_cndmask_b32_e64 v29, 0x80000000, -1, vcc_lo
	v_cmp_lt_i64_e32 vcc_lo, -1, v[6:7]
	v_xor_b32_e32 v6, v28, v6
	v_xor_b32_e32 v4, v26, v4
	s_delay_alu instid0(VALU_DEP_4) | instskip(SKIP_2) | instid1(VALU_DEP_1)
	v_xor_b32_e32 v5, v29, v5
	s_wait_alu 0xfffd
	v_cndmask_b32_e64 v25, 0x80000000, -1, vcc_lo
	v_xor_b32_e32 v7, v25, v7
	s_branch .LBB193_55
.LBB193_40:
	v_cmp_gt_i64_e32 vcc_lo, 0, v[20:21]
	v_not_b32_e32 v1, v71
	v_not_b32_e32 v3, v70
	v_cmp_gt_i64_e64 s1, 0, v[18:19]
	v_cmp_eq_u32_e64 s5, 2, v67
	v_cmp_eq_u32_e64 s6, 3, v67
	s_wait_alu 0xfffd
	v_cndmask_b32_e64 v0, 0x7fffffff, 0, vcc_lo
	v_cmp_gt_i64_e32 vcc_lo, 0, v[22:23]
	v_xor_b32_e32 v1, v1, v20
	v_xor_b32_e32 v4, v3, v22
	v_not_b32_e32 v3, v69
	v_xor_b32_e32 v0, v0, v21
	v_cndmask_b32_e64 v22, 0x7fffffff, 0, s1
	s_wait_alu 0xfffd
	v_cndmask_b32_e64 v2, 0x7fffffff, 0, vcc_lo
	v_cmp_gt_i64_e32 vcc_lo, 0, v[16:17]
	ds_bpermute_b32 v5, v66, v1
	ds_bpermute_b32 v6, v66, v0
	v_xor_b32_e32 v16, v3, v16
	v_xor_b32_e32 v2, v2, v23
	ds_bpermute_b32 v20, v66, v4
	s_wait_alu 0xfffd
	v_cndmask_b32_e64 v7, 0x7fffffff, 0, vcc_lo
	v_cmp_eq_u32_e32 vcc_lo, 0, v67
	v_cmp_eq_u32_e64 s1, 1, v67
	ds_bpermute_b32 v3, v66, v2
	v_xor_b32_e32 v19, v22, v19
	v_xor_b32_e32 v7, v7, v17
	v_not_b32_e32 v23, v68
	ds_bpermute_b32 v22, v66, v0 offset:32
	ds_bpermute_b32 v40, v66, v1 offset:96
	ds_bpermute_b32 v17, v66, v16
	ds_bpermute_b32 v21, v66, v7
	v_xor_b32_e32 v18, v23, v18
	ds_bpermute_b32 v23, v66, v0 offset:64
	ds_bpermute_b32 v24, v66, v1 offset:32
	;; [unrolled: 1-line block ×3, first 2 shown]
	s_wait_dscnt 0x9
	s_wait_alu 0xfffd
	v_dual_cndmask_b32 v5, 0, v5 :: v_dual_cndmask_b32 v6, 0, v6
	ds_bpermute_b32 v28, v66, v16 offset:32
	ds_bpermute_b32 v29, v66, v4 offset:64
	ds_bpermute_b32 v25, v66, v18
	s_wait_dscnt 0xb
	s_wait_alu 0xf1ff
	v_cndmask_b32_e64 v5, v5, v20, s1
	ds_bpermute_b32 v20, v66, v2 offset:32
	ds_bpermute_b32 v27, v66, v7 offset:32
	s_wait_dscnt 0xc
	v_cndmask_b32_e64 v3, v6, v3, s1
	ds_bpermute_b32 v6, v66, v19
	ds_bpermute_b32 v30, v66, v7 offset:64
	ds_bpermute_b32 v37, v66, v18 offset:32
	s_wait_dscnt 0xe
	v_cndmask_b32_e32 v22, 0, v22, vcc_lo
	ds_bpermute_b32 v38, v66, v16 offset:64
	s_wait_dscnt 0xd
	v_cndmask_b32_e64 v5, v5, v17, s5
	s_wait_dscnt 0xc
	v_cndmask_b32_e64 v3, v3, v21, s5
	ds_bpermute_b32 v21, v66, v1 offset:64
	ds_bpermute_b32 v17, v66, v4 offset:32
	;; [unrolled: 1-line block ×7, first 2 shown]
	; wave barrier
	s_wait_loadcnt_dscnt 0x0
	global_inv scope:SCOPE_SE
	s_load_b32 s7, s[20:21], 0xc
	s_getpc_b64 s[8:9]
	s_wait_alu 0xfffe
	s_sext_i32_i16 s9, s9
	s_add_co_u32 s8, s8, _ZN7rocprim17ROCPRIM_400000_NS16block_radix_sortIdLj32ELj4ElLj1ELj1ELj0ELNS0_26block_radix_rank_algorithmE1ELNS0_18block_padding_hintE2ELNS0_4arch9wavefront6targetE0EE19radix_bits_per_passE@rel32@lo+12
	s_wait_alu 0xfffe
	s_add_co_ci_u32 s9, s9, _ZN7rocprim17ROCPRIM_400000_NS16block_radix_sortIdLj32ELj4ElLj1ELj1ELj0ELNS0_26block_radix_rank_algorithmE1ELNS0_18block_padding_hintE2ELNS0_4arch9wavefront6targetE0EE19radix_bits_per_passE@rel32@hi+24
	s_mov_b32 s22, 0
	s_load_b32 s11, s[8:9], 0x0
	v_cndmask_b32_e64 v1, v3, v6, s6
	ds_bpermute_b32 v6, v66, v0 offset:96
	v_dual_cndmask_b32 v0, 0, v23 :: v_dual_cndmask_b32 v23, 0, v40
	v_cndmask_b32_e64 v3, v22, v20, s1
	ds_bpermute_b32 v22, v66, v13
	ds_bpermute_b32 v40, v66, v8 offset:32
	v_cndmask_b32_e32 v20, 0, v21, vcc_lo
	ds_bpermute_b32 v21, v66, v2 offset:96
	v_cndmask_b32_e64 v2, v0, v26, s1
	v_cndmask_b32_e64 v3, v3, v27, s5
	;; [unrolled: 1-line block ×4, first 2 shown]
	ds_bpermute_b32 v25, v66, v4 offset:96
	v_cndmask_b32_e64 v5, v2, v30, s5
	ds_bpermute_b32 v26, v66, v15
	ds_bpermute_b32 v27, v66, v14
	ds_bpermute_b32 v29, v66, v8
	ds_bpermute_b32 v30, v66, v13 offset:32
	v_cndmask_b32_e64 v3, v3, v31, s6
	v_cndmask_b32_e64 v5, v5, v39, s6
	s_wait_dscnt 0x8
	v_cndmask_b32_e32 v6, 0, v6, vcc_lo
	ds_bpermute_b32 v31, v66, v14 offset:32
	ds_bpermute_b32 v39, v66, v15 offset:32
	v_cmp_eq_u32_e64 s8, 0, v63
	s_wait_dscnt 0x9
	v_cndmask_b32_e32 v22, 0, v22, vcc_lo
	v_cmp_eq_u32_e64 s9, 31, v36
	s_brev_b32 s23, 1
	s_wait_dscnt 0x7
	v_cndmask_b32_e64 v6, v6, v21, s1
	ds_bpermute_b32 v21, v66, v12 offset:32
	v_cndmask_b32_e32 v24, 0, v24, vcc_lo
	s_mov_b32 s17, 64
	v_cndmask_b32_e64 v6, v6, v7, s5
	s_delay_alu instid0(VALU_DEP_2)
	v_cndmask_b32_e64 v17, v24, v17, s1
	ds_bpermute_b32 v24, v66, v12
	v_cndmask_b32_e64 v7, v6, v19, s6
	v_cndmask_b32_e64 v17, v17, v28, s5
	ds_bpermute_b32 v28, v66, v9
	v_cndmask_b32_e64 v2, v17, v37, s6
	v_cndmask_b32_e64 v17, v20, v38, s5
	ds_bpermute_b32 v20, v66, v18 offset:64
	ds_bpermute_b32 v18, v66, v18 offset:96
	ds_bpermute_b32 v38, v66, v10
	ds_bpermute_b32 v37, v66, v11
	s_wait_dscnt 0x5
	v_cndmask_b32_e32 v24, 0, v24, vcc_lo
	s_wait_dscnt 0x3
	v_cndmask_b32_e64 v4, v17, v20, s6
	v_cndmask_b32_e64 v17, v23, v25, s1
	;; [unrolled: 1-line block ×4, first 2 shown]
	ds_bpermute_b32 v24, v66, v12 offset:64
	ds_bpermute_b32 v12, v66, v12 offset:96
	;; [unrolled: 1-line block ×3, first 2 shown]
	v_cndmask_b32_e64 v16, v17, v16, s5
	v_cndmask_b32_e64 v19, v20, v28, s5
	;; [unrolled: 1-line block ×3, first 2 shown]
	ds_bpermute_b32 v13, v66, v13 offset:96
	ds_bpermute_b32 v26, v66, v14 offset:64
	;; [unrolled: 1-line block ×3, first 2 shown]
	s_wait_dscnt 0x8
	v_cndmask_b32_e64 v6, v16, v18, s6
	s_wait_dscnt 0x7
	v_cndmask_b32_e64 v16, v20, v38, s6
	ds_bpermute_b32 v20, v66, v9 offset:32
	ds_bpermute_b32 v25, v66, v15 offset:64
	v_cndmask_b32_e32 v17, 0, v21, vcc_lo
	v_cndmask_b32_e32 v21, 0, v30, vcc_lo
	ds_bpermute_b32 v15, v66, v15 offset:96
	ds_bpermute_b32 v28, v66, v8 offset:64
	;; [unrolled: 1-line block ×4, first 2 shown]
	v_cndmask_b32_e64 v18, v17, v31, s1
	s_wait_dscnt 0xc
	v_cndmask_b32_e64 v17, v19, v37, s6
	v_cndmask_b32_e64 v19, v21, v39, s1
	ds_bpermute_b32 v21, v66, v10 offset:32
	ds_bpermute_b32 v29, v66, v10 offset:64
	;; [unrolled: 1-line block ×7, first 2 shown]
	s_wait_dscnt 0x10
	v_dual_cndmask_b32 v12, 0, v12 :: v_dual_cndmask_b32 v23, 0, v23
	s_wait_dscnt 0xf
	v_cndmask_b32_e32 v13, 0, v13, vcc_lo
	s_wait_dscnt 0xc
	v_cndmask_b32_e64 v19, v19, v20, s5
	v_cndmask_b32_e32 v20, 0, v24, vcc_lo
	v_cndmask_b32_e64 v12, v12, v14, s1
	s_wait_dscnt 0xb
	v_cndmask_b32_e64 v23, v23, v25, s1
	s_wait_dscnt 0xa
	v_cndmask_b32_e64 v13, v13, v15, s1
	v_cndmask_b32_e64 v18, v18, v40, s5
	;; [unrolled: 1-line block ×3, first 2 shown]
	s_wait_dscnt 0x8
	v_cndmask_b32_e64 v12, v12, v8, s5
	s_wait_dscnt 0x7
	v_cndmask_b32_e64 v14, v23, v27, s5
	s_wait_kmcnt 0x0
	s_lshr_b32 s1, s7, 16
	s_wait_dscnt 0x6
	v_cndmask_b32_e64 v18, v18, v21, s6
	v_cndmask_b32_e64 v15, v20, v28, s5
	s_wait_dscnt 0x4
	v_cndmask_b32_e64 v13, v13, v9, s5
	s_wait_dscnt 0x3
	v_cndmask_b32_e64 v10, v12, v10, s6
	s_wait_alu 0xfffe
	v_mad_u32_u24 v12, v65, s1, v64
	s_wait_dscnt 0x2
	v_cndmask_b32_e64 v9, v14, v30, s6
	s_and_b32 s1, s7, 0xffff
	v_sub_co_u32 v14, s10, v35, 1
	s_wait_dscnt 0x0
	v_cndmask_b32_e64 v11, v13, v11, s6
	s_wait_alu 0xfffe
	v_mad_co_u64_u32 v[12:13], null, v12, s1, v[36:37]
	v_cmp_gt_i32_e32 vcc_lo, 0, v14
	v_cndmask_b32_e64 v19, v19, v22, s6
	v_cndmask_b32_e64 v8, v15, v29, s6
	v_cmp_eq_u32_e64 s1, 0, v62
	v_cmp_lt_u32_e64 s5, 1, v62
	s_wait_alu 0xfffd
	v_cndmask_b32_e32 v13, v14, v35, vcc_lo
	v_lshrrev_b32_e32 v12, 3, v12
	v_cmp_eq_u32_e32 vcc_lo, 0, v36
	v_cmp_lt_u32_e64 s6, 3, v62
	v_cmp_lt_u32_e64 s7, 7, v62
	v_lshlrev_b32_e32 v37, 2, v13
	v_dual_mov_b32 v12, 0 :: v_dual_and_b32 v39, 0x1ffffffc, v12
	v_dual_mov_b32 v13, 0 :: v_dual_lshlrev_b32 v38, 3, v61
	v_mov_b32_e32 v40, 0
	s_or_b32 s15, vcc_lo, s10
	s_branch .LBB193_42
.LBB193_41:                             ;   in Loop: Header=BB193_42 Depth=1
	s_wait_alu 0xfffe
	s_and_not1_b32 vcc_lo, exec_lo, s10
	s_wait_alu 0xfffe
	s_cbranch_vccz .LBB193_54
.LBB193_42:                             ; =>This Inner Loop Header: Depth=1
	v_dual_mov_b32 v15, v1 :: v_dual_mov_b32 v14, v0
	s_min_u32 s10, s11, s17
	v_mov_b32_e32 v29, v7
	s_wait_alu 0xfffe
	s_lshl_b32 s10, -1, s10
	ds_store_2addr_b32 v60, v40, v40 offset0:1 offset1:2
	ds_store_2addr_b32 v60, v40, v40 offset0:3 offset1:4
	ds_store_2addr_b32 v60, v40, v40 offset0:5 offset1:6
	ds_store_2addr_b32 v60, v40, v40 offset0:7 offset1:8
	v_cmp_ne_u64_e32 vcc_lo, s[22:23], v[14:15]
	s_wait_alu 0xfffe
	s_not_b32 s20, s10
	; wave barrier
	s_wait_loadcnt_dscnt 0x0
	global_inv scope:SCOPE_SE
	; wave barrier
	s_wait_alu 0xfffd
	v_cndmask_b32_e32 v1, 0x7fffffff, v15, vcc_lo
	v_cndmask_b32_e32 v0, -1, v14, vcc_lo
	v_dual_mov_b32 v28, v6 :: v_dual_mov_b32 v31, v5
	v_mov_b32_e32 v30, v4
	v_mov_b32_e32 v36, v3
	s_delay_alu instid0(VALU_DEP_4) | instskip(SKIP_2) | instid1(VALU_DEP_2)
	v_lshrrev_b64 v[0:1], v12, v[0:1]
	v_mov_b32_e32 v35, v2
	s_wait_alu 0xfffe
	v_and_b32_e32 v1, s20, v0
	s_delay_alu instid0(VALU_DEP_1)
	v_and_b32_e32 v0, 1, v1
	v_lshlrev_b32_e32 v20, 30, v1
	v_lshlrev_b32_e32 v21, 29, v1
	v_lshlrev_b32_e32 v22, 28, v1
	v_lshlrev_b32_e32 v24, 27, v1
	v_add_co_u32 v0, s10, v0, -1
	s_wait_alu 0xf1ff
	v_cndmask_b32_e64 v23, 0, 1, s10
	v_not_b32_e32 v27, v20
	v_cmp_gt_i32_e64 s10, 0, v20
	v_not_b32_e32 v20, v21
	v_lshlrev_b32_e32 v25, 26, v1
	v_cmp_ne_u32_e32 vcc_lo, 0, v23
	v_lshlrev_b32_e32 v23, 24, v1
	v_lshlrev_b32_e32 v26, 25, v1
	v_ashrrev_i32_e32 v27, 31, v27
	v_ashrrev_i32_e32 v20, 31, v20
	s_wait_alu 0xfffd
	v_xor_b32_e32 v0, vcc_lo, v0
	v_cmp_gt_i32_e32 vcc_lo, 0, v21
	v_not_b32_e32 v21, v22
	s_wait_alu 0xf1ff
	v_xor_b32_e32 v27, s10, v27
	v_cmp_gt_i32_e64 s10, 0, v22
	v_and_b32_e32 v0, exec_lo, v0
	v_not_b32_e32 v22, v24
	v_ashrrev_i32_e32 v21, 31, v21
	s_wait_alu 0xfffd
	v_xor_b32_e32 v20, vcc_lo, v20
	v_cmp_gt_i32_e32 vcc_lo, 0, v24
	v_and_b32_e32 v0, v0, v27
	v_not_b32_e32 v24, v25
	v_ashrrev_i32_e32 v22, 31, v22
	s_wait_alu 0xf1ff
	v_xor_b32_e32 v21, s10, v21
	v_cmp_gt_i32_e64 s10, 0, v25
	v_and_b32_e32 v0, v0, v20
	v_ashrrev_i32_e32 v24, 31, v24
	s_wait_alu 0xfffd
	v_xor_b32_e32 v22, vcc_lo, v22
	s_delay_alu instid0(VALU_DEP_3)
	v_and_b32_e32 v0, v0, v21
	s_wait_alu 0xf1ff
	v_xor_b32_e32 v24, s10, v24
	v_not_b32_e32 v21, v23
	v_cmp_gt_i32_e64 s10, 0, v23
	v_dual_mov_b32 v23, v9 :: v_dual_and_b32 v0, v0, v22
	s_delay_alu instid0(VALU_DEP_3) | instskip(SKIP_2) | instid1(VALU_DEP_4)
	v_ashrrev_i32_e32 v21, 31, v21
	v_mov_b32_e32 v22, v8
	v_lshl_add_u32 v9, v1, 2, v39
	v_dual_mov_b32 v25, v19 :: v_dual_and_b32 v0, v0, v24
	v_not_b32_e32 v20, v26
	v_cmp_gt_i32_e32 vcc_lo, 0, v26
	s_wait_alu 0xf1ff
	v_xor_b32_e32 v21, s10, v21
	v_dual_mov_b32 v27, v17 :: v_dual_mov_b32 v26, v16
	v_ashrrev_i32_e32 v20, 31, v20
	v_mov_b32_e32 v24, v18
	s_wait_alu 0xfffd
	s_delay_alu instid0(VALU_DEP_2) | instskip(NEXT) | instid1(VALU_DEP_1)
	v_xor_b32_e32 v20, vcc_lo, v20
	v_and_b32_e32 v0, v0, v20
	s_delay_alu instid0(VALU_DEP_1) | instskip(SKIP_1) | instid1(VALU_DEP_2)
	v_dual_mov_b32 v21, v11 :: v_dual_and_b32 v0, v0, v21
	v_mov_b32_e32 v20, v10
	v_mbcnt_lo_u32_b32 v8, v0, 0
	v_cmp_ne_u32_e64 s10, 0, v0
	s_delay_alu instid0(VALU_DEP_2)
	v_cmp_eq_u32_e32 vcc_lo, 0, v8
	s_and_b32 s21, s10, vcc_lo
	s_wait_alu 0xfffe
	s_and_saveexec_b32 s10, s21
; %bb.43:                               ;   in Loop: Header=BB193_42 Depth=1
	v_bcnt_u32_b32 v0, v0, 0
	ds_store_b32 v9, v0 offset:4
; %bb.44:                               ;   in Loop: Header=BB193_42 Depth=1
	s_wait_alu 0xfffe
	s_or_b32 exec_lo, exec_lo, s10
	v_cmp_ne_u64_e32 vcc_lo, s[22:23], v[35:36]
	; wave barrier
	s_wait_alu 0xfffd
	v_cndmask_b32_e32 v1, 0x7fffffff, v36, vcc_lo
	v_cndmask_b32_e32 v0, -1, v35, vcc_lo
	s_delay_alu instid0(VALU_DEP_1) | instskip(NEXT) | instid1(VALU_DEP_1)
	v_lshrrev_b64 v[0:1], v12, v[0:1]
	v_and_b32_e32 v0, s20, v0
	s_delay_alu instid0(VALU_DEP_1)
	v_and_b32_e32 v1, 1, v0
	v_lshlrev_b32_e32 v2, 30, v0
	v_lshlrev_b32_e32 v3, 29, v0
	;; [unrolled: 1-line block ×4, first 2 shown]
	v_add_co_u32 v1, s10, v1, -1
	s_wait_alu 0xf1ff
	v_cndmask_b32_e64 v5, 0, 1, s10
	v_not_b32_e32 v11, v2
	v_cmp_gt_i32_e64 s10, 0, v2
	v_not_b32_e32 v2, v3
	v_lshlrev_b32_e32 v7, 26, v0
	v_cmp_ne_u32_e32 vcc_lo, 0, v5
	v_ashrrev_i32_e32 v11, 31, v11
	v_lshlrev_b32_e32 v10, 25, v0
	v_ashrrev_i32_e32 v2, 31, v2
	v_lshlrev_b32_e32 v5, 24, v0
	s_wait_alu 0xfffd
	v_xor_b32_e32 v1, vcc_lo, v1
	v_cmp_gt_i32_e32 vcc_lo, 0, v3
	v_not_b32_e32 v3, v4
	s_wait_alu 0xf1ff
	v_xor_b32_e32 v11, s10, v11
	v_cmp_gt_i32_e64 s10, 0, v4
	v_and_b32_e32 v1, exec_lo, v1
	v_not_b32_e32 v4, v6
	v_ashrrev_i32_e32 v3, 31, v3
	s_wait_alu 0xfffd
	v_xor_b32_e32 v2, vcc_lo, v2
	v_cmp_gt_i32_e32 vcc_lo, 0, v6
	v_and_b32_e32 v1, v1, v11
	v_not_b32_e32 v6, v7
	v_ashrrev_i32_e32 v4, 31, v4
	s_wait_alu 0xf1ff
	v_xor_b32_e32 v3, s10, v3
	v_cmp_gt_i32_e64 s10, 0, v7
	v_and_b32_e32 v1, v1, v2
	v_not_b32_e32 v2, v10
	v_ashrrev_i32_e32 v6, 31, v6
	s_wait_alu 0xfffd
	v_xor_b32_e32 v4, vcc_lo, v4
	v_cmp_gt_i32_e32 vcc_lo, 0, v10
	v_and_b32_e32 v1, v1, v3
	v_not_b32_e32 v3, v5
	v_ashrrev_i32_e32 v2, 31, v2
	s_wait_alu 0xf1ff
	v_xor_b32_e32 v6, s10, v6
	v_cmp_gt_i32_e64 s10, 0, v5
	v_and_b32_e32 v1, v1, v4
	v_ashrrev_i32_e32 v3, 31, v3
	s_wait_alu 0xfffd
	v_xor_b32_e32 v2, vcc_lo, v2
	v_lshl_add_u32 v11, v0, 2, v39
	v_and_b32_e32 v1, v1, v6
	s_wait_alu 0xf1ff
	v_xor_b32_e32 v0, s10, v3
	ds_load_b32 v10, v11 offset:4
	v_and_b32_e32 v1, v1, v2
	; wave barrier
	s_delay_alu instid0(VALU_DEP_1) | instskip(NEXT) | instid1(VALU_DEP_1)
	v_and_b32_e32 v0, v1, v0
	v_mbcnt_lo_u32_b32 v16, v0, 0
	v_cmp_ne_u32_e64 s10, 0, v0
	s_delay_alu instid0(VALU_DEP_2)
	v_cmp_eq_u32_e32 vcc_lo, 0, v16
	s_and_b32 s21, s10, vcc_lo
	s_wait_alu 0xfffe
	s_and_saveexec_b32 s10, s21
	s_cbranch_execz .LBB193_46
; %bb.45:                               ;   in Loop: Header=BB193_42 Depth=1
	s_wait_dscnt 0x0
	v_bcnt_u32_b32 v0, v0, v10
	ds_store_b32 v11, v0 offset:4
.LBB193_46:                             ;   in Loop: Header=BB193_42 Depth=1
	s_wait_alu 0xfffe
	s_or_b32 exec_lo, exec_lo, s10
	v_cmp_ne_u64_e32 vcc_lo, s[22:23], v[30:31]
	; wave barrier
	s_wait_alu 0xfffd
	v_cndmask_b32_e32 v1, 0x7fffffff, v31, vcc_lo
	v_cndmask_b32_e32 v0, -1, v30, vcc_lo
	s_delay_alu instid0(VALU_DEP_1) | instskip(NEXT) | instid1(VALU_DEP_1)
	v_lshrrev_b64 v[0:1], v12, v[0:1]
	v_and_b32_e32 v0, s20, v0
	s_delay_alu instid0(VALU_DEP_1)
	v_and_b32_e32 v1, 1, v0
	v_lshlrev_b32_e32 v2, 30, v0
	v_lshlrev_b32_e32 v3, 29, v0
	;; [unrolled: 1-line block ×4, first 2 shown]
	v_add_co_u32 v1, s10, v1, -1
	s_wait_alu 0xf1ff
	v_cndmask_b32_e64 v5, 0, 1, s10
	v_not_b32_e32 v18, v2
	v_cmp_gt_i32_e64 s10, 0, v2
	v_not_b32_e32 v2, v3
	v_lshlrev_b32_e32 v7, 26, v0
	v_cmp_ne_u32_e32 vcc_lo, 0, v5
	v_ashrrev_i32_e32 v18, 31, v18
	v_lshlrev_b32_e32 v17, 25, v0
	v_ashrrev_i32_e32 v2, 31, v2
	v_lshlrev_b32_e32 v5, 24, v0
	s_wait_alu 0xfffd
	v_xor_b32_e32 v1, vcc_lo, v1
	v_cmp_gt_i32_e32 vcc_lo, 0, v3
	v_not_b32_e32 v3, v4
	s_wait_alu 0xf1ff
	v_xor_b32_e32 v18, s10, v18
	v_cmp_gt_i32_e64 s10, 0, v4
	v_and_b32_e32 v1, exec_lo, v1
	v_not_b32_e32 v4, v6
	v_ashrrev_i32_e32 v3, 31, v3
	s_wait_alu 0xfffd
	v_xor_b32_e32 v2, vcc_lo, v2
	v_cmp_gt_i32_e32 vcc_lo, 0, v6
	v_and_b32_e32 v1, v1, v18
	v_not_b32_e32 v6, v7
	v_ashrrev_i32_e32 v4, 31, v4
	s_wait_alu 0xf1ff
	v_xor_b32_e32 v3, s10, v3
	v_cmp_gt_i32_e64 s10, 0, v7
	v_and_b32_e32 v1, v1, v2
	v_not_b32_e32 v2, v17
	v_ashrrev_i32_e32 v6, 31, v6
	s_wait_alu 0xfffd
	v_xor_b32_e32 v4, vcc_lo, v4
	v_cmp_gt_i32_e32 vcc_lo, 0, v17
	v_and_b32_e32 v1, v1, v3
	v_not_b32_e32 v3, v5
	v_ashrrev_i32_e32 v2, 31, v2
	s_wait_alu 0xf1ff
	v_xor_b32_e32 v6, s10, v6
	v_cmp_gt_i32_e64 s10, 0, v5
	v_and_b32_e32 v1, v1, v4
	v_ashrrev_i32_e32 v3, 31, v3
	s_wait_alu 0xfffd
	v_xor_b32_e32 v2, vcc_lo, v2
	v_lshl_add_u32 v18, v0, 2, v39
	v_and_b32_e32 v1, v1, v6
	s_wait_alu 0xf1ff
	v_xor_b32_e32 v0, s10, v3
	ds_load_b32 v17, v18 offset:4
	v_and_b32_e32 v1, v1, v2
	; wave barrier
	s_delay_alu instid0(VALU_DEP_1) | instskip(NEXT) | instid1(VALU_DEP_1)
	v_and_b32_e32 v0, v1, v0
	v_mbcnt_lo_u32_b32 v19, v0, 0
	v_cmp_ne_u32_e64 s10, 0, v0
	s_delay_alu instid0(VALU_DEP_2)
	v_cmp_eq_u32_e32 vcc_lo, 0, v19
	s_and_b32 s21, s10, vcc_lo
	s_wait_alu 0xfffe
	s_and_saveexec_b32 s10, s21
	s_cbranch_execz .LBB193_48
; %bb.47:                               ;   in Loop: Header=BB193_42 Depth=1
	s_wait_dscnt 0x0
	v_bcnt_u32_b32 v0, v0, v17
	ds_store_b32 v18, v0 offset:4
.LBB193_48:                             ;   in Loop: Header=BB193_42 Depth=1
	s_wait_alu 0xfffe
	s_or_b32 exec_lo, exec_lo, s10
	v_cmp_ne_u64_e32 vcc_lo, s[22:23], v[28:29]
	; wave barrier
	s_wait_alu 0xfffd
	v_cndmask_b32_e32 v1, 0x7fffffff, v29, vcc_lo
	v_cndmask_b32_e32 v0, -1, v28, vcc_lo
	s_delay_alu instid0(VALU_DEP_1) | instskip(NEXT) | instid1(VALU_DEP_1)
	v_lshrrev_b64 v[0:1], v12, v[0:1]
	v_and_b32_e32 v0, s20, v0
	s_delay_alu instid0(VALU_DEP_1)
	v_and_b32_e32 v1, 1, v0
	v_lshlrev_b32_e32 v2, 30, v0
	v_lshlrev_b32_e32 v3, 29, v0
	;; [unrolled: 1-line block ×4, first 2 shown]
	v_add_co_u32 v1, s10, v1, -1
	s_wait_alu 0xf1ff
	v_cndmask_b32_e64 v5, 0, 1, s10
	v_not_b32_e32 v42, v2
	v_cmp_gt_i32_e64 s10, 0, v2
	v_not_b32_e32 v2, v3
	v_lshlrev_b32_e32 v7, 26, v0
	v_cmp_ne_u32_e32 vcc_lo, 0, v5
	v_ashrrev_i32_e32 v42, 31, v42
	v_lshlrev_b32_e32 v41, 25, v0
	v_ashrrev_i32_e32 v2, 31, v2
	v_lshlrev_b32_e32 v5, 24, v0
	s_wait_alu 0xfffd
	v_xor_b32_e32 v1, vcc_lo, v1
	v_cmp_gt_i32_e32 vcc_lo, 0, v3
	v_not_b32_e32 v3, v4
	s_wait_alu 0xf1ff
	v_xor_b32_e32 v42, s10, v42
	v_cmp_gt_i32_e64 s10, 0, v4
	v_and_b32_e32 v1, exec_lo, v1
	v_not_b32_e32 v4, v6
	v_ashrrev_i32_e32 v3, 31, v3
	s_wait_alu 0xfffd
	v_xor_b32_e32 v2, vcc_lo, v2
	v_cmp_gt_i32_e32 vcc_lo, 0, v6
	v_and_b32_e32 v1, v1, v42
	v_not_b32_e32 v6, v7
	v_ashrrev_i32_e32 v4, 31, v4
	s_wait_alu 0xf1ff
	v_xor_b32_e32 v3, s10, v3
	v_cmp_gt_i32_e64 s10, 0, v7
	v_and_b32_e32 v1, v1, v2
	v_not_b32_e32 v2, v41
	v_ashrrev_i32_e32 v6, 31, v6
	s_wait_alu 0xfffd
	v_xor_b32_e32 v4, vcc_lo, v4
	v_cmp_gt_i32_e32 vcc_lo, 0, v41
	v_and_b32_e32 v1, v1, v3
	v_not_b32_e32 v3, v5
	v_ashrrev_i32_e32 v2, 31, v2
	s_wait_alu 0xf1ff
	v_xor_b32_e32 v6, s10, v6
	v_cmp_gt_i32_e64 s10, 0, v5
	v_and_b32_e32 v1, v1, v4
	v_ashrrev_i32_e32 v3, 31, v3
	s_wait_alu 0xfffd
	v_xor_b32_e32 v2, vcc_lo, v2
	v_lshl_add_u32 v42, v0, 2, v39
	v_and_b32_e32 v1, v1, v6
	s_wait_alu 0xf1ff
	v_xor_b32_e32 v0, s10, v3
	ds_load_b32 v41, v42 offset:4
	v_and_b32_e32 v1, v1, v2
	; wave barrier
	s_delay_alu instid0(VALU_DEP_1) | instskip(NEXT) | instid1(VALU_DEP_1)
	v_and_b32_e32 v0, v1, v0
	v_mbcnt_lo_u32_b32 v45, v0, 0
	v_cmp_ne_u32_e64 s10, 0, v0
	s_delay_alu instid0(VALU_DEP_2)
	v_cmp_eq_u32_e32 vcc_lo, 0, v45
	s_and_b32 s20, s10, vcc_lo
	s_wait_alu 0xfffe
	s_and_saveexec_b32 s10, s20
	s_cbranch_execz .LBB193_50
; %bb.49:                               ;   in Loop: Header=BB193_42 Depth=1
	s_wait_dscnt 0x0
	v_bcnt_u32_b32 v0, v0, v41
	ds_store_b32 v42, v0 offset:4
.LBB193_50:                             ;   in Loop: Header=BB193_42 Depth=1
	s_wait_alu 0xfffe
	s_or_b32 exec_lo, exec_lo, s10
	; wave barrier
	; wave barrier
	s_wait_loadcnt_dscnt 0x0
	global_inv scope:SCOPE_SE
	ds_load_2addr_b32 v[6:7], v60 offset0:1 offset1:2
	ds_load_2addr_b32 v[4:5], v60 offset0:3 offset1:4
	;; [unrolled: 1-line block ×4, first 2 shown]
	s_wait_dscnt 0x3
	v_add_nc_u32_e32 v43, v7, v6
	s_wait_dscnt 0x2
	s_delay_alu instid0(VALU_DEP_1) | instskip(SKIP_1) | instid1(VALU_DEP_1)
	v_add3_u32 v43, v43, v4, v5
	s_wait_dscnt 0x1
	v_add3_u32 v43, v43, v2, v3
	s_wait_dscnt 0x0
	s_delay_alu instid0(VALU_DEP_1) | instskip(NEXT) | instid1(VALU_DEP_1)
	v_add3_u32 v1, v43, v0, v1
	v_mov_b32_dpp v43, v1 row_shr:1 row_mask:0xf bank_mask:0xf
	s_delay_alu instid0(VALU_DEP_1) | instskip(NEXT) | instid1(VALU_DEP_1)
	v_cndmask_b32_e64 v43, v43, 0, s1
	v_add_nc_u32_e32 v1, v43, v1
	s_delay_alu instid0(VALU_DEP_1) | instskip(NEXT) | instid1(VALU_DEP_1)
	v_mov_b32_dpp v43, v1 row_shr:2 row_mask:0xf bank_mask:0xf
	v_cndmask_b32_e64 v43, 0, v43, s5
	s_delay_alu instid0(VALU_DEP_1) | instskip(NEXT) | instid1(VALU_DEP_1)
	v_add_nc_u32_e32 v1, v1, v43
	v_mov_b32_dpp v43, v1 row_shr:4 row_mask:0xf bank_mask:0xf
	s_delay_alu instid0(VALU_DEP_1) | instskip(NEXT) | instid1(VALU_DEP_1)
	v_cndmask_b32_e64 v43, 0, v43, s6
	v_add_nc_u32_e32 v1, v1, v43
	s_delay_alu instid0(VALU_DEP_1) | instskip(NEXT) | instid1(VALU_DEP_1)
	v_mov_b32_dpp v43, v1 row_shr:8 row_mask:0xf bank_mask:0xf
	v_cndmask_b32_e64 v43, 0, v43, s7
	s_delay_alu instid0(VALU_DEP_1) | instskip(SKIP_3) | instid1(VALU_DEP_1)
	v_add_nc_u32_e32 v1, v1, v43
	ds_swizzle_b32 v43, v1 offset:swizzle(BROADCAST,32,15)
	s_wait_dscnt 0x0
	v_cndmask_b32_e64 v43, v43, 0, s8
	v_add_nc_u32_e32 v1, v1, v43
	s_and_saveexec_b32 s10, s9
; %bb.51:                               ;   in Loop: Header=BB193_42 Depth=1
	ds_store_b32 v40, v1
; %bb.52:                               ;   in Loop: Header=BB193_42 Depth=1
	s_wait_alu 0xfffe
	s_or_b32 exec_lo, exec_lo, s10
	ds_bpermute_b32 v1, v37, v1
	; wave barrier
	s_wait_loadcnt_dscnt 0x0
	global_inv scope:SCOPE_SE
	v_cmp_lt_u32_e32 vcc_lo, 55, v12
	s_mov_b32 s10, -1
	s_and_b32 vcc_lo, exec_lo, vcc_lo
	v_cndmask_b32_e64 v1, v1, 0, s15
	s_delay_alu instid0(VALU_DEP_1) | instskip(NEXT) | instid1(VALU_DEP_1)
	v_add_nc_u32_e32 v6, v1, v6
	v_add_nc_u32_e32 v7, v6, v7
	s_delay_alu instid0(VALU_DEP_1) | instskip(NEXT) | instid1(VALU_DEP_1)
	v_add_nc_u32_e32 v4, v7, v4
	v_add_nc_u32_e32 v5, v4, v5
	;; [unrolled: 3-line block ×3, first 2 shown]
	s_delay_alu instid0(VALU_DEP_1)
	v_add_nc_u32_e32 v0, v3, v0
	ds_store_2addr_b32 v60, v1, v6 offset0:1 offset1:2
	ds_store_2addr_b32 v60, v7, v4 offset0:3 offset1:4
	;; [unrolled: 1-line block ×4, first 2 shown]
	; wave barrier
	s_wait_loadcnt_dscnt 0x0
	global_inv scope:SCOPE_SE
	ds_load_b32 v0, v9 offset:4
	ds_load_b32 v1, v11 offset:4
	;; [unrolled: 1-line block ×4, first 2 shown]
                                        ; implicit-def: $vgpr6_vgpr7
	s_wait_dscnt 0x3
	v_add_nc_u32_e32 v44, v0, v8
	s_wait_dscnt 0x2
	v_add3_u32 v43, v16, v10, v1
	s_wait_dscnt 0x1
	v_add3_u32 v42, v19, v17, v2
	;; [unrolled: 2-line block ×3, first 2 shown]
                                        ; implicit-def: $vgpr2_vgpr3
                                        ; implicit-def: $vgpr16_vgpr17
                                        ; implicit-def: $vgpr8_vgpr9
	s_wait_alu 0xfffe
	s_cbranch_vccnz .LBB193_41
; %bb.53:                               ;   in Loop: Header=BB193_42 Depth=1
	v_lshlrev_b32_e32 v8, 3, v44
	v_lshlrev_b32_e32 v9, 3, v43
	;; [unrolled: 1-line block ×4, first 2 shown]
	s_wait_loadcnt 0x0
	; wave barrier
	global_inv scope:SCOPE_SE
	ds_store_b64 v8, v[14:15]
	ds_store_b64 v9, v[35:36]
	;; [unrolled: 1-line block ×4, first 2 shown]
	; wave barrier
	s_wait_loadcnt_dscnt 0x0
	global_inv scope:SCOPE_SE
	ds_load_2addr_b64 v[0:3], v38 offset1:32
	ds_load_2addr_b64 v[4:7], v38 offset0:64 offset1:96
	; wave barrier
	s_wait_loadcnt_dscnt 0x0
	global_inv scope:SCOPE_SE
	ds_store_b64 v8, v[26:27]
	ds_store_b64 v9, v[24:25]
	;; [unrolled: 1-line block ×4, first 2 shown]
	; wave barrier
	s_wait_loadcnt_dscnt 0x0
	global_inv scope:SCOPE_SE
	ds_load_2addr_b64 v[16:19], v38 offset1:32
	ds_load_2addr_b64 v[8:11], v38 offset0:64 offset1:96
	v_add_co_u32 v12, vcc_lo, v12, 8
	s_wait_alu 0xfffd
	v_add_co_ci_u32_e64 v13, null, 0, v13, vcc_lo
	s_add_co_i32 s17, s17, -8
	s_mov_b32 s10, 0
	; wave barrier
	s_wait_loadcnt_dscnt 0x0
	global_inv scope:SCOPE_SE
	s_branch .LBB193_41
.LBB193_54:
	v_lshlrev_b32_e32 v8, 3, v44
	v_lshlrev_b32_e32 v10, 3, v42
	;; [unrolled: 1-line block ×5, first 2 shown]
	s_wait_loadcnt 0x0
	; wave barrier
	global_inv scope:SCOPE_SE
	ds_store_b64 v8, v[14:15]
	ds_store_b64 v9, v[35:36]
	;; [unrolled: 1-line block ×4, first 2 shown]
	; wave barrier
	s_wait_loadcnt_dscnt 0x0
	global_inv scope:SCOPE_SE
	ds_load_b128 v[0:3], v37
	ds_load_b128 v[4:7], v37 offset:16
	; wave barrier
	s_wait_loadcnt_dscnt 0x0
	global_inv scope:SCOPE_SE
	ds_store_b64 v8, v[26:27]
	ds_store_b64 v9, v[24:25]
	;; [unrolled: 1-line block ×4, first 2 shown]
	; wave barrier
	s_wait_loadcnt_dscnt 0x0
	global_inv scope:SCOPE_SE
	v_cmp_gt_i64_e32 vcc_lo, 0, v[0:1]
	v_ashrrev_i32_e32 v9, 31, v1
	v_ashrrev_i32_e32 v13, 31, v3
	;; [unrolled: 1-line block ×4, first 2 shown]
	s_wait_alu 0xfffd
	v_cndmask_b32_e64 v8, 0x7fffffff, 0, vcc_lo
	v_cmp_gt_i64_e32 vcc_lo, 0, v[2:3]
	v_not_b32_e32 v9, v9
	s_delay_alu instid0(VALU_DEP_3)
	v_xor_b32_e32 v1, v8, v1
	v_not_b32_e32 v8, v13
	s_wait_alu 0xfffd
	v_cndmask_b32_e64 v12, 0x7fffffff, 0, vcc_lo
	v_cmp_gt_i64_e32 vcc_lo, 0, v[4:5]
	v_xor_b32_e32 v0, v9, v0
	v_not_b32_e32 v13, v16
	v_xor_b32_e32 v2, v8, v2
	v_xor_b32_e32 v3, v12, v3
	v_not_b32_e32 v12, v15
	s_wait_alu 0xfffd
	v_cndmask_b32_e64 v14, 0x7fffffff, 0, vcc_lo
	v_cmp_gt_i64_e32 vcc_lo, 0, v[6:7]
	v_xor_b32_e32 v6, v13, v6
	v_xor_b32_e32 v4, v12, v4
	s_delay_alu instid0(VALU_DEP_4) | instskip(SKIP_2) | instid1(VALU_DEP_1)
	v_xor_b32_e32 v5, v14, v5
	s_wait_alu 0xfffd
	v_cndmask_b32_e64 v9, 0x7fffffff, 0, vcc_lo
	v_xor_b32_e32 v7, v9, v7
.LBB193_55:
	ds_load_2addr_b64 v[8:11], v37 offset1:1
	ds_load_2addr_b64 v[12:15], v37 offset0:2 offset1:3
	; wave barrier
	s_wait_loadcnt_dscnt 0x0
	global_inv scope:SCOPE_SE
	ds_store_2addr_b64 v59, v[0:1], v[2:3] offset1:1
	ds_store_2addr_b64 v59, v[4:5], v[6:7] offset0:2 offset1:3
	; wave barrier
	s_wait_loadcnt_dscnt 0x0
	global_inv scope:SCOPE_SE
	ds_load_b64 v[6:7], v56 offset:256
	ds_load_b64 v[4:5], v57 offset:512
	;; [unrolled: 1-line block ×3, first 2 shown]
	v_mov_b32_e32 v33, 0
	s_delay_alu instid0(VALU_DEP_1) | instskip(NEXT) | instid1(VALU_DEP_1)
	v_lshlrev_b64_e32 v[2:3], 3, v[32:33]
	v_add_co_u32 v2, vcc_lo, s18, v2
	s_wait_alu 0xfffd
	s_delay_alu instid0(VALU_DEP_2)
	v_add_co_ci_u32_e64 v3, null, s19, v3, vcc_lo
	s_and_saveexec_b32 s1, s2
	s_cbranch_execnz .LBB193_66
; %bb.56:
	s_wait_alu 0xfffe
	s_or_b32 exec_lo, exec_lo, s1
	s_and_saveexec_b32 s1, s3
	s_cbranch_execnz .LBB193_67
.LBB193_57:
	s_wait_alu 0xfffe
	s_or_b32 exec_lo, exec_lo, s1
	s_and_saveexec_b32 s1, s4
	s_cbranch_execnz .LBB193_68
.LBB193_58:
	s_wait_alu 0xfffe
	s_or_b32 exec_lo, exec_lo, s1
	s_and_saveexec_b32 s1, s0
	s_cbranch_execz .LBB193_60
.LBB193_59:
	s_mul_i32 s6, s14, 0x60
	s_mov_b32 s7, 0
	s_wait_alu 0xfffe
	s_lshl_b64 s[6:7], s[6:7], 3
	s_wait_alu 0xfffe
	v_add_co_u32 v2, vcc_lo, v2, s6
	s_wait_alu 0xfffd
	v_add_co_ci_u32_e64 v3, null, s7, v3, vcc_lo
	s_wait_dscnt 0x0
	global_store_b64 v[2:3], v[0:1], off
.LBB193_60:
	s_wait_alu 0xfffe
	s_or_b32 exec_lo, exec_lo, s1
	s_wait_storecnt 0x0
	; wave barrier
	s_wait_loadcnt_dscnt 0x0
	global_inv scope:SCOPE_SE
	ds_store_2addr_b64 v59, v[8:9], v[10:11] offset1:1
	ds_store_2addr_b64 v59, v[12:13], v[14:15] offset0:2 offset1:3
	; wave barrier
	s_wait_loadcnt_dscnt 0x0
	global_inv scope:SCOPE_SE
	ds_load_b64 v[6:7], v56 offset:256
	ds_load_b64 v[4:5], v57 offset:512
	;; [unrolled: 1-line block ×3, first 2 shown]
	v_mov_b32_e32 v35, 0
	s_delay_alu instid0(VALU_DEP_1) | instskip(NEXT) | instid1(VALU_DEP_1)
	v_lshlrev_b64_e32 v[2:3], 3, v[34:35]
	v_add_co_u32 v2, vcc_lo, s12, v2
	s_wait_alu 0xfffd
	s_delay_alu instid0(VALU_DEP_2)
	v_add_co_ci_u32_e64 v3, null, s13, v3, vcc_lo
	s_and_saveexec_b32 s1, s2
	s_cbranch_execnz .LBB193_69
; %bb.61:
	s_wait_alu 0xfffe
	s_or_b32 exec_lo, exec_lo, s1
	s_and_saveexec_b32 s1, s3
	s_cbranch_execnz .LBB193_70
.LBB193_62:
	s_wait_alu 0xfffe
	s_or_b32 exec_lo, exec_lo, s1
	s_and_saveexec_b32 s1, s4
	s_cbranch_execnz .LBB193_71
.LBB193_63:
	s_wait_alu 0xfffe
	s_or_b32 exec_lo, exec_lo, s1
	s_and_saveexec_b32 s1, s0
	s_cbranch_execz .LBB193_65
.LBB193_64:
	s_mul_i32 s0, s16, 0x60
	s_mov_b32 s1, 0
	s_wait_alu 0xfffe
	s_lshl_b64 s[0:1], s[0:1], 3
	s_wait_alu 0xfffe
	v_add_co_u32 v2, vcc_lo, v2, s0
	s_wait_alu 0xfffd
	v_add_co_ci_u32_e64 v3, null, s1, v3, vcc_lo
	s_wait_dscnt 0x0
	global_store_b64 v[2:3], v[0:1], off
.LBB193_65:
	s_endpgm
.LBB193_66:
	ds_load_b64 v[16:17], v55
	s_wait_dscnt 0x0
	global_store_b64 v[2:3], v[16:17], off
	s_wait_alu 0xfffe
	s_or_b32 exec_lo, exec_lo, s1
	s_and_saveexec_b32 s1, s3
	s_cbranch_execz .LBB193_57
.LBB193_67:
	s_lshl_b32 s6, s14, 5
	s_mov_b32 s7, 0
	s_wait_alu 0xfffe
	s_lshl_b64 s[6:7], s[6:7], 3
	s_wait_alu 0xfffe
	v_add_co_u32 v16, vcc_lo, v2, s6
	s_wait_alu 0xfffd
	v_add_co_ci_u32_e64 v17, null, s7, v3, vcc_lo
	s_wait_dscnt 0x2
	global_store_b64 v[16:17], v[6:7], off
	s_or_b32 exec_lo, exec_lo, s1
	s_and_saveexec_b32 s1, s4
	s_cbranch_execz .LBB193_58
.LBB193_68:
	s_lshl_b32 s6, s14, 6
	s_mov_b32 s7, 0
	s_wait_alu 0xfffe
	s_lshl_b64 s[6:7], s[6:7], 3
	s_wait_dscnt 0x2
	s_wait_alu 0xfffe
	v_add_co_u32 v6, vcc_lo, v2, s6
	s_wait_alu 0xfffd
	v_add_co_ci_u32_e64 v7, null, s7, v3, vcc_lo
	s_wait_dscnt 0x1
	global_store_b64 v[6:7], v[4:5], off
	s_or_b32 exec_lo, exec_lo, s1
	s_and_saveexec_b32 s1, s0
	s_cbranch_execnz .LBB193_59
	s_branch .LBB193_60
.LBB193_69:
	ds_load_b64 v[8:9], v55
	s_wait_dscnt 0x0
	global_store_b64 v[2:3], v[8:9], off
	s_wait_alu 0xfffe
	s_or_b32 exec_lo, exec_lo, s1
	s_and_saveexec_b32 s1, s3
	s_cbranch_execz .LBB193_62
.LBB193_70:
	s_lshl_b32 s2, s16, 5
	s_mov_b32 s3, 0
	s_delay_alu instid0(SALU_CYCLE_1) | instskip(NEXT) | instid1(SALU_CYCLE_1)
	s_lshl_b64 s[2:3], s[2:3], 3
	v_add_co_u32 v8, vcc_lo, v2, s2
	s_wait_alu 0xfffd
	v_add_co_ci_u32_e64 v9, null, s3, v3, vcc_lo
	s_wait_dscnt 0x2
	global_store_b64 v[8:9], v[6:7], off
	s_wait_alu 0xfffe
	s_or_b32 exec_lo, exec_lo, s1
	s_and_saveexec_b32 s1, s4
	s_cbranch_execz .LBB193_63
.LBB193_71:
	s_lshl_b32 s2, s16, 6
	s_mov_b32 s3, 0
	s_wait_alu 0xfffe
	s_lshl_b64 s[2:3], s[2:3], 3
	s_wait_dscnt 0x2
	s_wait_alu 0xfffe
	v_add_co_u32 v6, vcc_lo, v2, s2
	s_wait_alu 0xfffd
	v_add_co_ci_u32_e64 v7, null, s3, v3, vcc_lo
	s_wait_dscnt 0x1
	global_store_b64 v[6:7], v[4:5], off
	s_or_b32 exec_lo, exec_lo, s1
	s_and_saveexec_b32 s1, s0
	s_cbranch_execnz .LBB193_64
	s_branch .LBB193_65
	.section	.rodata,"a",@progbits
	.p2align	6, 0x0
	.amdhsa_kernel _ZN2at6native18radixSortKVInPlaceILin1ELin1ELi32ELi4EdljEEvNS_4cuda6detail10TensorInfoIT3_T5_EES6_S6_S6_NS4_IT4_S6_EES6_b
		.amdhsa_group_segment_fixed_size 1056
		.amdhsa_private_segment_fixed_size 0
		.amdhsa_kernarg_size 712
		.amdhsa_user_sgpr_count 2
		.amdhsa_user_sgpr_dispatch_ptr 0
		.amdhsa_user_sgpr_queue_ptr 0
		.amdhsa_user_sgpr_kernarg_segment_ptr 1
		.amdhsa_user_sgpr_dispatch_id 0
		.amdhsa_user_sgpr_private_segment_size 0
		.amdhsa_wavefront_size32 1
		.amdhsa_uses_dynamic_stack 0
		.amdhsa_enable_private_segment 0
		.amdhsa_system_sgpr_workgroup_id_x 1
		.amdhsa_system_sgpr_workgroup_id_y 1
		.amdhsa_system_sgpr_workgroup_id_z 1
		.amdhsa_system_sgpr_workgroup_info 0
		.amdhsa_system_vgpr_workitem_id 2
		.amdhsa_next_free_vgpr 81
		.amdhsa_next_free_sgpr 26
		.amdhsa_reserve_vcc 1
		.amdhsa_float_round_mode_32 0
		.amdhsa_float_round_mode_16_64 0
		.amdhsa_float_denorm_mode_32 3
		.amdhsa_float_denorm_mode_16_64 3
		.amdhsa_fp16_overflow 0
		.amdhsa_workgroup_processor_mode 1
		.amdhsa_memory_ordered 1
		.amdhsa_forward_progress 1
		.amdhsa_inst_pref_size 87
		.amdhsa_round_robin_scheduling 0
		.amdhsa_exception_fp_ieee_invalid_op 0
		.amdhsa_exception_fp_denorm_src 0
		.amdhsa_exception_fp_ieee_div_zero 0
		.amdhsa_exception_fp_ieee_overflow 0
		.amdhsa_exception_fp_ieee_underflow 0
		.amdhsa_exception_fp_ieee_inexact 0
		.amdhsa_exception_int_div_zero 0
	.end_amdhsa_kernel
	.section	.text._ZN2at6native18radixSortKVInPlaceILin1ELin1ELi32ELi4EdljEEvNS_4cuda6detail10TensorInfoIT3_T5_EES6_S6_S6_NS4_IT4_S6_EES6_b,"axG",@progbits,_ZN2at6native18radixSortKVInPlaceILin1ELin1ELi32ELi4EdljEEvNS_4cuda6detail10TensorInfoIT3_T5_EES6_S6_S6_NS4_IT4_S6_EES6_b,comdat
.Lfunc_end193:
	.size	_ZN2at6native18radixSortKVInPlaceILin1ELin1ELi32ELi4EdljEEvNS_4cuda6detail10TensorInfoIT3_T5_EES6_S6_S6_NS4_IT4_S6_EES6_b, .Lfunc_end193-_ZN2at6native18radixSortKVInPlaceILin1ELin1ELi32ELi4EdljEEvNS_4cuda6detail10TensorInfoIT3_T5_EES6_S6_S6_NS4_IT4_S6_EES6_b
                                        ; -- End function
	.set _ZN2at6native18radixSortKVInPlaceILin1ELin1ELi32ELi4EdljEEvNS_4cuda6detail10TensorInfoIT3_T5_EES6_S6_S6_NS4_IT4_S6_EES6_b.num_vgpr, 81
	.set _ZN2at6native18radixSortKVInPlaceILin1ELin1ELi32ELi4EdljEEvNS_4cuda6detail10TensorInfoIT3_T5_EES6_S6_S6_NS4_IT4_S6_EES6_b.num_agpr, 0
	.set _ZN2at6native18radixSortKVInPlaceILin1ELin1ELi32ELi4EdljEEvNS_4cuda6detail10TensorInfoIT3_T5_EES6_S6_S6_NS4_IT4_S6_EES6_b.numbered_sgpr, 26
	.set _ZN2at6native18radixSortKVInPlaceILin1ELin1ELi32ELi4EdljEEvNS_4cuda6detail10TensorInfoIT3_T5_EES6_S6_S6_NS4_IT4_S6_EES6_b.num_named_barrier, 0
	.set _ZN2at6native18radixSortKVInPlaceILin1ELin1ELi32ELi4EdljEEvNS_4cuda6detail10TensorInfoIT3_T5_EES6_S6_S6_NS4_IT4_S6_EES6_b.private_seg_size, 0
	.set _ZN2at6native18radixSortKVInPlaceILin1ELin1ELi32ELi4EdljEEvNS_4cuda6detail10TensorInfoIT3_T5_EES6_S6_S6_NS4_IT4_S6_EES6_b.uses_vcc, 1
	.set _ZN2at6native18radixSortKVInPlaceILin1ELin1ELi32ELi4EdljEEvNS_4cuda6detail10TensorInfoIT3_T5_EES6_S6_S6_NS4_IT4_S6_EES6_b.uses_flat_scratch, 0
	.set _ZN2at6native18radixSortKVInPlaceILin1ELin1ELi32ELi4EdljEEvNS_4cuda6detail10TensorInfoIT3_T5_EES6_S6_S6_NS4_IT4_S6_EES6_b.has_dyn_sized_stack, 0
	.set _ZN2at6native18radixSortKVInPlaceILin1ELin1ELi32ELi4EdljEEvNS_4cuda6detail10TensorInfoIT3_T5_EES6_S6_S6_NS4_IT4_S6_EES6_b.has_recursion, 0
	.set _ZN2at6native18radixSortKVInPlaceILin1ELin1ELi32ELi4EdljEEvNS_4cuda6detail10TensorInfoIT3_T5_EES6_S6_S6_NS4_IT4_S6_EES6_b.has_indirect_call, 0
	.section	.AMDGPU.csdata,"",@progbits
; Kernel info:
; codeLenInByte = 11028
; TotalNumSgprs: 28
; NumVgprs: 81
; ScratchSize: 0
; MemoryBound: 0
; FloatMode: 240
; IeeeMode: 1
; LDSByteSize: 1056 bytes/workgroup (compile time only)
; SGPRBlocks: 0
; VGPRBlocks: 10
; NumSGPRsForWavesPerEU: 28
; NumVGPRsForWavesPerEU: 81
; Occupancy: 16
; WaveLimiterHint : 1
; COMPUTE_PGM_RSRC2:SCRATCH_EN: 0
; COMPUTE_PGM_RSRC2:USER_SGPR: 2
; COMPUTE_PGM_RSRC2:TRAP_HANDLER: 0
; COMPUTE_PGM_RSRC2:TGID_X_EN: 1
; COMPUTE_PGM_RSRC2:TGID_Y_EN: 1
; COMPUTE_PGM_RSRC2:TGID_Z_EN: 1
; COMPUTE_PGM_RSRC2:TIDIG_COMP_CNT: 2
	.section	.text._ZN2at6native18radixSortKVInPlaceILin1ELin1ELi16ELi2EdljEEvNS_4cuda6detail10TensorInfoIT3_T5_EES6_S6_S6_NS4_IT4_S6_EES6_b,"axG",@progbits,_ZN2at6native18radixSortKVInPlaceILin1ELin1ELi16ELi2EdljEEvNS_4cuda6detail10TensorInfoIT3_T5_EES6_S6_S6_NS4_IT4_S6_EES6_b,comdat
	.protected	_ZN2at6native18radixSortKVInPlaceILin1ELin1ELi16ELi2EdljEEvNS_4cuda6detail10TensorInfoIT3_T5_EES6_S6_S6_NS4_IT4_S6_EES6_b ; -- Begin function _ZN2at6native18radixSortKVInPlaceILin1ELin1ELi16ELi2EdljEEvNS_4cuda6detail10TensorInfoIT3_T5_EES6_S6_S6_NS4_IT4_S6_EES6_b
	.globl	_ZN2at6native18radixSortKVInPlaceILin1ELin1ELi16ELi2EdljEEvNS_4cuda6detail10TensorInfoIT3_T5_EES6_S6_S6_NS4_IT4_S6_EES6_b
	.p2align	8
	.type	_ZN2at6native18radixSortKVInPlaceILin1ELin1ELi16ELi2EdljEEvNS_4cuda6detail10TensorInfoIT3_T5_EES6_S6_S6_NS4_IT4_S6_EES6_b,@function
_ZN2at6native18radixSortKVInPlaceILin1ELin1ELi16ELi2EdljEEvNS_4cuda6detail10TensorInfoIT3_T5_EES6_S6_S6_NS4_IT4_S6_EES6_b: ; @_ZN2at6native18radixSortKVInPlaceILin1ELin1ELi16ELi2EdljEEvNS_4cuda6detail10TensorInfoIT3_T5_EES6_S6_S6_NS4_IT4_S6_EES6_b
; %bb.0:
	s_clause 0x1
	s_load_b64 s[2:3], s[0:1], 0x1c8
	s_load_b96 s[16:18], s[0:1], 0xd8
	s_lshr_b32 s4, ttmp7, 16
	s_wait_kmcnt 0x0
	s_mul_i32 s3, s3, s4
	s_and_b32 s4, ttmp7, 0xffff
	s_delay_alu instid0(SALU_CYCLE_1) | instskip(NEXT) | instid1(SALU_CYCLE_1)
	s_add_co_i32 s3, s3, s4
	s_mul_i32 s2, s3, s2
	s_delay_alu instid0(SALU_CYCLE_1) | instskip(NEXT) | instid1(SALU_CYCLE_1)
	s_add_co_i32 s8, s2, ttmp9
	s_cmp_ge_u32 s8, s16
	s_cbranch_scc1 .LBB194_57
; %bb.1:
	s_load_b32 s2, s[0:1], 0xd0
	s_mov_b32 s5, 0
	s_mov_b32 s4, s8
	s_wait_kmcnt 0x0
	s_cmp_lt_i32 s2, 2
	s_cbranch_scc1 .LBB194_4
; %bb.2:
	s_add_co_i32 s4, s2, -1
	s_delay_alu instid0(SALU_CYCLE_1)
	s_lshl_b64 s[6:7], s[4:5], 2
	s_mov_b32 s4, s8
	s_add_nc_u64 s[10:11], s[0:1], s[6:7]
	s_add_co_i32 s6, s2, 1
	s_add_nc_u64 s[2:3], s[10:11], 8
.LBB194_3:                              ; =>This Inner Loop Header: Depth=1
	s_clause 0x1
	s_load_b32 s7, s[2:3], 0x0
	s_load_b32 s9, s[2:3], 0x64
	s_mov_b32 s12, s4
	s_add_nc_u64 s[2:3], s[2:3], -4
	s_wait_kmcnt 0x0
	s_cvt_f32_u32 s10, s7
	s_sub_co_i32 s11, 0, s7
	s_wait_alu 0xfffe
	s_delay_alu instid0(SALU_CYCLE_1) | instskip(NEXT) | instid1(TRANS32_DEP_1)
	v_rcp_iflag_f32_e32 v1, s10
	v_readfirstlane_b32 s10, v1
	s_mul_f32 s10, s10, 0x4f7ffffe
	s_wait_alu 0xfffe
	s_delay_alu instid0(SALU_CYCLE_2) | instskip(SKIP_1) | instid1(SALU_CYCLE_2)
	s_cvt_u32_f32 s10, s10
	s_wait_alu 0xfffe
	s_mul_i32 s11, s11, s10
	s_wait_alu 0xfffe
	s_mul_hi_u32 s11, s10, s11
	s_wait_alu 0xfffe
	s_add_co_i32 s10, s10, s11
	s_wait_alu 0xfffe
	s_mul_hi_u32 s4, s4, s10
	s_delay_alu instid0(SALU_CYCLE_1)
	s_mul_i32 s10, s4, s7
	s_add_co_i32 s11, s4, 1
	s_wait_alu 0xfffe
	s_sub_co_i32 s10, s12, s10
	s_wait_alu 0xfffe
	s_sub_co_i32 s13, s10, s7
	s_cmp_ge_u32 s10, s7
	s_cselect_b32 s4, s11, s4
	s_cselect_b32 s10, s13, s10
	s_add_co_i32 s11, s4, 1
	s_wait_alu 0xfffe
	s_cmp_ge_u32 s10, s7
	s_cselect_b32 s4, s11, s4
	s_add_co_i32 s6, s6, -1
	s_mul_i32 s7, s4, s7
	s_delay_alu instid0(SALU_CYCLE_1) | instskip(NEXT) | instid1(SALU_CYCLE_1)
	s_sub_co_i32 s7, s12, s7
	s_mul_i32 s7, s9, s7
	s_delay_alu instid0(SALU_CYCLE_1)
	s_add_co_i32 s5, s7, s5
	s_cmp_gt_u32 s6, 2
	s_cbranch_scc1 .LBB194_3
.LBB194_4:
	s_load_b32 s6, s[0:1], 0x1b8
	s_mov_b32 s3, 0
	s_wait_kmcnt 0x0
	s_cmp_lt_i32 s6, 2
	s_cbranch_scc1 .LBB194_7
; %bb.5:
	s_add_co_i32 s2, s6, -1
	s_delay_alu instid0(SALU_CYCLE_1)
	s_lshl_b64 s[10:11], s[2:3], 2
	s_add_co_i32 s2, s6, 1
	s_wait_alu 0xfffe
	s_add_nc_u64 s[10:11], s[0:1], s[10:11]
	s_wait_alu 0xfffe
	s_add_nc_u64 s[6:7], s[10:11], 0xf0
.LBB194_6:                              ; =>This Inner Loop Header: Depth=1
	s_clause 0x1
	s_load_b32 s9, s[6:7], 0x0
	s_load_b32 s10, s[6:7], 0x64
	s_mov_b32 s13, s8
	s_add_nc_u64 s[6:7], s[6:7], -4
	s_wait_kmcnt 0x0
	s_cvt_f32_u32 s11, s9
	s_sub_co_i32 s12, 0, s9
	s_wait_alu 0xfffe
	s_delay_alu instid0(SALU_CYCLE_1) | instskip(NEXT) | instid1(TRANS32_DEP_1)
	v_rcp_iflag_f32_e32 v1, s11
	v_readfirstlane_b32 s11, v1
	s_mul_f32 s11, s11, 0x4f7ffffe
	s_wait_alu 0xfffe
	s_delay_alu instid0(SALU_CYCLE_2) | instskip(SKIP_1) | instid1(SALU_CYCLE_2)
	s_cvt_u32_f32 s11, s11
	s_wait_alu 0xfffe
	s_mul_i32 s12, s12, s11
	s_delay_alu instid0(SALU_CYCLE_1) | instskip(NEXT) | instid1(SALU_CYCLE_1)
	s_mul_hi_u32 s12, s11, s12
	s_add_co_i32 s11, s11, s12
	s_wait_alu 0xfffe
	s_mul_hi_u32 s8, s8, s11
	s_delay_alu instid0(SALU_CYCLE_1)
	s_mul_i32 s11, s8, s9
	s_add_co_i32 s12, s8, 1
	s_wait_alu 0xfffe
	s_sub_co_i32 s11, s13, s11
	s_wait_alu 0xfffe
	s_sub_co_i32 s14, s11, s9
	s_cmp_ge_u32 s11, s9
	s_cselect_b32 s8, s12, s8
	s_cselect_b32 s11, s14, s11
	s_add_co_i32 s12, s8, 1
	s_wait_alu 0xfffe
	s_cmp_ge_u32 s11, s9
	s_cselect_b32 s8, s12, s8
	s_add_co_i32 s2, s2, -1
	s_mul_i32 s9, s8, s9
	s_delay_alu instid0(SALU_CYCLE_1) | instskip(NEXT) | instid1(SALU_CYCLE_1)
	s_sub_co_i32 s9, s13, s9
	s_mul_i32 s9, s10, s9
	s_delay_alu instid0(SALU_CYCLE_1)
	s_add_co_i32 s3, s9, s3
	s_cmp_gt_u32 s2, 2
	s_cbranch_scc1 .LBB194_6
.LBB194_7:
	s_clause 0x2
	s_load_b32 s2, s[0:1], 0x6c
	s_load_b64 s[20:21], s[0:1], 0x1c0
	s_load_b64 s[10:11], s[0:1], 0x0
	s_mov_b32 s7, 0
	v_mul_lo_u32 v20, s18, v0
	s_wait_kmcnt 0x0
	s_mul_i32 s2, s2, s4
	s_mov_b32 s4, -1
	s_add_co_i32 s6, s2, s5
	s_bitcmp1_b32 s21, 0
	s_cselect_b32 s9, -1, 0
	s_lshl_b64 s[12:13], s[6:7], 3
	s_and_b32 s2, s9, exec_lo
	s_cselect_b32 s5, -1, 0x7fffffff
	s_mov_b32 s6, s4
	s_mov_b32 s7, s5
	v_dual_mov_b32 v1, s4 :: v_dual_mov_b32 v2, s5
	v_cmp_gt_u32_e64 s2, s17, v0
	v_dual_mov_b32 v3, s6 :: v_dual_mov_b32 v4, s7
	v_dual_mov_b32 v6, s5 :: v_dual_mov_b32 v5, s4
	s_add_nc_u64 s[22:23], s[10:11], s[12:13]
	s_and_saveexec_b32 s10, s2
	s_cbranch_execz .LBB194_9
; %bb.8:
	v_mov_b32_e32 v21, 0
	s_delay_alu instid0(VALU_DEP_1) | instskip(NEXT) | instid1(VALU_DEP_1)
	v_lshlrev_b64_e32 v[1:2], 3, v[20:21]
	v_add_co_u32 v1, vcc_lo, s22, v1
	s_delay_alu instid0(VALU_DEP_1)
	v_add_co_ci_u32_e64 v2, null, s23, v2, vcc_lo
	global_load_b64 v[5:6], v[1:2], off
	v_dual_mov_b32 v1, s4 :: v_dual_mov_b32 v4, s7
	v_dual_mov_b32 v3, s6 :: v_dual_mov_b32 v2, s5
.LBB194_9:
	s_wait_alu 0xfffe
	s_or_b32 exec_lo, exec_lo, s10
	s_clause 0x1
	s_load_b32 s6, s[0:1], 0x154
	s_load_b64 s[4:5], s[0:1], 0xe8
	v_or_b32_e32 v7, 16, v0
	s_delay_alu instid0(VALU_DEP_1)
	v_cmp_gt_u32_e64 s0, s17, v7
	s_and_saveexec_b32 s1, s0
	s_cbranch_execz .LBB194_11
; %bb.10:
	v_mul_lo_u32 v1, s18, v7
	v_mov_b32_e32 v2, 0
	s_delay_alu instid0(VALU_DEP_1) | instskip(NEXT) | instid1(VALU_DEP_1)
	v_lshlrev_b64_e32 v[1:2], 3, v[1:2]
	v_add_co_u32 v1, vcc_lo, s22, v1
	s_wait_alu 0xfffd
	s_delay_alu instid0(VALU_DEP_2)
	v_add_co_ci_u32_e64 v2, null, s23, v2, vcc_lo
	global_load_b64 v[3:4], v[1:2], off
.LBB194_11:
	s_or_b32 exec_lo, exec_lo, s1
	v_dual_mov_b32 v18, 0 :: v_dual_lshlrev_b32 v29, 3, v0
	v_lshlrev_b32_e32 v30, 4, v0
	s_wait_kmcnt 0x0
	s_mul_i32 s1, s6, s8
	v_mul_lo_u32 v17, s20, v0
	s_wait_loadcnt 0x0
	ds_store_2addr_b64 v29, v[5:6], v[3:4] offset1:16
	s_wait_dscnt 0x0
	; wave barrier
	global_inv scope:SCOPE_SE
	v_mov_b32_e32 v5, 0
	ds_load_2addr_b64 v[1:4], v30 offset1:1
	s_add_co_i32 s6, s1, s3
	s_mov_b32 s7, 0
	v_dual_mov_b32 v6, 0 :: v_dual_mov_b32 v19, v18
	s_wait_alu 0xfffe
	s_lshl_b64 s[6:7], s[6:7], 3
	s_wait_loadcnt_dscnt 0x0
	s_wait_alu 0xfffe
	s_add_nc_u64 s[16:17], s[4:5], s[6:7]
	; wave barrier
	global_inv scope:SCOPE_SE
	s_and_saveexec_b32 s1, s2
	s_cbranch_execz .LBB194_13
; %bb.12:
	v_lshlrev_b64_e32 v[5:6], 3, v[17:18]
	v_mov_b32_e32 v19, v18
	s_wait_alu 0xfffe
	s_delay_alu instid0(VALU_DEP_2) | instskip(SKIP_1) | instid1(VALU_DEP_3)
	v_add_co_u32 v5, vcc_lo, s16, v5
	s_wait_alu 0xfffd
	v_add_co_ci_u32_e64 v6, null, s17, v6, vcc_lo
	global_load_b64 v[5:6], v[5:6], off
.LBB194_13:
	s_or_b32 exec_lo, exec_lo, s1
	s_xor_b32 s8, s9, -1
	s_and_saveexec_b32 s1, s0
	s_cbranch_execz .LBB194_15
; %bb.14:
	v_mul_lo_u32 v7, s20, v7
	v_mov_b32_e32 v8, 0
	s_delay_alu instid0(VALU_DEP_1) | instskip(SKIP_1) | instid1(VALU_DEP_1)
	v_lshlrev_b64_e32 v[7:8], 3, v[7:8]
	s_wait_alu 0xfffe
	v_add_co_u32 v7, vcc_lo, s16, v7
	s_wait_alu 0xfffd
	s_delay_alu instid0(VALU_DEP_2)
	v_add_co_ci_u32_e64 v8, null, s17, v8, vcc_lo
	global_load_b64 v[18:19], v[7:8], off
.LBB194_15:
	s_or_b32 exec_lo, exec_lo, s1
	v_mbcnt_lo_u32_b32 v9, -1, 0
	s_getpc_b64 s[4:5]
	s_wait_alu 0xfffe
	s_sext_i32_i16 s5, s5
	s_add_co_u32 s4, s4, _ZN7rocprim17ROCPRIM_400000_NS16block_radix_sortIdLj16ELj2ElLj1ELj1ELj0ELNS0_26block_radix_rank_algorithmE1ELNS0_18block_padding_hintE2ELNS0_4arch9wavefront6targetE0EE19radix_bits_per_passE@rel32@lo+12
	s_wait_alu 0xfffe
	s_add_co_ci_u32 s5, s5, _ZN7rocprim17ROCPRIM_400000_NS16block_radix_sortIdLj16ELj2ElLj1ELj1ELj0ELNS0_26block_radix_rank_algorithmE1ELNS0_18block_padding_hintE2ELNS0_4arch9wavefront6targetE0EE19radix_bits_per_passE@rel32@hi+24
	s_wait_loadcnt 0x0
	ds_store_2addr_b64 v29, v[5:6], v[18:19] offset1:16
	s_wait_dscnt 0x0
	; wave barrier
	global_inv scope:SCOPE_SE
	ds_load_2addr_b64 v[5:8], v30 offset1:1
	v_sub_co_u32 v11, s15, v9, 1
	v_and_b32_e32 v12, 16, v9
	s_load_b32 s19, s[4:5], 0x0
	v_and_b32_e32 v10, 15, v9
	v_cmp_gt_u32_e64 s1, 0x80, v0
	v_cmp_eq_u32_e64 s7, 15, v0
	v_cmp_lt_i32_e32 vcc_lo, v11, v12
	v_lshlrev_b32_e32 v32, 5, v0
	v_cmp_eq_u32_e64 s3, 0, v10
	v_cmp_lt_u32_e64 s4, 1, v10
	v_cmp_lt_u32_e64 s5, 3, v10
	s_wait_alu 0xfffd
	v_cndmask_b32_e32 v9, v11, v9, vcc_lo
	v_cmp_lt_u32_e64 s6, 7, v10
	v_sub_nc_u32_e32 v31, v32, v30
	s_and_b32 vcc_lo, exec_lo, s8
	v_ashrrev_i32_e32 v35, 31, v2
	v_lshlrev_b32_e32 v33, 2, v9
	v_ashrrev_i32_e32 v34, 31, v4
	v_cmp_gt_u32_e64 s8, 0x70, v0
	v_cmp_gt_u32_e64 s9, 0x60, v0
	;; [unrolled: 1-line block ×7, first 2 shown]
	s_mov_b32 s21, -1
	; wave barrier
	s_wait_loadcnt_dscnt 0x0
	global_inv scope:SCOPE_SE
	s_wait_alu 0xfffe
	s_cbranch_vccz .LBB194_31
; %bb.16:
	v_cmp_lt_i64_e32 vcc_lo, -1, v[1:2]
	v_dual_mov_b32 v23, 0 :: v_dual_lshlrev_b32 v36, 2, v0
	v_xor_b32_e32 v9, v35, v1
	v_dual_mov_b32 v24, 0 :: v_dual_mov_b32 v37, 0
	s_wait_alu 0xfffd
	v_cndmask_b32_e64 v10, -1, 0x80000000, vcc_lo
	v_cmp_lt_i64_e32 vcc_lo, -1, v[3:4]
	v_dual_mov_b32 v14, v6 :: v_dual_mov_b32 v13, v5
	v_dual_mov_b32 v16, v8 :: v_dual_mov_b32 v15, v7
	s_delay_alu instid0(VALU_DEP_4)
	v_xor_b32_e32 v10, v10, v2
	s_wait_alu 0xfffd
	v_cndmask_b32_e64 v11, -1, 0x80000000, vcc_lo
	s_mov_b32 s24, -1
	s_brev_b32 s25, -2
	s_mov_b32 s21, 64
	s_delay_alu instid0(VALU_DEP_1)
	v_xor_b32_e32 v12, v11, v4
	v_xor_b32_e32 v11, v34, v3
	s_branch .LBB194_18
.LBB194_17:                             ;   in Loop: Header=BB194_18 Depth=1
	s_wait_alu 0xfffe
	s_and_not1_b32 vcc_lo, exec_lo, s26
	s_wait_alu 0xfffe
	s_cbranch_vccz .LBB194_32
.LBB194_18:                             ; =>This Inner Loop Header: Depth=1
	s_delay_alu instid0(VALU_DEP_1)
	v_dual_mov_b32 v26, v12 :: v_dual_mov_b32 v25, v11
	v_dual_mov_b32 v28, v10 :: v_dual_mov_b32 v27, v9
	;; [unrolled: 1-line block ×4, first 2 shown]
	s_and_saveexec_b32 s26, s1
	s_cbranch_execz .LBB194_27
; %bb.19:                               ;   in Loop: Header=BB194_18 Depth=1
	ds_store_b32 v36, v37
	s_and_b32 exec_lo, exec_lo, s8
	s_cbranch_execz .LBB194_27
; %bb.20:                               ;   in Loop: Header=BB194_18 Depth=1
	ds_store_b32 v36, v37 offset:64
	s_and_b32 exec_lo, exec_lo, s9
	s_cbranch_execz .LBB194_27
; %bb.21:                               ;   in Loop: Header=BB194_18 Depth=1
	ds_store_b32 v36, v37 offset:128
	;; [unrolled: 4-line block ×6, first 2 shown]
	s_and_b32 exec_lo, exec_lo, s14
; %bb.26:                               ;   in Loop: Header=BB194_18 Depth=1
	ds_store_b32 v36, v37 offset:448
.LBB194_27:                             ;   in Loop: Header=BB194_18 Depth=1
	s_wait_alu 0xfffe
	s_or_b32 exec_lo, exec_lo, s26
	v_cmp_ne_u64_e32 vcc_lo, s[24:25], v[27:28]
	s_wait_kmcnt 0x0
	s_min_u32 s26, s19, s21
	s_wait_alu 0xfffe
	s_lshl_b32 s26, -1, s26
	s_wait_alu 0xfffe
	s_not_b32 s26, s26
	s_wait_alu 0xfffd
	v_cndmask_b32_e32 v10, 0x80000000, v28, vcc_lo
	v_cndmask_b32_e32 v9, 0, v27, vcc_lo
	v_cmp_ne_u64_e32 vcc_lo, s[24:25], v[25:26]
	s_delay_alu instid0(VALU_DEP_2) | instskip(SKIP_1) | instid1(VALU_DEP_1)
	v_lshrrev_b64 v[9:10], v23, v[9:10]
	s_wait_alu 0xfffe
	v_and_b32_e32 v9, s26, v9
	s_delay_alu instid0(VALU_DEP_1) | instskip(SKIP_1) | instid1(VALU_DEP_2)
	v_lshlrev_b32_e32 v10, 4, v9
	v_lshrrev_b32_e32 v9, 2, v9
	v_and_or_b32 v11, 0x70, v10, v0
	s_delay_alu instid0(VALU_DEP_2) | instskip(SKIP_3) | instid1(VALU_DEP_3)
	v_and_b32_e32 v12, 0x1ffffffe, v9
	s_wait_alu 0xfffd
	v_cndmask_b32_e32 v10, 0x80000000, v26, vcc_lo
	v_cndmask_b32_e32 v9, 0, v25, vcc_lo
	v_lshl_add_u32 v38, v11, 2, v12
	s_delay_alu instid0(VALU_DEP_2) | instskip(SKIP_2) | instid1(VALU_DEP_1)
	v_lshrrev_b64 v[9:10], v23, v[9:10]
	ds_load_u16 v39, v38
	v_and_b32_e32 v9, s26, v9
	v_lshlrev_b32_e32 v10, 4, v9
	v_lshrrev_b32_e32 v9, 2, v9
	s_delay_alu instid0(VALU_DEP_2) | instskip(NEXT) | instid1(VALU_DEP_2)
	v_and_or_b32 v10, 0x70, v10, v0
	v_and_b32_e32 v9, 0x1ffffffe, v9
	s_delay_alu instid0(VALU_DEP_1)
	v_lshl_add_u32 v40, v10, 2, v9
	s_wait_dscnt 0x0
	v_add_nc_u16 v11, v39, 1
	ds_store_b16 v38, v11
	ds_load_u16 v41, v40
	s_wait_dscnt 0x0
	v_add_nc_u16 v9, v41, 1
	ds_store_b16 v40, v9
	; wave barrier
	s_wait_loadcnt_dscnt 0x0
	global_inv scope:SCOPE_SE
	ds_load_b128 v[13:16], v32
	ds_load_b128 v[9:12], v32 offset:16
	s_wait_dscnt 0x1
	v_add_nc_u32_e32 v42, v14, v13
	s_delay_alu instid0(VALU_DEP_1) | instskip(SKIP_1) | instid1(VALU_DEP_1)
	v_add3_u32 v42, v42, v15, v16
	s_wait_dscnt 0x0
	v_add3_u32 v42, v42, v9, v10
	s_delay_alu instid0(VALU_DEP_1) | instskip(NEXT) | instid1(VALU_DEP_1)
	v_add3_u32 v12, v42, v11, v12
	v_mov_b32_dpp v42, v12 row_shr:1 row_mask:0xf bank_mask:0xf
	s_delay_alu instid0(VALU_DEP_1) | instskip(NEXT) | instid1(VALU_DEP_1)
	v_cndmask_b32_e64 v42, v42, 0, s3
	v_add_nc_u32_e32 v12, v42, v12
	s_delay_alu instid0(VALU_DEP_1) | instskip(NEXT) | instid1(VALU_DEP_1)
	v_mov_b32_dpp v42, v12 row_shr:2 row_mask:0xf bank_mask:0xf
	v_cndmask_b32_e64 v42, 0, v42, s4
	s_delay_alu instid0(VALU_DEP_1) | instskip(NEXT) | instid1(VALU_DEP_1)
	v_add_nc_u32_e32 v12, v12, v42
	v_mov_b32_dpp v42, v12 row_shr:4 row_mask:0xf bank_mask:0xf
	s_delay_alu instid0(VALU_DEP_1) | instskip(NEXT) | instid1(VALU_DEP_1)
	v_cndmask_b32_e64 v42, 0, v42, s5
	v_add_nc_u32_e32 v12, v12, v42
	s_delay_alu instid0(VALU_DEP_1) | instskip(NEXT) | instid1(VALU_DEP_1)
	v_mov_b32_dpp v42, v12 row_shr:8 row_mask:0xf bank_mask:0xf
	v_cndmask_b32_e64 v42, 0, v42, s6
	s_delay_alu instid0(VALU_DEP_1)
	v_add_nc_u32_e32 v12, v12, v42
	s_and_saveexec_b32 s26, s7
; %bb.28:                               ;   in Loop: Header=BB194_18 Depth=1
	ds_store_b32 v37, v12 offset:512
; %bb.29:                               ;   in Loop: Header=BB194_18 Depth=1
	s_wait_alu 0xfffe
	s_or_b32 exec_lo, exec_lo, s26
	ds_bpermute_b32 v12, v33, v12
	; wave barrier
	s_wait_loadcnt_dscnt 0x0
	global_inv scope:SCOPE_SE
	ds_load_b32 v42, v37 offset:512
	v_cmp_lt_u32_e32 vcc_lo, 59, v23
	s_mov_b32 s26, -1
	s_and_b32 vcc_lo, exec_lo, vcc_lo
	v_cndmask_b32_e64 v12, v12, 0, s15
	s_wait_dscnt 0x0
	s_delay_alu instid0(VALU_DEP_1) | instskip(NEXT) | instid1(VALU_DEP_1)
	v_lshl_add_u32 v12, v42, 16, v12
	v_add_nc_u32_e32 v13, v12, v13
	s_delay_alu instid0(VALU_DEP_1) | instskip(NEXT) | instid1(VALU_DEP_1)
	v_add_nc_u32_e32 v14, v13, v14
	v_add_nc_u32_e32 v15, v14, v15
	s_delay_alu instid0(VALU_DEP_1) | instskip(NEXT) | instid1(VALU_DEP_1)
	v_add_nc_u32_e32 v42, v15, v16
	;; [unrolled: 3-line block ×3, first 2 shown]
	v_add_nc_u32_e32 v45, v44, v11
	v_and_b32_e32 v11, 0xffff, v39
	ds_store_b128 v32, v[12:15]
	ds_store_b128 v32, v[42:45] offset:16
	; wave barrier
	s_wait_loadcnt_dscnt 0x0
	global_inv scope:SCOPE_SE
	ds_load_u16 v9, v38
	ds_load_u16 v10, v40
	v_and_b32_e32 v12, 0xffff, v41
                                        ; implicit-def: $vgpr15_vgpr16
	s_wait_dscnt 0x1
	v_add_nc_u32_e32 v39, v9, v11
	s_wait_dscnt 0x0
	s_delay_alu instid0(VALU_DEP_2)
	v_add_nc_u32_e32 v38, v10, v12
                                        ; implicit-def: $vgpr11_vgpr12
	s_wait_alu 0xfffe
	s_cbranch_vccnz .LBB194_17
; %bb.30:                               ;   in Loop: Header=BB194_18 Depth=1
	v_lshlrev_b32_e32 v13, 3, v39
	s_delay_alu instid0(VALU_DEP_2)
	v_lshlrev_b32_e32 v14, 3, v38
	s_wait_loadcnt 0x0
	; wave barrier
	global_inv scope:SCOPE_SE
	v_add_co_u32 v23, vcc_lo, v23, 4
	ds_store_b64 v13, v[27:28]
	ds_store_b64 v14, v[25:26]
	; wave barrier
	s_wait_loadcnt_dscnt 0x0
	global_inv scope:SCOPE_SE
	ds_load_b128 v[9:12], v31
	; wave barrier
	s_wait_loadcnt_dscnt 0x0
	global_inv scope:SCOPE_SE
	ds_store_b64 v13, v[21:22]
	ds_store_b64 v14, v[18:19]
	; wave barrier
	s_wait_loadcnt_dscnt 0x0
	global_inv scope:SCOPE_SE
	ds_load_b128 v[13:16], v31
	s_wait_alu 0xfffd
	v_add_co_ci_u32_e64 v24, null, 0, v24, vcc_lo
	s_add_co_i32 s21, s21, -4
	s_mov_b32 s26, 0
	; wave barrier
	s_wait_loadcnt_dscnt 0x0
	global_inv scope:SCOPE_SE
	s_branch .LBB194_17
.LBB194_31:
                                        ; implicit-def: $vgpr11_vgpr12
                                        ; implicit-def: $vgpr13_vgpr14_vgpr15_vgpr16
	s_and_b32 vcc_lo, exec_lo, s21
	s_wait_alu 0xfffe
	s_cbranch_vccnz .LBB194_33
	s_branch .LBB194_49
.LBB194_32:
	v_lshlrev_b32_e32 v9, 3, v39
	v_lshlrev_b32_e32 v10, 3, v38
	s_wait_loadcnt 0x0
	; wave barrier
	global_inv scope:SCOPE_SE
	ds_store_b64 v9, v[27:28]
	ds_store_b64 v10, v[25:26]
	; wave barrier
	s_wait_loadcnt_dscnt 0x0
	global_inv scope:SCOPE_SE
	ds_load_b128 v[13:16], v31
	; wave barrier
	s_wait_loadcnt_dscnt 0x0
	global_inv scope:SCOPE_SE
	ds_store_b64 v9, v[21:22]
	ds_store_b64 v10, v[18:19]
	; wave barrier
	s_wait_loadcnt_dscnt 0x0
	global_inv scope:SCOPE_SE
	ds_load_b128 v[9:12], v31
	v_cmp_lt_i64_e32 vcc_lo, -1, v[13:14]
	v_ashrrev_i32_e32 v18, 31, v14
	v_ashrrev_i32_e32 v19, 31, v16
	s_wait_alu 0xfffd
	v_cndmask_b32_e64 v21, 0x80000000, -1, vcc_lo
	v_cmp_lt_i64_e32 vcc_lo, -1, v[15:16]
	v_not_b32_e32 v18, v18
	v_not_b32_e32 v19, v19
	s_delay_alu instid0(VALU_DEP_4) | instskip(SKIP_4) | instid1(VALU_DEP_3)
	v_xor_b32_e32 v14, v21, v14
	s_wait_alu 0xfffd
	v_cndmask_b32_e64 v22, 0x80000000, -1, vcc_lo
	v_xor_b32_e32 v13, v18, v13
	v_xor_b32_e32 v15, v19, v15
	;; [unrolled: 1-line block ×3, first 2 shown]
	s_branch .LBB194_49
.LBB194_33:
	v_cmp_gt_i64_e32 vcc_lo, 0, v[1:2]
	s_wait_dscnt 0x0
	v_not_b32_e32 v10, v35
	v_not_b32_e32 v12, v34
	v_dual_mov_b32 v13, 0 :: v_dual_mov_b32 v22, 0
	v_cmp_gt_u32_e64 s8, 0x70, v0
	s_wait_alu 0xfffd
	v_cndmask_b32_e64 v9, 0x7fffffff, 0, vcc_lo
	v_cmp_gt_i64_e32 vcc_lo, 0, v[3:4]
	v_xor_b32_e32 v1, v10, v1
	v_xor_b32_e32 v3, v12, v3
	v_cmp_gt_u32_e64 s9, 0x60, v0
	v_xor_b32_e32 v2, v9, v2
	v_mul_i32_i24_e32 v9, -12, v0
	s_wait_alu 0xfffd
	v_cndmask_b32_e64 v11, 0x7fffffff, 0, vcc_lo
	v_cmp_gt_u32_e64 s10, 0x50, v0
	v_cmp_gt_u32_e64 s11, 64, v0
	v_cmp_gt_u32_e64 s12, 48, v0
	v_cmp_gt_u32_e64 s13, 32, v0
	v_xor_b32_e32 v4, v11, v4
	v_cmp_gt_u32_e64 s14, 16, v0
	v_dual_mov_b32 v14, 0 :: v_dual_add_nc_u32 v21, v31, v9
	s_mov_b32 s24, 0
	s_brev_b32 s25, 1
	s_mov_b32 s21, 64
	s_branch .LBB194_35
.LBB194_34:                             ;   in Loop: Header=BB194_35 Depth=1
	s_wait_alu 0xfffe
	s_and_not1_b32 vcc_lo, exec_lo, s26
	s_wait_alu 0xfffe
	s_cbranch_vccz .LBB194_48
.LBB194_35:                             ; =>This Inner Loop Header: Depth=1
	v_dual_mov_b32 v16, v4 :: v_dual_mov_b32 v15, v3
	v_dual_mov_b32 v19, v2 :: v_dual_mov_b32 v18, v1
	;; [unrolled: 1-line block ×4, first 2 shown]
	s_and_saveexec_b32 s26, s1
	s_cbranch_execz .LBB194_44
; %bb.36:                               ;   in Loop: Header=BB194_35 Depth=1
	ds_store_b32 v21, v22
	s_and_b32 exec_lo, exec_lo, s8
	s_cbranch_execz .LBB194_44
; %bb.37:                               ;   in Loop: Header=BB194_35 Depth=1
	ds_store_b32 v21, v22 offset:64
	s_and_b32 exec_lo, exec_lo, s9
	s_cbranch_execz .LBB194_44
; %bb.38:                               ;   in Loop: Header=BB194_35 Depth=1
	ds_store_b32 v21, v22 offset:128
	;; [unrolled: 4-line block ×6, first 2 shown]
	s_and_b32 exec_lo, exec_lo, s14
; %bb.43:                               ;   in Loop: Header=BB194_35 Depth=1
	ds_store_b32 v21, v22 offset:448
.LBB194_44:                             ;   in Loop: Header=BB194_35 Depth=1
	s_wait_alu 0xfffe
	s_or_b32 exec_lo, exec_lo, s26
	v_cmp_ne_u64_e32 vcc_lo, s[24:25], v[18:19]
	s_wait_kmcnt 0x0
	s_min_u32 s26, s19, s21
	s_wait_alu 0xfffe
	s_lshl_b32 s26, -1, s26
	s_wait_alu 0xfffe
	s_not_b32 s26, s26
	s_wait_alu 0xfffd
	v_cndmask_b32_e32 v2, 0x7fffffff, v19, vcc_lo
	v_cndmask_b32_e32 v1, -1, v18, vcc_lo
	v_cmp_ne_u64_e32 vcc_lo, s[24:25], v[15:16]
	s_delay_alu instid0(VALU_DEP_2) | instskip(SKIP_1) | instid1(VALU_DEP_1)
	v_lshrrev_b64 v[1:2], v13, v[1:2]
	s_wait_alu 0xfffe
	v_and_b32_e32 v1, s26, v1
	s_delay_alu instid0(VALU_DEP_1) | instskip(SKIP_2) | instid1(VALU_DEP_1)
	v_lshlrev_b32_e32 v2, 4, v1
	v_lshrrev_b32_e32 v1, 2, v1
	s_wait_alu 0xfffd
	v_dual_cndmask_b32 v1, -1, v15 :: v_dual_and_b32 v4, 0x1ffffffe, v1
	s_delay_alu instid0(VALU_DEP_3) | instskip(SKIP_1) | instid1(VALU_DEP_2)
	v_and_or_b32 v3, 0x70, v2, v0
	v_cndmask_b32_e32 v2, 0x7fffffff, v16, vcc_lo
	v_lshl_add_u32 v23, v3, 2, v4
	s_delay_alu instid0(VALU_DEP_2) | instskip(SKIP_2) | instid1(VALU_DEP_1)
	v_lshrrev_b64 v[1:2], v13, v[1:2]
	ds_load_u16 v24, v23
	v_and_b32_e32 v1, s26, v1
	v_lshlrev_b32_e32 v2, 4, v1
	v_lshrrev_b32_e32 v1, 2, v1
	s_delay_alu instid0(VALU_DEP_2) | instskip(NEXT) | instid1(VALU_DEP_2)
	v_and_or_b32 v2, 0x70, v2, v0
	v_and_b32_e32 v1, 0x1ffffffe, v1
	s_delay_alu instid0(VALU_DEP_1)
	v_lshl_add_u32 v25, v2, 2, v1
	s_wait_dscnt 0x0
	v_add_nc_u16 v3, v24, 1
	ds_store_b16 v23, v3
	ds_load_u16 v26, v25
	s_wait_dscnt 0x0
	v_add_nc_u16 v1, v26, 1
	ds_store_b16 v25, v1
	; wave barrier
	s_wait_loadcnt_dscnt 0x0
	global_inv scope:SCOPE_SE
	ds_load_b128 v[5:8], v32
	ds_load_b128 v[1:4], v32 offset:16
	s_wait_dscnt 0x1
	v_add_nc_u32_e32 v27, v6, v5
	s_delay_alu instid0(VALU_DEP_1) | instskip(SKIP_1) | instid1(VALU_DEP_1)
	v_add3_u32 v27, v27, v7, v8
	s_wait_dscnt 0x0
	v_add3_u32 v27, v27, v1, v2
	s_delay_alu instid0(VALU_DEP_1) | instskip(NEXT) | instid1(VALU_DEP_1)
	v_add3_u32 v4, v27, v3, v4
	v_mov_b32_dpp v27, v4 row_shr:1 row_mask:0xf bank_mask:0xf
	s_delay_alu instid0(VALU_DEP_1) | instskip(NEXT) | instid1(VALU_DEP_1)
	v_cndmask_b32_e64 v27, v27, 0, s3
	v_add_nc_u32_e32 v4, v27, v4
	s_delay_alu instid0(VALU_DEP_1) | instskip(NEXT) | instid1(VALU_DEP_1)
	v_mov_b32_dpp v27, v4 row_shr:2 row_mask:0xf bank_mask:0xf
	v_cndmask_b32_e64 v27, 0, v27, s4
	s_delay_alu instid0(VALU_DEP_1) | instskip(NEXT) | instid1(VALU_DEP_1)
	v_add_nc_u32_e32 v4, v4, v27
	v_mov_b32_dpp v27, v4 row_shr:4 row_mask:0xf bank_mask:0xf
	s_delay_alu instid0(VALU_DEP_1) | instskip(NEXT) | instid1(VALU_DEP_1)
	v_cndmask_b32_e64 v27, 0, v27, s5
	v_add_nc_u32_e32 v4, v4, v27
	s_delay_alu instid0(VALU_DEP_1) | instskip(NEXT) | instid1(VALU_DEP_1)
	v_mov_b32_dpp v27, v4 row_shr:8 row_mask:0xf bank_mask:0xf
	v_cndmask_b32_e64 v27, 0, v27, s6
	s_delay_alu instid0(VALU_DEP_1)
	v_add_nc_u32_e32 v4, v4, v27
	s_and_saveexec_b32 s26, s7
; %bb.45:                               ;   in Loop: Header=BB194_35 Depth=1
	ds_store_b32 v22, v4 offset:512
; %bb.46:                               ;   in Loop: Header=BB194_35 Depth=1
	s_wait_alu 0xfffe
	s_or_b32 exec_lo, exec_lo, s26
	ds_bpermute_b32 v4, v33, v4
	; wave barrier
	s_wait_loadcnt_dscnt 0x0
	global_inv scope:SCOPE_SE
	ds_load_b32 v27, v22 offset:512
	v_cmp_lt_u32_e32 vcc_lo, 59, v13
	s_mov_b32 s26, -1
	s_and_b32 vcc_lo, exec_lo, vcc_lo
	v_cndmask_b32_e64 v4, v4, 0, s15
	s_wait_dscnt 0x0
	s_delay_alu instid0(VALU_DEP_1) | instskip(NEXT) | instid1(VALU_DEP_1)
	v_lshl_add_u32 v4, v27, 16, v4
	v_add_nc_u32_e32 v5, v4, v5
	s_delay_alu instid0(VALU_DEP_1) | instskip(NEXT) | instid1(VALU_DEP_1)
	v_add_nc_u32_e32 v6, v5, v6
	v_add_nc_u32_e32 v7, v6, v7
	s_delay_alu instid0(VALU_DEP_1) | instskip(NEXT) | instid1(VALU_DEP_1)
	v_add_nc_u32_e32 v34, v7, v8
	;; [unrolled: 3-line block ×3, first 2 shown]
	v_add_nc_u32_e32 v37, v36, v3
	v_and_b32_e32 v3, 0xffff, v24
	ds_store_b128 v32, v[4:7]
	ds_store_b128 v32, v[34:37] offset:16
	; wave barrier
	s_wait_loadcnt_dscnt 0x0
	global_inv scope:SCOPE_SE
	ds_load_u16 v1, v23
	ds_load_u16 v2, v25
	v_and_b32_e32 v4, 0xffff, v26
                                        ; implicit-def: $vgpr7_vgpr8
	s_wait_dscnt 0x1
	v_add_nc_u32_e32 v24, v1, v3
	s_wait_dscnt 0x0
	s_delay_alu instid0(VALU_DEP_2)
	v_add_nc_u32_e32 v23, v2, v4
                                        ; implicit-def: $vgpr3_vgpr4
	s_wait_alu 0xfffe
	s_cbranch_vccnz .LBB194_34
; %bb.47:                               ;   in Loop: Header=BB194_35 Depth=1
	v_lshlrev_b32_e32 v5, 3, v24
	s_delay_alu instid0(VALU_DEP_2)
	v_lshlrev_b32_e32 v6, 3, v23
	s_wait_loadcnt 0x0
	; wave barrier
	global_inv scope:SCOPE_SE
	v_add_co_u32 v13, vcc_lo, v13, 4
	ds_store_b64 v5, v[18:19]
	ds_store_b64 v6, v[15:16]
	; wave barrier
	s_wait_loadcnt_dscnt 0x0
	global_inv scope:SCOPE_SE
	ds_load_b128 v[1:4], v31
	; wave barrier
	s_wait_loadcnt_dscnt 0x0
	global_inv scope:SCOPE_SE
	ds_store_b64 v5, v[11:12]
	ds_store_b64 v6, v[9:10]
	; wave barrier
	s_wait_loadcnt_dscnt 0x0
	global_inv scope:SCOPE_SE
	ds_load_b128 v[5:8], v31
	s_wait_alu 0xfffd
	v_add_co_ci_u32_e64 v14, null, 0, v14, vcc_lo
	s_add_co_i32 s21, s21, -4
	s_mov_b32 s26, 0
	; wave barrier
	s_wait_loadcnt_dscnt 0x0
	global_inv scope:SCOPE_SE
	s_branch .LBB194_34
.LBB194_48:
	v_lshlrev_b32_e32 v4, 3, v24
	v_lshlrev_b32_e32 v5, 3, v23
	s_wait_loadcnt 0x0
	; wave barrier
	global_inv scope:SCOPE_SE
	ds_store_b64 v4, v[18:19]
	ds_store_b64 v5, v[15:16]
	; wave barrier
	s_wait_loadcnt_dscnt 0x0
	global_inv scope:SCOPE_SE
	ds_load_b128 v[0:3], v31
	; wave barrier
	s_wait_loadcnt_dscnt 0x0
	global_inv scope:SCOPE_SE
	ds_store_b64 v4, v[11:12]
	ds_store_b64 v5, v[9:10]
	; wave barrier
	s_wait_loadcnt_dscnt 0x0
	global_inv scope:SCOPE_SE
	ds_load_b128 v[9:12], v31
	v_cmp_gt_i64_e32 vcc_lo, 0, v[0:1]
	v_ashrrev_i32_e32 v4, 31, v1
	v_ashrrev_i32_e32 v5, 31, v3
	s_wait_alu 0xfffd
	v_cndmask_b32_e64 v6, 0x7fffffff, 0, vcc_lo
	v_cmp_gt_i64_e32 vcc_lo, 0, v[2:3]
	v_not_b32_e32 v4, v4
	v_not_b32_e32 v5, v5
	s_delay_alu instid0(VALU_DEP_4) | instskip(SKIP_4) | instid1(VALU_DEP_3)
	v_xor_b32_e32 v14, v6, v1
	s_wait_alu 0xfffd
	v_cndmask_b32_e64 v7, 0x7fffffff, 0, vcc_lo
	v_xor_b32_e32 v13, v4, v0
	v_xor_b32_e32 v15, v5, v2
	;; [unrolled: 1-line block ×3, first 2 shown]
.LBB194_49:
	; wave barrier
	s_wait_loadcnt_dscnt 0x0
	global_inv scope:SCOPE_SE
	ds_store_2addr_b64 v30, v[13:14], v[15:16] offset1:1
	; wave barrier
	s_wait_loadcnt_dscnt 0x0
	global_inv scope:SCOPE_SE
	ds_load_b64 v[0:1], v29 offset:128
	v_mov_b32_e32 v21, 0
	s_delay_alu instid0(VALU_DEP_1) | instskip(NEXT) | instid1(VALU_DEP_1)
	v_lshlrev_b64_e32 v[2:3], 3, v[20:21]
	v_add_co_u32 v2, vcc_lo, s22, v2
	s_wait_alu 0xfffd
	s_delay_alu instid0(VALU_DEP_2)
	v_add_co_ci_u32_e64 v3, null, s23, v3, vcc_lo
	s_and_saveexec_b32 s1, s2
	s_cbranch_execz .LBB194_51
; %bb.50:
	ds_load_b64 v[4:5], v29
	s_wait_dscnt 0x0
	global_store_b64 v[2:3], v[4:5], off
.LBB194_51:
	s_or_b32 exec_lo, exec_lo, s1
	s_and_saveexec_b32 s1, s0
	s_cbranch_execz .LBB194_53
; %bb.52:
	s_lshl_b32 s4, s18, 4
	s_mov_b32 s5, 0
	s_wait_alu 0xfffe
	s_lshl_b64 s[4:5], s[4:5], 3
	s_wait_alu 0xfffe
	v_add_co_u32 v2, vcc_lo, v2, s4
	s_wait_alu 0xfffd
	v_add_co_ci_u32_e64 v3, null, s5, v3, vcc_lo
	s_wait_dscnt 0x0
	global_store_b64 v[2:3], v[0:1], off
.LBB194_53:
	s_or_b32 exec_lo, exec_lo, s1
	s_wait_storecnt 0x0
	; wave barrier
	s_wait_loadcnt_dscnt 0x0
	global_inv scope:SCOPE_SE
	ds_store_2addr_b64 v30, v[9:10], v[11:12] offset1:1
	; wave barrier
	s_wait_loadcnt_dscnt 0x0
	global_inv scope:SCOPE_SE
	ds_load_b64 v[0:1], v29 offset:128
	v_mov_b32_e32 v18, 0
	s_delay_alu instid0(VALU_DEP_1) | instskip(NEXT) | instid1(VALU_DEP_1)
	v_lshlrev_b64_e32 v[2:3], 3, v[17:18]
	v_add_co_u32 v2, vcc_lo, s16, v2
	s_wait_alu 0xfffd
	s_delay_alu instid0(VALU_DEP_2)
	v_add_co_ci_u32_e64 v3, null, s17, v3, vcc_lo
	s_and_saveexec_b32 s1, s2
	s_cbranch_execz .LBB194_55
; %bb.54:
	ds_load_b64 v[4:5], v29
	s_wait_dscnt 0x0
	global_store_b64 v[2:3], v[4:5], off
.LBB194_55:
	s_or_b32 exec_lo, exec_lo, s1
	s_and_saveexec_b32 s1, s0
	s_cbranch_execz .LBB194_57
; %bb.56:
	s_lshl_b32 s0, s20, 4
	s_mov_b32 s1, 0
	s_delay_alu instid0(SALU_CYCLE_1) | instskip(NEXT) | instid1(SALU_CYCLE_1)
	s_lshl_b64 s[0:1], s[0:1], 3
	v_add_co_u32 v2, vcc_lo, v2, s0
	s_wait_alu 0xfffd
	v_add_co_ci_u32_e64 v3, null, s1, v3, vcc_lo
	s_wait_dscnt 0x0
	global_store_b64 v[2:3], v[0:1], off
.LBB194_57:
	s_endpgm
	.section	.rodata,"a",@progbits
	.p2align	6, 0x0
	.amdhsa_kernel _ZN2at6native18radixSortKVInPlaceILin1ELin1ELi16ELi2EdljEEvNS_4cuda6detail10TensorInfoIT3_T5_EES6_S6_S6_NS4_IT4_S6_EES6_b
		.amdhsa_group_segment_fixed_size 528
		.amdhsa_private_segment_fixed_size 0
		.amdhsa_kernarg_size 712
		.amdhsa_user_sgpr_count 2
		.amdhsa_user_sgpr_dispatch_ptr 0
		.amdhsa_user_sgpr_queue_ptr 0
		.amdhsa_user_sgpr_kernarg_segment_ptr 1
		.amdhsa_user_sgpr_dispatch_id 0
		.amdhsa_user_sgpr_private_segment_size 0
		.amdhsa_wavefront_size32 1
		.amdhsa_uses_dynamic_stack 0
		.amdhsa_enable_private_segment 0
		.amdhsa_system_sgpr_workgroup_id_x 1
		.amdhsa_system_sgpr_workgroup_id_y 1
		.amdhsa_system_sgpr_workgroup_id_z 1
		.amdhsa_system_sgpr_workgroup_info 0
		.amdhsa_system_vgpr_workitem_id 0
		.amdhsa_next_free_vgpr 46
		.amdhsa_next_free_sgpr 27
		.amdhsa_reserve_vcc 1
		.amdhsa_float_round_mode_32 0
		.amdhsa_float_round_mode_16_64 0
		.amdhsa_float_denorm_mode_32 3
		.amdhsa_float_denorm_mode_16_64 3
		.amdhsa_fp16_overflow 0
		.amdhsa_workgroup_processor_mode 1
		.amdhsa_memory_ordered 1
		.amdhsa_forward_progress 1
		.amdhsa_inst_pref_size 36
		.amdhsa_round_robin_scheduling 0
		.amdhsa_exception_fp_ieee_invalid_op 0
		.amdhsa_exception_fp_denorm_src 0
		.amdhsa_exception_fp_ieee_div_zero 0
		.amdhsa_exception_fp_ieee_overflow 0
		.amdhsa_exception_fp_ieee_underflow 0
		.amdhsa_exception_fp_ieee_inexact 0
		.amdhsa_exception_int_div_zero 0
	.end_amdhsa_kernel
	.section	.text._ZN2at6native18radixSortKVInPlaceILin1ELin1ELi16ELi2EdljEEvNS_4cuda6detail10TensorInfoIT3_T5_EES6_S6_S6_NS4_IT4_S6_EES6_b,"axG",@progbits,_ZN2at6native18radixSortKVInPlaceILin1ELin1ELi16ELi2EdljEEvNS_4cuda6detail10TensorInfoIT3_T5_EES6_S6_S6_NS4_IT4_S6_EES6_b,comdat
.Lfunc_end194:
	.size	_ZN2at6native18radixSortKVInPlaceILin1ELin1ELi16ELi2EdljEEvNS_4cuda6detail10TensorInfoIT3_T5_EES6_S6_S6_NS4_IT4_S6_EES6_b, .Lfunc_end194-_ZN2at6native18radixSortKVInPlaceILin1ELin1ELi16ELi2EdljEEvNS_4cuda6detail10TensorInfoIT3_T5_EES6_S6_S6_NS4_IT4_S6_EES6_b
                                        ; -- End function
	.set _ZN2at6native18radixSortKVInPlaceILin1ELin1ELi16ELi2EdljEEvNS_4cuda6detail10TensorInfoIT3_T5_EES6_S6_S6_NS4_IT4_S6_EES6_b.num_vgpr, 46
	.set _ZN2at6native18radixSortKVInPlaceILin1ELin1ELi16ELi2EdljEEvNS_4cuda6detail10TensorInfoIT3_T5_EES6_S6_S6_NS4_IT4_S6_EES6_b.num_agpr, 0
	.set _ZN2at6native18radixSortKVInPlaceILin1ELin1ELi16ELi2EdljEEvNS_4cuda6detail10TensorInfoIT3_T5_EES6_S6_S6_NS4_IT4_S6_EES6_b.numbered_sgpr, 27
	.set _ZN2at6native18radixSortKVInPlaceILin1ELin1ELi16ELi2EdljEEvNS_4cuda6detail10TensorInfoIT3_T5_EES6_S6_S6_NS4_IT4_S6_EES6_b.num_named_barrier, 0
	.set _ZN2at6native18radixSortKVInPlaceILin1ELin1ELi16ELi2EdljEEvNS_4cuda6detail10TensorInfoIT3_T5_EES6_S6_S6_NS4_IT4_S6_EES6_b.private_seg_size, 0
	.set _ZN2at6native18radixSortKVInPlaceILin1ELin1ELi16ELi2EdljEEvNS_4cuda6detail10TensorInfoIT3_T5_EES6_S6_S6_NS4_IT4_S6_EES6_b.uses_vcc, 1
	.set _ZN2at6native18radixSortKVInPlaceILin1ELin1ELi16ELi2EdljEEvNS_4cuda6detail10TensorInfoIT3_T5_EES6_S6_S6_NS4_IT4_S6_EES6_b.uses_flat_scratch, 0
	.set _ZN2at6native18radixSortKVInPlaceILin1ELin1ELi16ELi2EdljEEvNS_4cuda6detail10TensorInfoIT3_T5_EES6_S6_S6_NS4_IT4_S6_EES6_b.has_dyn_sized_stack, 0
	.set _ZN2at6native18radixSortKVInPlaceILin1ELin1ELi16ELi2EdljEEvNS_4cuda6detail10TensorInfoIT3_T5_EES6_S6_S6_NS4_IT4_S6_EES6_b.has_recursion, 0
	.set _ZN2at6native18radixSortKVInPlaceILin1ELin1ELi16ELi2EdljEEvNS_4cuda6detail10TensorInfoIT3_T5_EES6_S6_S6_NS4_IT4_S6_EES6_b.has_indirect_call, 0
	.section	.AMDGPU.csdata,"",@progbits
; Kernel info:
; codeLenInByte = 4488
; TotalNumSgprs: 29
; NumVgprs: 46
; ScratchSize: 0
; MemoryBound: 0
; FloatMode: 240
; IeeeMode: 1
; LDSByteSize: 528 bytes/workgroup (compile time only)
; SGPRBlocks: 0
; VGPRBlocks: 5
; NumSGPRsForWavesPerEU: 29
; NumVGPRsForWavesPerEU: 46
; Occupancy: 16
; WaveLimiterHint : 1
; COMPUTE_PGM_RSRC2:SCRATCH_EN: 0
; COMPUTE_PGM_RSRC2:USER_SGPR: 2
; COMPUTE_PGM_RSRC2:TRAP_HANDLER: 0
; COMPUTE_PGM_RSRC2:TGID_X_EN: 1
; COMPUTE_PGM_RSRC2:TGID_Y_EN: 1
; COMPUTE_PGM_RSRC2:TGID_Z_EN: 1
; COMPUTE_PGM_RSRC2:TIDIG_COMP_CNT: 0
	.section	.text._ZN2at6native18radixSortKVInPlaceILin1ELin1ELi512ELi8EdlmEEvNS_4cuda6detail10TensorInfoIT3_T5_EES6_S6_S6_NS4_IT4_S6_EES6_b,"axG",@progbits,_ZN2at6native18radixSortKVInPlaceILin1ELin1ELi512ELi8EdlmEEvNS_4cuda6detail10TensorInfoIT3_T5_EES6_S6_S6_NS4_IT4_S6_EES6_b,comdat
	.protected	_ZN2at6native18radixSortKVInPlaceILin1ELin1ELi512ELi8EdlmEEvNS_4cuda6detail10TensorInfoIT3_T5_EES6_S6_S6_NS4_IT4_S6_EES6_b ; -- Begin function _ZN2at6native18radixSortKVInPlaceILin1ELin1ELi512ELi8EdlmEEvNS_4cuda6detail10TensorInfoIT3_T5_EES6_S6_S6_NS4_IT4_S6_EES6_b
	.globl	_ZN2at6native18radixSortKVInPlaceILin1ELin1ELi512ELi8EdlmEEvNS_4cuda6detail10TensorInfoIT3_T5_EES6_S6_S6_NS4_IT4_S6_EES6_b
	.p2align	8
	.type	_ZN2at6native18radixSortKVInPlaceILin1ELin1ELi512ELi8EdlmEEvNS_4cuda6detail10TensorInfoIT3_T5_EES6_S6_S6_NS4_IT4_S6_EES6_b,@function
_ZN2at6native18radixSortKVInPlaceILin1ELin1ELi512ELi8EdlmEEvNS_4cuda6detail10TensorInfoIT3_T5_EES6_S6_S6_NS4_IT4_S6_EES6_b: ; @_ZN2at6native18radixSortKVInPlaceILin1ELin1ELi512ELi8EdlmEEvNS_4cuda6detail10TensorInfoIT3_T5_EES6_S6_S6_NS4_IT4_S6_EES6_b
; %bb.0:
	s_clause 0x1
	s_load_b64 s[2:3], s[0:1], 0x368
	s_load_b128 s[20:23], s[0:1], 0x1a0
	s_lshr_b32 s4, ttmp7, 16
	s_and_b32 s5, ttmp7, 0xffff
	s_wait_kmcnt 0x0
	s_mul_i32 s3, s3, s4
	s_delay_alu instid0(SALU_CYCLE_1) | instskip(SKIP_2) | instid1(SALU_CYCLE_1)
	s_add_co_i32 s3, s3, s5
	s_mov_b32 s5, 0
	s_mul_i32 s2, s3, s2
	s_add_co_i32 s4, s2, ttmp9
	s_delay_alu instid0(SALU_CYCLE_1)
	v_cmp_le_u64_e64 s2, s[20:21], s[4:5]
	s_and_b32 vcc_lo, exec_lo, s2
	s_cbranch_vccnz .LBB195_124
; %bb.1:
	s_clause 0x1
	s_load_b32 s9, s[0:1], 0x198
	s_load_b64 s[24:25], s[0:1], 0x1b0
	s_mov_b64 s[2:3], 0
	s_mov_b64 s[6:7], s[4:5]
	s_wait_kmcnt 0x0
	s_cmp_lt_i32 s9, 2
	s_cbranch_scc1 .LBB195_9
; %bb.2:
	s_mov_b32 s8, 0
	s_add_co_i32 s2, s9, -1
	s_mov_b32 s3, s8
	s_add_co_i32 s16, s9, 1
	s_lshl_b64 s[2:3], s[2:3], 3
	s_mov_b64 s[12:13], s[4:5]
	s_add_nc_u64 s[6:7], s[0:1], s[2:3]
	s_mov_b64 s[2:3], 0
	s_add_nc_u64 s[10:11], s[6:7], 8
.LBB195_3:                              ; =>This Inner Loop Header: Depth=1
	s_load_b64 s[14:15], s[10:11], 0x0
	s_wait_kmcnt 0x0
	s_or_b64 s[6:7], s[12:13], s[14:15]
	s_wait_alu 0xfffe
	s_mov_b32 s9, s7
                                        ; implicit-def: $sgpr6_sgpr7
	s_delay_alu instid0(SALU_CYCLE_1)
	s_cmp_lg_u64 s[8:9], 0
	s_mov_b32 s9, -1
	s_cbranch_scc0 .LBB195_5
; %bb.4:                                ;   in Loop: Header=BB195_3 Depth=1
	s_cvt_f32_u32 s6, s14
	s_cvt_f32_u32 s7, s15
	s_sub_nc_u64 s[18:19], 0, s[14:15]
	s_mov_b32 s21, s8
	s_mov_b32 s29, s8
	s_wait_alu 0xfffe
	s_fmamk_f32 s6, s7, 0x4f800000, s6
	s_wait_alu 0xfffe
	s_delay_alu instid0(SALU_CYCLE_2) | instskip(NEXT) | instid1(TRANS32_DEP_1)
	v_s_rcp_f32 s6, s6
	s_mul_f32 s6, s6, 0x5f7ffffc
	s_wait_alu 0xfffe
	s_delay_alu instid0(SALU_CYCLE_2) | instskip(SKIP_1) | instid1(SALU_CYCLE_2)
	s_mul_f32 s7, s6, 0x2f800000
	s_wait_alu 0xfffe
	s_trunc_f32 s7, s7
	s_wait_alu 0xfffe
	s_delay_alu instid0(SALU_CYCLE_2) | instskip(SKIP_2) | instid1(SALU_CYCLE_1)
	s_fmamk_f32 s6, s7, 0xcf800000, s6
	s_cvt_u32_f32 s7, s7
	s_wait_alu 0xfffe
	s_cvt_u32_f32 s6, s6
	s_wait_alu 0xfffe
	s_delay_alu instid0(SALU_CYCLE_2) | instskip(NEXT) | instid1(SALU_CYCLE_1)
	s_mul_u64 s[26:27], s[18:19], s[6:7]
	s_mul_hi_u32 s31, s6, s27
	s_mul_i32 s30, s6, s27
	s_mul_hi_u32 s20, s6, s26
	s_mul_i32 s17, s7, s26
	s_wait_alu 0xfffe
	s_add_nc_u64 s[20:21], s[20:21], s[30:31]
	s_mul_hi_u32 s9, s7, s26
	s_mul_hi_u32 s23, s7, s27
	s_wait_alu 0xfffe
	s_add_co_u32 s17, s20, s17
	s_add_co_ci_u32 s28, s21, s9
	s_mul_i32 s26, s7, s27
	s_add_co_ci_u32 s27, s23, 0
	s_delay_alu instid0(SALU_CYCLE_1) | instskip(SKIP_4) | instid1(SALU_CYCLE_1)
	s_add_nc_u64 s[20:21], s[28:29], s[26:27]
	s_mov_b32 s27, s8
	s_wait_alu 0xfffe
	s_add_co_u32 s6, s6, s20
	s_cselect_b32 s9, -1, 0
	s_cmp_lg_u32 s9, 0
	s_add_co_ci_u32 s7, s7, s21
	s_mov_b32 s21, s8
	s_wait_alu 0xfffe
	s_mul_u64 s[18:19], s[18:19], s[6:7]
	s_delay_alu instid0(SALU_CYCLE_1)
	s_mul_hi_u32 s29, s6, s19
	s_mul_i32 s28, s6, s19
	s_mul_hi_u32 s20, s6, s18
	s_mul_i32 s17, s7, s18
	s_wait_alu 0xfffe
	s_add_nc_u64 s[20:21], s[20:21], s[28:29]
	s_mul_hi_u32 s9, s7, s18
	s_mul_hi_u32 s23, s7, s19
	s_wait_alu 0xfffe
	s_add_co_u32 s17, s20, s17
	s_add_co_ci_u32 s26, s21, s9
	s_mul_i32 s18, s7, s19
	s_add_co_ci_u32 s19, s23, 0
	s_mov_b32 s21, s8
	s_add_nc_u64 s[18:19], s[26:27], s[18:19]
	s_delay_alu instid0(SALU_CYCLE_1)
	s_add_co_u32 s6, s6, s18
	s_cselect_b32 s9, -1, 0
	s_wait_alu 0xfffe
	s_mul_hi_u32 s20, s12, s6
	s_cmp_lg_u32 s9, 0
	s_mul_hi_u32 s9, s13, s6
	s_add_co_ci_u32 s17, s7, s19
	s_mul_i32 s19, s13, s6
	s_mul_hi_u32 s7, s12, s17
	s_mul_i32 s6, s12, s17
	s_mul_hi_u32 s23, s13, s17
	s_wait_alu 0xfffe
	s_add_nc_u64 s[6:7], s[20:21], s[6:7]
	s_mul_i32 s18, s13, s17
	s_wait_alu 0xfffe
	s_add_co_u32 s6, s6, s19
	s_add_co_ci_u32 s26, s7, s9
	s_add_co_ci_u32 s19, s23, 0
	s_delay_alu instid0(SALU_CYCLE_1) | instskip(SKIP_2) | instid1(SALU_CYCLE_1)
	s_add_nc_u64 s[6:7], s[26:27], s[18:19]
	s_wait_alu 0xfffe
	s_mul_u64 s[18:19], s[14:15], s[6:7]
	s_sub_co_u32 s9, s12, s18
	s_cselect_b32 s17, -1, 0
	s_sub_co_i32 s18, s13, s19
	s_cmp_lg_u32 s17, 0
	s_sub_co_ci_u32 s18, s18, s15
	s_sub_co_u32 s20, s9, s14
	s_cselect_b32 s21, -1, 0
	s_wait_alu 0xfffe
	s_cmp_lg_u32 s21, 0
	s_sub_co_ci_u32 s18, s18, 0
	s_delay_alu instid0(SALU_CYCLE_1)
	s_cmp_ge_u32 s18, s15
	s_cselect_b32 s23, -1, 0
	s_cmp_ge_u32 s20, s14
	s_add_nc_u64 s[20:21], s[6:7], 1
	s_cselect_b32 s26, -1, 0
	s_cmp_eq_u32 s18, s15
	s_cselect_b32 s18, s26, s23
	s_add_nc_u64 s[26:27], s[6:7], 2
	s_cmp_lg_u32 s18, 0
	s_wait_alu 0xfffe
	s_cselect_b32 s18, s26, s20
	s_cselect_b32 s20, s27, s21
	s_cmp_lg_u32 s17, 0
	s_sub_co_ci_u32 s17, s13, s19
	s_delay_alu instid0(SALU_CYCLE_1)
	s_cmp_ge_u32 s17, s15
	s_cselect_b32 s19, -1, 0
	s_cmp_ge_u32 s9, s14
	s_cselect_b32 s9, -1, 0
	s_cmp_eq_u32 s17, s15
	s_cselect_b32 s9, s9, s19
	s_delay_alu instid0(SALU_CYCLE_1)
	s_cmp_lg_u32 s9, 0
	s_mov_b32 s9, 0
	s_wait_alu 0xfffe
	s_cselect_b32 s7, s20, s7
	s_cselect_b32 s6, s18, s6
.LBB195_5:                              ;   in Loop: Header=BB195_3 Depth=1
	s_and_not1_b32 vcc_lo, exec_lo, s9
	s_cbranch_vccnz .LBB195_7
; %bb.6:                                ;   in Loop: Header=BB195_3 Depth=1
	v_cvt_f32_u32_e32 v1, s14
	s_sub_co_i32 s7, 0, s14
	s_delay_alu instid0(VALU_DEP_1) | instskip(NEXT) | instid1(TRANS32_DEP_1)
	v_rcp_iflag_f32_e32 v1, v1
	v_mul_f32_e32 v1, 0x4f7ffffe, v1
	s_delay_alu instid0(VALU_DEP_1) | instskip(NEXT) | instid1(VALU_DEP_1)
	v_cvt_u32_f32_e32 v1, v1
	v_readfirstlane_b32 s6, v1
	s_wait_alu 0xfffe
	s_mul_i32 s7, s7, s6
	s_wait_alu 0xfffe
	s_mul_hi_u32 s7, s6, s7
	s_wait_alu 0xfffe
	s_add_co_i32 s6, s6, s7
	s_wait_alu 0xfffe
	s_mul_hi_u32 s6, s12, s6
	s_wait_alu 0xfffe
	s_mul_i32 s7, s6, s14
	s_add_co_i32 s9, s6, 1
	s_wait_alu 0xfffe
	s_sub_co_i32 s7, s12, s7
	s_wait_alu 0xfffe
	s_sub_co_i32 s17, s7, s14
	s_cmp_ge_u32 s7, s14
	s_cselect_b32 s6, s9, s6
	s_cselect_b32 s7, s17, s7
	s_wait_alu 0xfffe
	s_add_co_i32 s9, s6, 1
	s_cmp_ge_u32 s7, s14
	s_mov_b32 s7, s8
	s_cselect_b32 s6, s9, s6
.LBB195_7:                              ;   in Loop: Header=BB195_3 Depth=1
	s_load_b64 s[18:19], s[10:11], 0xc8
	s_mul_u64 s[14:15], s[6:7], s[14:15]
	s_add_co_i32 s16, s16, -1
	s_wait_alu 0xfffe
	s_sub_nc_u64 s[12:13], s[12:13], s[14:15]
	s_cmp_gt_u32 s16, 2
	s_add_nc_u64 s[10:11], s[10:11], -8
	s_wait_kmcnt 0x0
	s_mul_u64 s[12:13], s[18:19], s[12:13]
	s_delay_alu instid0(SALU_CYCLE_1)
	s_add_nc_u64 s[2:3], s[12:13], s[2:3]
	s_cbranch_scc0 .LBB195_9
; %bb.8:                                ;   in Loop: Header=BB195_3 Depth=1
	s_mov_b64 s[12:13], s[6:7]
	s_branch .LBB195_3
.LBB195_9:
	s_load_b32 s9, s[0:1], 0x350
	s_add_nc_u64 s[20:21], s[0:1], 0x368
	s_mov_b64 s[26:27], 0
	s_wait_kmcnt 0x0
	s_cmp_lt_i32 s9, 2
	s_cbranch_scc1 .LBB195_17
; %bb.10:
	s_mov_b32 s8, 0
	s_add_co_i32 s10, s9, -1
	s_mov_b32 s11, s8
	s_add_co_i32 s14, s9, 1
	s_lshl_b64 s[10:11], s[10:11], 3
	s_delay_alu instid0(SALU_CYCLE_1) | instskip(NEXT) | instid1(SALU_CYCLE_1)
	s_add_nc_u64 s[10:11], s[0:1], s[10:11]
	s_add_nc_u64 s[10:11], s[10:11], 0x1c0
.LBB195_11:                             ; =>This Inner Loop Header: Depth=1
	s_load_b64 s[12:13], s[10:11], 0x0
                                        ; implicit-def: $sgpr30_sgpr31
	s_wait_kmcnt 0x0
	s_or_b64 s[16:17], s[4:5], s[12:13]
	s_delay_alu instid0(SALU_CYCLE_1)
	s_mov_b32 s9, s17
	s_wait_alu 0xfffe
	s_cmp_lg_u64 s[8:9], 0
	s_mov_b32 s9, -1
	s_cbranch_scc0 .LBB195_13
; %bb.12:                               ;   in Loop: Header=BB195_11 Depth=1
	s_cvt_f32_u32 s9, s12
	s_cvt_f32_u32 s15, s13
	s_sub_nc_u64 s[18:19], 0, s[12:13]
	s_mov_b32 s29, s8
	s_mov_b32 s35, s8
	s_wait_alu 0xfffe
	s_fmamk_f32 s9, s15, 0x4f800000, s9
	s_wait_alu 0xfffe
	s_delay_alu instid0(SALU_CYCLE_2) | instskip(NEXT) | instid1(TRANS32_DEP_1)
	v_s_rcp_f32 s9, s9
	s_mul_f32 s9, s9, 0x5f7ffffc
	s_wait_alu 0xfffe
	s_delay_alu instid0(SALU_CYCLE_2) | instskip(SKIP_1) | instid1(SALU_CYCLE_2)
	s_mul_f32 s15, s9, 0x2f800000
	s_wait_alu 0xfffe
	s_trunc_f32 s15, s15
	s_wait_alu 0xfffe
	s_delay_alu instid0(SALU_CYCLE_2) | instskip(SKIP_2) | instid1(SALU_CYCLE_1)
	s_fmamk_f32 s9, s15, 0xcf800000, s9
	s_cvt_u32_f32 s17, s15
	s_wait_alu 0xfffe
	s_cvt_u32_f32 s16, s9
	s_delay_alu instid0(SALU_CYCLE_3) | instskip(NEXT) | instid1(SALU_CYCLE_1)
	s_mul_u64 s[30:31], s[18:19], s[16:17]
	s_mul_hi_u32 s37, s16, s31
	s_mul_i32 s36, s16, s31
	s_mul_hi_u32 s28, s16, s30
	s_mul_i32 s15, s17, s30
	s_add_nc_u64 s[28:29], s[28:29], s[36:37]
	s_mul_hi_u32 s9, s17, s30
	s_mul_hi_u32 s23, s17, s31
	s_wait_alu 0xfffe
	s_add_co_u32 s15, s28, s15
	s_add_co_ci_u32 s34, s29, s9
	s_mul_i32 s30, s17, s31
	s_add_co_ci_u32 s31, s23, 0
	s_delay_alu instid0(SALU_CYCLE_1)
	s_add_nc_u64 s[28:29], s[34:35], s[30:31]
	s_mov_b32 s31, s8
	s_add_co_u32 s16, s16, s28
	s_cselect_b32 s9, -1, 0
	s_wait_alu 0xfffe
	s_cmp_lg_u32 s9, 0
	s_add_co_ci_u32 s17, s17, s29
	s_mov_b32 s29, s8
	s_mul_u64 s[18:19], s[18:19], s[16:17]
	s_delay_alu instid0(SALU_CYCLE_1)
	s_mul_hi_u32 s35, s16, s19
	s_mul_i32 s34, s16, s19
	s_mul_hi_u32 s28, s16, s18
	s_mul_i32 s15, s17, s18
	s_add_nc_u64 s[28:29], s[28:29], s[34:35]
	s_mul_hi_u32 s9, s17, s18
	s_mul_hi_u32 s23, s17, s19
	s_wait_alu 0xfffe
	s_add_co_u32 s15, s28, s15
	s_add_co_ci_u32 s30, s29, s9
	s_mul_i32 s18, s17, s19
	s_add_co_ci_u32 s19, s23, 0
	s_mov_b32 s29, s8
	s_add_nc_u64 s[18:19], s[30:31], s[18:19]
	s_delay_alu instid0(SALU_CYCLE_1)
	s_add_co_u32 s9, s16, s18
	s_cselect_b32 s15, -1, 0
	s_wait_alu 0xfffe
	s_mul_hi_u32 s28, s4, s9
	s_cmp_lg_u32 s15, 0
	s_mul_hi_u32 s15, s5, s9
	s_add_co_ci_u32 s18, s17, s19
	s_mul_i32 s9, s5, s9
	s_mul_hi_u32 s17, s4, s18
	s_mul_i32 s16, s4, s18
	s_mul_hi_u32 s19, s5, s18
	s_add_nc_u64 s[16:17], s[28:29], s[16:17]
	s_mul_i32 s18, s5, s18
	s_wait_alu 0xfffe
	s_add_co_u32 s9, s16, s9
	s_add_co_ci_u32 s30, s17, s15
	s_add_co_ci_u32 s19, s19, 0
	s_delay_alu instid0(SALU_CYCLE_1) | instskip(NEXT) | instid1(SALU_CYCLE_1)
	s_add_nc_u64 s[16:17], s[30:31], s[18:19]
	s_mul_u64 s[18:19], s[12:13], s[16:17]
	s_delay_alu instid0(SALU_CYCLE_1)
	s_sub_co_u32 s9, s4, s18
	s_cselect_b32 s15, -1, 0
	s_sub_co_i32 s18, s5, s19
	s_wait_alu 0xfffe
	s_cmp_lg_u32 s15, 0
	s_sub_co_ci_u32 s18, s18, s13
	s_sub_co_u32 s23, s9, s12
	s_cselect_b32 s28, -1, 0
	s_delay_alu instid0(SALU_CYCLE_1) | instskip(SKIP_2) | instid1(SALU_CYCLE_1)
	s_cmp_lg_u32 s28, 0
	s_add_nc_u64 s[28:29], s[16:17], 1
	s_sub_co_ci_u32 s18, s18, 0
	s_cmp_ge_u32 s18, s13
	s_cselect_b32 s30, -1, 0
	s_cmp_ge_u32 s23, s12
	s_cselect_b32 s23, -1, 0
	s_cmp_eq_u32 s18, s13
	s_cselect_b32 s18, s23, s30
	s_add_nc_u64 s[30:31], s[16:17], 2
	s_cmp_lg_u32 s18, 0
	s_cselect_b32 s18, s30, s28
	s_cselect_b32 s23, s31, s29
	s_cmp_lg_u32 s15, 0
	s_sub_co_ci_u32 s15, s5, s19
	s_wait_alu 0xfffe
	s_cmp_ge_u32 s15, s13
	s_cselect_b32 s19, -1, 0
	s_cmp_ge_u32 s9, s12
	s_cselect_b32 s9, -1, 0
	s_cmp_eq_u32 s15, s13
	s_wait_alu 0xfffe
	s_cselect_b32 s9, s9, s19
	s_wait_alu 0xfffe
	s_cmp_lg_u32 s9, 0
	s_mov_b32 s9, 0
	s_cselect_b32 s31, s23, s17
	s_cselect_b32 s30, s18, s16
.LBB195_13:                             ;   in Loop: Header=BB195_11 Depth=1
	s_wait_alu 0xfffe
	s_and_not1_b32 vcc_lo, exec_lo, s9
	s_cbranch_vccnz .LBB195_15
; %bb.14:                               ;   in Loop: Header=BB195_11 Depth=1
	v_cvt_f32_u32_e32 v1, s12
	s_sub_co_i32 s15, 0, s12
	s_mov_b32 s31, s8
	s_delay_alu instid0(VALU_DEP_1) | instskip(NEXT) | instid1(TRANS32_DEP_1)
	v_rcp_iflag_f32_e32 v1, v1
	v_mul_f32_e32 v1, 0x4f7ffffe, v1
	s_delay_alu instid0(VALU_DEP_1) | instskip(NEXT) | instid1(VALU_DEP_1)
	v_cvt_u32_f32_e32 v1, v1
	v_readfirstlane_b32 s9, v1
	s_wait_alu 0xfffe
	s_mul_i32 s15, s15, s9
	s_wait_alu 0xfffe
	s_mul_hi_u32 s15, s9, s15
	s_wait_alu 0xfffe
	s_add_co_i32 s9, s9, s15
	s_wait_alu 0xfffe
	s_mul_hi_u32 s9, s4, s9
	s_wait_alu 0xfffe
	s_mul_i32 s15, s9, s12
	s_add_co_i32 s16, s9, 1
	s_wait_alu 0xfffe
	s_sub_co_i32 s15, s4, s15
	s_wait_alu 0xfffe
	s_sub_co_i32 s17, s15, s12
	s_cmp_ge_u32 s15, s12
	s_cselect_b32 s9, s16, s9
	s_cselect_b32 s15, s17, s15
	s_wait_alu 0xfffe
	s_add_co_i32 s16, s9, 1
	s_cmp_ge_u32 s15, s12
	s_cselect_b32 s30, s16, s9
.LBB195_15:                             ;   in Loop: Header=BB195_11 Depth=1
	s_load_b64 s[16:17], s[10:11], 0xc8
	s_mul_u64 s[12:13], s[30:31], s[12:13]
	s_add_co_i32 s14, s14, -1
	s_wait_alu 0xfffe
	s_sub_nc_u64 s[4:5], s[4:5], s[12:13]
	s_cmp_gt_u32 s14, 2
	s_add_nc_u64 s[10:11], s[10:11], -8
	s_wait_kmcnt 0x0
	s_wait_alu 0xfffe
	s_mul_u64 s[4:5], s[16:17], s[4:5]
	s_wait_alu 0xfffe
	s_add_nc_u64 s[26:27], s[4:5], s[26:27]
	s_cbranch_scc0 .LBB195_18
; %bb.16:                               ;   in Loop: Header=BB195_11 Depth=1
	s_mov_b64 s[4:5], s[30:31]
	s_branch .LBB195_11
.LBB195_17:
	s_mov_b64 s[30:31], s[4:5]
.LBB195_18:
	s_clause 0x2
	s_load_b64 s[4:5], s[0:1], 0xd0
	s_load_b32 s9, s[0:1], 0x360
	s_load_b64 s[28:29], s[0:1], 0x0
	s_wait_kmcnt 0x0
	s_mul_u64 s[18:19], s[4:5], s[6:7]
	s_bitcmp1_b32 s9, 0
	s_mov_b32 s4, -1
	s_cselect_b32 s23, -1, 0
	s_lshl_b64 s[34:35], s[18:19], 3
	s_lshl_b64 s[36:37], s[2:3], 3
	s_and_b32 s2, s23, exec_lo
	s_cselect_b32 s5, -1, 0x7fffffff
	s_wait_alu 0xfffe
	s_mov_b32 s6, s4
	s_mov_b32 s8, s4
	;; [unrolled: 1-line block ×14, first 2 shown]
	v_dual_mov_b32 v1, s4 :: v_dual_and_b32 v68, 0x3ff, v0
	v_mov_b32_e32 v18, s5
	s_wait_alu 0xfffe
	v_dual_mov_b32 v2, s5 :: v_dual_mov_b32 v3, s6
	s_delay_alu instid0(VALU_DEP_3)
	v_cmp_gt_u32_e64 s2, s22, v68
	v_dual_mov_b32 v4, s7 :: v_dual_mov_b32 v5, s8
	v_dual_mov_b32 v6, s9 :: v_dual_mov_b32 v7, s10
	;; [unrolled: 1-line block ×7, first 2 shown]
	s_add_nc_u64 s[28:29], s[28:29], s[34:35]
	s_delay_alu instid0(SALU_CYCLE_1)
	s_add_nc_u64 s[28:29], s[28:29], s[36:37]
	s_and_saveexec_b32 s3, s2
	s_cbranch_execz .LBB195_20
; %bb.19:
	v_mad_co_u64_u32 v[1:2], null, s24, v68, 0
	s_delay_alu instid0(VALU_DEP_1) | instskip(NEXT) | instid1(VALU_DEP_1)
	v_mad_co_u64_u32 v[2:3], null, s25, v68, v[2:3]
	v_lshlrev_b64_e32 v[1:2], 3, v[1:2]
	s_delay_alu instid0(VALU_DEP_1) | instskip(NEXT) | instid1(VALU_DEP_1)
	v_add_co_u32 v1, vcc_lo, s28, v1
	v_add_co_ci_u32_e64 v2, null, s29, v2, vcc_lo
	global_load_b64 v[17:18], v[1:2], off
	v_dual_mov_b32 v1, s4 :: v_dual_mov_b32 v2, s5
	v_dual_mov_b32 v3, s6 :: v_dual_mov_b32 v4, s7
	;; [unrolled: 1-line block ×8, first 2 shown]
.LBB195_20:
	s_or_b32 exec_lo, exec_lo, s3
	v_add_nc_u32_e32 v34, 0x200, v68
	s_delay_alu instid0(VALU_DEP_1)
	v_cmp_gt_u32_e64 s3, s22, v34
	s_and_saveexec_b32 s4, s3
	s_cbranch_execz .LBB195_22
; %bb.21:
	v_mad_co_u64_u32 v[1:2], null, s24, v34, 0
	s_delay_alu instid0(VALU_DEP_1) | instskip(NEXT) | instid1(VALU_DEP_1)
	v_mad_co_u64_u32 v[2:3], null, s25, v34, v[2:3]
	v_lshlrev_b64_e32 v[1:2], 3, v[1:2]
	s_delay_alu instid0(VALU_DEP_1) | instskip(SKIP_1) | instid1(VALU_DEP_2)
	v_add_co_u32 v1, vcc_lo, s28, v1
	s_wait_alu 0xfffd
	v_add_co_ci_u32_e64 v2, null, s29, v2, vcc_lo
	global_load_b64 v[3:4], v[1:2], off
.LBB195_22:
	s_wait_alu 0xfffe
	s_or_b32 exec_lo, exec_lo, s4
	v_or_b32_e32 v35, 0x400, v68
	s_delay_alu instid0(VALU_DEP_1)
	v_cmp_gt_u32_e64 s4, s22, v35
	s_and_saveexec_b32 s5, s4
	s_cbranch_execz .LBB195_24
; %bb.23:
	v_mad_co_u64_u32 v[1:2], null, s24, v35, 0
	s_wait_loadcnt 0x0
	s_delay_alu instid0(VALU_DEP_1) | instskip(NEXT) | instid1(VALU_DEP_1)
	v_mad_co_u64_u32 v[5:6], null, s25, v35, v[2:3]
	v_mov_b32_e32 v2, v5
	s_delay_alu instid0(VALU_DEP_1) | instskip(NEXT) | instid1(VALU_DEP_1)
	v_lshlrev_b64_e32 v[1:2], 3, v[1:2]
	v_add_co_u32 v1, vcc_lo, s28, v1
	s_wait_alu 0xfffd
	s_delay_alu instid0(VALU_DEP_2)
	v_add_co_ci_u32_e64 v2, null, s29, v2, vcc_lo
	global_load_b64 v[5:6], v[1:2], off
.LBB195_24:
	s_wait_alu 0xfffe
	s_or_b32 exec_lo, exec_lo, s5
	v_add_nc_u32_e32 v36, 0x600, v68
	s_delay_alu instid0(VALU_DEP_1)
	v_cmp_gt_u32_e64 s5, s22, v36
	s_and_saveexec_b32 s6, s5
	s_cbranch_execz .LBB195_26
; %bb.25:
	v_mad_co_u64_u32 v[1:2], null, s24, v36, 0
	s_wait_loadcnt 0x0
	s_delay_alu instid0(VALU_DEP_1) | instskip(NEXT) | instid1(VALU_DEP_1)
	v_mad_co_u64_u32 v[7:8], null, s25, v36, v[2:3]
	v_mov_b32_e32 v2, v7
	s_delay_alu instid0(VALU_DEP_1) | instskip(NEXT) | instid1(VALU_DEP_1)
	v_lshlrev_b64_e32 v[1:2], 3, v[1:2]
	v_add_co_u32 v1, vcc_lo, s28, v1
	s_wait_alu 0xfffd
	s_delay_alu instid0(VALU_DEP_2)
	v_add_co_ci_u32_e64 v2, null, s29, v2, vcc_lo
	global_load_b64 v[7:8], v[1:2], off
.LBB195_26:
	s_wait_alu 0xfffe
	s_or_b32 exec_lo, exec_lo, s6
	v_or_b32_e32 v37, 0x800, v68
	s_delay_alu instid0(VALU_DEP_1)
	v_cmp_gt_u32_e64 s6, s22, v37
	s_and_saveexec_b32 s7, s6
	s_cbranch_execz .LBB195_28
; %bb.27:
	v_mad_co_u64_u32 v[1:2], null, s24, v37, 0
	s_wait_loadcnt 0x0
	s_delay_alu instid0(VALU_DEP_1) | instskip(NEXT) | instid1(VALU_DEP_1)
	v_mad_co_u64_u32 v[9:10], null, s25, v37, v[2:3]
	v_mov_b32_e32 v2, v9
	s_delay_alu instid0(VALU_DEP_1) | instskip(NEXT) | instid1(VALU_DEP_1)
	v_lshlrev_b64_e32 v[1:2], 3, v[1:2]
	v_add_co_u32 v1, vcc_lo, s28, v1
	s_wait_alu 0xfffd
	s_delay_alu instid0(VALU_DEP_2)
	v_add_co_ci_u32_e64 v2, null, s29, v2, vcc_lo
	global_load_b64 v[9:10], v[1:2], off
.LBB195_28:
	s_wait_alu 0xfffe
	s_or_b32 exec_lo, exec_lo, s7
	v_add_nc_u32_e32 v38, 0xa00, v68
	s_delay_alu instid0(VALU_DEP_1)
	v_cmp_gt_u32_e64 s7, s22, v38
	s_and_saveexec_b32 s8, s7
	s_cbranch_execz .LBB195_30
; %bb.29:
	v_mad_co_u64_u32 v[1:2], null, s24, v38, 0
	s_wait_loadcnt 0x0
	s_delay_alu instid0(VALU_DEP_1) | instskip(NEXT) | instid1(VALU_DEP_1)
	v_mad_co_u64_u32 v[11:12], null, s25, v38, v[2:3]
	v_mov_b32_e32 v2, v11
	s_delay_alu instid0(VALU_DEP_1) | instskip(NEXT) | instid1(VALU_DEP_1)
	v_lshlrev_b64_e32 v[1:2], 3, v[1:2]
	v_add_co_u32 v1, vcc_lo, s28, v1
	s_wait_alu 0xfffd
	s_delay_alu instid0(VALU_DEP_2)
	v_add_co_ci_u32_e64 v2, null, s29, v2, vcc_lo
	global_load_b64 v[11:12], v[1:2], off
.LBB195_30:
	s_wait_alu 0xfffe
	s_or_b32 exec_lo, exec_lo, s8
	v_or_b32_e32 v39, 0xc00, v68
	s_delay_alu instid0(VALU_DEP_1)
	v_cmp_gt_u32_e64 s8, s22, v39
	s_and_saveexec_b32 s9, s8
	s_cbranch_execz .LBB195_32
; %bb.31:
	v_mad_co_u64_u32 v[1:2], null, s24, v39, 0
	s_wait_loadcnt 0x0
	s_delay_alu instid0(VALU_DEP_1) | instskip(NEXT) | instid1(VALU_DEP_1)
	v_mad_co_u64_u32 v[13:14], null, s25, v39, v[2:3]
	v_mov_b32_e32 v2, v13
	s_delay_alu instid0(VALU_DEP_1) | instskip(NEXT) | instid1(VALU_DEP_1)
	v_lshlrev_b64_e32 v[1:2], 3, v[1:2]
	v_add_co_u32 v1, vcc_lo, s28, v1
	s_wait_alu 0xfffd
	s_delay_alu instid0(VALU_DEP_2)
	v_add_co_ci_u32_e64 v2, null, s29, v2, vcc_lo
	global_load_b64 v[13:14], v[1:2], off
.LBB195_32:
	s_wait_alu 0xfffe
	s_or_b32 exec_lo, exec_lo, s9
	s_clause 0x1
	s_load_b64 s[12:13], s[0:1], 0x288
	s_load_b64 s[10:11], s[0:1], 0x1b8
	v_add_nc_u32_e32 v40, 0xe00, v68
	s_delay_alu instid0(VALU_DEP_1)
	v_cmp_gt_u32_e64 s9, s22, v40
	s_and_saveexec_b32 s14, s9
	s_cbranch_execz .LBB195_34
; %bb.33:
	v_mad_co_u64_u32 v[1:2], null, s24, v40, 0
	s_wait_loadcnt 0x0
	s_delay_alu instid0(VALU_DEP_1) | instskip(NEXT) | instid1(VALU_DEP_1)
	v_mad_co_u64_u32 v[15:16], null, s25, v40, v[2:3]
	v_mov_b32_e32 v2, v15
	s_delay_alu instid0(VALU_DEP_1) | instskip(NEXT) | instid1(VALU_DEP_1)
	v_lshlrev_b64_e32 v[1:2], 3, v[1:2]
	v_add_co_u32 v1, vcc_lo, s28, v1
	s_wait_alu 0xfffd
	s_delay_alu instid0(VALU_DEP_2)
	v_add_co_ci_u32_e64 v2, null, s29, v2, vcc_lo
	global_load_b64 v[15:16], v[1:2], off
.LBB195_34:
	s_wait_alu 0xfffe
	s_or_b32 exec_lo, exec_lo, s14
	v_lshrrev_b32_e32 v1, 2, v34
	v_lshrrev_b32_e32 v2, 2, v35
	;; [unrolled: 1-line block ×4, first 2 shown]
	v_lshlrev_b32_e32 v112, 3, v68
	v_and_b32_e32 v1, 0x1f8, v1
	v_and_b32_e32 v2, 0x1f8, v2
	;; [unrolled: 1-line block ×3, first 2 shown]
	v_lshrrev_b32_e32 v20, 2, v40
	v_lshl_add_u32 v103, v48, 3, v112
	v_add_nc_u32_e32 v104, v1, v112
	v_lshrrev_b32_e32 v1, 2, v37
	v_add_nc_u32_e32 v105, v2, v112
	v_add_nc_u32_e32 v106, v19, v112
	s_wait_loadcnt 0x0
	ds_store_b64 v103, v[17:18]
	ds_store_b64 v104, v[3:4] offset:4096
	ds_store_b64 v105, v[5:6] offset:8192
	;; [unrolled: 1-line block ×3, first 2 shown]
	v_and_b32_e32 v1, 0x3f8, v1
	v_lshlrev_b32_e32 v5, 1, v68
	v_lshrrev_b32_e32 v2, 2, v38
	v_lshrrev_b32_e32 v19, 2, v39
	s_lshl_b64 s[14:15], s[26:27], 3
	v_add_nc_u32_e32 v107, v1, v112
	v_and_b32_e32 v1, 0x7f8, v5
	s_load_b64 s[26:27], s[0:1], 0x358
	s_wait_kmcnt 0x0
	s_mul_u64 s[12:13], s[12:13], s[30:31]
	s_wait_alu 0xfffe
	s_lshl_b64 s[12:13], s[12:13], 3
	v_lshl_add_u32 v111, v68, 6, v1
	v_dual_mov_b32 v1, 0 :: v_dual_and_b32 v2, 0x3f8, v2
	v_and_b32_e32 v3, 0x3f8, v19
	v_and_b32_e32 v4, 0x7f8, v20
	s_wait_alu 0xfffe
	s_add_nc_u64 s[10:11], s[10:11], s[12:13]
	v_dual_mov_b32 v7, v1 :: v_dual_add_nc_u32 v108, v2, v112
	v_dual_mov_b32 v6, v1 :: v_dual_add_nc_u32 v109, v3, v112
	;; [unrolled: 1-line block ×3, first 2 shown]
	ds_store_b64 v107, v[9:10] offset:16384
	ds_store_b64 v108, v[11:12] offset:20480
	;; [unrolled: 1-line block ×4, first 2 shown]
	s_wait_dscnt 0x0
	s_barrier_signal -1
	s_barrier_wait -1
	global_inv scope:SCOPE_SE
	ds_load_2addr_b64 v[28:31], v111 offset1:1
	ds_load_2addr_b64 v[24:27], v111 offset0:2 offset1:3
	ds_load_2addr_b64 v[20:23], v111 offset0:4 offset1:5
	;; [unrolled: 1-line block ×3, first 2 shown]
	v_dual_mov_b32 v11, 0 :: v_dual_mov_b32 v2, v1
	v_dual_mov_b32 v3, v1 :: v_dual_mov_b32 v4, v1
	;; [unrolled: 1-line block ×5, first 2 shown]
	v_mov_b32_e32 v32, v1
	v_mov_b32_e32 v12, 0
	s_wait_alu 0xfffe
	s_add_nc_u64 s[30:31], s[10:11], s[14:15]
	s_wait_loadcnt_dscnt 0x0
	s_barrier_signal -1
	s_barrier_wait -1
	global_inv scope:SCOPE_SE
	s_and_saveexec_b32 s0, s2
	s_cbranch_execnz .LBB195_70
; %bb.35:
	s_or_b32 exec_lo, exec_lo, s0
	s_and_saveexec_b32 s0, s3
	s_cbranch_execnz .LBB195_71
.LBB195_36:
	s_or_b32 exec_lo, exec_lo, s0
	s_and_saveexec_b32 s0, s4
	s_cbranch_execnz .LBB195_72
.LBB195_37:
	s_or_b32 exec_lo, exec_lo, s0
	s_and_saveexec_b32 s0, s5
	s_cbranch_execnz .LBB195_73
.LBB195_38:
	s_or_b32 exec_lo, exec_lo, s0
	s_and_saveexec_b32 s0, s6
	s_cbranch_execnz .LBB195_74
.LBB195_39:
	s_or_b32 exec_lo, exec_lo, s0
	s_and_saveexec_b32 s0, s7
	s_cbranch_execnz .LBB195_75
.LBB195_40:
	s_or_b32 exec_lo, exec_lo, s0
	s_and_saveexec_b32 s0, s8
	s_cbranch_execnz .LBB195_76
.LBB195_41:
	s_or_b32 exec_lo, exec_lo, s0
	s_xor_b32 s0, s23, -1
	s_and_saveexec_b32 s1, s9
	s_cbranch_execz .LBB195_43
.LBB195_42:
	v_mad_co_u64_u32 v[32:33], null, s26, v40, 0
	s_delay_alu instid0(VALU_DEP_1) | instskip(NEXT) | instid1(VALU_DEP_1)
	v_mov_b32_e32 v15, v33
	v_mad_co_u64_u32 v[33:34], null, s27, v40, v[15:16]
	s_delay_alu instid0(VALU_DEP_1) | instskip(NEXT) | instid1(VALU_DEP_1)
	v_lshlrev_b64_e32 v[32:33], 3, v[32:33]
	v_add_co_u32 v32, vcc_lo, s30, v32
	s_wait_alu 0xfffd
	s_delay_alu instid0(VALU_DEP_2)
	v_add_co_ci_u32_e64 v33, null, s31, v33, vcc_lo
	global_load_b64 v[32:33], v[32:33], off
.LBB195_43:
	s_or_b32 exec_lo, exec_lo, s1
	s_wait_loadcnt 0x0
	ds_store_b64 v103, v[11:12]
	ds_store_b64 v104, v[1:2] offset:4096
	ds_store_b64 v105, v[3:4] offset:8192
	;; [unrolled: 1-line block ×7, first 2 shown]
	s_wait_dscnt 0x0
	s_barrier_signal -1
	s_barrier_wait -1
	global_inv scope:SCOPE_SE
	ds_load_2addr_b64 v[44:47], v111 offset1:1
	ds_load_2addr_b64 v[40:43], v111 offset0:2 offset1:3
	ds_load_2addr_b64 v[36:39], v111 offset0:4 offset1:5
	;; [unrolled: 1-line block ×3, first 2 shown]
	s_and_b32 vcc_lo, exec_lo, s0
	v_bfe_u32 v118, v0, 10, 10
	v_bfe_u32 v119, v0, 20, 10
	v_ashrrev_i32_e32 v127, 31, v29
	v_ashrrev_i32_e32 v126, 31, v31
	;; [unrolled: 1-line block ×8, first 2 shown]
	v_mbcnt_lo_u32_b32 v116, -1, 0
	v_and_b32_e32 v117, 0x3e0, v68
	v_lshlrev_b32_e32 v113, 2, v112
	v_cmp_gt_u32_e64 s0, 16, v68
	v_cmp_lt_u32_e64 s1, 31, v68
	v_cmp_eq_u32_e64 s10, 0, v68
	v_lshlrev_b32_e32 v114, 2, v48
	v_mul_i32_i24_e32 v115, 0xffffffe4, v68
	s_wait_loadcnt_dscnt 0x0
	s_barrier_signal -1
	s_barrier_wait -1
	global_inv scope:SCOPE_SE
	s_wait_alu 0xfffe
	s_cbranch_vccz .LBB195_77
; %bb.44:
	v_cmp_lt_i64_e32 vcc_lo, -1, v[28:29]
	v_or_b32_e32 v14, v116, v117
	s_getpc_b64 s[12:13]
	s_wait_alu 0xfffe
	s_sext_i32_i16 s13, s13
	s_add_co_u32 s12, s12, _ZN7rocprim17ROCPRIM_400000_NS16block_radix_sortIdLj512ELj8ElLj1ELj1ELj0ELNS0_26block_radix_rank_algorithmE1ELNS0_18block_padding_hintE2ELNS0_4arch9wavefront6targetE0EE19radix_bits_per_passE@rel32@lo+12
	s_wait_alu 0xfffe
	s_add_co_ci_u32 s13, s13, _ZN7rocprim17ROCPRIM_400000_NS16block_radix_sortIdLj512ELj8ElLj1ELj1ELj0ELNS0_26block_radix_rank_algorithmE1ELNS0_18block_padding_hintE2ELNS0_4arch9wavefront6targetE0EE19radix_bits_per_passE@rel32@hi+24
	v_and_or_b32 v49, 0x1f00, v112, v116
	s_load_b32 s19, s[12:13], 0x0
	s_mov_b32 s36, 0
	v_cndmask_b32_e64 v0, -1, 0x80000000, vcc_lo
	v_cmp_lt_i64_e32 vcc_lo, -1, v[30:31]
	v_lshlrev_b32_e32 v48, 6, v14
	v_lshlrev_b32_e32 v128, 3, v49
	v_xor_b32_e32 v14, v120, v18
	v_xor_b32_e32 v1, v0, v29
	;; [unrolled: 1-line block ×3, first 2 shown]
	s_wait_alu 0xfffd
	v_cndmask_b32_e64 v2, -1, 0x80000000, vcc_lo
	v_cmp_lt_i64_e32 vcc_lo, -1, v[24:25]
	s_mov_b32 s37, s36
	s_mov_b32 s38, s36
	;; [unrolled: 1-line block ×3, first 2 shown]
	v_xor_b32_e32 v3, v2, v31
	v_xor_b32_e32 v2, v126, v30
	s_wait_alu 0xfffd
	v_cndmask_b32_e64 v4, -1, 0x80000000, vcc_lo
	v_cmp_lt_i64_e32 vcc_lo, -1, v[26:27]
	v_add_nc_u32_e32 v130, -4, v114
	v_add_nc_u32_e32 v132, v113, v115
	s_mov_b32 s22, -1
	v_xor_b32_e32 v5, v4, v25
	v_xor_b32_e32 v4, v125, v24
	s_wait_alu 0xfffd
	v_cndmask_b32_e64 v6, -1, 0x80000000, vcc_lo
	v_cmp_lt_i64_e32 vcc_lo, -1, v[20:21]
	s_brev_b32 s23, -2
	s_mov_b32 s33, 64
	s_delay_alu instid0(VALU_DEP_2)
	v_xor_b32_e32 v7, v6, v27
	v_xor_b32_e32 v6, v124, v26
	s_wait_alu 0xfffd
	v_cndmask_b32_e64 v8, -1, 0x80000000, vcc_lo
	v_cmp_lt_i64_e32 vcc_lo, -1, v[22:23]
	ds_store_b128 v48, v[0:3]
	ds_store_b128 v48, v[4:7] offset:16
	v_sub_co_u32 v3, s12, v116, 1
	v_xor_b32_e32 v9, v8, v21
	s_wait_alu 0xfffd
	v_cndmask_b32_e64 v10, -1, 0x80000000, vcc_lo
	v_cmp_lt_i64_e32 vcc_lo, -1, v[16:17]
	v_xor_b32_e32 v8, v123, v20
	v_and_b32_e32 v2, 15, v116
	s_delay_alu instid0(VALU_DEP_4)
	v_xor_b32_e32 v11, v10, v23
	v_xor_b32_e32 v10, v122, v22
	s_wait_alu 0xfffd
	v_cndmask_b32_e64 v12, -1, 0x80000000, vcc_lo
	v_cmp_lt_i64_e32 vcc_lo, -1, v[18:19]
	v_cmp_lt_u32_e64 s13, 1, v2
	v_cmp_lt_u32_e64 s15, 7, v2
	s_delay_alu instid0(VALU_DEP_4) | instskip(SKIP_4) | instid1(VALU_DEP_2)
	v_xor_b32_e32 v13, v12, v17
	v_xor_b32_e32 v12, v121, v16
	s_wait_alu 0xfffd
	v_cndmask_b32_e64 v15, -1, 0x80000000, vcc_lo
	v_cmp_gt_i32_e32 vcc_lo, 0, v3
	v_xor_b32_e32 v15, v15, v19
	s_wait_alu 0xfffd
	v_cndmask_b32_e32 v3, v3, v116, vcc_lo
	ds_store_b128 v48, v[8:11] offset:32
	ds_store_b128 v48, v[12:15] offset:48
	; wave barrier
	ds_load_2addr_b64 v[4:7], v128 offset1:32
	ds_load_2addr_b64 v[8:11], v128 offset0:64 offset1:96
	ds_load_2addr_b64 v[12:15], v128 offset0:128 offset1:160
	;; [unrolled: 1-line block ×3, first 2 shown]
	; wave barrier
	ds_store_b128 v48, v[44:47]
	ds_store_b128 v48, v[40:43] offset:16
	ds_store_b128 v48, v[36:39] offset:32
	;; [unrolled: 1-line block ×3, first 2 shown]
	; wave barrier
	ds_load_2addr_b64 v[48:51], v128 offset1:32
	ds_load_2addr_b64 v[52:55], v128 offset0:64 offset1:96
	ds_load_2addr_b64 v[56:59], v128 offset0:128 offset1:160
	;; [unrolled: 1-line block ×3, first 2 shown]
	s_wait_loadcnt_dscnt 0x0
	s_barrier_signal -1
	s_barrier_wait -1
	global_inv scope:SCOPE_SE
	s_load_b32 s11, s[20:21], 0xc
	v_lshlrev_b32_e32 v129, 2, v3
	s_wait_kmcnt 0x0
	s_lshr_b32 s14, s11, 16
	s_and_b32 s11, s11, 0xffff
	s_wait_alu 0xfffe
	v_mad_u32_u24 v0, v119, s14, v118
	v_cmp_lt_u32_e64 s14, 3, v2
	s_delay_alu instid0(VALU_DEP_2) | instskip(SKIP_3) | instid1(VALU_DEP_3)
	v_mad_co_u64_u32 v[0:1], null, v0, s11, v[68:69]
	v_min_u32_e32 v1, 0x1e0, v117
	v_and_b32_e32 v69, 16, v116
	v_cmp_eq_u32_e64 s11, 0, v2
	v_or_b32_e32 v1, 31, v1
	v_lshrrev_b32_e32 v0, 3, v0
	s_delay_alu instid0(VALU_DEP_2) | instskip(NEXT) | instid1(VALU_DEP_2)
	v_cmp_eq_u32_e64 s17, v68, v1
	v_dual_mov_b32 v0, s36 :: v_dual_and_b32 v131, 0x1ffffffc, v0
	v_cmp_eq_u32_e64 s16, 0, v69
	v_mov_b32_e32 v69, 0
	v_dual_mov_b32 v70, 0 :: v_dual_mov_b32 v1, s37
	v_dual_mov_b32 v2, s38 :: v_dual_mov_b32 v3, s39
	s_branch .LBB195_46
.LBB195_45:                             ;   in Loop: Header=BB195_46 Depth=1
	s_wait_alu 0xfffe
	s_and_not1_b32 vcc_lo, exec_lo, s18
	s_wait_alu 0xfffe
	s_cbranch_vccz .LBB195_78
.LBB195_46:                             ; =>This Inner Loop Header: Depth=1
	v_dual_mov_b32 v72, v5 :: v_dual_mov_b32 v71, v4
	s_min_u32 s18, s19, s33
	v_mov_b32_e32 v84, v59
	s_wait_alu 0xfffe
	s_lshl_b32 s18, -1, s18
	v_mov_b32_e32 v92, v51
	v_cmp_ne_u64_e32 vcc_lo, s[22:23], v[71:72]
	s_wait_alu 0xfffe
	s_not_b32 s34, s18
	v_mov_b32_e32 v82, v61
	v_mov_b32_e32 v86, v57
	;; [unrolled: 1-line block ×3, first 2 shown]
	s_wait_alu 0xfffd
	v_dual_mov_b32 v74, v67 :: v_dual_cndmask_b32 v5, 0x80000000, v72
	v_dual_cndmask_b32 v4, 0, v71 :: v_dual_mov_b32 v73, v66
	v_mov_b32_e32 v85, v56
	v_mov_b32_e32 v93, v48
	ds_store_b128 v113, v[0:3] offset:64
	ds_store_b128 v113, v[0:3] offset:80
	v_lshrrev_b64 v[4:5], v69, v[4:5]
	s_wait_loadcnt_dscnt 0x0
	s_barrier_signal -1
	s_barrier_wait -1
	v_dual_mov_b32 v76, v65 :: v_dual_mov_b32 v75, v64
	s_wait_alu 0xfffe
	v_dual_mov_b32 v78, v15 :: v_dual_and_b32 v5, s34, v4
	v_dual_mov_b32 v77, v14 :: v_dual_mov_b32 v96, v13
	v_dual_mov_b32 v95, v12 :: v_dual_mov_b32 v98, v11
	s_delay_alu instid0(VALU_DEP_3) | instskip(SKIP_4) | instid1(VALU_DEP_4)
	v_lshlrev_b32_e32 v67, 26, v5
	v_and_b32_e32 v4, 1, v5
	v_lshlrev_b32_e32 v14, 30, v5
	v_lshlrev_b32_e32 v15, 29, v5
	v_dual_mov_b32 v97, v10 :: v_dual_lshlrev_b32 v64, 28, v5
	v_add_co_u32 v4, s18, v4, -1
	s_wait_alu 0xf1ff
	v_cndmask_b32_e64 v65, 0, 1, s18
	v_not_b32_e32 v80, v14
	v_cmp_gt_i32_e64 s18, 0, v14
	v_not_b32_e32 v14, v15
	v_lshlrev_b32_e32 v66, 27, v5
	v_cmp_ne_u32_e32 vcc_lo, 0, v65
	v_ashrrev_i32_e32 v80, 31, v80
	v_dual_mov_b32 v100, v9 :: v_dual_lshlrev_b32 v79, 25, v5
	v_ashrrev_i32_e32 v14, 31, v14
	s_wait_alu 0xfffd
	v_xor_b32_e32 v4, vcc_lo, v4
	v_cmp_gt_i32_e32 vcc_lo, 0, v15
	v_not_b32_e32 v15, v64
	s_wait_alu 0xf1ff
	v_xor_b32_e32 v80, s18, v80
	v_dual_mov_b32 v102, v7 :: v_dual_lshlrev_b32 v65, 24, v5
	v_dual_mov_b32 v101, v6 :: v_dual_and_b32 v4, exec_lo, v4
	v_cmp_gt_i32_e64 s18, 0, v64
	v_ashrrev_i32_e32 v15, 31, v15
	s_wait_alu 0xfffd
	v_xor_b32_e32 v14, vcc_lo, v14
	v_and_b32_e32 v4, v4, v80
	v_mov_b32_e32 v99, v8
	v_not_b32_e32 v64, v66
	v_cmp_gt_i32_e32 vcc_lo, 0, v66
	v_not_b32_e32 v66, v67
	s_wait_alu 0xf1ff
	v_xor_b32_e32 v15, s18, v15
	v_dual_mov_b32 v83, v58 :: v_dual_and_b32 v4, v4, v14
	v_ashrrev_i32_e32 v64, 31, v64
	v_cmp_gt_i32_e64 s18, 0, v67
	v_not_b32_e32 v14, v79
	v_ashrrev_i32_e32 v66, 31, v66
	v_and_b32_e32 v4, v4, v15
	s_wait_alu 0xfffd
	v_xor_b32_e32 v64, vcc_lo, v64
	v_dual_mov_b32 v88, v55 :: v_dual_lshlrev_b32 v5, 6, v5
	v_cmp_gt_i32_e32 vcc_lo, 0, v79
	v_not_b32_e32 v15, v65
	v_ashrrev_i32_e32 v14, 31, v14
	s_wait_alu 0xf1ff
	v_xor_b32_e32 v66, s18, v66
	v_dual_mov_b32 v87, v54 :: v_dual_and_b32 v4, v4, v64
	v_mov_b32_e32 v91, v50
	v_cmp_gt_i32_e64 s18, 0, v65
	v_ashrrev_i32_e32 v12, 31, v15
	s_wait_alu 0xfffd
	v_xor_b32_e32 v13, vcc_lo, v14
	v_and_b32_e32 v4, v4, v66
	v_dual_mov_b32 v80, v63 :: v_dual_mov_b32 v81, v60
	s_wait_alu 0xf1ff
	v_xor_b32_e32 v6, s18, v12
	v_mov_b32_e32 v90, v53
	v_dual_mov_b32 v79, v62 :: v_dual_and_b32 v4, v4, v13
	v_mov_b32_e32 v89, v52
	v_add_nc_u32_e32 v13, v131, v5
	global_inv scope:SCOPE_SE
	v_and_b32_e32 v4, v4, v6
	; wave barrier
	s_delay_alu instid0(VALU_DEP_1) | instskip(SKIP_1) | instid1(VALU_DEP_2)
	v_mbcnt_lo_u32_b32 v12, v4, 0
	v_cmp_ne_u32_e64 s18, 0, v4
	v_cmp_eq_u32_e32 vcc_lo, 0, v12
	s_and_b32 s35, s18, vcc_lo
	s_wait_alu 0xfffe
	s_and_saveexec_b32 s18, s35
; %bb.47:                               ;   in Loop: Header=BB195_46 Depth=1
	v_bcnt_u32_b32 v4, v4, 0
	ds_store_b32 v13, v4 offset:64
; %bb.48:                               ;   in Loop: Header=BB195_46 Depth=1
	s_wait_alu 0xfffe
	s_or_b32 exec_lo, exec_lo, s18
	v_cmp_ne_u64_e32 vcc_lo, s[22:23], v[101:102]
	; wave barrier
	s_wait_alu 0xfffd
	v_cndmask_b32_e32 v5, 0x80000000, v102, vcc_lo
	v_cndmask_b32_e32 v4, 0, v101, vcc_lo
	s_delay_alu instid0(VALU_DEP_1) | instskip(NEXT) | instid1(VALU_DEP_1)
	v_lshrrev_b64 v[4:5], v69, v[4:5]
	v_and_b32_e32 v4, s34, v4
	s_delay_alu instid0(VALU_DEP_1)
	v_and_b32_e32 v5, 1, v4
	v_lshlrev_b32_e32 v6, 30, v4
	v_lshlrev_b32_e32 v7, 29, v4
	;; [unrolled: 1-line block ×4, first 2 shown]
	v_add_co_u32 v5, s18, v5, -1
	s_wait_alu 0xf1ff
	v_cndmask_b32_e64 v9, 0, 1, s18
	v_not_b32_e32 v15, v6
	v_cmp_gt_i32_e64 s18, 0, v6
	v_not_b32_e32 v6, v7
	v_lshlrev_b32_e32 v11, 26, v4
	v_cmp_ne_u32_e32 vcc_lo, 0, v9
	v_ashrrev_i32_e32 v15, 31, v15
	v_lshlrev_b32_e32 v14, 25, v4
	v_ashrrev_i32_e32 v6, 31, v6
	v_lshlrev_b32_e32 v9, 24, v4
	s_wait_alu 0xfffd
	v_xor_b32_e32 v5, vcc_lo, v5
	v_cmp_gt_i32_e32 vcc_lo, 0, v7
	v_not_b32_e32 v7, v8
	s_wait_alu 0xf1ff
	v_xor_b32_e32 v15, s18, v15
	v_cmp_gt_i32_e64 s18, 0, v8
	v_and_b32_e32 v5, exec_lo, v5
	v_not_b32_e32 v8, v10
	v_ashrrev_i32_e32 v7, 31, v7
	s_wait_alu 0xfffd
	v_xor_b32_e32 v6, vcc_lo, v6
	v_cmp_gt_i32_e32 vcc_lo, 0, v10
	v_and_b32_e32 v5, v5, v15
	v_not_b32_e32 v10, v11
	v_ashrrev_i32_e32 v8, 31, v8
	s_wait_alu 0xf1ff
	v_xor_b32_e32 v7, s18, v7
	v_cmp_gt_i32_e64 s18, 0, v11
	v_and_b32_e32 v5, v5, v6
	v_not_b32_e32 v6, v14
	v_ashrrev_i32_e32 v10, 31, v10
	s_wait_alu 0xfffd
	v_xor_b32_e32 v8, vcc_lo, v8
	v_cmp_gt_i32_e32 vcc_lo, 0, v14
	v_and_b32_e32 v5, v5, v7
	v_not_b32_e32 v7, v9
	v_ashrrev_i32_e32 v6, 31, v6
	s_wait_alu 0xf1ff
	v_xor_b32_e32 v10, s18, v10
	v_lshlrev_b32_e32 v4, 6, v4
	v_and_b32_e32 v5, v5, v8
	v_cmp_gt_i32_e64 s18, 0, v9
	v_ashrrev_i32_e32 v7, 31, v7
	s_wait_alu 0xfffd
	v_xor_b32_e32 v6, vcc_lo, v6
	v_add_nc_u32_e32 v48, v131, v4
	v_and_b32_e32 v5, v5, v10
	s_wait_alu 0xf1ff
	v_xor_b32_e32 v4, s18, v7
	ds_load_b32 v14, v48 offset:64
	v_and_b32_e32 v5, v5, v6
	; wave barrier
	s_delay_alu instid0(VALU_DEP_1) | instskip(NEXT) | instid1(VALU_DEP_1)
	v_and_b32_e32 v4, v5, v4
	v_mbcnt_lo_u32_b32 v15, v4, 0
	v_cmp_ne_u32_e64 s18, 0, v4
	s_delay_alu instid0(VALU_DEP_2)
	v_cmp_eq_u32_e32 vcc_lo, 0, v15
	s_and_b32 s35, s18, vcc_lo
	s_wait_alu 0xfffe
	s_and_saveexec_b32 s18, s35
	s_cbranch_execz .LBB195_50
; %bb.49:                               ;   in Loop: Header=BB195_46 Depth=1
	s_wait_dscnt 0x0
	v_bcnt_u32_b32 v4, v4, v14
	ds_store_b32 v48, v4 offset:64
.LBB195_50:                             ;   in Loop: Header=BB195_46 Depth=1
	s_wait_alu 0xfffe
	s_or_b32 exec_lo, exec_lo, s18
	v_cmp_ne_u64_e32 vcc_lo, s[22:23], v[99:100]
	; wave barrier
	s_wait_alu 0xfffd
	v_cndmask_b32_e32 v5, 0x80000000, v100, vcc_lo
	v_cndmask_b32_e32 v4, 0, v99, vcc_lo
	s_delay_alu instid0(VALU_DEP_1) | instskip(NEXT) | instid1(VALU_DEP_1)
	v_lshrrev_b64 v[4:5], v69, v[4:5]
	v_and_b32_e32 v4, s34, v4
	s_delay_alu instid0(VALU_DEP_1)
	v_and_b32_e32 v5, 1, v4
	v_lshlrev_b32_e32 v6, 30, v4
	v_lshlrev_b32_e32 v7, 29, v4
	;; [unrolled: 1-line block ×4, first 2 shown]
	v_add_co_u32 v5, s18, v5, -1
	s_wait_alu 0xf1ff
	v_cndmask_b32_e64 v9, 0, 1, s18
	v_not_b32_e32 v50, v6
	v_cmp_gt_i32_e64 s18, 0, v6
	v_not_b32_e32 v6, v7
	v_lshlrev_b32_e32 v11, 26, v4
	v_cmp_ne_u32_e32 vcc_lo, 0, v9
	v_ashrrev_i32_e32 v50, 31, v50
	v_lshlrev_b32_e32 v49, 25, v4
	v_ashrrev_i32_e32 v6, 31, v6
	v_lshlrev_b32_e32 v9, 24, v4
	s_wait_alu 0xfffd
	v_xor_b32_e32 v5, vcc_lo, v5
	v_cmp_gt_i32_e32 vcc_lo, 0, v7
	v_not_b32_e32 v7, v8
	s_wait_alu 0xf1ff
	v_xor_b32_e32 v50, s18, v50
	v_cmp_gt_i32_e64 s18, 0, v8
	v_and_b32_e32 v5, exec_lo, v5
	v_not_b32_e32 v8, v10
	v_ashrrev_i32_e32 v7, 31, v7
	s_wait_alu 0xfffd
	v_xor_b32_e32 v6, vcc_lo, v6
	v_cmp_gt_i32_e32 vcc_lo, 0, v10
	v_and_b32_e32 v5, v5, v50
	v_not_b32_e32 v10, v11
	v_ashrrev_i32_e32 v8, 31, v8
	s_wait_alu 0xf1ff
	v_xor_b32_e32 v7, s18, v7
	v_cmp_gt_i32_e64 s18, 0, v11
	v_and_b32_e32 v5, v5, v6
	v_not_b32_e32 v6, v49
	v_ashrrev_i32_e32 v10, 31, v10
	s_wait_alu 0xfffd
	v_xor_b32_e32 v8, vcc_lo, v8
	v_cmp_gt_i32_e32 vcc_lo, 0, v49
	v_and_b32_e32 v5, v5, v7
	v_not_b32_e32 v7, v9
	v_ashrrev_i32_e32 v6, 31, v6
	s_wait_alu 0xf1ff
	v_xor_b32_e32 v10, s18, v10
	v_lshlrev_b32_e32 v4, 6, v4
	v_and_b32_e32 v5, v5, v8
	v_cmp_gt_i32_e64 s18, 0, v9
	v_ashrrev_i32_e32 v7, 31, v7
	s_wait_alu 0xfffd
	v_xor_b32_e32 v6, vcc_lo, v6
	v_add_nc_u32_e32 v51, v131, v4
	v_and_b32_e32 v5, v5, v10
	s_wait_alu 0xf1ff
	v_xor_b32_e32 v4, s18, v7
	ds_load_b32 v49, v51 offset:64
	v_and_b32_e32 v5, v5, v6
	; wave barrier
	s_delay_alu instid0(VALU_DEP_1) | instskip(NEXT) | instid1(VALU_DEP_1)
	v_and_b32_e32 v4, v5, v4
	v_mbcnt_lo_u32_b32 v50, v4, 0
	v_cmp_ne_u32_e64 s18, 0, v4
	s_delay_alu instid0(VALU_DEP_2)
	v_cmp_eq_u32_e32 vcc_lo, 0, v50
	s_and_b32 s35, s18, vcc_lo
	s_wait_alu 0xfffe
	s_and_saveexec_b32 s18, s35
	s_cbranch_execz .LBB195_52
; %bb.51:                               ;   in Loop: Header=BB195_46 Depth=1
	s_wait_dscnt 0x0
	v_bcnt_u32_b32 v4, v4, v49
	ds_store_b32 v51, v4 offset:64
.LBB195_52:                             ;   in Loop: Header=BB195_46 Depth=1
	s_wait_alu 0xfffe
	s_or_b32 exec_lo, exec_lo, s18
	v_cmp_ne_u64_e32 vcc_lo, s[22:23], v[97:98]
	; wave barrier
	s_wait_alu 0xfffd
	v_cndmask_b32_e32 v5, 0x80000000, v98, vcc_lo
	v_cndmask_b32_e32 v4, 0, v97, vcc_lo
	s_delay_alu instid0(VALU_DEP_1) | instskip(NEXT) | instid1(VALU_DEP_1)
	v_lshrrev_b64 v[4:5], v69, v[4:5]
	v_and_b32_e32 v4, s34, v4
	s_delay_alu instid0(VALU_DEP_1)
	v_and_b32_e32 v5, 1, v4
	v_lshlrev_b32_e32 v6, 30, v4
	v_lshlrev_b32_e32 v7, 29, v4
	;; [unrolled: 1-line block ×4, first 2 shown]
	v_add_co_u32 v5, s18, v5, -1
	s_wait_alu 0xf1ff
	v_cndmask_b32_e64 v9, 0, 1, s18
	v_not_b32_e32 v53, v6
	v_cmp_gt_i32_e64 s18, 0, v6
	v_not_b32_e32 v6, v7
	v_lshlrev_b32_e32 v11, 26, v4
	v_cmp_ne_u32_e32 vcc_lo, 0, v9
	v_ashrrev_i32_e32 v53, 31, v53
	v_lshlrev_b32_e32 v52, 25, v4
	v_ashrrev_i32_e32 v6, 31, v6
	v_lshlrev_b32_e32 v9, 24, v4
	s_wait_alu 0xfffd
	v_xor_b32_e32 v5, vcc_lo, v5
	v_cmp_gt_i32_e32 vcc_lo, 0, v7
	v_not_b32_e32 v7, v8
	s_wait_alu 0xf1ff
	v_xor_b32_e32 v53, s18, v53
	v_cmp_gt_i32_e64 s18, 0, v8
	v_and_b32_e32 v5, exec_lo, v5
	v_not_b32_e32 v8, v10
	v_ashrrev_i32_e32 v7, 31, v7
	s_wait_alu 0xfffd
	v_xor_b32_e32 v6, vcc_lo, v6
	v_cmp_gt_i32_e32 vcc_lo, 0, v10
	v_and_b32_e32 v5, v5, v53
	v_not_b32_e32 v10, v11
	v_ashrrev_i32_e32 v8, 31, v8
	s_wait_alu 0xf1ff
	v_xor_b32_e32 v7, s18, v7
	v_cmp_gt_i32_e64 s18, 0, v11
	v_and_b32_e32 v5, v5, v6
	v_not_b32_e32 v6, v52
	v_ashrrev_i32_e32 v10, 31, v10
	s_wait_alu 0xfffd
	v_xor_b32_e32 v8, vcc_lo, v8
	v_cmp_gt_i32_e32 vcc_lo, 0, v52
	v_and_b32_e32 v5, v5, v7
	v_not_b32_e32 v7, v9
	v_ashrrev_i32_e32 v6, 31, v6
	s_wait_alu 0xf1ff
	v_xor_b32_e32 v10, s18, v10
	v_lshlrev_b32_e32 v4, 6, v4
	v_and_b32_e32 v5, v5, v8
	v_cmp_gt_i32_e64 s18, 0, v9
	v_ashrrev_i32_e32 v7, 31, v7
	s_wait_alu 0xfffd
	v_xor_b32_e32 v6, vcc_lo, v6
	v_add_nc_u32_e32 v54, v131, v4
	v_and_b32_e32 v5, v5, v10
	s_wait_alu 0xf1ff
	v_xor_b32_e32 v4, s18, v7
	ds_load_b32 v52, v54 offset:64
	v_and_b32_e32 v5, v5, v6
	; wave barrier
	s_delay_alu instid0(VALU_DEP_1) | instskip(NEXT) | instid1(VALU_DEP_1)
	v_and_b32_e32 v4, v5, v4
	v_mbcnt_lo_u32_b32 v53, v4, 0
	v_cmp_ne_u32_e64 s18, 0, v4
	s_delay_alu instid0(VALU_DEP_2)
	v_cmp_eq_u32_e32 vcc_lo, 0, v53
	s_and_b32 s35, s18, vcc_lo
	s_wait_alu 0xfffe
	s_and_saveexec_b32 s18, s35
	s_cbranch_execz .LBB195_54
; %bb.53:                               ;   in Loop: Header=BB195_46 Depth=1
	s_wait_dscnt 0x0
	v_bcnt_u32_b32 v4, v4, v52
	ds_store_b32 v54, v4 offset:64
.LBB195_54:                             ;   in Loop: Header=BB195_46 Depth=1
	s_wait_alu 0xfffe
	s_or_b32 exec_lo, exec_lo, s18
	v_cmp_ne_u64_e32 vcc_lo, s[22:23], v[95:96]
	; wave barrier
	s_wait_alu 0xfffd
	v_cndmask_b32_e32 v5, 0x80000000, v96, vcc_lo
	v_cndmask_b32_e32 v4, 0, v95, vcc_lo
	s_delay_alu instid0(VALU_DEP_1) | instskip(NEXT) | instid1(VALU_DEP_1)
	v_lshrrev_b64 v[4:5], v69, v[4:5]
	v_and_b32_e32 v4, s34, v4
	s_delay_alu instid0(VALU_DEP_1)
	v_and_b32_e32 v5, 1, v4
	v_lshlrev_b32_e32 v6, 30, v4
	v_lshlrev_b32_e32 v7, 29, v4
	v_lshlrev_b32_e32 v8, 28, v4
	v_lshlrev_b32_e32 v10, 27, v4
	v_add_co_u32 v5, s18, v5, -1
	s_wait_alu 0xf1ff
	v_cndmask_b32_e64 v9, 0, 1, s18
	v_not_b32_e32 v56, v6
	v_cmp_gt_i32_e64 s18, 0, v6
	v_not_b32_e32 v6, v7
	v_lshlrev_b32_e32 v11, 26, v4
	v_cmp_ne_u32_e32 vcc_lo, 0, v9
	v_ashrrev_i32_e32 v56, 31, v56
	v_lshlrev_b32_e32 v55, 25, v4
	v_ashrrev_i32_e32 v6, 31, v6
	v_lshlrev_b32_e32 v9, 24, v4
	s_wait_alu 0xfffd
	v_xor_b32_e32 v5, vcc_lo, v5
	v_cmp_gt_i32_e32 vcc_lo, 0, v7
	v_not_b32_e32 v7, v8
	s_wait_alu 0xf1ff
	v_xor_b32_e32 v56, s18, v56
	v_cmp_gt_i32_e64 s18, 0, v8
	v_and_b32_e32 v5, exec_lo, v5
	v_not_b32_e32 v8, v10
	v_ashrrev_i32_e32 v7, 31, v7
	s_wait_alu 0xfffd
	v_xor_b32_e32 v6, vcc_lo, v6
	v_cmp_gt_i32_e32 vcc_lo, 0, v10
	v_and_b32_e32 v5, v5, v56
	v_not_b32_e32 v10, v11
	v_ashrrev_i32_e32 v8, 31, v8
	s_wait_alu 0xf1ff
	v_xor_b32_e32 v7, s18, v7
	v_cmp_gt_i32_e64 s18, 0, v11
	v_and_b32_e32 v5, v5, v6
	v_not_b32_e32 v6, v55
	v_ashrrev_i32_e32 v10, 31, v10
	s_wait_alu 0xfffd
	v_xor_b32_e32 v8, vcc_lo, v8
	v_cmp_gt_i32_e32 vcc_lo, 0, v55
	v_and_b32_e32 v5, v5, v7
	v_not_b32_e32 v7, v9
	v_ashrrev_i32_e32 v6, 31, v6
	s_wait_alu 0xf1ff
	v_xor_b32_e32 v10, s18, v10
	v_lshlrev_b32_e32 v4, 6, v4
	v_and_b32_e32 v5, v5, v8
	v_cmp_gt_i32_e64 s18, 0, v9
	v_ashrrev_i32_e32 v7, 31, v7
	s_wait_alu 0xfffd
	v_xor_b32_e32 v6, vcc_lo, v6
	v_add_nc_u32_e32 v57, v131, v4
	v_and_b32_e32 v5, v5, v10
	s_wait_alu 0xf1ff
	v_xor_b32_e32 v4, s18, v7
	ds_load_b32 v55, v57 offset:64
	v_and_b32_e32 v5, v5, v6
	; wave barrier
	s_delay_alu instid0(VALU_DEP_1) | instskip(NEXT) | instid1(VALU_DEP_1)
	v_and_b32_e32 v4, v5, v4
	v_mbcnt_lo_u32_b32 v56, v4, 0
	v_cmp_ne_u32_e64 s18, 0, v4
	s_delay_alu instid0(VALU_DEP_2)
	v_cmp_eq_u32_e32 vcc_lo, 0, v56
	s_and_b32 s35, s18, vcc_lo
	s_wait_alu 0xfffe
	s_and_saveexec_b32 s18, s35
	s_cbranch_execz .LBB195_56
; %bb.55:                               ;   in Loop: Header=BB195_46 Depth=1
	s_wait_dscnt 0x0
	v_bcnt_u32_b32 v4, v4, v55
	ds_store_b32 v57, v4 offset:64
.LBB195_56:                             ;   in Loop: Header=BB195_46 Depth=1
	s_wait_alu 0xfffe
	s_or_b32 exec_lo, exec_lo, s18
	v_cmp_ne_u64_e32 vcc_lo, s[22:23], v[77:78]
	; wave barrier
	s_wait_alu 0xfffd
	v_cndmask_b32_e32 v5, 0x80000000, v78, vcc_lo
	v_cndmask_b32_e32 v4, 0, v77, vcc_lo
	s_delay_alu instid0(VALU_DEP_1) | instskip(NEXT) | instid1(VALU_DEP_1)
	v_lshrrev_b64 v[4:5], v69, v[4:5]
	v_and_b32_e32 v4, s34, v4
	s_delay_alu instid0(VALU_DEP_1)
	v_and_b32_e32 v5, 1, v4
	v_lshlrev_b32_e32 v6, 30, v4
	v_lshlrev_b32_e32 v7, 29, v4
	;; [unrolled: 1-line block ×4, first 2 shown]
	v_add_co_u32 v5, s18, v5, -1
	s_wait_alu 0xf1ff
	v_cndmask_b32_e64 v9, 0, 1, s18
	v_not_b32_e32 v59, v6
	v_cmp_gt_i32_e64 s18, 0, v6
	v_not_b32_e32 v6, v7
	v_lshlrev_b32_e32 v11, 26, v4
	v_cmp_ne_u32_e32 vcc_lo, 0, v9
	v_ashrrev_i32_e32 v59, 31, v59
	v_lshlrev_b32_e32 v58, 25, v4
	v_ashrrev_i32_e32 v6, 31, v6
	v_lshlrev_b32_e32 v9, 24, v4
	s_wait_alu 0xfffd
	v_xor_b32_e32 v5, vcc_lo, v5
	v_cmp_gt_i32_e32 vcc_lo, 0, v7
	v_not_b32_e32 v7, v8
	s_wait_alu 0xf1ff
	v_xor_b32_e32 v59, s18, v59
	v_cmp_gt_i32_e64 s18, 0, v8
	v_and_b32_e32 v5, exec_lo, v5
	v_not_b32_e32 v8, v10
	v_ashrrev_i32_e32 v7, 31, v7
	s_wait_alu 0xfffd
	v_xor_b32_e32 v6, vcc_lo, v6
	v_cmp_gt_i32_e32 vcc_lo, 0, v10
	v_and_b32_e32 v5, v5, v59
	v_not_b32_e32 v10, v11
	v_ashrrev_i32_e32 v8, 31, v8
	s_wait_alu 0xf1ff
	v_xor_b32_e32 v7, s18, v7
	v_cmp_gt_i32_e64 s18, 0, v11
	v_and_b32_e32 v5, v5, v6
	v_not_b32_e32 v6, v58
	v_ashrrev_i32_e32 v10, 31, v10
	s_wait_alu 0xfffd
	v_xor_b32_e32 v8, vcc_lo, v8
	v_cmp_gt_i32_e32 vcc_lo, 0, v58
	v_and_b32_e32 v5, v5, v7
	v_not_b32_e32 v7, v9
	v_ashrrev_i32_e32 v6, 31, v6
	s_wait_alu 0xf1ff
	v_xor_b32_e32 v10, s18, v10
	v_lshlrev_b32_e32 v4, 6, v4
	v_and_b32_e32 v5, v5, v8
	v_cmp_gt_i32_e64 s18, 0, v9
	v_ashrrev_i32_e32 v7, 31, v7
	s_wait_alu 0xfffd
	v_xor_b32_e32 v6, vcc_lo, v6
	v_add_nc_u32_e32 v60, v131, v4
	v_and_b32_e32 v5, v5, v10
	s_wait_alu 0xf1ff
	v_xor_b32_e32 v4, s18, v7
	ds_load_b32 v58, v60 offset:64
	v_and_b32_e32 v5, v5, v6
	; wave barrier
	s_delay_alu instid0(VALU_DEP_1) | instskip(NEXT) | instid1(VALU_DEP_1)
	v_and_b32_e32 v4, v5, v4
	v_mbcnt_lo_u32_b32 v59, v4, 0
	v_cmp_ne_u32_e64 s18, 0, v4
	s_delay_alu instid0(VALU_DEP_2)
	v_cmp_eq_u32_e32 vcc_lo, 0, v59
	s_and_b32 s35, s18, vcc_lo
	s_wait_alu 0xfffe
	s_and_saveexec_b32 s18, s35
	s_cbranch_execz .LBB195_58
; %bb.57:                               ;   in Loop: Header=BB195_46 Depth=1
	s_wait_dscnt 0x0
	v_bcnt_u32_b32 v4, v4, v58
	ds_store_b32 v60, v4 offset:64
.LBB195_58:                             ;   in Loop: Header=BB195_46 Depth=1
	s_wait_alu 0xfffe
	s_or_b32 exec_lo, exec_lo, s18
	v_cmp_ne_u64_e32 vcc_lo, s[22:23], v[75:76]
	; wave barrier
	s_wait_alu 0xfffd
	v_cndmask_b32_e32 v5, 0x80000000, v76, vcc_lo
	v_cndmask_b32_e32 v4, 0, v75, vcc_lo
	s_delay_alu instid0(VALU_DEP_1) | instskip(NEXT) | instid1(VALU_DEP_1)
	v_lshrrev_b64 v[4:5], v69, v[4:5]
	v_and_b32_e32 v4, s34, v4
	s_delay_alu instid0(VALU_DEP_1)
	v_and_b32_e32 v5, 1, v4
	v_lshlrev_b32_e32 v6, 30, v4
	v_lshlrev_b32_e32 v7, 29, v4
	;; [unrolled: 1-line block ×4, first 2 shown]
	v_add_co_u32 v5, s18, v5, -1
	s_wait_alu 0xf1ff
	v_cndmask_b32_e64 v9, 0, 1, s18
	v_not_b32_e32 v62, v6
	v_cmp_gt_i32_e64 s18, 0, v6
	v_not_b32_e32 v6, v7
	v_lshlrev_b32_e32 v11, 26, v4
	v_cmp_ne_u32_e32 vcc_lo, 0, v9
	v_ashrrev_i32_e32 v62, 31, v62
	v_lshlrev_b32_e32 v61, 25, v4
	v_ashrrev_i32_e32 v6, 31, v6
	v_lshlrev_b32_e32 v9, 24, v4
	s_wait_alu 0xfffd
	v_xor_b32_e32 v5, vcc_lo, v5
	v_cmp_gt_i32_e32 vcc_lo, 0, v7
	v_not_b32_e32 v7, v8
	s_wait_alu 0xf1ff
	v_xor_b32_e32 v62, s18, v62
	v_cmp_gt_i32_e64 s18, 0, v8
	v_and_b32_e32 v5, exec_lo, v5
	v_not_b32_e32 v8, v10
	v_ashrrev_i32_e32 v7, 31, v7
	s_wait_alu 0xfffd
	v_xor_b32_e32 v6, vcc_lo, v6
	v_cmp_gt_i32_e32 vcc_lo, 0, v10
	v_and_b32_e32 v5, v5, v62
	v_not_b32_e32 v10, v11
	v_ashrrev_i32_e32 v8, 31, v8
	s_wait_alu 0xf1ff
	v_xor_b32_e32 v7, s18, v7
	v_cmp_gt_i32_e64 s18, 0, v11
	v_and_b32_e32 v5, v5, v6
	v_not_b32_e32 v6, v61
	v_ashrrev_i32_e32 v10, 31, v10
	s_wait_alu 0xfffd
	v_xor_b32_e32 v8, vcc_lo, v8
	v_cmp_gt_i32_e32 vcc_lo, 0, v61
	v_and_b32_e32 v5, v5, v7
	v_not_b32_e32 v7, v9
	v_ashrrev_i32_e32 v6, 31, v6
	s_wait_alu 0xf1ff
	v_xor_b32_e32 v10, s18, v10
	v_lshlrev_b32_e32 v4, 6, v4
	v_and_b32_e32 v5, v5, v8
	v_cmp_gt_i32_e64 s18, 0, v9
	v_ashrrev_i32_e32 v7, 31, v7
	s_wait_alu 0xfffd
	v_xor_b32_e32 v6, vcc_lo, v6
	v_add_nc_u32_e32 v63, v131, v4
	v_and_b32_e32 v5, v5, v10
	s_wait_alu 0xf1ff
	v_xor_b32_e32 v4, s18, v7
	ds_load_b32 v61, v63 offset:64
	v_and_b32_e32 v5, v5, v6
	; wave barrier
	s_delay_alu instid0(VALU_DEP_1) | instskip(NEXT) | instid1(VALU_DEP_1)
	v_and_b32_e32 v4, v5, v4
	v_mbcnt_lo_u32_b32 v62, v4, 0
	v_cmp_ne_u32_e64 s18, 0, v4
	s_delay_alu instid0(VALU_DEP_2)
	v_cmp_eq_u32_e32 vcc_lo, 0, v62
	s_and_b32 s35, s18, vcc_lo
	s_wait_alu 0xfffe
	s_and_saveexec_b32 s18, s35
	s_cbranch_execz .LBB195_60
; %bb.59:                               ;   in Loop: Header=BB195_46 Depth=1
	s_wait_dscnt 0x0
	v_bcnt_u32_b32 v4, v4, v61
	ds_store_b32 v63, v4 offset:64
.LBB195_60:                             ;   in Loop: Header=BB195_46 Depth=1
	s_wait_alu 0xfffe
	s_or_b32 exec_lo, exec_lo, s18
	v_cmp_ne_u64_e32 vcc_lo, s[22:23], v[73:74]
	; wave barrier
	s_wait_alu 0xfffd
	v_cndmask_b32_e32 v5, 0x80000000, v74, vcc_lo
	v_cndmask_b32_e32 v4, 0, v73, vcc_lo
	s_delay_alu instid0(VALU_DEP_1) | instskip(NEXT) | instid1(VALU_DEP_1)
	v_lshrrev_b64 v[4:5], v69, v[4:5]
	v_and_b32_e32 v4, s34, v4
	s_delay_alu instid0(VALU_DEP_1)
	v_and_b32_e32 v5, 1, v4
	v_lshlrev_b32_e32 v6, 30, v4
	v_lshlrev_b32_e32 v7, 29, v4
	;; [unrolled: 1-line block ×4, first 2 shown]
	v_add_co_u32 v5, s18, v5, -1
	s_wait_alu 0xf1ff
	v_cndmask_b32_e64 v9, 0, 1, s18
	v_not_b32_e32 v65, v6
	v_cmp_gt_i32_e64 s18, 0, v6
	v_not_b32_e32 v6, v7
	v_lshlrev_b32_e32 v11, 26, v4
	v_cmp_ne_u32_e32 vcc_lo, 0, v9
	v_ashrrev_i32_e32 v65, 31, v65
	v_lshlrev_b32_e32 v64, 25, v4
	v_ashrrev_i32_e32 v6, 31, v6
	v_lshlrev_b32_e32 v9, 24, v4
	s_wait_alu 0xfffd
	v_xor_b32_e32 v5, vcc_lo, v5
	v_cmp_gt_i32_e32 vcc_lo, 0, v7
	v_not_b32_e32 v7, v8
	s_wait_alu 0xf1ff
	v_xor_b32_e32 v65, s18, v65
	v_cmp_gt_i32_e64 s18, 0, v8
	v_and_b32_e32 v5, exec_lo, v5
	v_not_b32_e32 v8, v10
	v_ashrrev_i32_e32 v7, 31, v7
	s_wait_alu 0xfffd
	v_xor_b32_e32 v6, vcc_lo, v6
	v_cmp_gt_i32_e32 vcc_lo, 0, v10
	v_and_b32_e32 v5, v5, v65
	v_not_b32_e32 v10, v11
	v_ashrrev_i32_e32 v8, 31, v8
	s_wait_alu 0xf1ff
	v_xor_b32_e32 v7, s18, v7
	v_cmp_gt_i32_e64 s18, 0, v11
	v_and_b32_e32 v5, v5, v6
	v_not_b32_e32 v6, v64
	v_ashrrev_i32_e32 v10, 31, v10
	s_wait_alu 0xfffd
	v_xor_b32_e32 v8, vcc_lo, v8
	v_cmp_gt_i32_e32 vcc_lo, 0, v64
	v_and_b32_e32 v5, v5, v7
	v_not_b32_e32 v7, v9
	v_ashrrev_i32_e32 v6, 31, v6
	s_wait_alu 0xf1ff
	v_xor_b32_e32 v10, s18, v10
	v_lshlrev_b32_e32 v4, 6, v4
	v_and_b32_e32 v5, v5, v8
	v_cmp_gt_i32_e64 s18, 0, v9
	v_ashrrev_i32_e32 v7, 31, v7
	s_wait_alu 0xfffd
	v_xor_b32_e32 v6, vcc_lo, v6
	v_add_nc_u32_e32 v66, v131, v4
	v_and_b32_e32 v5, v5, v10
	s_wait_alu 0xf1ff
	v_xor_b32_e32 v4, s18, v7
	ds_load_b32 v64, v66 offset:64
	v_and_b32_e32 v5, v5, v6
	; wave barrier
	s_delay_alu instid0(VALU_DEP_1) | instskip(NEXT) | instid1(VALU_DEP_1)
	v_and_b32_e32 v4, v5, v4
	v_mbcnt_lo_u32_b32 v65, v4, 0
	v_cmp_ne_u32_e64 s18, 0, v4
	s_delay_alu instid0(VALU_DEP_2)
	v_cmp_eq_u32_e32 vcc_lo, 0, v65
	s_and_b32 s34, s18, vcc_lo
	s_wait_alu 0xfffe
	s_and_saveexec_b32 s18, s34
	s_cbranch_execz .LBB195_62
; %bb.61:                               ;   in Loop: Header=BB195_46 Depth=1
	s_wait_dscnt 0x0
	v_bcnt_u32_b32 v4, v4, v64
	ds_store_b32 v66, v4 offset:64
.LBB195_62:                             ;   in Loop: Header=BB195_46 Depth=1
	s_wait_alu 0xfffe
	s_or_b32 exec_lo, exec_lo, s18
	; wave barrier
	s_wait_loadcnt_dscnt 0x0
	s_barrier_signal -1
	s_barrier_wait -1
	global_inv scope:SCOPE_SE
	ds_load_b128 v[8:11], v113 offset:64
	ds_load_b128 v[4:7], v113 offset:80
	s_wait_dscnt 0x1
	v_add_nc_u32_e32 v67, v9, v8
	s_delay_alu instid0(VALU_DEP_1) | instskip(SKIP_1) | instid1(VALU_DEP_1)
	v_add3_u32 v67, v67, v10, v11
	s_wait_dscnt 0x0
	v_add3_u32 v67, v67, v4, v5
	s_delay_alu instid0(VALU_DEP_1) | instskip(NEXT) | instid1(VALU_DEP_1)
	v_add3_u32 v7, v67, v6, v7
	v_mov_b32_dpp v67, v7 row_shr:1 row_mask:0xf bank_mask:0xf
	s_delay_alu instid0(VALU_DEP_1) | instskip(NEXT) | instid1(VALU_DEP_1)
	v_cndmask_b32_e64 v67, v67, 0, s11
	v_add_nc_u32_e32 v7, v67, v7
	s_delay_alu instid0(VALU_DEP_1) | instskip(NEXT) | instid1(VALU_DEP_1)
	v_mov_b32_dpp v67, v7 row_shr:2 row_mask:0xf bank_mask:0xf
	v_cndmask_b32_e64 v67, 0, v67, s13
	s_delay_alu instid0(VALU_DEP_1) | instskip(NEXT) | instid1(VALU_DEP_1)
	v_add_nc_u32_e32 v7, v7, v67
	v_mov_b32_dpp v67, v7 row_shr:4 row_mask:0xf bank_mask:0xf
	s_delay_alu instid0(VALU_DEP_1) | instskip(NEXT) | instid1(VALU_DEP_1)
	v_cndmask_b32_e64 v67, 0, v67, s14
	v_add_nc_u32_e32 v7, v7, v67
	s_delay_alu instid0(VALU_DEP_1) | instskip(NEXT) | instid1(VALU_DEP_1)
	v_mov_b32_dpp v67, v7 row_shr:8 row_mask:0xf bank_mask:0xf
	v_cndmask_b32_e64 v67, 0, v67, s15
	s_delay_alu instid0(VALU_DEP_1) | instskip(SKIP_3) | instid1(VALU_DEP_1)
	v_add_nc_u32_e32 v7, v7, v67
	ds_swizzle_b32 v67, v7 offset:swizzle(BROADCAST,32,15)
	s_wait_dscnt 0x0
	v_cndmask_b32_e64 v67, v67, 0, s16
	v_add_nc_u32_e32 v7, v7, v67
	s_and_saveexec_b32 s18, s17
; %bb.63:                               ;   in Loop: Header=BB195_46 Depth=1
	ds_store_b32 v114, v7
; %bb.64:                               ;   in Loop: Header=BB195_46 Depth=1
	s_wait_alu 0xfffe
	s_or_b32 exec_lo, exec_lo, s18
	s_wait_loadcnt_dscnt 0x0
	s_barrier_signal -1
	s_barrier_wait -1
	global_inv scope:SCOPE_SE
	s_and_saveexec_b32 s18, s0
	s_cbranch_execz .LBB195_66
; %bb.65:                               ;   in Loop: Header=BB195_46 Depth=1
	ds_load_b32 v67, v132
	s_wait_dscnt 0x0
	v_mov_b32_dpp v133, v67 row_shr:1 row_mask:0xf bank_mask:0xf
	s_delay_alu instid0(VALU_DEP_1) | instskip(NEXT) | instid1(VALU_DEP_1)
	v_cndmask_b32_e64 v133, v133, 0, s11
	v_add_nc_u32_e32 v67, v133, v67
	s_delay_alu instid0(VALU_DEP_1) | instskip(NEXT) | instid1(VALU_DEP_1)
	v_mov_b32_dpp v133, v67 row_shr:2 row_mask:0xf bank_mask:0xf
	v_cndmask_b32_e64 v133, 0, v133, s13
	s_delay_alu instid0(VALU_DEP_1) | instskip(NEXT) | instid1(VALU_DEP_1)
	v_add_nc_u32_e32 v67, v67, v133
	v_mov_b32_dpp v133, v67 row_shr:4 row_mask:0xf bank_mask:0xf
	s_delay_alu instid0(VALU_DEP_1) | instskip(NEXT) | instid1(VALU_DEP_1)
	v_cndmask_b32_e64 v133, 0, v133, s14
	v_add_nc_u32_e32 v67, v67, v133
	s_delay_alu instid0(VALU_DEP_1) | instskip(NEXT) | instid1(VALU_DEP_1)
	v_mov_b32_dpp v133, v67 row_shr:8 row_mask:0xf bank_mask:0xf
	v_cndmask_b32_e64 v133, 0, v133, s15
	s_delay_alu instid0(VALU_DEP_1)
	v_add_nc_u32_e32 v67, v67, v133
	ds_store_b32 v132, v67
.LBB195_66:                             ;   in Loop: Header=BB195_46 Depth=1
	s_wait_alu 0xfffe
	s_or_b32 exec_lo, exec_lo, s18
	v_mov_b32_e32 v67, 0
	s_wait_loadcnt_dscnt 0x0
	s_barrier_signal -1
	s_barrier_wait -1
	global_inv scope:SCOPE_SE
	s_and_saveexec_b32 s18, s1
; %bb.67:                               ;   in Loop: Header=BB195_46 Depth=1
	ds_load_b32 v67, v130
; %bb.68:                               ;   in Loop: Header=BB195_46 Depth=1
	s_wait_alu 0xfffe
	s_or_b32 exec_lo, exec_lo, s18
	s_wait_dscnt 0x0
	v_add_nc_u32_e32 v7, v67, v7
	v_cmp_lt_u32_e32 vcc_lo, 55, v69
	s_mov_b32 s18, -1
	ds_bpermute_b32 v7, v129, v7
	s_and_b32 vcc_lo, exec_lo, vcc_lo
	s_wait_dscnt 0x0
	v_cndmask_b32_e64 v7, v7, v67, s12
	s_delay_alu instid0(VALU_DEP_1) | instskip(NEXT) | instid1(VALU_DEP_1)
	v_cndmask_b32_e64 v7, v7, 0, s10
	v_add_nc_u32_e32 v8, v7, v8
	s_delay_alu instid0(VALU_DEP_1) | instskip(NEXT) | instid1(VALU_DEP_1)
	v_add_nc_u32_e32 v9, v8, v9
	v_add_nc_u32_e32 v10, v9, v10
	s_delay_alu instid0(VALU_DEP_1) | instskip(NEXT) | instid1(VALU_DEP_1)
	v_add_nc_u32_e32 v133, v10, v11
	v_add_nc_u32_e32 v134, v133, v4
	s_delay_alu instid0(VALU_DEP_1) | instskip(NEXT) | instid1(VALU_DEP_1)
	v_add_nc_u32_e32 v135, v134, v5
	v_add_nc_u32_e32 v136, v135, v6
	ds_store_b128 v113, v[7:10] offset:64
	ds_store_b128 v113, v[133:136] offset:80
	s_wait_loadcnt_dscnt 0x0
	s_barrier_signal -1
	s_barrier_wait -1
	global_inv scope:SCOPE_SE
	ds_load_b32 v4, v13 offset:64
	ds_load_b32 v5, v48 offset:64
	;; [unrolled: 1-line block ×8, first 2 shown]
	s_wait_dscnt 0x7
	v_add_nc_u32_e32 v140, v4, v12
	s_wait_dscnt 0x6
	v_add3_u32 v139, v15, v14, v5
	s_wait_dscnt 0x5
	v_add3_u32 v138, v50, v49, v6
	s_wait_dscnt 0x4
	v_add3_u32 v137, v53, v52, v7
	s_wait_dscnt 0x3
	v_add3_u32 v136, v56, v55, v8
	s_wait_dscnt 0x2
	v_add3_u32 v135, v59, v58, v9
	s_wait_dscnt 0x1
	v_add3_u32 v134, v62, v61, v10
	s_wait_dscnt 0x0
	v_add3_u32 v133, v65, v64, v11
                                        ; implicit-def: $vgpr66_vgpr67
                                        ; implicit-def: $vgpr14_vgpr15
                                        ; implicit-def: $vgpr10_vgpr11
                                        ; implicit-def: $vgpr6_vgpr7
                                        ; implicit-def: $vgpr62_vgpr63
                                        ; implicit-def: $vgpr58_vgpr59
                                        ; implicit-def: $vgpr54_vgpr55
                                        ; implicit-def: $vgpr50_vgpr51
	s_wait_alu 0xfffe
	s_cbranch_vccnz .LBB195_45
; %bb.69:                               ;   in Loop: Header=BB195_46 Depth=1
	v_lshlrev_b32_e32 v48, 3, v140
	v_lshlrev_b32_e32 v51, 3, v137
	;; [unrolled: 1-line block ×8, first 2 shown]
	s_wait_loadcnt 0x0
	s_barrier_signal -1
	s_barrier_wait -1
	global_inv scope:SCOPE_SE
	ds_store_b64 v48, v[71:72]
	ds_store_b64 v49, v[101:102]
	ds_store_b64 v50, v[99:100]
	ds_store_b64 v51, v[97:98]
	ds_store_b64 v52, v[95:96]
	ds_store_b64 v53, v[77:78]
	ds_store_b64 v54, v[75:76]
	ds_store_b64 v55, v[73:74]
	s_wait_loadcnt_dscnt 0x0
	s_barrier_signal -1
	s_barrier_wait -1
	global_inv scope:SCOPE_SE
	ds_load_2addr_b64 v[4:7], v128 offset1:32
	ds_load_2addr_b64 v[8:11], v128 offset0:64 offset1:96
	ds_load_2addr_b64 v[12:15], v128 offset0:128 offset1:160
	;; [unrolled: 1-line block ×3, first 2 shown]
	s_wait_loadcnt_dscnt 0x0
	s_barrier_signal -1
	s_barrier_wait -1
	global_inv scope:SCOPE_SE
	ds_store_b64 v48, v[93:94]
	ds_store_b64 v49, v[91:92]
	;; [unrolled: 1-line block ×8, first 2 shown]
	s_wait_loadcnt_dscnt 0x0
	s_barrier_signal -1
	s_barrier_wait -1
	global_inv scope:SCOPE_SE
	ds_load_2addr_b64 v[48:51], v128 offset1:32
	ds_load_2addr_b64 v[52:55], v128 offset0:64 offset1:96
	ds_load_2addr_b64 v[56:59], v128 offset0:128 offset1:160
	;; [unrolled: 1-line block ×3, first 2 shown]
	v_add_co_u32 v69, vcc_lo, v69, 8
	s_wait_alu 0xfffd
	v_add_co_ci_u32_e64 v70, null, 0, v70, vcc_lo
	s_add_co_i32 s33, s33, -8
	s_mov_b32 s18, 0
	s_wait_loadcnt_dscnt 0x0
	s_barrier_signal -1
	s_barrier_wait -1
	global_inv scope:SCOPE_SE
	s_branch .LBB195_45
.LBB195_70:
	v_mad_co_u64_u32 v[2:3], null, s26, v68, 0
	v_dual_mov_b32 v6, v1 :: v_dual_mov_b32 v7, v1
	v_dual_mov_b32 v8, v1 :: v_dual_mov_b32 v9, v1
	;; [unrolled: 1-line block ×3, first 2 shown]
	s_delay_alu instid0(VALU_DEP_4) | instskip(SKIP_3) | instid1(VALU_DEP_4)
	v_mad_co_u64_u32 v[3:4], null, s27, v68, v[3:4]
	v_dual_mov_b32 v4, v1 :: v_dual_mov_b32 v5, v1
	v_dual_mov_b32 v14, v1 :: v_dual_mov_b32 v33, v1
	v_mov_b32_e32 v32, v1
	v_lshlrev_b64_e32 v[2:3], 3, v[2:3]
	s_delay_alu instid0(VALU_DEP_1) | instskip(SKIP_1) | instid1(VALU_DEP_2)
	v_add_co_u32 v2, vcc_lo, s30, v2
	s_wait_alu 0xfffd
	v_add_co_ci_u32_e64 v3, null, s31, v3, vcc_lo
	global_load_b64 v[11:12], v[2:3], off
	v_dual_mov_b32 v2, v1 :: v_dual_mov_b32 v3, v1
	s_or_b32 exec_lo, exec_lo, s0
	s_and_saveexec_b32 s0, s3
	s_cbranch_execz .LBB195_36
.LBB195_71:
	v_mad_co_u64_u32 v[1:2], null, s26, v34, 0
	s_delay_alu instid0(VALU_DEP_1) | instskip(NEXT) | instid1(VALU_DEP_1)
	v_mad_co_u64_u32 v[41:42], null, s27, v34, v[2:3]
	v_mov_b32_e32 v2, v41
	s_delay_alu instid0(VALU_DEP_1) | instskip(NEXT) | instid1(VALU_DEP_1)
	v_lshlrev_b64_e32 v[1:2], 3, v[1:2]
	v_add_co_u32 v1, vcc_lo, s30, v1
	s_wait_alu 0xfffd
	s_delay_alu instid0(VALU_DEP_2)
	v_add_co_ci_u32_e64 v2, null, s31, v2, vcc_lo
	global_load_b64 v[1:2], v[1:2], off
	s_or_b32 exec_lo, exec_lo, s0
	s_and_saveexec_b32 s0, s4
	s_cbranch_execz .LBB195_37
.LBB195_72:
	v_mad_co_u64_u32 v[3:4], null, s26, v35, 0
	s_delay_alu instid0(VALU_DEP_1) | instskip(NEXT) | instid1(VALU_DEP_1)
	v_mad_co_u64_u32 v[34:35], null, s27, v35, v[4:5]
	v_mov_b32_e32 v4, v34
	s_delay_alu instid0(VALU_DEP_1) | instskip(NEXT) | instid1(VALU_DEP_1)
	v_lshlrev_b64_e32 v[3:4], 3, v[3:4]
	v_add_co_u32 v3, vcc_lo, s30, v3
	s_wait_alu 0xfffd
	s_delay_alu instid0(VALU_DEP_2)
	v_add_co_ci_u32_e64 v4, null, s31, v4, vcc_lo
	global_load_b64 v[3:4], v[3:4], off
	s_or_b32 exec_lo, exec_lo, s0
	s_and_saveexec_b32 s0, s5
	s_cbranch_execz .LBB195_38
.LBB195_73:
	v_mad_co_u64_u32 v[5:6], null, s26, v36, 0
	s_delay_alu instid0(VALU_DEP_1) | instskip(NEXT) | instid1(VALU_DEP_1)
	v_mad_co_u64_u32 v[34:35], null, s27, v36, v[6:7]
	v_mov_b32_e32 v6, v34
	s_delay_alu instid0(VALU_DEP_1) | instskip(NEXT) | instid1(VALU_DEP_1)
	v_lshlrev_b64_e32 v[5:6], 3, v[5:6]
	v_add_co_u32 v5, vcc_lo, s30, v5
	s_wait_alu 0xfffd
	s_delay_alu instid0(VALU_DEP_2)
	v_add_co_ci_u32_e64 v6, null, s31, v6, vcc_lo
	global_load_b64 v[5:6], v[5:6], off
	s_or_b32 exec_lo, exec_lo, s0
	s_and_saveexec_b32 s0, s6
	s_cbranch_execz .LBB195_39
.LBB195_74:
	v_mad_co_u64_u32 v[7:8], null, s26, v37, 0
	s_delay_alu instid0(VALU_DEP_1) | instskip(NEXT) | instid1(VALU_DEP_1)
	v_mad_co_u64_u32 v[34:35], null, s27, v37, v[8:9]
	v_mov_b32_e32 v8, v34
	s_delay_alu instid0(VALU_DEP_1) | instskip(NEXT) | instid1(VALU_DEP_1)
	v_lshlrev_b64_e32 v[7:8], 3, v[7:8]
	v_add_co_u32 v7, vcc_lo, s30, v7
	s_wait_alu 0xfffd
	s_delay_alu instid0(VALU_DEP_2)
	v_add_co_ci_u32_e64 v8, null, s31, v8, vcc_lo
	global_load_b64 v[7:8], v[7:8], off
	s_or_b32 exec_lo, exec_lo, s0
	s_and_saveexec_b32 s0, s7
	s_cbranch_execz .LBB195_40
.LBB195_75:
	v_mad_co_u64_u32 v[9:10], null, s26, v38, 0
	s_wait_loadcnt 0x0
	s_delay_alu instid0(VALU_DEP_1) | instskip(NEXT) | instid1(VALU_DEP_1)
	v_mad_co_u64_u32 v[34:35], null, s27, v38, v[10:11]
	v_mov_b32_e32 v10, v34
	s_delay_alu instid0(VALU_DEP_1) | instskip(NEXT) | instid1(VALU_DEP_1)
	v_lshlrev_b64_e32 v[9:10], 3, v[9:10]
	v_add_co_u32 v9, vcc_lo, s30, v9
	s_wait_alu 0xfffd
	s_delay_alu instid0(VALU_DEP_2)
	v_add_co_ci_u32_e64 v10, null, s31, v10, vcc_lo
	global_load_b64 v[9:10], v[9:10], off
	s_or_b32 exec_lo, exec_lo, s0
	s_and_saveexec_b32 s0, s8
	s_cbranch_execz .LBB195_41
.LBB195_76:
	v_mad_co_u64_u32 v[13:14], null, s26, v39, 0
	s_delay_alu instid0(VALU_DEP_1) | instskip(NEXT) | instid1(VALU_DEP_1)
	v_mad_co_u64_u32 v[14:15], null, s27, v39, v[14:15]
	v_lshlrev_b64_e32 v[13:14], 3, v[13:14]
	s_delay_alu instid0(VALU_DEP_1) | instskip(SKIP_1) | instid1(VALU_DEP_2)
	v_add_co_u32 v13, vcc_lo, s30, v13
	s_wait_alu 0xfffd
	v_add_co_ci_u32_e64 v14, null, s31, v14, vcc_lo
	global_load_b64 v[13:14], v[13:14], off
	s_or_b32 exec_lo, exec_lo, s0
	s_xor_b32 s0, s23, -1
	s_and_saveexec_b32 s1, s9
	s_cbranch_execnz .LBB195_42
	s_branch .LBB195_43
.LBB195_77:
                                        ; implicit-def: $vgpr58_vgpr59
                                        ; implicit-def: $vgpr62_vgpr63
                                        ; implicit-def: $vgpr50_vgpr51
                                        ; implicit-def: $vgpr54_vgpr55
                                        ; implicit-def: $vgpr0_vgpr1_vgpr2_vgpr3_vgpr4_vgpr5_vgpr6_vgpr7_vgpr8_vgpr9_vgpr10_vgpr11_vgpr12_vgpr13_vgpr14_vgpr15
	s_cbranch_execnz .LBB195_79
	s_branch .LBB195_106
.LBB195_78:
	v_lshlrev_b32_e32 v48, 3, v140
	v_lshlrev_b32_e32 v51, 3, v137
	;; [unrolled: 1-line block ×9, first 2 shown]
	s_wait_loadcnt 0x0
	s_barrier_signal -1
	s_barrier_wait -1
	global_inv scope:SCOPE_SE
	ds_store_b64 v48, v[71:72]
	ds_store_b64 v49, v[101:102]
	;; [unrolled: 1-line block ×8, first 2 shown]
	s_wait_loadcnt_dscnt 0x0
	s_barrier_signal -1
	s_barrier_wait -1
	global_inv scope:SCOPE_SE
	ds_load_b128 v[0:3], v56
	ds_load_b128 v[4:7], v56 offset:16
	ds_load_b128 v[8:11], v56 offset:32
	;; [unrolled: 1-line block ×3, first 2 shown]
	s_wait_loadcnt_dscnt 0x0
	s_barrier_signal -1
	s_barrier_wait -1
	global_inv scope:SCOPE_SE
	ds_store_b64 v48, v[93:94]
	ds_store_b64 v49, v[91:92]
	;; [unrolled: 1-line block ×8, first 2 shown]
	s_wait_loadcnt_dscnt 0x0
	s_barrier_signal -1
	s_barrier_wait -1
	global_inv scope:SCOPE_SE
	ds_load_b128 v[52:55], v56
	ds_load_b128 v[48:51], v56 offset:16
	v_cmp_lt_i64_e32 vcc_lo, -1, v[0:1]
	v_ashrrev_i32_e32 v66, 31, v3
	v_ashrrev_i32_e32 v57, 31, v1
	s_wait_alu 0xfffd
	v_cndmask_b32_e64 v64, 0x80000000, -1, vcc_lo
	v_cmp_lt_i64_e32 vcc_lo, -1, v[2:3]
	v_not_b32_e32 v66, v66
	v_not_b32_e32 v65, v57
	ds_load_b128 v[60:63], v56 offset:32
	ds_load_b128 v[56:59], v56 offset:48
	v_xor_b32_e32 v1, v64, v1
	v_ashrrev_i32_e32 v64, 31, v5
	s_wait_alu 0xfffd
	v_cndmask_b32_e64 v67, 0x80000000, -1, vcc_lo
	v_cmp_lt_i64_e32 vcc_lo, -1, v[4:5]
	v_xor_b32_e32 v2, v66, v2
	v_xor_b32_e32 v0, v65, v0
	v_ashrrev_i32_e32 v65, 31, v7
	v_xor_b32_e32 v3, v67, v3
	v_not_b32_e32 v64, v64
	s_wait_alu 0xfffd
	v_cndmask_b32_e64 v66, 0x80000000, -1, vcc_lo
	v_cmp_lt_i64_e32 vcc_lo, -1, v[6:7]
	v_not_b32_e32 v65, v65
	v_xor_b32_e32 v4, v64, v4
	v_ashrrev_i32_e32 v64, 31, v9
	v_xor_b32_e32 v5, v66, v5
	s_wait_alu 0xfffd
	v_cndmask_b32_e64 v67, 0x80000000, -1, vcc_lo
	v_cmp_lt_i64_e32 vcc_lo, -1, v[8:9]
	v_xor_b32_e32 v6, v65, v6
	v_not_b32_e32 v64, v64
	v_ashrrev_i32_e32 v66, 31, v11
	v_xor_b32_e32 v7, v67, v7
	s_wait_alu 0xfffd
	v_cndmask_b32_e64 v65, 0x80000000, -1, vcc_lo
	v_cmp_lt_i64_e32 vcc_lo, -1, v[10:11]
	v_xor_b32_e32 v8, v64, v8
	v_not_b32_e32 v64, v66
	v_ashrrev_i32_e32 v66, 31, v15
	v_xor_b32_e32 v9, v65, v9
	v_ashrrev_i32_e32 v65, 31, v13
	s_wait_alu 0xfffd
	v_cndmask_b32_e64 v67, 0x80000000, -1, vcc_lo
	v_cmp_lt_i64_e32 vcc_lo, -1, v[12:13]
	v_not_b32_e32 v66, v66
	v_xor_b32_e32 v10, v64, v10
	v_not_b32_e32 v65, v65
	v_xor_b32_e32 v11, v67, v11
	s_wait_alu 0xfffd
	v_cndmask_b32_e64 v67, 0x80000000, -1, vcc_lo
	v_cmp_lt_i64_e32 vcc_lo, -1, v[14:15]
	v_xor_b32_e32 v12, v65, v12
	v_xor_b32_e32 v14, v66, v14
	s_delay_alu instid0(VALU_DEP_4) | instskip(SKIP_2) | instid1(VALU_DEP_1)
	v_xor_b32_e32 v13, v67, v13
	s_wait_alu 0xfffd
	v_cndmask_b32_e64 v69, 0x80000000, -1, vcc_lo
	v_xor_b32_e32 v15, v69, v15
	s_branch .LBB195_106
.LBB195_79:
	v_cmp_gt_i64_e32 vcc_lo, 0, v[28:29]
	v_not_b32_e32 v12, v122
	v_not_b32_e32 v8, v124
	;; [unrolled: 1-line block ×4, first 2 shown]
	v_or_b32_e32 v14, v116, v117
	s_wait_alu 0xfffd
	v_cndmask_b32_e64 v0, 0x7fffffff, 0, vcc_lo
	v_cmp_gt_i64_e32 vcc_lo, 0, v[30:31]
	s_getpc_b64 s[0:1]
	s_sext_i32_i16 s1, s1
	s_add_co_u32 s0, s0, _ZN7rocprim17ROCPRIM_400000_NS16block_radix_sortIdLj512ELj8ElLj1ELj1ELj0ELNS0_26block_radix_rank_algorithmE1ELNS0_18block_padding_hintE2ELNS0_4arch9wavefront6targetE0EE19radix_bits_per_passE@rel32@lo+8
	s_add_co_ci_u32 s1, s1, _ZN7rocprim17ROCPRIM_400000_NS16block_radix_sortIdLj512ELj8ElLj1ELj1ELj0ELNS0_26block_radix_rank_algorithmE1ELNS0_18block_padding_hintE2ELNS0_4arch9wavefront6targetE0EE19radix_bits_per_passE@rel32@hi+16
	v_cmp_gt_u32_e64 s15, 16, v68
	s_load_b32 s19, s[0:1], 0x0
	v_xor_b32_e32 v1, v0, v29
	v_xor_b32_e32 v0, v2, v28
	v_cndmask_b32_e64 v3, 0x7fffffff, 0, vcc_lo
	v_cmp_gt_i64_e32 vcc_lo, 0, v[24:25]
	v_xor_b32_e32 v2, v4, v30
	v_not_b32_e32 v4, v125
	v_cmp_lt_u32_e64 s16, 31, v68
	v_xor_b32_e32 v3, v3, v31
	v_cmp_eq_u32_e64 s17, 0, v68
	s_wait_alu 0xfffd
	v_cndmask_b32_e64 v5, 0x7fffffff, 0, vcc_lo
	v_cmp_gt_i64_e32 vcc_lo, 0, v[26:27]
	v_xor_b32_e32 v4, v4, v24
	v_add_nc_u32_e32 v73, -4, v114
	v_add_nc_u32_e32 v75, v113, v115
	v_xor_b32_e32 v5, v5, v25
	s_wait_alu 0xfffd
	v_cndmask_b32_e64 v6, 0x7fffffff, 0, vcc_lo
	v_cmp_gt_i64_e32 vcc_lo, 0, v[20:21]
	s_delay_alu instid0(VALU_DEP_2)
	v_xor_b32_e32 v7, v6, v27
	v_xor_b32_e32 v6, v8, v26
	s_wait_alu 0xfffd
	v_cndmask_b32_e64 v9, 0x7fffffff, 0, vcc_lo
	v_cmp_gt_i64_e32 vcc_lo, 0, v[22:23]
	v_not_b32_e32 v8, v123
	s_delay_alu instid0(VALU_DEP_3)
	v_xor_b32_e32 v9, v9, v21
	s_wait_alu 0xfffd
	v_cndmask_b32_e64 v10, 0x7fffffff, 0, vcc_lo
	v_cmp_gt_i64_e32 vcc_lo, 0, v[16:17]
	v_xor_b32_e32 v8, v8, v20
	v_lshlrev_b32_e32 v20, 6, v14
	ds_store_b128 v20, v[0:3]
	ds_store_b128 v20, v[4:7] offset:16
	s_wait_alu 0xfffd
	v_cndmask_b32_e64 v13, 0x7fffffff, 0, vcc_lo
	v_xor_b32_e32 v11, v10, v23
	v_xor_b32_e32 v10, v12, v22
	v_not_b32_e32 v12, v121
	v_cmp_gt_i64_e32 vcc_lo, 0, v[18:19]
	v_xor_b32_e32 v13, v13, v17
	v_not_b32_e32 v17, v120
	s_delay_alu instid0(VALU_DEP_4) | instskip(SKIP_4) | instid1(VALU_DEP_3)
	v_xor_b32_e32 v12, v12, v16
	v_and_or_b32 v16, 0x1f00, v112, v116
	s_wait_alu 0xfffd
	v_cndmask_b32_e64 v15, 0x7fffffff, 0, vcc_lo
	v_xor_b32_e32 v14, v17, v18
	v_lshlrev_b32_e32 v71, 3, v16
	s_delay_alu instid0(VALU_DEP_3)
	v_xor_b32_e32 v15, v15, v19
	ds_store_b128 v20, v[8:11] offset:32
	ds_store_b128 v20, v[12:15] offset:48
	; wave barrier
	ds_load_2addr_b64 v[4:7], v71 offset1:32
	ds_load_2addr_b64 v[8:11], v71 offset0:64 offset1:96
	ds_load_2addr_b64 v[12:15], v71 offset0:128 offset1:160
	s_wait_dscnt 0x9
	ds_load_2addr_b64 v[48:51], v71 offset0:192 offset1:224
	; wave barrier
	ds_store_b128 v20, v[44:47]
	ds_store_b128 v20, v[40:43] offset:16
	ds_store_b128 v20, v[36:39] offset:32
	;; [unrolled: 1-line block ×3, first 2 shown]
	; wave barrier
	ds_load_2addr_b64 v[16:19], v71 offset1:32
	ds_load_2addr_b64 v[20:23], v71 offset0:64 offset1:96
	ds_load_2addr_b64 v[24:27], v71 offset0:128 offset1:160
	;; [unrolled: 1-line block ×3, first 2 shown]
	s_wait_loadcnt_dscnt 0x0
	s_barrier_signal -1
	s_barrier_wait -1
	global_inv scope:SCOPE_SE
	s_load_b32 s10, s[20:21], 0xc
	s_mov_b32 s20, 0
	s_wait_alu 0xfffe
	s_mov_b32 s21, s20
	s_mov_b32 s22, s20
	;; [unrolled: 1-line block ×3, first 2 shown]
	v_and_b32_e32 v2, 15, v116
	v_and_b32_e32 v3, 16, v116
	s_delay_alu instid0(VALU_DEP_2) | instskip(SKIP_1) | instid1(VALU_DEP_3)
	v_cmp_lt_u32_e64 s1, 1, v2
	v_cmp_lt_u32_e64 s12, 7, v2
	v_cmp_eq_u32_e64 s13, 0, v3
	s_wait_kmcnt 0x0
	s_lshr_b32 s11, s10, 16
	s_and_b32 s0, s10, 0xffff
	s_wait_alu 0xfffe
	v_mad_u32_u24 v0, v119, s11, v118
	v_sub_co_u32 v32, s10, v116, 1
	v_cmp_lt_u32_e64 s11, 3, v2
	s_delay_alu instid0(VALU_DEP_3) | instskip(SKIP_1) | instid1(VALU_DEP_4)
	v_mad_co_u64_u32 v[0:1], null, v0, s0, v[68:69]
	v_min_u32_e32 v1, 0x1e0, v117
	v_cmp_gt_i32_e32 vcc_lo, 0, v32
	v_cmp_eq_u32_e64 s0, 0, v2
	s_delay_alu instid0(VALU_DEP_3)
	v_or_b32_e32 v1, 31, v1
	s_wait_alu 0xfffd
	v_cndmask_b32_e32 v2, v32, v116, vcc_lo
	v_lshrrev_b32_e32 v0, 3, v0
	v_mov_b32_e32 v32, 0
	v_mov_b32_e32 v33, 0
	v_cmp_eq_u32_e64 s14, v68, v1
	v_lshlrev_b32_e32 v72, 2, v2
	v_and_b32_e32 v74, 0x1ffffffc, v0
	v_dual_mov_b32 v0, s20 :: v_dual_mov_b32 v1, s21
	v_dual_mov_b32 v2, s22 :: v_dual_mov_b32 v3, s23
	s_mov_b32 s22, 64
	s_brev_b32 s21, 1
	s_branch .LBB195_81
.LBB195_80:                             ;   in Loop: Header=BB195_81 Depth=1
	s_wait_alu 0xfffe
	s_and_not1_b32 vcc_lo, exec_lo, s18
	s_wait_alu 0xfffe
	s_cbranch_vccz .LBB195_105
.LBB195_81:                             ; =>This Inner Loop Header: Depth=1
	v_dual_mov_b32 v35, v5 :: v_dual_mov_b32 v34, v4
	s_wait_alu 0xfffe
	s_min_u32 s18, s19, s22
	v_dual_mov_b32 v70, v7 :: v_dual_mov_b32 v59, v19
	s_wait_alu 0xfffe
	s_lshl_b32 s18, -1, s18
	v_cmp_ne_u64_e32 vcc_lo, s[20:21], v[34:35]
	s_wait_alu 0xfffe
	s_not_b32 s23, s18
	v_mov_b32_e32 v58, v18
	ds_store_b128 v113, v[0:3] offset:64
	ds_store_b128 v113, v[0:3] offset:80
	s_wait_loadcnt_dscnt 0x0
	s_wait_alu 0xfffd
	v_dual_mov_b32 v36, v50 :: v_dual_cndmask_b32 v5, 0x7fffffff, v35
	v_dual_cndmask_b32 v4, -1, v34 :: v_dual_mov_b32 v37, v51
	s_barrier_signal -1
	s_barrier_wait -1
	global_inv scope:SCOPE_SE
	v_lshrrev_b64 v[4:5], v32, v[4:5]
	; wave barrier
	v_dual_mov_b32 v38, v48 :: v_dual_mov_b32 v39, v49
	v_mov_b32_e32 v63, v13
	s_wait_alu 0xfffe
	s_delay_alu instid0(VALU_DEP_3) | instskip(SKIP_2) | instid1(VALU_DEP_3)
	v_and_b32_e32 v5, s23, v4
	v_dual_mov_b32 v41, v15 :: v_dual_mov_b32 v40, v14
	v_dual_mov_b32 v65, v11 :: v_dual_mov_b32 v62, v12
	v_lshlrev_b32_e32 v15, 29, v5
	v_and_b32_e32 v4, 1, v5
	v_lshlrev_b32_e32 v14, 30, v5
	v_lshlrev_b32_e32 v42, 28, v5
	v_dual_mov_b32 v67, v9 :: v_dual_lshlrev_b32 v44, 27, v5
	s_delay_alu instid0(VALU_DEP_4)
	v_add_co_u32 v4, s18, v4, -1
	s_wait_alu 0xf1ff
	v_cndmask_b32_e64 v43, 0, 1, s18
	v_not_b32_e32 v47, v14
	v_cmp_gt_i32_e64 s18, 0, v14
	v_not_b32_e32 v14, v15
	v_dual_mov_b32 v64, v10 :: v_dual_lshlrev_b32 v45, 26, v5
	v_cmp_ne_u32_e32 vcc_lo, 0, v43
	v_ashrrev_i32_e32 v47, 31, v47
	s_delay_alu instid0(VALU_DEP_4)
	v_ashrrev_i32_e32 v14, 31, v14
	v_dual_mov_b32 v69, v6 :: v_dual_lshlrev_b32 v46, 25, v5
	s_wait_alu 0xfffd
	v_xor_b32_e32 v4, vcc_lo, v4
	v_cmp_gt_i32_e32 vcc_lo, 0, v15
	v_not_b32_e32 v15, v42
	s_wait_alu 0xf1ff
	v_xor_b32_e32 v47, s18, v47
	v_cmp_gt_i32_e64 s18, 0, v42
	v_and_b32_e32 v4, exec_lo, v4
	v_not_b32_e32 v42, v44
	v_ashrrev_i32_e32 v15, 31, v15
	s_wait_alu 0xfffd
	v_xor_b32_e32 v14, vcc_lo, v14
	v_cmp_gt_i32_e32 vcc_lo, 0, v44
	v_and_b32_e32 v4, v4, v47
	v_not_b32_e32 v44, v45
	v_ashrrev_i32_e32 v42, 31, v42
	s_wait_alu 0xf1ff
	v_xor_b32_e32 v15, s18, v15
	v_dual_mov_b32 v66, v8 :: v_dual_lshlrev_b32 v43, 24, v5
	v_and_b32_e32 v4, v4, v14
	v_cmp_gt_i32_e64 s18, 0, v45
	v_not_b32_e32 v14, v46
	v_ashrrev_i32_e32 v44, 31, v44
	s_wait_alu 0xfffd
	v_xor_b32_e32 v42, vcc_lo, v42
	v_cmp_gt_i32_e32 vcc_lo, 0, v46
	v_dual_mov_b32 v47, v27 :: v_dual_and_b32 v4, v4, v15
	v_mov_b32_e32 v53, v25
	v_not_b32_e32 v15, v43
	v_ashrrev_i32_e32 v14, 31, v14
	s_wait_alu 0xf1ff
	v_xor_b32_e32 v44, s18, v44
	v_dual_mov_b32 v55, v23 :: v_dual_and_b32 v4, v4, v42
	v_cmp_gt_i32_e64 s18, 0, v43
	v_ashrrev_i32_e32 v12, 31, v15
	s_wait_alu 0xfffd
	v_xor_b32_e32 v13, vcc_lo, v14
	v_dual_mov_b32 v57, v21 :: v_dual_and_b32 v4, v4, v44
	v_mov_b32_e32 v61, v17
	s_wait_alu 0xf1ff
	v_xor_b32_e32 v6, s18, v12
	s_delay_alu instid0(VALU_DEP_3) | instskip(SKIP_2) | instid1(VALU_DEP_3)
	v_dual_mov_b32 v43, v31 :: v_dual_and_b32 v4, v4, v13
	v_dual_mov_b32 v42, v30 :: v_dual_lshlrev_b32 v5, 6, v5
	v_dual_mov_b32 v45, v29 :: v_dual_mov_b32 v44, v28
	v_and_b32_e32 v4, v4, v6
	v_mov_b32_e32 v46, v26
	v_mov_b32_e32 v52, v24
	;; [unrolled: 1-line block ×4, first 2 shown]
	v_mbcnt_lo_u32_b32 v12, v4, 0
	v_cmp_ne_u32_e64 s18, 0, v4
	v_dual_mov_b32 v60, v16 :: v_dual_add_nc_u32 v13, v74, v5
	s_delay_alu instid0(VALU_DEP_3) | instskip(SKIP_1) | instid1(SALU_CYCLE_1)
	v_cmp_eq_u32_e32 vcc_lo, 0, v12
	s_and_b32 s33, s18, vcc_lo
	s_and_saveexec_b32 s18, s33
; %bb.82:                               ;   in Loop: Header=BB195_81 Depth=1
	v_bcnt_u32_b32 v4, v4, 0
	ds_store_b32 v13, v4 offset:64
; %bb.83:                               ;   in Loop: Header=BB195_81 Depth=1
	s_wait_alu 0xfffe
	s_or_b32 exec_lo, exec_lo, s18
	v_cmp_ne_u64_e32 vcc_lo, s[20:21], v[69:70]
	; wave barrier
	s_wait_alu 0xfffd
	v_cndmask_b32_e32 v5, 0x7fffffff, v70, vcc_lo
	v_cndmask_b32_e32 v4, -1, v69, vcc_lo
	s_delay_alu instid0(VALU_DEP_1) | instskip(NEXT) | instid1(VALU_DEP_1)
	v_lshrrev_b64 v[4:5], v32, v[4:5]
	v_and_b32_e32 v4, s23, v4
	s_delay_alu instid0(VALU_DEP_1)
	v_and_b32_e32 v5, 1, v4
	v_lshlrev_b32_e32 v6, 30, v4
	v_lshlrev_b32_e32 v7, 29, v4
	;; [unrolled: 1-line block ×4, first 2 shown]
	v_add_co_u32 v5, s18, v5, -1
	s_wait_alu 0xf1ff
	v_cndmask_b32_e64 v9, 0, 1, s18
	v_not_b32_e32 v15, v6
	v_cmp_gt_i32_e64 s18, 0, v6
	v_not_b32_e32 v6, v7
	v_lshlrev_b32_e32 v11, 26, v4
	v_cmp_ne_u32_e32 vcc_lo, 0, v9
	v_ashrrev_i32_e32 v15, 31, v15
	v_lshlrev_b32_e32 v14, 25, v4
	v_ashrrev_i32_e32 v6, 31, v6
	v_lshlrev_b32_e32 v9, 24, v4
	s_wait_alu 0xfffd
	v_xor_b32_e32 v5, vcc_lo, v5
	v_cmp_gt_i32_e32 vcc_lo, 0, v7
	v_not_b32_e32 v7, v8
	s_wait_alu 0xf1ff
	v_xor_b32_e32 v15, s18, v15
	v_cmp_gt_i32_e64 s18, 0, v8
	v_and_b32_e32 v5, exec_lo, v5
	v_not_b32_e32 v8, v10
	v_ashrrev_i32_e32 v7, 31, v7
	s_wait_alu 0xfffd
	v_xor_b32_e32 v6, vcc_lo, v6
	v_cmp_gt_i32_e32 vcc_lo, 0, v10
	v_and_b32_e32 v5, v5, v15
	v_not_b32_e32 v10, v11
	v_ashrrev_i32_e32 v8, 31, v8
	s_wait_alu 0xf1ff
	v_xor_b32_e32 v7, s18, v7
	v_cmp_gt_i32_e64 s18, 0, v11
	v_and_b32_e32 v5, v5, v6
	v_not_b32_e32 v6, v14
	v_ashrrev_i32_e32 v10, 31, v10
	s_wait_alu 0xfffd
	v_xor_b32_e32 v8, vcc_lo, v8
	v_cmp_gt_i32_e32 vcc_lo, 0, v14
	v_and_b32_e32 v5, v5, v7
	v_not_b32_e32 v7, v9
	v_ashrrev_i32_e32 v6, 31, v6
	s_wait_alu 0xf1ff
	v_xor_b32_e32 v10, s18, v10
	v_lshlrev_b32_e32 v4, 6, v4
	v_and_b32_e32 v5, v5, v8
	v_cmp_gt_i32_e64 s18, 0, v9
	v_ashrrev_i32_e32 v7, 31, v7
	s_wait_alu 0xfffd
	v_xor_b32_e32 v6, vcc_lo, v6
	v_add_nc_u32_e32 v16, v74, v4
	v_and_b32_e32 v5, v5, v10
	s_wait_alu 0xf1ff
	v_xor_b32_e32 v4, s18, v7
	ds_load_b32 v14, v16 offset:64
	v_and_b32_e32 v5, v5, v6
	; wave barrier
	s_delay_alu instid0(VALU_DEP_1) | instskip(NEXT) | instid1(VALU_DEP_1)
	v_and_b32_e32 v4, v5, v4
	v_mbcnt_lo_u32_b32 v15, v4, 0
	v_cmp_ne_u32_e64 s18, 0, v4
	s_delay_alu instid0(VALU_DEP_2) | instskip(SKIP_1) | instid1(SALU_CYCLE_1)
	v_cmp_eq_u32_e32 vcc_lo, 0, v15
	s_and_b32 s33, s18, vcc_lo
	s_and_saveexec_b32 s18, s33
	s_cbranch_execz .LBB195_85
; %bb.84:                               ;   in Loop: Header=BB195_81 Depth=1
	s_wait_dscnt 0x0
	v_bcnt_u32_b32 v4, v4, v14
	ds_store_b32 v16, v4 offset:64
.LBB195_85:                             ;   in Loop: Header=BB195_81 Depth=1
	s_wait_alu 0xfffe
	s_or_b32 exec_lo, exec_lo, s18
	v_cmp_ne_u64_e32 vcc_lo, s[20:21], v[66:67]
	; wave barrier
	s_wait_alu 0xfffd
	v_cndmask_b32_e32 v5, 0x7fffffff, v67, vcc_lo
	v_cndmask_b32_e32 v4, -1, v66, vcc_lo
	s_delay_alu instid0(VALU_DEP_1) | instskip(NEXT) | instid1(VALU_DEP_1)
	v_lshrrev_b64 v[4:5], v32, v[4:5]
	v_and_b32_e32 v4, s23, v4
	s_delay_alu instid0(VALU_DEP_1)
	v_and_b32_e32 v5, 1, v4
	v_lshlrev_b32_e32 v6, 30, v4
	v_lshlrev_b32_e32 v7, 29, v4
	;; [unrolled: 1-line block ×4, first 2 shown]
	v_add_co_u32 v5, s18, v5, -1
	s_wait_alu 0xf1ff
	v_cndmask_b32_e64 v9, 0, 1, s18
	v_not_b32_e32 v18, v6
	v_cmp_gt_i32_e64 s18, 0, v6
	v_not_b32_e32 v6, v7
	v_lshlrev_b32_e32 v11, 26, v4
	v_cmp_ne_u32_e32 vcc_lo, 0, v9
	v_ashrrev_i32_e32 v18, 31, v18
	v_lshlrev_b32_e32 v17, 25, v4
	v_ashrrev_i32_e32 v6, 31, v6
	v_lshlrev_b32_e32 v9, 24, v4
	s_wait_alu 0xfffd
	v_xor_b32_e32 v5, vcc_lo, v5
	v_cmp_gt_i32_e32 vcc_lo, 0, v7
	v_not_b32_e32 v7, v8
	s_wait_alu 0xf1ff
	v_xor_b32_e32 v18, s18, v18
	v_cmp_gt_i32_e64 s18, 0, v8
	v_and_b32_e32 v5, exec_lo, v5
	v_not_b32_e32 v8, v10
	v_ashrrev_i32_e32 v7, 31, v7
	s_wait_alu 0xfffd
	v_xor_b32_e32 v6, vcc_lo, v6
	v_cmp_gt_i32_e32 vcc_lo, 0, v10
	v_and_b32_e32 v5, v5, v18
	v_not_b32_e32 v10, v11
	v_ashrrev_i32_e32 v8, 31, v8
	s_wait_alu 0xf1ff
	v_xor_b32_e32 v7, s18, v7
	v_cmp_gt_i32_e64 s18, 0, v11
	v_and_b32_e32 v5, v5, v6
	v_not_b32_e32 v6, v17
	v_ashrrev_i32_e32 v10, 31, v10
	s_wait_alu 0xfffd
	v_xor_b32_e32 v8, vcc_lo, v8
	v_cmp_gt_i32_e32 vcc_lo, 0, v17
	v_and_b32_e32 v5, v5, v7
	v_not_b32_e32 v7, v9
	v_ashrrev_i32_e32 v6, 31, v6
	s_wait_alu 0xf1ff
	v_xor_b32_e32 v10, s18, v10
	v_lshlrev_b32_e32 v4, 6, v4
	v_and_b32_e32 v5, v5, v8
	v_cmp_gt_i32_e64 s18, 0, v9
	v_ashrrev_i32_e32 v7, 31, v7
	s_wait_alu 0xfffd
	v_xor_b32_e32 v6, vcc_lo, v6
	v_add_nc_u32_e32 v19, v74, v4
	v_and_b32_e32 v5, v5, v10
	s_wait_alu 0xf1ff
	v_xor_b32_e32 v4, s18, v7
	ds_load_b32 v17, v19 offset:64
	v_and_b32_e32 v5, v5, v6
	; wave barrier
	s_delay_alu instid0(VALU_DEP_1) | instskip(NEXT) | instid1(VALU_DEP_1)
	v_and_b32_e32 v4, v5, v4
	v_mbcnt_lo_u32_b32 v18, v4, 0
	v_cmp_ne_u32_e64 s18, 0, v4
	s_delay_alu instid0(VALU_DEP_2) | instskip(SKIP_1) | instid1(SALU_CYCLE_1)
	v_cmp_eq_u32_e32 vcc_lo, 0, v18
	s_and_b32 s33, s18, vcc_lo
	s_and_saveexec_b32 s18, s33
	s_cbranch_execz .LBB195_87
; %bb.86:                               ;   in Loop: Header=BB195_81 Depth=1
	s_wait_dscnt 0x0
	v_bcnt_u32_b32 v4, v4, v17
	ds_store_b32 v19, v4 offset:64
.LBB195_87:                             ;   in Loop: Header=BB195_81 Depth=1
	s_wait_alu 0xfffe
	s_or_b32 exec_lo, exec_lo, s18
	v_cmp_ne_u64_e32 vcc_lo, s[20:21], v[64:65]
	; wave barrier
	s_wait_alu 0xfffd
	v_cndmask_b32_e32 v5, 0x7fffffff, v65, vcc_lo
	v_cndmask_b32_e32 v4, -1, v64, vcc_lo
	s_delay_alu instid0(VALU_DEP_1) | instskip(NEXT) | instid1(VALU_DEP_1)
	v_lshrrev_b64 v[4:5], v32, v[4:5]
	v_and_b32_e32 v4, s23, v4
	s_delay_alu instid0(VALU_DEP_1)
	v_and_b32_e32 v5, 1, v4
	v_lshlrev_b32_e32 v6, 30, v4
	v_lshlrev_b32_e32 v7, 29, v4
	;; [unrolled: 1-line block ×4, first 2 shown]
	v_add_co_u32 v5, s18, v5, -1
	s_wait_alu 0xf1ff
	v_cndmask_b32_e64 v9, 0, 1, s18
	v_not_b32_e32 v21, v6
	v_cmp_gt_i32_e64 s18, 0, v6
	v_not_b32_e32 v6, v7
	v_lshlrev_b32_e32 v11, 26, v4
	v_cmp_ne_u32_e32 vcc_lo, 0, v9
	v_ashrrev_i32_e32 v21, 31, v21
	v_lshlrev_b32_e32 v20, 25, v4
	v_ashrrev_i32_e32 v6, 31, v6
	v_lshlrev_b32_e32 v9, 24, v4
	s_wait_alu 0xfffd
	v_xor_b32_e32 v5, vcc_lo, v5
	v_cmp_gt_i32_e32 vcc_lo, 0, v7
	v_not_b32_e32 v7, v8
	s_wait_alu 0xf1ff
	v_xor_b32_e32 v21, s18, v21
	v_cmp_gt_i32_e64 s18, 0, v8
	v_and_b32_e32 v5, exec_lo, v5
	v_not_b32_e32 v8, v10
	v_ashrrev_i32_e32 v7, 31, v7
	s_wait_alu 0xfffd
	v_xor_b32_e32 v6, vcc_lo, v6
	v_cmp_gt_i32_e32 vcc_lo, 0, v10
	v_and_b32_e32 v5, v5, v21
	v_not_b32_e32 v10, v11
	v_ashrrev_i32_e32 v8, 31, v8
	s_wait_alu 0xf1ff
	v_xor_b32_e32 v7, s18, v7
	v_cmp_gt_i32_e64 s18, 0, v11
	v_and_b32_e32 v5, v5, v6
	v_not_b32_e32 v6, v20
	v_ashrrev_i32_e32 v10, 31, v10
	s_wait_alu 0xfffd
	v_xor_b32_e32 v8, vcc_lo, v8
	v_cmp_gt_i32_e32 vcc_lo, 0, v20
	v_and_b32_e32 v5, v5, v7
	v_not_b32_e32 v7, v9
	v_ashrrev_i32_e32 v6, 31, v6
	s_wait_alu 0xf1ff
	v_xor_b32_e32 v10, s18, v10
	v_lshlrev_b32_e32 v4, 6, v4
	v_and_b32_e32 v5, v5, v8
	v_cmp_gt_i32_e64 s18, 0, v9
	v_ashrrev_i32_e32 v7, 31, v7
	s_wait_alu 0xfffd
	v_xor_b32_e32 v6, vcc_lo, v6
	v_add_nc_u32_e32 v22, v74, v4
	v_and_b32_e32 v5, v5, v10
	s_wait_alu 0xf1ff
	v_xor_b32_e32 v4, s18, v7
	ds_load_b32 v20, v22 offset:64
	v_and_b32_e32 v5, v5, v6
	; wave barrier
	s_delay_alu instid0(VALU_DEP_1) | instskip(NEXT) | instid1(VALU_DEP_1)
	v_and_b32_e32 v4, v5, v4
	v_mbcnt_lo_u32_b32 v21, v4, 0
	v_cmp_ne_u32_e64 s18, 0, v4
	s_delay_alu instid0(VALU_DEP_2) | instskip(SKIP_1) | instid1(SALU_CYCLE_1)
	v_cmp_eq_u32_e32 vcc_lo, 0, v21
	s_and_b32 s33, s18, vcc_lo
	s_and_saveexec_b32 s18, s33
	s_cbranch_execz .LBB195_89
; %bb.88:                               ;   in Loop: Header=BB195_81 Depth=1
	s_wait_dscnt 0x0
	v_bcnt_u32_b32 v4, v4, v20
	ds_store_b32 v22, v4 offset:64
.LBB195_89:                             ;   in Loop: Header=BB195_81 Depth=1
	s_wait_alu 0xfffe
	s_or_b32 exec_lo, exec_lo, s18
	v_cmp_ne_u64_e32 vcc_lo, s[20:21], v[62:63]
	; wave barrier
	s_wait_alu 0xfffd
	v_cndmask_b32_e32 v5, 0x7fffffff, v63, vcc_lo
	v_cndmask_b32_e32 v4, -1, v62, vcc_lo
	s_delay_alu instid0(VALU_DEP_1) | instskip(NEXT) | instid1(VALU_DEP_1)
	v_lshrrev_b64 v[4:5], v32, v[4:5]
	v_and_b32_e32 v4, s23, v4
	s_delay_alu instid0(VALU_DEP_1)
	v_and_b32_e32 v5, 1, v4
	v_lshlrev_b32_e32 v6, 30, v4
	v_lshlrev_b32_e32 v7, 29, v4
	;; [unrolled: 1-line block ×4, first 2 shown]
	v_add_co_u32 v5, s18, v5, -1
	s_wait_alu 0xf1ff
	v_cndmask_b32_e64 v9, 0, 1, s18
	v_not_b32_e32 v24, v6
	v_cmp_gt_i32_e64 s18, 0, v6
	v_not_b32_e32 v6, v7
	v_lshlrev_b32_e32 v11, 26, v4
	v_cmp_ne_u32_e32 vcc_lo, 0, v9
	v_ashrrev_i32_e32 v24, 31, v24
	v_lshlrev_b32_e32 v23, 25, v4
	v_ashrrev_i32_e32 v6, 31, v6
	v_lshlrev_b32_e32 v9, 24, v4
	s_wait_alu 0xfffd
	v_xor_b32_e32 v5, vcc_lo, v5
	v_cmp_gt_i32_e32 vcc_lo, 0, v7
	v_not_b32_e32 v7, v8
	s_wait_alu 0xf1ff
	v_xor_b32_e32 v24, s18, v24
	v_cmp_gt_i32_e64 s18, 0, v8
	v_and_b32_e32 v5, exec_lo, v5
	v_not_b32_e32 v8, v10
	v_ashrrev_i32_e32 v7, 31, v7
	s_wait_alu 0xfffd
	v_xor_b32_e32 v6, vcc_lo, v6
	v_cmp_gt_i32_e32 vcc_lo, 0, v10
	v_and_b32_e32 v5, v5, v24
	v_not_b32_e32 v10, v11
	v_ashrrev_i32_e32 v8, 31, v8
	s_wait_alu 0xf1ff
	v_xor_b32_e32 v7, s18, v7
	v_cmp_gt_i32_e64 s18, 0, v11
	v_and_b32_e32 v5, v5, v6
	v_not_b32_e32 v6, v23
	v_ashrrev_i32_e32 v10, 31, v10
	s_wait_alu 0xfffd
	v_xor_b32_e32 v8, vcc_lo, v8
	v_cmp_gt_i32_e32 vcc_lo, 0, v23
	v_and_b32_e32 v5, v5, v7
	v_not_b32_e32 v7, v9
	v_ashrrev_i32_e32 v6, 31, v6
	s_wait_alu 0xf1ff
	v_xor_b32_e32 v10, s18, v10
	v_lshlrev_b32_e32 v4, 6, v4
	v_and_b32_e32 v5, v5, v8
	v_cmp_gt_i32_e64 s18, 0, v9
	v_ashrrev_i32_e32 v7, 31, v7
	s_wait_alu 0xfffd
	v_xor_b32_e32 v6, vcc_lo, v6
	v_add_nc_u32_e32 v25, v74, v4
	v_and_b32_e32 v5, v5, v10
	s_wait_alu 0xf1ff
	v_xor_b32_e32 v4, s18, v7
	ds_load_b32 v23, v25 offset:64
	v_and_b32_e32 v5, v5, v6
	; wave barrier
	s_delay_alu instid0(VALU_DEP_1) | instskip(NEXT) | instid1(VALU_DEP_1)
	v_and_b32_e32 v4, v5, v4
	v_mbcnt_lo_u32_b32 v24, v4, 0
	v_cmp_ne_u32_e64 s18, 0, v4
	s_delay_alu instid0(VALU_DEP_2) | instskip(SKIP_1) | instid1(SALU_CYCLE_1)
	v_cmp_eq_u32_e32 vcc_lo, 0, v24
	s_and_b32 s33, s18, vcc_lo
	s_and_saveexec_b32 s18, s33
	s_cbranch_execz .LBB195_91
; %bb.90:                               ;   in Loop: Header=BB195_81 Depth=1
	s_wait_dscnt 0x0
	v_bcnt_u32_b32 v4, v4, v23
	ds_store_b32 v25, v4 offset:64
.LBB195_91:                             ;   in Loop: Header=BB195_81 Depth=1
	s_wait_alu 0xfffe
	s_or_b32 exec_lo, exec_lo, s18
	v_cmp_ne_u64_e32 vcc_lo, s[20:21], v[40:41]
	; wave barrier
	s_wait_alu 0xfffd
	v_cndmask_b32_e32 v5, 0x7fffffff, v41, vcc_lo
	v_cndmask_b32_e32 v4, -1, v40, vcc_lo
	s_delay_alu instid0(VALU_DEP_1) | instskip(NEXT) | instid1(VALU_DEP_1)
	v_lshrrev_b64 v[4:5], v32, v[4:5]
	v_and_b32_e32 v4, s23, v4
	s_delay_alu instid0(VALU_DEP_1)
	v_and_b32_e32 v5, 1, v4
	v_lshlrev_b32_e32 v6, 30, v4
	v_lshlrev_b32_e32 v7, 29, v4
	;; [unrolled: 1-line block ×4, first 2 shown]
	v_add_co_u32 v5, s18, v5, -1
	s_wait_alu 0xf1ff
	v_cndmask_b32_e64 v9, 0, 1, s18
	v_not_b32_e32 v27, v6
	v_cmp_gt_i32_e64 s18, 0, v6
	v_not_b32_e32 v6, v7
	v_lshlrev_b32_e32 v11, 26, v4
	v_cmp_ne_u32_e32 vcc_lo, 0, v9
	v_ashrrev_i32_e32 v27, 31, v27
	v_lshlrev_b32_e32 v26, 25, v4
	v_ashrrev_i32_e32 v6, 31, v6
	v_lshlrev_b32_e32 v9, 24, v4
	s_wait_alu 0xfffd
	v_xor_b32_e32 v5, vcc_lo, v5
	v_cmp_gt_i32_e32 vcc_lo, 0, v7
	v_not_b32_e32 v7, v8
	s_wait_alu 0xf1ff
	v_xor_b32_e32 v27, s18, v27
	v_cmp_gt_i32_e64 s18, 0, v8
	v_and_b32_e32 v5, exec_lo, v5
	v_not_b32_e32 v8, v10
	v_ashrrev_i32_e32 v7, 31, v7
	s_wait_alu 0xfffd
	v_xor_b32_e32 v6, vcc_lo, v6
	v_cmp_gt_i32_e32 vcc_lo, 0, v10
	v_and_b32_e32 v5, v5, v27
	v_not_b32_e32 v10, v11
	v_ashrrev_i32_e32 v8, 31, v8
	s_wait_alu 0xf1ff
	v_xor_b32_e32 v7, s18, v7
	v_cmp_gt_i32_e64 s18, 0, v11
	v_and_b32_e32 v5, v5, v6
	v_not_b32_e32 v6, v26
	v_ashrrev_i32_e32 v10, 31, v10
	s_wait_alu 0xfffd
	v_xor_b32_e32 v8, vcc_lo, v8
	v_cmp_gt_i32_e32 vcc_lo, 0, v26
	v_and_b32_e32 v5, v5, v7
	v_not_b32_e32 v7, v9
	v_ashrrev_i32_e32 v6, 31, v6
	s_wait_alu 0xf1ff
	v_xor_b32_e32 v10, s18, v10
	v_lshlrev_b32_e32 v4, 6, v4
	v_and_b32_e32 v5, v5, v8
	v_cmp_gt_i32_e64 s18, 0, v9
	v_ashrrev_i32_e32 v7, 31, v7
	s_wait_alu 0xfffd
	v_xor_b32_e32 v6, vcc_lo, v6
	v_add_nc_u32_e32 v28, v74, v4
	v_and_b32_e32 v5, v5, v10
	s_wait_alu 0xf1ff
	v_xor_b32_e32 v4, s18, v7
	ds_load_b32 v26, v28 offset:64
	v_and_b32_e32 v5, v5, v6
	; wave barrier
	s_delay_alu instid0(VALU_DEP_1) | instskip(NEXT) | instid1(VALU_DEP_1)
	v_and_b32_e32 v4, v5, v4
	v_mbcnt_lo_u32_b32 v27, v4, 0
	v_cmp_ne_u32_e64 s18, 0, v4
	s_delay_alu instid0(VALU_DEP_2) | instskip(SKIP_1) | instid1(SALU_CYCLE_1)
	v_cmp_eq_u32_e32 vcc_lo, 0, v27
	s_and_b32 s33, s18, vcc_lo
	s_and_saveexec_b32 s18, s33
	s_cbranch_execz .LBB195_93
; %bb.92:                               ;   in Loop: Header=BB195_81 Depth=1
	s_wait_dscnt 0x0
	v_bcnt_u32_b32 v4, v4, v26
	ds_store_b32 v28, v4 offset:64
.LBB195_93:                             ;   in Loop: Header=BB195_81 Depth=1
	s_wait_alu 0xfffe
	s_or_b32 exec_lo, exec_lo, s18
	v_cmp_ne_u64_e32 vcc_lo, s[20:21], v[38:39]
	; wave barrier
	s_wait_alu 0xfffd
	v_cndmask_b32_e32 v5, 0x7fffffff, v39, vcc_lo
	v_cndmask_b32_e32 v4, -1, v38, vcc_lo
	s_delay_alu instid0(VALU_DEP_1) | instskip(NEXT) | instid1(VALU_DEP_1)
	v_lshrrev_b64 v[4:5], v32, v[4:5]
	v_and_b32_e32 v4, s23, v4
	s_delay_alu instid0(VALU_DEP_1)
	v_and_b32_e32 v5, 1, v4
	v_lshlrev_b32_e32 v6, 30, v4
	v_lshlrev_b32_e32 v7, 29, v4
	;; [unrolled: 1-line block ×4, first 2 shown]
	v_add_co_u32 v5, s18, v5, -1
	s_wait_alu 0xf1ff
	v_cndmask_b32_e64 v9, 0, 1, s18
	v_not_b32_e32 v30, v6
	v_cmp_gt_i32_e64 s18, 0, v6
	v_not_b32_e32 v6, v7
	v_lshlrev_b32_e32 v11, 26, v4
	v_cmp_ne_u32_e32 vcc_lo, 0, v9
	v_ashrrev_i32_e32 v30, 31, v30
	v_lshlrev_b32_e32 v29, 25, v4
	v_ashrrev_i32_e32 v6, 31, v6
	v_lshlrev_b32_e32 v9, 24, v4
	s_wait_alu 0xfffd
	v_xor_b32_e32 v5, vcc_lo, v5
	v_cmp_gt_i32_e32 vcc_lo, 0, v7
	v_not_b32_e32 v7, v8
	s_wait_alu 0xf1ff
	v_xor_b32_e32 v30, s18, v30
	v_cmp_gt_i32_e64 s18, 0, v8
	v_and_b32_e32 v5, exec_lo, v5
	v_not_b32_e32 v8, v10
	v_ashrrev_i32_e32 v7, 31, v7
	s_wait_alu 0xfffd
	v_xor_b32_e32 v6, vcc_lo, v6
	v_cmp_gt_i32_e32 vcc_lo, 0, v10
	v_and_b32_e32 v5, v5, v30
	v_not_b32_e32 v10, v11
	v_ashrrev_i32_e32 v8, 31, v8
	s_wait_alu 0xf1ff
	v_xor_b32_e32 v7, s18, v7
	v_cmp_gt_i32_e64 s18, 0, v11
	v_and_b32_e32 v5, v5, v6
	v_not_b32_e32 v6, v29
	v_ashrrev_i32_e32 v10, 31, v10
	s_wait_alu 0xfffd
	v_xor_b32_e32 v8, vcc_lo, v8
	v_cmp_gt_i32_e32 vcc_lo, 0, v29
	v_and_b32_e32 v5, v5, v7
	v_not_b32_e32 v7, v9
	v_ashrrev_i32_e32 v6, 31, v6
	s_wait_alu 0xf1ff
	v_xor_b32_e32 v10, s18, v10
	v_lshlrev_b32_e32 v4, 6, v4
	v_and_b32_e32 v5, v5, v8
	v_cmp_gt_i32_e64 s18, 0, v9
	v_ashrrev_i32_e32 v7, 31, v7
	s_wait_alu 0xfffd
	v_xor_b32_e32 v6, vcc_lo, v6
	v_add_nc_u32_e32 v31, v74, v4
	v_and_b32_e32 v5, v5, v10
	s_wait_alu 0xf1ff
	v_xor_b32_e32 v4, s18, v7
	ds_load_b32 v29, v31 offset:64
	v_and_b32_e32 v5, v5, v6
	; wave barrier
	s_delay_alu instid0(VALU_DEP_1) | instskip(NEXT) | instid1(VALU_DEP_1)
	v_and_b32_e32 v4, v5, v4
	v_mbcnt_lo_u32_b32 v30, v4, 0
	v_cmp_ne_u32_e64 s18, 0, v4
	s_delay_alu instid0(VALU_DEP_2) | instskip(SKIP_1) | instid1(SALU_CYCLE_1)
	v_cmp_eq_u32_e32 vcc_lo, 0, v30
	s_and_b32 s33, s18, vcc_lo
	s_and_saveexec_b32 s18, s33
	s_cbranch_execz .LBB195_95
; %bb.94:                               ;   in Loop: Header=BB195_81 Depth=1
	s_wait_dscnt 0x0
	v_bcnt_u32_b32 v4, v4, v29
	ds_store_b32 v31, v4 offset:64
.LBB195_95:                             ;   in Loop: Header=BB195_81 Depth=1
	s_wait_alu 0xfffe
	s_or_b32 exec_lo, exec_lo, s18
	v_cmp_ne_u64_e32 vcc_lo, s[20:21], v[36:37]
	; wave barrier
	s_wait_alu 0xfffd
	v_cndmask_b32_e32 v5, 0x7fffffff, v37, vcc_lo
	v_cndmask_b32_e32 v4, -1, v36, vcc_lo
	s_delay_alu instid0(VALU_DEP_1) | instskip(NEXT) | instid1(VALU_DEP_1)
	v_lshrrev_b64 v[4:5], v32, v[4:5]
	v_and_b32_e32 v4, s23, v4
	s_delay_alu instid0(VALU_DEP_1)
	v_and_b32_e32 v5, 1, v4
	v_lshlrev_b32_e32 v6, 30, v4
	v_lshlrev_b32_e32 v7, 29, v4
	;; [unrolled: 1-line block ×4, first 2 shown]
	v_add_co_u32 v5, s18, v5, -1
	s_wait_alu 0xf1ff
	v_cndmask_b32_e64 v9, 0, 1, s18
	v_not_b32_e32 v49, v6
	v_cmp_gt_i32_e64 s18, 0, v6
	v_not_b32_e32 v6, v7
	v_lshlrev_b32_e32 v11, 26, v4
	v_cmp_ne_u32_e32 vcc_lo, 0, v9
	v_ashrrev_i32_e32 v49, 31, v49
	v_lshlrev_b32_e32 v48, 25, v4
	v_ashrrev_i32_e32 v6, 31, v6
	v_lshlrev_b32_e32 v9, 24, v4
	s_wait_alu 0xfffd
	v_xor_b32_e32 v5, vcc_lo, v5
	v_cmp_gt_i32_e32 vcc_lo, 0, v7
	v_not_b32_e32 v7, v8
	s_wait_alu 0xf1ff
	v_xor_b32_e32 v49, s18, v49
	v_cmp_gt_i32_e64 s18, 0, v8
	v_and_b32_e32 v5, exec_lo, v5
	v_not_b32_e32 v8, v10
	v_ashrrev_i32_e32 v7, 31, v7
	s_wait_alu 0xfffd
	v_xor_b32_e32 v6, vcc_lo, v6
	v_cmp_gt_i32_e32 vcc_lo, 0, v10
	v_and_b32_e32 v5, v5, v49
	v_not_b32_e32 v10, v11
	v_ashrrev_i32_e32 v8, 31, v8
	s_wait_alu 0xf1ff
	v_xor_b32_e32 v7, s18, v7
	v_cmp_gt_i32_e64 s18, 0, v11
	v_and_b32_e32 v5, v5, v6
	v_not_b32_e32 v6, v48
	v_ashrrev_i32_e32 v10, 31, v10
	s_wait_alu 0xfffd
	v_xor_b32_e32 v8, vcc_lo, v8
	v_cmp_gt_i32_e32 vcc_lo, 0, v48
	v_and_b32_e32 v5, v5, v7
	v_not_b32_e32 v7, v9
	v_ashrrev_i32_e32 v6, 31, v6
	s_wait_alu 0xf1ff
	v_xor_b32_e32 v10, s18, v10
	v_lshlrev_b32_e32 v4, 6, v4
	v_and_b32_e32 v5, v5, v8
	v_cmp_gt_i32_e64 s18, 0, v9
	v_ashrrev_i32_e32 v7, 31, v7
	s_wait_alu 0xfffd
	v_xor_b32_e32 v6, vcc_lo, v6
	v_add_nc_u32_e32 v50, v74, v4
	v_and_b32_e32 v5, v5, v10
	s_wait_alu 0xf1ff
	v_xor_b32_e32 v4, s18, v7
	ds_load_b32 v48, v50 offset:64
	v_and_b32_e32 v5, v5, v6
	; wave barrier
	s_delay_alu instid0(VALU_DEP_1) | instskip(NEXT) | instid1(VALU_DEP_1)
	v_and_b32_e32 v4, v5, v4
	v_mbcnt_lo_u32_b32 v49, v4, 0
	v_cmp_ne_u32_e64 s18, 0, v4
	s_delay_alu instid0(VALU_DEP_2)
	v_cmp_eq_u32_e32 vcc_lo, 0, v49
	s_and_b32 s23, s18, vcc_lo
	s_wait_alu 0xfffe
	s_and_saveexec_b32 s18, s23
	s_cbranch_execz .LBB195_97
; %bb.96:                               ;   in Loop: Header=BB195_81 Depth=1
	s_wait_dscnt 0x0
	v_bcnt_u32_b32 v4, v4, v48
	ds_store_b32 v50, v4 offset:64
.LBB195_97:                             ;   in Loop: Header=BB195_81 Depth=1
	s_wait_alu 0xfffe
	s_or_b32 exec_lo, exec_lo, s18
	; wave barrier
	s_wait_loadcnt_dscnt 0x0
	s_barrier_signal -1
	s_barrier_wait -1
	global_inv scope:SCOPE_SE
	ds_load_b128 v[8:11], v113 offset:64
	ds_load_b128 v[4:7], v113 offset:80
	s_wait_dscnt 0x1
	v_add_nc_u32_e32 v51, v9, v8
	s_delay_alu instid0(VALU_DEP_1) | instskip(SKIP_1) | instid1(VALU_DEP_1)
	v_add3_u32 v51, v51, v10, v11
	s_wait_dscnt 0x0
	v_add3_u32 v51, v51, v4, v5
	s_delay_alu instid0(VALU_DEP_1) | instskip(NEXT) | instid1(VALU_DEP_1)
	v_add3_u32 v7, v51, v6, v7
	v_mov_b32_dpp v51, v7 row_shr:1 row_mask:0xf bank_mask:0xf
	s_delay_alu instid0(VALU_DEP_1) | instskip(NEXT) | instid1(VALU_DEP_1)
	v_cndmask_b32_e64 v51, v51, 0, s0
	v_add_nc_u32_e32 v7, v51, v7
	s_delay_alu instid0(VALU_DEP_1) | instskip(NEXT) | instid1(VALU_DEP_1)
	v_mov_b32_dpp v51, v7 row_shr:2 row_mask:0xf bank_mask:0xf
	v_cndmask_b32_e64 v51, 0, v51, s1
	s_delay_alu instid0(VALU_DEP_1) | instskip(NEXT) | instid1(VALU_DEP_1)
	v_add_nc_u32_e32 v7, v7, v51
	v_mov_b32_dpp v51, v7 row_shr:4 row_mask:0xf bank_mask:0xf
	s_delay_alu instid0(VALU_DEP_1) | instskip(NEXT) | instid1(VALU_DEP_1)
	v_cndmask_b32_e64 v51, 0, v51, s11
	v_add_nc_u32_e32 v7, v7, v51
	s_delay_alu instid0(VALU_DEP_1) | instskip(NEXT) | instid1(VALU_DEP_1)
	v_mov_b32_dpp v51, v7 row_shr:8 row_mask:0xf bank_mask:0xf
	v_cndmask_b32_e64 v51, 0, v51, s12
	s_delay_alu instid0(VALU_DEP_1) | instskip(SKIP_3) | instid1(VALU_DEP_1)
	v_add_nc_u32_e32 v7, v7, v51
	ds_swizzle_b32 v51, v7 offset:swizzle(BROADCAST,32,15)
	s_wait_dscnt 0x0
	v_cndmask_b32_e64 v51, v51, 0, s13
	v_add_nc_u32_e32 v7, v7, v51
	s_and_saveexec_b32 s18, s14
; %bb.98:                               ;   in Loop: Header=BB195_81 Depth=1
	ds_store_b32 v114, v7
; %bb.99:                               ;   in Loop: Header=BB195_81 Depth=1
	s_wait_alu 0xfffe
	s_or_b32 exec_lo, exec_lo, s18
	s_wait_loadcnt_dscnt 0x0
	s_barrier_signal -1
	s_barrier_wait -1
	global_inv scope:SCOPE_SE
	s_and_saveexec_b32 s18, s15
	s_cbranch_execz .LBB195_101
; %bb.100:                              ;   in Loop: Header=BB195_81 Depth=1
	ds_load_b32 v51, v75
	s_wait_dscnt 0x0
	v_mov_b32_dpp v76, v51 row_shr:1 row_mask:0xf bank_mask:0xf
	s_delay_alu instid0(VALU_DEP_1) | instskip(NEXT) | instid1(VALU_DEP_1)
	v_cndmask_b32_e64 v76, v76, 0, s0
	v_add_nc_u32_e32 v51, v76, v51
	s_delay_alu instid0(VALU_DEP_1) | instskip(NEXT) | instid1(VALU_DEP_1)
	v_mov_b32_dpp v76, v51 row_shr:2 row_mask:0xf bank_mask:0xf
	v_cndmask_b32_e64 v76, 0, v76, s1
	s_delay_alu instid0(VALU_DEP_1) | instskip(NEXT) | instid1(VALU_DEP_1)
	v_add_nc_u32_e32 v51, v51, v76
	v_mov_b32_dpp v76, v51 row_shr:4 row_mask:0xf bank_mask:0xf
	s_delay_alu instid0(VALU_DEP_1) | instskip(NEXT) | instid1(VALU_DEP_1)
	v_cndmask_b32_e64 v76, 0, v76, s11
	v_add_nc_u32_e32 v51, v51, v76
	s_delay_alu instid0(VALU_DEP_1) | instskip(NEXT) | instid1(VALU_DEP_1)
	v_mov_b32_dpp v76, v51 row_shr:8 row_mask:0xf bank_mask:0xf
	v_cndmask_b32_e64 v76, 0, v76, s12
	s_delay_alu instid0(VALU_DEP_1)
	v_add_nc_u32_e32 v51, v51, v76
	ds_store_b32 v75, v51
.LBB195_101:                            ;   in Loop: Header=BB195_81 Depth=1
	s_wait_alu 0xfffe
	s_or_b32 exec_lo, exec_lo, s18
	v_mov_b32_e32 v51, 0
	s_wait_loadcnt_dscnt 0x0
	s_barrier_signal -1
	s_barrier_wait -1
	global_inv scope:SCOPE_SE
	s_and_saveexec_b32 s18, s16
; %bb.102:                              ;   in Loop: Header=BB195_81 Depth=1
	ds_load_b32 v51, v73
; %bb.103:                              ;   in Loop: Header=BB195_81 Depth=1
	s_wait_alu 0xfffe
	s_or_b32 exec_lo, exec_lo, s18
	s_wait_dscnt 0x0
	v_add_nc_u32_e32 v7, v51, v7
	v_cmp_lt_u32_e32 vcc_lo, 55, v32
	s_mov_b32 s18, -1
	ds_bpermute_b32 v7, v72, v7
	s_and_b32 vcc_lo, exec_lo, vcc_lo
	s_wait_dscnt 0x0
	v_cndmask_b32_e64 v7, v7, v51, s10
	s_delay_alu instid0(VALU_DEP_1) | instskip(NEXT) | instid1(VALU_DEP_1)
	v_cndmask_b32_e64 v7, v7, 0, s17
	v_add_nc_u32_e32 v8, v7, v8
	s_delay_alu instid0(VALU_DEP_1) | instskip(NEXT) | instid1(VALU_DEP_1)
	v_add_nc_u32_e32 v9, v8, v9
	v_add_nc_u32_e32 v10, v9, v10
	s_delay_alu instid0(VALU_DEP_1) | instskip(NEXT) | instid1(VALU_DEP_1)
	v_add_nc_u32_e32 v76, v10, v11
	v_add_nc_u32_e32 v77, v76, v4
	s_delay_alu instid0(VALU_DEP_1) | instskip(NEXT) | instid1(VALU_DEP_1)
	v_add_nc_u32_e32 v78, v77, v5
	v_add_nc_u32_e32 v79, v78, v6
	ds_store_b128 v113, v[7:10] offset:64
	ds_store_b128 v113, v[76:79] offset:80
	s_wait_loadcnt_dscnt 0x0
	s_barrier_signal -1
	s_barrier_wait -1
	global_inv scope:SCOPE_SE
	ds_load_b32 v4, v13 offset:64
	ds_load_b32 v5, v16 offset:64
	;; [unrolled: 1-line block ×8, first 2 shown]
	s_wait_dscnt 0x7
	v_add_nc_u32_e32 v83, v4, v12
	s_wait_dscnt 0x6
	v_add3_u32 v82, v15, v14, v5
	s_wait_dscnt 0x5
	v_add3_u32 v81, v18, v17, v6
	s_wait_dscnt 0x4
	v_add3_u32 v80, v21, v20, v7
	s_wait_dscnt 0x3
	v_add3_u32 v79, v24, v23, v8
	s_wait_dscnt 0x2
	v_add3_u32 v78, v27, v26, v9
	s_wait_dscnt 0x1
	v_add3_u32 v77, v30, v29, v10
	s_wait_dscnt 0x0
	v_add3_u32 v76, v49, v48, v11
                                        ; implicit-def: $vgpr50_vgpr51
                                        ; implicit-def: $vgpr14_vgpr15
                                        ; implicit-def: $vgpr10_vgpr11
                                        ; implicit-def: $vgpr6_vgpr7
                                        ; implicit-def: $vgpr30_vgpr31
                                        ; implicit-def: $vgpr26_vgpr27
                                        ; implicit-def: $vgpr22_vgpr23
                                        ; implicit-def: $vgpr18_vgpr19
	s_wait_alu 0xfffe
	s_cbranch_vccnz .LBB195_80
; %bb.104:                              ;   in Loop: Header=BB195_81 Depth=1
	v_lshlrev_b32_e32 v16, 3, v83
	v_lshlrev_b32_e32 v19, 3, v80
	v_lshlrev_b32_e32 v17, 3, v82
	v_lshlrev_b32_e32 v20, 3, v79
	v_lshlrev_b32_e32 v18, 3, v81
	v_lshlrev_b32_e32 v21, 3, v78
	v_lshlrev_b32_e32 v22, 3, v77
	v_lshlrev_b32_e32 v23, 3, v76
	s_wait_loadcnt 0x0
	s_barrier_signal -1
	s_barrier_wait -1
	global_inv scope:SCOPE_SE
	ds_store_b64 v16, v[34:35]
	ds_store_b64 v17, v[69:70]
	;; [unrolled: 1-line block ×8, first 2 shown]
	s_wait_loadcnt_dscnt 0x0
	s_barrier_signal -1
	s_barrier_wait -1
	global_inv scope:SCOPE_SE
	ds_load_2addr_b64 v[4:7], v71 offset1:32
	ds_load_2addr_b64 v[8:11], v71 offset0:64 offset1:96
	ds_load_2addr_b64 v[12:15], v71 offset0:128 offset1:160
	;; [unrolled: 1-line block ×3, first 2 shown]
	s_wait_loadcnt_dscnt 0x0
	s_barrier_signal -1
	s_barrier_wait -1
	global_inv scope:SCOPE_SE
	ds_store_b64 v16, v[60:61]
	ds_store_b64 v17, v[58:59]
	;; [unrolled: 1-line block ×8, first 2 shown]
	s_wait_loadcnt_dscnt 0x0
	s_barrier_signal -1
	s_barrier_wait -1
	global_inv scope:SCOPE_SE
	ds_load_2addr_b64 v[16:19], v71 offset1:32
	ds_load_2addr_b64 v[20:23], v71 offset0:64 offset1:96
	ds_load_2addr_b64 v[24:27], v71 offset0:128 offset1:160
	;; [unrolled: 1-line block ×3, first 2 shown]
	v_add_co_u32 v32, vcc_lo, v32, 8
	s_wait_alu 0xfffd
	v_add_co_ci_u32_e64 v33, null, 0, v33, vcc_lo
	s_add_co_i32 s22, s22, -8
	s_mov_b32 s18, 0
	s_wait_loadcnt_dscnt 0x0
	s_barrier_signal -1
	s_barrier_wait -1
	global_inv scope:SCOPE_SE
	s_branch .LBB195_80
.LBB195_105:
	v_lshlrev_b32_e32 v16, 3, v83
	v_lshlrev_b32_e32 v19, 3, v80
	v_lshlrev_b32_e32 v24, 3, v112
	v_lshlrev_b32_e32 v17, 3, v82
	v_lshlrev_b32_e32 v20, 3, v79
	v_lshlrev_b32_e32 v18, 3, v81
	v_lshlrev_b32_e32 v21, 3, v78
	v_lshlrev_b32_e32 v22, 3, v77
	v_lshlrev_b32_e32 v23, 3, v76
	s_wait_loadcnt 0x0
	s_barrier_signal -1
	s_barrier_wait -1
	global_inv scope:SCOPE_SE
	ds_store_b64 v16, v[34:35]
	ds_store_b64 v17, v[69:70]
	;; [unrolled: 1-line block ×8, first 2 shown]
	s_wait_loadcnt_dscnt 0x0
	s_barrier_signal -1
	s_barrier_wait -1
	global_inv scope:SCOPE_SE
	ds_load_b128 v[0:3], v24
	ds_load_b128 v[4:7], v24 offset:16
	ds_load_b128 v[8:11], v24 offset:32
	;; [unrolled: 1-line block ×3, first 2 shown]
	s_wait_loadcnt_dscnt 0x0
	s_barrier_signal -1
	s_barrier_wait -1
	global_inv scope:SCOPE_SE
	ds_store_b64 v16, v[60:61]
	ds_store_b64 v17, v[58:59]
	;; [unrolled: 1-line block ×8, first 2 shown]
	s_wait_loadcnt_dscnt 0x0
	s_barrier_signal -1
	s_barrier_wait -1
	global_inv scope:SCOPE_SE
	ds_load_b128 v[52:55], v24
	ds_load_b128 v[48:51], v24 offset:16
	ds_load_b128 v[60:63], v24 offset:32
	ds_load_b128 v[56:59], v24 offset:48
	v_cmp_gt_i64_e32 vcc_lo, 0, v[0:1]
	v_ashrrev_i32_e32 v18, 31, v3
	v_ashrrev_i32_e32 v16, 31, v1
	s_wait_alu 0xfffd
	v_cndmask_b32_e64 v17, 0x7fffffff, 0, vcc_lo
	v_cmp_gt_i64_e32 vcc_lo, 0, v[2:3]
	v_not_b32_e32 v18, v18
	v_not_b32_e32 v16, v16
	s_delay_alu instid0(VALU_DEP_4)
	v_xor_b32_e32 v1, v17, v1
	v_ashrrev_i32_e32 v17, 31, v7
	s_wait_alu 0xfffd
	v_cndmask_b32_e64 v19, 0x7fffffff, 0, vcc_lo
	v_cmp_gt_i64_e32 vcc_lo, 0, v[4:5]
	v_xor_b32_e32 v2, v18, v2
	v_xor_b32_e32 v0, v16, v0
	v_ashrrev_i32_e32 v16, 31, v5
	v_xor_b32_e32 v3, v19, v3
	v_not_b32_e32 v17, v17
	s_wait_alu 0xfffd
	v_cndmask_b32_e64 v18, 0x7fffffff, 0, vcc_lo
	v_cmp_gt_i64_e32 vcc_lo, 0, v[6:7]
	v_not_b32_e32 v16, v16
	v_xor_b32_e32 v6, v17, v6
	s_delay_alu instid0(VALU_DEP_4)
	v_xor_b32_e32 v5, v18, v5
	v_ashrrev_i32_e32 v18, 31, v11
	s_wait_alu 0xfffd
	v_cndmask_b32_e64 v19, 0x7fffffff, 0, vcc_lo
	v_cmp_gt_i64_e32 vcc_lo, 0, v[8:9]
	v_xor_b32_e32 v4, v16, v4
	v_ashrrev_i32_e32 v16, 31, v9
	s_delay_alu instid0(VALU_DEP_4) | instskip(SKIP_4) | instid1(VALU_DEP_3)
	v_xor_b32_e32 v7, v19, v7
	s_wait_alu 0xfffd
	v_cndmask_b32_e64 v17, 0x7fffffff, 0, vcc_lo
	v_cmp_gt_i64_e32 vcc_lo, 0, v[10:11]
	v_not_b32_e32 v16, v16
	v_xor_b32_e32 v9, v17, v9
	v_ashrrev_i32_e32 v17, 31, v13
	s_wait_alu 0xfffd
	v_cndmask_b32_e64 v19, 0x7fffffff, 0, vcc_lo
	v_cmp_gt_i64_e32 vcc_lo, 0, v[12:13]
	v_xor_b32_e32 v8, v16, v8
	v_not_b32_e32 v16, v18
	v_ashrrev_i32_e32 v18, 31, v15
	v_xor_b32_e32 v11, v19, v11
	v_not_b32_e32 v17, v17
	s_wait_alu 0xfffd
	v_cndmask_b32_e64 v19, 0x7fffffff, 0, vcc_lo
	v_cmp_gt_i64_e32 vcc_lo, 0, v[14:15]
	v_not_b32_e32 v18, v18
	v_xor_b32_e32 v10, v16, v10
	v_xor_b32_e32 v12, v17, v12
	;; [unrolled: 1-line block ×3, first 2 shown]
	s_wait_alu 0xfffd
	v_cndmask_b32_e64 v20, 0x7fffffff, 0, vcc_lo
	v_xor_b32_e32 v14, v18, v14
	s_delay_alu instid0(VALU_DEP_2)
	v_xor_b32_e32 v15, v20, v15
.LBB195_106:
	v_mad_co_u64_u32 v[16:17], null, s24, v68, 0
	s_wait_loadcnt_dscnt 0x0
	s_barrier_signal -1
	s_barrier_wait -1
	global_inv scope:SCOPE_SE
	ds_store_2addr_b64 v111, v[0:1], v[2:3] offset1:1
	ds_store_2addr_b64 v111, v[4:5], v[6:7] offset0:2 offset1:3
	ds_store_2addr_b64 v111, v[8:9], v[10:11] offset0:4 offset1:5
	;; [unrolled: 1-line block ×3, first 2 shown]
	s_wait_loadcnt_dscnt 0x0
	v_mov_b32_e32 v0, v17
	s_barrier_signal -1
	s_barrier_wait -1
	global_inv scope:SCOPE_SE
	v_mad_co_u64_u32 v[2:3], null, s25, v68, v[0:1]
	ds_load_b64 v[14:15], v104 offset:4096
	ds_load_b64 v[12:13], v105 offset:8192
	;; [unrolled: 1-line block ×7, first 2 shown]
	v_mov_b32_e32 v17, v2
	s_delay_alu instid0(VALU_DEP_1) | instskip(NEXT) | instid1(VALU_DEP_1)
	v_lshlrev_b64_e32 v[2:3], 3, v[16:17]
	v_add_co_u32 v2, vcc_lo, s28, v2
	s_wait_alu 0xfffd
	s_delay_alu instid0(VALU_DEP_2)
	v_add_co_ci_u32_e64 v3, null, s29, v3, vcc_lo
	s_and_saveexec_b32 s0, s2
	s_cbranch_execnz .LBB195_125
; %bb.107:
	s_wait_alu 0xfffe
	s_or_b32 exec_lo, exec_lo, s0
	s_and_saveexec_b32 s0, s3
	s_cbranch_execnz .LBB195_126
.LBB195_108:
	s_wait_alu 0xfffe
	s_or_b32 exec_lo, exec_lo, s0
	s_and_saveexec_b32 s0, s4
	s_cbranch_execnz .LBB195_127
.LBB195_109:
	s_wait_alu 0xfffe
	s_or_b32 exec_lo, exec_lo, s0
	s_and_saveexec_b32 s0, s5
	s_cbranch_execnz .LBB195_128
.LBB195_110:
	s_wait_alu 0xfffe
	s_or_b32 exec_lo, exec_lo, s0
	s_and_saveexec_b32 s0, s6
	s_cbranch_execnz .LBB195_129
.LBB195_111:
	s_wait_alu 0xfffe
	s_or_b32 exec_lo, exec_lo, s0
	s_and_saveexec_b32 s0, s7
	s_cbranch_execnz .LBB195_130
.LBB195_112:
	s_wait_alu 0xfffe
	s_or_b32 exec_lo, exec_lo, s0
	s_and_saveexec_b32 s0, s8
	s_cbranch_execnz .LBB195_131
.LBB195_113:
	s_wait_alu 0xfffe
	s_or_b32 exec_lo, exec_lo, s0
	s_and_saveexec_b32 s0, s9
	s_cbranch_execz .LBB195_115
.LBB195_114:
	v_mad_co_u64_u32 v[2:3], null, 0x7000, s24, v[2:3]
	s_wait_dscnt 0x1
	s_delay_alu instid0(VALU_DEP_1)
	v_mad_co_u64_u32 v[3:4], null, 0x7000, s25, v[3:4]
	s_wait_dscnt 0x0
	global_store_b64 v[2:3], v[0:1], off
.LBB195_115:
	s_wait_alu 0xfffe
	s_or_b32 exec_lo, exec_lo, s0
	v_mad_co_u64_u32 v[2:3], null, s26, v68, 0
	s_wait_storecnt 0x0
	s_wait_loadcnt_dscnt 0x0
	s_barrier_signal -1
	s_barrier_wait -1
	global_inv scope:SCOPE_SE
	ds_store_2addr_b64 v111, v[52:53], v[54:55] offset1:1
	ds_store_2addr_b64 v111, v[48:49], v[50:51] offset0:2 offset1:3
	ds_store_2addr_b64 v111, v[60:61], v[62:63] offset0:4 offset1:5
	;; [unrolled: 1-line block ×3, first 2 shown]
	s_wait_loadcnt_dscnt 0x0
	v_mov_b32_e32 v0, v3
	s_barrier_signal -1
	s_barrier_wait -1
	global_inv scope:SCOPE_SE
	v_mad_co_u64_u32 v[3:4], null, s27, v68, v[0:1]
	ds_load_b64 v[14:15], v104 offset:4096
	ds_load_b64 v[12:13], v105 offset:8192
	;; [unrolled: 1-line block ×7, first 2 shown]
	v_lshlrev_b64_e32 v[2:3], 3, v[2:3]
	s_delay_alu instid0(VALU_DEP_1) | instskip(SKIP_1) | instid1(VALU_DEP_2)
	v_add_co_u32 v2, vcc_lo, s30, v2
	s_wait_alu 0xfffd
	v_add_co_ci_u32_e64 v3, null, s31, v3, vcc_lo
	s_and_saveexec_b32 s0, s2
	s_cbranch_execnz .LBB195_132
; %bb.116:
	s_wait_alu 0xfffe
	s_or_b32 exec_lo, exec_lo, s0
	s_and_saveexec_b32 s0, s3
	s_cbranch_execnz .LBB195_133
.LBB195_117:
	s_wait_alu 0xfffe
	s_or_b32 exec_lo, exec_lo, s0
	s_and_saveexec_b32 s0, s4
	s_cbranch_execnz .LBB195_134
.LBB195_118:
	s_wait_alu 0xfffe
	s_or_b32 exec_lo, exec_lo, s0
	s_and_saveexec_b32 s0, s5
	s_cbranch_execnz .LBB195_135
.LBB195_119:
	s_wait_alu 0xfffe
	s_or_b32 exec_lo, exec_lo, s0
	s_and_saveexec_b32 s0, s6
	s_cbranch_execnz .LBB195_136
.LBB195_120:
	s_wait_alu 0xfffe
	s_or_b32 exec_lo, exec_lo, s0
	s_and_saveexec_b32 s0, s7
	s_cbranch_execnz .LBB195_137
.LBB195_121:
	s_wait_alu 0xfffe
	s_or_b32 exec_lo, exec_lo, s0
	s_and_saveexec_b32 s0, s8
	s_cbranch_execnz .LBB195_138
.LBB195_122:
	s_wait_alu 0xfffe
	s_or_b32 exec_lo, exec_lo, s0
	s_and_saveexec_b32 s0, s9
	s_cbranch_execz .LBB195_124
.LBB195_123:
	v_mad_co_u64_u32 v[2:3], null, 0x7000, s26, v[2:3]
	s_wait_dscnt 0x1
	s_delay_alu instid0(VALU_DEP_1)
	v_mad_co_u64_u32 v[3:4], null, 0x7000, s27, v[3:4]
	s_wait_dscnt 0x0
	global_store_b64 v[2:3], v[0:1], off
.LBB195_124:
	s_nop 0
	s_sendmsg sendmsg(MSG_DEALLOC_VGPRS)
	s_endpgm
.LBB195_125:
	ds_load_b64 v[16:17], v103
	s_wait_dscnt 0x0
	global_store_b64 v[2:3], v[16:17], off
	s_wait_alu 0xfffe
	s_or_b32 exec_lo, exec_lo, s0
	s_and_saveexec_b32 s0, s3
	s_cbranch_execz .LBB195_108
.LBB195_126:
	s_lshl_b64 s[10:11], s[24:25], 12
	s_wait_alu 0xfffe
	v_add_co_u32 v16, vcc_lo, v2, s10
	s_wait_alu 0xfffd
	v_add_co_ci_u32_e64 v17, null, s11, v3, vcc_lo
	s_wait_dscnt 0x6
	global_store_b64 v[16:17], v[14:15], off
	s_or_b32 exec_lo, exec_lo, s0
	s_and_saveexec_b32 s0, s4
	s_cbranch_execz .LBB195_109
.LBB195_127:
	s_lshl_b64 s[10:11], s[24:25], 13
	s_wait_dscnt 0x6
	s_wait_alu 0xfffe
	v_add_co_u32 v14, vcc_lo, v2, s10
	s_wait_alu 0xfffd
	v_add_co_ci_u32_e64 v15, null, s11, v3, vcc_lo
	s_wait_dscnt 0x5
	global_store_b64 v[14:15], v[12:13], off
	s_or_b32 exec_lo, exec_lo, s0
	s_and_saveexec_b32 s0, s5
	s_cbranch_execz .LBB195_110
.LBB195_128:
	s_wait_dscnt 0x5
	v_mad_co_u64_u32 v[12:13], null, 0x3000, s24, v[2:3]
	s_delay_alu instid0(VALU_DEP_1)
	v_mad_co_u64_u32 v[13:14], null, 0x3000, s25, v[13:14]
	s_wait_dscnt 0x4
	global_store_b64 v[12:13], v[10:11], off
	s_wait_alu 0xfffe
	s_or_b32 exec_lo, exec_lo, s0
	s_and_saveexec_b32 s0, s6
	s_cbranch_execz .LBB195_111
.LBB195_129:
	s_lshl_b64 s[10:11], s[24:25], 14
	s_wait_dscnt 0x4
	s_wait_alu 0xfffe
	v_add_co_u32 v10, vcc_lo, v2, s10
	s_wait_alu 0xfffd
	v_add_co_ci_u32_e64 v11, null, s11, v3, vcc_lo
	s_wait_dscnt 0x3
	global_store_b64 v[10:11], v[8:9], off
	s_or_b32 exec_lo, exec_lo, s0
	s_and_saveexec_b32 s0, s7
	s_cbranch_execz .LBB195_112
.LBB195_130:
	s_wait_dscnt 0x3
	v_mad_co_u64_u32 v[8:9], null, 0x5000, s24, v[2:3]
	s_delay_alu instid0(VALU_DEP_1)
	v_mad_co_u64_u32 v[9:10], null, 0x5000, s25, v[9:10]
	s_wait_dscnt 0x2
	global_store_b64 v[8:9], v[6:7], off
	s_wait_alu 0xfffe
	s_or_b32 exec_lo, exec_lo, s0
	s_and_saveexec_b32 s0, s8
	s_cbranch_execz .LBB195_113
.LBB195_131:
	s_wait_dscnt 0x2
	v_mad_co_u64_u32 v[6:7], null, 0x6000, s24, v[2:3]
	s_delay_alu instid0(VALU_DEP_1)
	v_mad_co_u64_u32 v[7:8], null, 0x6000, s25, v[7:8]
	s_wait_dscnt 0x1
	global_store_b64 v[6:7], v[4:5], off
	s_wait_alu 0xfffe
	s_or_b32 exec_lo, exec_lo, s0
	s_and_saveexec_b32 s0, s9
	s_cbranch_execnz .LBB195_114
	s_branch .LBB195_115
.LBB195_132:
	ds_load_b64 v[16:17], v103
	s_wait_dscnt 0x0
	global_store_b64 v[2:3], v[16:17], off
	s_wait_alu 0xfffe
	s_or_b32 exec_lo, exec_lo, s0
	s_and_saveexec_b32 s0, s3
	s_cbranch_execz .LBB195_117
.LBB195_133:
	s_lshl_b64 s[2:3], s[26:27], 12
	s_delay_alu instid0(SALU_CYCLE_1)
	v_add_co_u32 v16, vcc_lo, v2, s2
	s_wait_alu 0xfffd
	v_add_co_ci_u32_e64 v17, null, s3, v3, vcc_lo
	s_wait_dscnt 0x6
	global_store_b64 v[16:17], v[14:15], off
	s_wait_alu 0xfffe
	s_or_b32 exec_lo, exec_lo, s0
	s_and_saveexec_b32 s0, s4
	s_cbranch_execz .LBB195_118
.LBB195_134:
	s_lshl_b64 s[2:3], s[26:27], 13
	s_wait_dscnt 0x6
	s_wait_alu 0xfffe
	v_add_co_u32 v14, vcc_lo, v2, s2
	s_wait_alu 0xfffd
	v_add_co_ci_u32_e64 v15, null, s3, v3, vcc_lo
	s_wait_dscnt 0x5
	global_store_b64 v[14:15], v[12:13], off
	s_or_b32 exec_lo, exec_lo, s0
	s_and_saveexec_b32 s0, s5
	s_cbranch_execz .LBB195_119
.LBB195_135:
	s_wait_dscnt 0x5
	v_mad_co_u64_u32 v[12:13], null, 0x3000, s26, v[2:3]
	s_delay_alu instid0(VALU_DEP_1)
	v_mad_co_u64_u32 v[13:14], null, 0x3000, s27, v[13:14]
	s_wait_dscnt 0x4
	global_store_b64 v[12:13], v[10:11], off
	s_wait_alu 0xfffe
	s_or_b32 exec_lo, exec_lo, s0
	s_and_saveexec_b32 s0, s6
	s_cbranch_execz .LBB195_120
.LBB195_136:
	s_lshl_b64 s[2:3], s[26:27], 14
	s_wait_dscnt 0x4
	s_wait_alu 0xfffe
	v_add_co_u32 v10, vcc_lo, v2, s2
	s_wait_alu 0xfffd
	v_add_co_ci_u32_e64 v11, null, s3, v3, vcc_lo
	s_wait_dscnt 0x3
	global_store_b64 v[10:11], v[8:9], off
	s_or_b32 exec_lo, exec_lo, s0
	s_and_saveexec_b32 s0, s7
	s_cbranch_execz .LBB195_121
.LBB195_137:
	s_wait_dscnt 0x3
	v_mad_co_u64_u32 v[8:9], null, 0x5000, s26, v[2:3]
	s_delay_alu instid0(VALU_DEP_1)
	v_mad_co_u64_u32 v[9:10], null, 0x5000, s27, v[9:10]
	s_wait_dscnt 0x2
	global_store_b64 v[8:9], v[6:7], off
	s_wait_alu 0xfffe
	s_or_b32 exec_lo, exec_lo, s0
	s_and_saveexec_b32 s0, s8
	s_cbranch_execz .LBB195_122
.LBB195_138:
	s_wait_dscnt 0x2
	v_mad_co_u64_u32 v[6:7], null, 0x6000, s26, v[2:3]
	s_delay_alu instid0(VALU_DEP_1)
	v_mad_co_u64_u32 v[7:8], null, 0x6000, s27, v[7:8]
	s_wait_dscnt 0x1
	global_store_b64 v[6:7], v[4:5], off
	s_wait_alu 0xfffe
	s_or_b32 exec_lo, exec_lo, s0
	s_and_saveexec_b32 s0, s9
	s_cbranch_execnz .LBB195_123
	s_branch .LBB195_124
	.section	.rodata,"a",@progbits
	.p2align	6, 0x0
	.amdhsa_kernel _ZN2at6native18radixSortKVInPlaceILin1ELin1ELi512ELi8EdlmEEvNS_4cuda6detail10TensorInfoIT3_T5_EES6_S6_S6_NS4_IT4_S6_EES6_b
		.amdhsa_group_segment_fixed_size 33792
		.amdhsa_private_segment_fixed_size 0
		.amdhsa_kernarg_size 1128
		.amdhsa_user_sgpr_count 2
		.amdhsa_user_sgpr_dispatch_ptr 0
		.amdhsa_user_sgpr_queue_ptr 0
		.amdhsa_user_sgpr_kernarg_segment_ptr 1
		.amdhsa_user_sgpr_dispatch_id 0
		.amdhsa_user_sgpr_private_segment_size 0
		.amdhsa_wavefront_size32 1
		.amdhsa_uses_dynamic_stack 0
		.amdhsa_enable_private_segment 0
		.amdhsa_system_sgpr_workgroup_id_x 1
		.amdhsa_system_sgpr_workgroup_id_y 1
		.amdhsa_system_sgpr_workgroup_id_z 1
		.amdhsa_system_sgpr_workgroup_info 0
		.amdhsa_system_vgpr_workitem_id 2
		.amdhsa_next_free_vgpr 141
		.amdhsa_next_free_sgpr 40
		.amdhsa_reserve_vcc 1
		.amdhsa_float_round_mode_32 0
		.amdhsa_float_round_mode_16_64 0
		.amdhsa_float_denorm_mode_32 3
		.amdhsa_float_denorm_mode_16_64 3
		.amdhsa_fp16_overflow 0
		.amdhsa_workgroup_processor_mode 1
		.amdhsa_memory_ordered 1
		.amdhsa_forward_progress 1
		.amdhsa_inst_pref_size 135
		.amdhsa_round_robin_scheduling 0
		.amdhsa_exception_fp_ieee_invalid_op 0
		.amdhsa_exception_fp_denorm_src 0
		.amdhsa_exception_fp_ieee_div_zero 0
		.amdhsa_exception_fp_ieee_overflow 0
		.amdhsa_exception_fp_ieee_underflow 0
		.amdhsa_exception_fp_ieee_inexact 0
		.amdhsa_exception_int_div_zero 0
	.end_amdhsa_kernel
	.section	.text._ZN2at6native18radixSortKVInPlaceILin1ELin1ELi512ELi8EdlmEEvNS_4cuda6detail10TensorInfoIT3_T5_EES6_S6_S6_NS4_IT4_S6_EES6_b,"axG",@progbits,_ZN2at6native18radixSortKVInPlaceILin1ELin1ELi512ELi8EdlmEEvNS_4cuda6detail10TensorInfoIT3_T5_EES6_S6_S6_NS4_IT4_S6_EES6_b,comdat
.Lfunc_end195:
	.size	_ZN2at6native18radixSortKVInPlaceILin1ELin1ELi512ELi8EdlmEEvNS_4cuda6detail10TensorInfoIT3_T5_EES6_S6_S6_NS4_IT4_S6_EES6_b, .Lfunc_end195-_ZN2at6native18radixSortKVInPlaceILin1ELin1ELi512ELi8EdlmEEvNS_4cuda6detail10TensorInfoIT3_T5_EES6_S6_S6_NS4_IT4_S6_EES6_b
                                        ; -- End function
	.set _ZN2at6native18radixSortKVInPlaceILin1ELin1ELi512ELi8EdlmEEvNS_4cuda6detail10TensorInfoIT3_T5_EES6_S6_S6_NS4_IT4_S6_EES6_b.num_vgpr, 141
	.set _ZN2at6native18radixSortKVInPlaceILin1ELin1ELi512ELi8EdlmEEvNS_4cuda6detail10TensorInfoIT3_T5_EES6_S6_S6_NS4_IT4_S6_EES6_b.num_agpr, 0
	.set _ZN2at6native18radixSortKVInPlaceILin1ELin1ELi512ELi8EdlmEEvNS_4cuda6detail10TensorInfoIT3_T5_EES6_S6_S6_NS4_IT4_S6_EES6_b.numbered_sgpr, 40
	.set _ZN2at6native18radixSortKVInPlaceILin1ELin1ELi512ELi8EdlmEEvNS_4cuda6detail10TensorInfoIT3_T5_EES6_S6_S6_NS4_IT4_S6_EES6_b.num_named_barrier, 0
	.set _ZN2at6native18radixSortKVInPlaceILin1ELin1ELi512ELi8EdlmEEvNS_4cuda6detail10TensorInfoIT3_T5_EES6_S6_S6_NS4_IT4_S6_EES6_b.private_seg_size, 0
	.set _ZN2at6native18radixSortKVInPlaceILin1ELin1ELi512ELi8EdlmEEvNS_4cuda6detail10TensorInfoIT3_T5_EES6_S6_S6_NS4_IT4_S6_EES6_b.uses_vcc, 1
	.set _ZN2at6native18radixSortKVInPlaceILin1ELin1ELi512ELi8EdlmEEvNS_4cuda6detail10TensorInfoIT3_T5_EES6_S6_S6_NS4_IT4_S6_EES6_b.uses_flat_scratch, 0
	.set _ZN2at6native18radixSortKVInPlaceILin1ELin1ELi512ELi8EdlmEEvNS_4cuda6detail10TensorInfoIT3_T5_EES6_S6_S6_NS4_IT4_S6_EES6_b.has_dyn_sized_stack, 0
	.set _ZN2at6native18radixSortKVInPlaceILin1ELin1ELi512ELi8EdlmEEvNS_4cuda6detail10TensorInfoIT3_T5_EES6_S6_S6_NS4_IT4_S6_EES6_b.has_recursion, 0
	.set _ZN2at6native18radixSortKVInPlaceILin1ELin1ELi512ELi8EdlmEEvNS_4cuda6detail10TensorInfoIT3_T5_EES6_S6_S6_NS4_IT4_S6_EES6_b.has_indirect_call, 0
	.section	.AMDGPU.csdata,"",@progbits
; Kernel info:
; codeLenInByte = 17192
; TotalNumSgprs: 42
; NumVgprs: 141
; ScratchSize: 0
; MemoryBound: 0
; FloatMode: 240
; IeeeMode: 1
; LDSByteSize: 33792 bytes/workgroup (compile time only)
; SGPRBlocks: 0
; VGPRBlocks: 17
; NumSGPRsForWavesPerEU: 42
; NumVGPRsForWavesPerEU: 141
; Occupancy: 10
; WaveLimiterHint : 1
; COMPUTE_PGM_RSRC2:SCRATCH_EN: 0
; COMPUTE_PGM_RSRC2:USER_SGPR: 2
; COMPUTE_PGM_RSRC2:TRAP_HANDLER: 0
; COMPUTE_PGM_RSRC2:TGID_X_EN: 1
; COMPUTE_PGM_RSRC2:TGID_Y_EN: 1
; COMPUTE_PGM_RSRC2:TGID_Z_EN: 1
; COMPUTE_PGM_RSRC2:TIDIG_COMP_CNT: 2
	.section	.text._ZN2at6native18radixSortKVInPlaceILin1ELin1ELi256ELi8EdlmEEvNS_4cuda6detail10TensorInfoIT3_T5_EES6_S6_S6_NS4_IT4_S6_EES6_b,"axG",@progbits,_ZN2at6native18radixSortKVInPlaceILin1ELin1ELi256ELi8EdlmEEvNS_4cuda6detail10TensorInfoIT3_T5_EES6_S6_S6_NS4_IT4_S6_EES6_b,comdat
	.protected	_ZN2at6native18radixSortKVInPlaceILin1ELin1ELi256ELi8EdlmEEvNS_4cuda6detail10TensorInfoIT3_T5_EES6_S6_S6_NS4_IT4_S6_EES6_b ; -- Begin function _ZN2at6native18radixSortKVInPlaceILin1ELin1ELi256ELi8EdlmEEvNS_4cuda6detail10TensorInfoIT3_T5_EES6_S6_S6_NS4_IT4_S6_EES6_b
	.globl	_ZN2at6native18radixSortKVInPlaceILin1ELin1ELi256ELi8EdlmEEvNS_4cuda6detail10TensorInfoIT3_T5_EES6_S6_S6_NS4_IT4_S6_EES6_b
	.p2align	8
	.type	_ZN2at6native18radixSortKVInPlaceILin1ELin1ELi256ELi8EdlmEEvNS_4cuda6detail10TensorInfoIT3_T5_EES6_S6_S6_NS4_IT4_S6_EES6_b,@function
_ZN2at6native18radixSortKVInPlaceILin1ELin1ELi256ELi8EdlmEEvNS_4cuda6detail10TensorInfoIT3_T5_EES6_S6_S6_NS4_IT4_S6_EES6_b: ; @_ZN2at6native18radixSortKVInPlaceILin1ELin1ELi256ELi8EdlmEEvNS_4cuda6detail10TensorInfoIT3_T5_EES6_S6_S6_NS4_IT4_S6_EES6_b
; %bb.0:
	s_clause 0x1
	s_load_b64 s[2:3], s[0:1], 0x368
	s_load_b128 s[20:23], s[0:1], 0x1a0
	s_lshr_b32 s4, ttmp7, 16
	s_and_b32 s5, ttmp7, 0xffff
	s_wait_kmcnt 0x0
	s_mul_i32 s3, s3, s4
	s_delay_alu instid0(SALU_CYCLE_1) | instskip(SKIP_2) | instid1(SALU_CYCLE_1)
	s_add_co_i32 s3, s3, s5
	s_mov_b32 s5, 0
	s_mul_i32 s2, s3, s2
	s_add_co_i32 s4, s2, ttmp9
	s_delay_alu instid0(SALU_CYCLE_1)
	v_cmp_le_u64_e64 s2, s[20:21], s[4:5]
	s_and_b32 vcc_lo, exec_lo, s2
	s_cbranch_vccnz .LBB196_124
; %bb.1:
	s_clause 0x1
	s_load_b32 s9, s[0:1], 0x198
	s_load_b64 s[28:29], s[0:1], 0x1b0
	s_mov_b64 s[2:3], 0
	s_mov_b64 s[6:7], s[4:5]
	s_wait_kmcnt 0x0
	s_cmp_lt_i32 s9, 2
	s_cbranch_scc1 .LBB196_9
; %bb.2:
	s_mov_b32 s8, 0
	s_add_co_i32 s2, s9, -1
	s_mov_b32 s3, s8
	s_add_co_i32 s16, s9, 1
	s_lshl_b64 s[2:3], s[2:3], 3
	s_mov_b64 s[12:13], s[4:5]
	s_add_nc_u64 s[6:7], s[0:1], s[2:3]
	s_mov_b64 s[2:3], 0
	s_add_nc_u64 s[10:11], s[6:7], 8
.LBB196_3:                              ; =>This Inner Loop Header: Depth=1
	s_load_b64 s[14:15], s[10:11], 0x0
	s_wait_kmcnt 0x0
	s_or_b64 s[6:7], s[12:13], s[14:15]
	s_wait_alu 0xfffe
	s_mov_b32 s9, s7
                                        ; implicit-def: $sgpr6_sgpr7
	s_delay_alu instid0(SALU_CYCLE_1)
	s_cmp_lg_u64 s[8:9], 0
	s_mov_b32 s9, -1
	s_cbranch_scc0 .LBB196_5
; %bb.4:                                ;   in Loop: Header=BB196_3 Depth=1
	s_cvt_f32_u32 s6, s14
	s_cvt_f32_u32 s7, s15
	s_sub_nc_u64 s[18:19], 0, s[14:15]
	s_mov_b32 s21, s8
	s_mov_b32 s27, s8
	s_wait_alu 0xfffe
	s_fmamk_f32 s6, s7, 0x4f800000, s6
	s_wait_alu 0xfffe
	s_delay_alu instid0(SALU_CYCLE_2) | instskip(NEXT) | instid1(TRANS32_DEP_1)
	v_s_rcp_f32 s6, s6
	s_mul_f32 s6, s6, 0x5f7ffffc
	s_wait_alu 0xfffe
	s_delay_alu instid0(SALU_CYCLE_2) | instskip(SKIP_1) | instid1(SALU_CYCLE_2)
	s_mul_f32 s7, s6, 0x2f800000
	s_wait_alu 0xfffe
	s_trunc_f32 s7, s7
	s_wait_alu 0xfffe
	s_delay_alu instid0(SALU_CYCLE_2) | instskip(SKIP_2) | instid1(SALU_CYCLE_1)
	s_fmamk_f32 s6, s7, 0xcf800000, s6
	s_cvt_u32_f32 s7, s7
	s_wait_alu 0xfffe
	s_cvt_u32_f32 s6, s6
	s_wait_alu 0xfffe
	s_delay_alu instid0(SALU_CYCLE_2) | instskip(NEXT) | instid1(SALU_CYCLE_1)
	s_mul_u64 s[24:25], s[18:19], s[6:7]
	s_mul_hi_u32 s31, s6, s25
	s_mul_i32 s30, s6, s25
	s_mul_hi_u32 s20, s6, s24
	s_mul_i32 s17, s7, s24
	s_wait_alu 0xfffe
	s_add_nc_u64 s[20:21], s[20:21], s[30:31]
	s_mul_hi_u32 s9, s7, s24
	s_mul_hi_u32 s23, s7, s25
	s_wait_alu 0xfffe
	s_add_co_u32 s17, s20, s17
	s_add_co_ci_u32 s26, s21, s9
	s_mul_i32 s24, s7, s25
	s_add_co_ci_u32 s25, s23, 0
	s_delay_alu instid0(SALU_CYCLE_1) | instskip(SKIP_4) | instid1(SALU_CYCLE_1)
	s_add_nc_u64 s[20:21], s[26:27], s[24:25]
	s_mov_b32 s25, s8
	s_wait_alu 0xfffe
	s_add_co_u32 s6, s6, s20
	s_cselect_b32 s9, -1, 0
	s_cmp_lg_u32 s9, 0
	s_add_co_ci_u32 s7, s7, s21
	s_mov_b32 s21, s8
	s_wait_alu 0xfffe
	s_mul_u64 s[18:19], s[18:19], s[6:7]
	s_delay_alu instid0(SALU_CYCLE_1)
	s_mul_hi_u32 s27, s6, s19
	s_mul_i32 s26, s6, s19
	s_mul_hi_u32 s20, s6, s18
	s_mul_i32 s17, s7, s18
	s_wait_alu 0xfffe
	s_add_nc_u64 s[20:21], s[20:21], s[26:27]
	s_mul_hi_u32 s9, s7, s18
	s_mul_hi_u32 s23, s7, s19
	s_wait_alu 0xfffe
	s_add_co_u32 s17, s20, s17
	s_add_co_ci_u32 s24, s21, s9
	s_mul_i32 s18, s7, s19
	s_add_co_ci_u32 s19, s23, 0
	s_mov_b32 s21, s8
	s_add_nc_u64 s[18:19], s[24:25], s[18:19]
	s_delay_alu instid0(SALU_CYCLE_1)
	s_add_co_u32 s6, s6, s18
	s_cselect_b32 s9, -1, 0
	s_wait_alu 0xfffe
	s_mul_hi_u32 s20, s12, s6
	s_cmp_lg_u32 s9, 0
	s_mul_hi_u32 s9, s13, s6
	s_add_co_ci_u32 s17, s7, s19
	s_mul_i32 s19, s13, s6
	s_mul_hi_u32 s7, s12, s17
	s_mul_i32 s6, s12, s17
	s_mul_hi_u32 s23, s13, s17
	s_wait_alu 0xfffe
	s_add_nc_u64 s[6:7], s[20:21], s[6:7]
	s_mul_i32 s18, s13, s17
	s_wait_alu 0xfffe
	s_add_co_u32 s6, s6, s19
	s_add_co_ci_u32 s24, s7, s9
	s_add_co_ci_u32 s19, s23, 0
	s_delay_alu instid0(SALU_CYCLE_1) | instskip(SKIP_2) | instid1(SALU_CYCLE_1)
	s_add_nc_u64 s[6:7], s[24:25], s[18:19]
	s_wait_alu 0xfffe
	s_mul_u64 s[18:19], s[14:15], s[6:7]
	s_sub_co_u32 s9, s12, s18
	s_cselect_b32 s17, -1, 0
	s_sub_co_i32 s18, s13, s19
	s_cmp_lg_u32 s17, 0
	s_sub_co_ci_u32 s18, s18, s15
	s_sub_co_u32 s20, s9, s14
	s_cselect_b32 s21, -1, 0
	s_wait_alu 0xfffe
	s_cmp_lg_u32 s21, 0
	s_sub_co_ci_u32 s18, s18, 0
	s_delay_alu instid0(SALU_CYCLE_1)
	s_cmp_ge_u32 s18, s15
	s_cselect_b32 s23, -1, 0
	s_cmp_ge_u32 s20, s14
	s_add_nc_u64 s[20:21], s[6:7], 1
	s_cselect_b32 s24, -1, 0
	s_cmp_eq_u32 s18, s15
	s_cselect_b32 s18, s24, s23
	s_add_nc_u64 s[24:25], s[6:7], 2
	s_cmp_lg_u32 s18, 0
	s_wait_alu 0xfffe
	s_cselect_b32 s18, s24, s20
	s_cselect_b32 s20, s25, s21
	s_cmp_lg_u32 s17, 0
	s_sub_co_ci_u32 s17, s13, s19
	s_delay_alu instid0(SALU_CYCLE_1)
	s_cmp_ge_u32 s17, s15
	s_cselect_b32 s19, -1, 0
	s_cmp_ge_u32 s9, s14
	s_cselect_b32 s9, -1, 0
	s_cmp_eq_u32 s17, s15
	s_cselect_b32 s9, s9, s19
	s_delay_alu instid0(SALU_CYCLE_1)
	s_cmp_lg_u32 s9, 0
	s_mov_b32 s9, 0
	s_wait_alu 0xfffe
	s_cselect_b32 s7, s20, s7
	s_cselect_b32 s6, s18, s6
.LBB196_5:                              ;   in Loop: Header=BB196_3 Depth=1
	s_and_not1_b32 vcc_lo, exec_lo, s9
	s_cbranch_vccnz .LBB196_7
; %bb.6:                                ;   in Loop: Header=BB196_3 Depth=1
	v_cvt_f32_u32_e32 v1, s14
	s_sub_co_i32 s7, 0, s14
	s_delay_alu instid0(VALU_DEP_1) | instskip(NEXT) | instid1(TRANS32_DEP_1)
	v_rcp_iflag_f32_e32 v1, v1
	v_mul_f32_e32 v1, 0x4f7ffffe, v1
	s_delay_alu instid0(VALU_DEP_1) | instskip(NEXT) | instid1(VALU_DEP_1)
	v_cvt_u32_f32_e32 v1, v1
	v_readfirstlane_b32 s6, v1
	s_wait_alu 0xfffe
	s_mul_i32 s7, s7, s6
	s_wait_alu 0xfffe
	s_mul_hi_u32 s7, s6, s7
	s_wait_alu 0xfffe
	s_add_co_i32 s6, s6, s7
	s_wait_alu 0xfffe
	s_mul_hi_u32 s6, s12, s6
	s_wait_alu 0xfffe
	s_mul_i32 s7, s6, s14
	s_add_co_i32 s9, s6, 1
	s_wait_alu 0xfffe
	s_sub_co_i32 s7, s12, s7
	s_wait_alu 0xfffe
	s_sub_co_i32 s17, s7, s14
	s_cmp_ge_u32 s7, s14
	s_cselect_b32 s6, s9, s6
	s_cselect_b32 s7, s17, s7
	s_wait_alu 0xfffe
	s_add_co_i32 s9, s6, 1
	s_cmp_ge_u32 s7, s14
	s_mov_b32 s7, s8
	s_cselect_b32 s6, s9, s6
.LBB196_7:                              ;   in Loop: Header=BB196_3 Depth=1
	s_load_b64 s[18:19], s[10:11], 0xc8
	s_mul_u64 s[14:15], s[6:7], s[14:15]
	s_add_co_i32 s16, s16, -1
	s_wait_alu 0xfffe
	s_sub_nc_u64 s[12:13], s[12:13], s[14:15]
	s_cmp_gt_u32 s16, 2
	s_add_nc_u64 s[10:11], s[10:11], -8
	s_wait_kmcnt 0x0
	s_mul_u64 s[12:13], s[18:19], s[12:13]
	s_delay_alu instid0(SALU_CYCLE_1)
	s_add_nc_u64 s[2:3], s[12:13], s[2:3]
	s_cbranch_scc0 .LBB196_9
; %bb.8:                                ;   in Loop: Header=BB196_3 Depth=1
	s_mov_b64 s[12:13], s[6:7]
	s_branch .LBB196_3
.LBB196_9:
	s_load_b32 s9, s[0:1], 0x350
	s_add_nc_u64 s[24:25], s[0:1], 0x368
	s_mov_b64 s[20:21], 0
	s_wait_kmcnt 0x0
	s_cmp_lt_i32 s9, 2
	s_cbranch_scc1 .LBB196_17
; %bb.10:
	s_mov_b32 s8, 0
	s_add_co_i32 s10, s9, -1
	s_mov_b32 s11, s8
	s_add_co_i32 s14, s9, 1
	s_lshl_b64 s[10:11], s[10:11], 3
	s_delay_alu instid0(SALU_CYCLE_1) | instskip(NEXT) | instid1(SALU_CYCLE_1)
	s_add_nc_u64 s[10:11], s[0:1], s[10:11]
	s_add_nc_u64 s[10:11], s[10:11], 0x1c0
.LBB196_11:                             ; =>This Inner Loop Header: Depth=1
	s_load_b64 s[12:13], s[10:11], 0x0
                                        ; implicit-def: $sgpr26_sgpr27
	s_wait_kmcnt 0x0
	s_or_b64 s[16:17], s[4:5], s[12:13]
	s_delay_alu instid0(SALU_CYCLE_1)
	s_mov_b32 s9, s17
	s_wait_alu 0xfffe
	s_cmp_lg_u64 s[8:9], 0
	s_mov_b32 s9, -1
	s_cbranch_scc0 .LBB196_13
; %bb.12:                               ;   in Loop: Header=BB196_11 Depth=1
	s_cvt_f32_u32 s9, s12
	s_cvt_f32_u32 s15, s13
	s_sub_nc_u64 s[18:19], 0, s[12:13]
	s_mov_b32 s27, s8
	s_mov_b32 s35, s8
	s_wait_alu 0xfffe
	s_fmamk_f32 s9, s15, 0x4f800000, s9
	s_wait_alu 0xfffe
	s_delay_alu instid0(SALU_CYCLE_2) | instskip(NEXT) | instid1(TRANS32_DEP_1)
	v_s_rcp_f32 s9, s9
	s_mul_f32 s9, s9, 0x5f7ffffc
	s_wait_alu 0xfffe
	s_delay_alu instid0(SALU_CYCLE_2) | instskip(SKIP_1) | instid1(SALU_CYCLE_2)
	s_mul_f32 s15, s9, 0x2f800000
	s_wait_alu 0xfffe
	s_trunc_f32 s15, s15
	s_wait_alu 0xfffe
	s_delay_alu instid0(SALU_CYCLE_2) | instskip(SKIP_2) | instid1(SALU_CYCLE_1)
	s_fmamk_f32 s9, s15, 0xcf800000, s9
	s_cvt_u32_f32 s17, s15
	s_wait_alu 0xfffe
	s_cvt_u32_f32 s16, s9
	s_delay_alu instid0(SALU_CYCLE_3) | instskip(NEXT) | instid1(SALU_CYCLE_1)
	s_mul_u64 s[30:31], s[18:19], s[16:17]
	s_mul_hi_u32 s37, s16, s31
	s_mul_i32 s36, s16, s31
	s_mul_hi_u32 s26, s16, s30
	s_mul_i32 s15, s17, s30
	s_add_nc_u64 s[26:27], s[26:27], s[36:37]
	s_mul_hi_u32 s9, s17, s30
	s_mul_hi_u32 s23, s17, s31
	s_wait_alu 0xfffe
	s_add_co_u32 s15, s26, s15
	s_add_co_ci_u32 s34, s27, s9
	s_mul_i32 s30, s17, s31
	s_add_co_ci_u32 s31, s23, 0
	s_delay_alu instid0(SALU_CYCLE_1)
	s_add_nc_u64 s[26:27], s[34:35], s[30:31]
	s_mov_b32 s31, s8
	s_add_co_u32 s16, s16, s26
	s_cselect_b32 s9, -1, 0
	s_wait_alu 0xfffe
	s_cmp_lg_u32 s9, 0
	s_add_co_ci_u32 s17, s17, s27
	s_mov_b32 s27, s8
	s_mul_u64 s[18:19], s[18:19], s[16:17]
	s_delay_alu instid0(SALU_CYCLE_1)
	s_mul_hi_u32 s35, s16, s19
	s_mul_i32 s34, s16, s19
	s_mul_hi_u32 s26, s16, s18
	s_mul_i32 s15, s17, s18
	s_add_nc_u64 s[26:27], s[26:27], s[34:35]
	s_mul_hi_u32 s9, s17, s18
	s_mul_hi_u32 s23, s17, s19
	s_wait_alu 0xfffe
	s_add_co_u32 s15, s26, s15
	s_add_co_ci_u32 s30, s27, s9
	s_mul_i32 s18, s17, s19
	s_add_co_ci_u32 s19, s23, 0
	s_mov_b32 s27, s8
	s_add_nc_u64 s[18:19], s[30:31], s[18:19]
	s_delay_alu instid0(SALU_CYCLE_1)
	s_add_co_u32 s9, s16, s18
	s_cselect_b32 s15, -1, 0
	s_wait_alu 0xfffe
	s_mul_hi_u32 s26, s4, s9
	s_cmp_lg_u32 s15, 0
	s_mul_hi_u32 s15, s5, s9
	s_add_co_ci_u32 s18, s17, s19
	s_mul_i32 s9, s5, s9
	s_mul_hi_u32 s17, s4, s18
	s_mul_i32 s16, s4, s18
	s_mul_hi_u32 s19, s5, s18
	s_add_nc_u64 s[16:17], s[26:27], s[16:17]
	s_mul_i32 s18, s5, s18
	s_wait_alu 0xfffe
	s_add_co_u32 s9, s16, s9
	s_add_co_ci_u32 s30, s17, s15
	s_add_co_ci_u32 s19, s19, 0
	s_delay_alu instid0(SALU_CYCLE_1) | instskip(NEXT) | instid1(SALU_CYCLE_1)
	s_add_nc_u64 s[16:17], s[30:31], s[18:19]
	s_mul_u64 s[18:19], s[12:13], s[16:17]
	s_delay_alu instid0(SALU_CYCLE_1)
	s_sub_co_u32 s9, s4, s18
	s_cselect_b32 s15, -1, 0
	s_sub_co_i32 s18, s5, s19
	s_wait_alu 0xfffe
	s_cmp_lg_u32 s15, 0
	s_sub_co_ci_u32 s18, s18, s13
	s_sub_co_u32 s23, s9, s12
	s_cselect_b32 s26, -1, 0
	s_delay_alu instid0(SALU_CYCLE_1) | instskip(SKIP_2) | instid1(SALU_CYCLE_1)
	s_cmp_lg_u32 s26, 0
	s_add_nc_u64 s[26:27], s[16:17], 1
	s_sub_co_ci_u32 s18, s18, 0
	s_cmp_ge_u32 s18, s13
	s_cselect_b32 s30, -1, 0
	s_cmp_ge_u32 s23, s12
	s_cselect_b32 s23, -1, 0
	s_cmp_eq_u32 s18, s13
	s_cselect_b32 s18, s23, s30
	s_add_nc_u64 s[30:31], s[16:17], 2
	s_cmp_lg_u32 s18, 0
	s_cselect_b32 s18, s30, s26
	s_cselect_b32 s23, s31, s27
	s_cmp_lg_u32 s15, 0
	s_sub_co_ci_u32 s15, s5, s19
	s_wait_alu 0xfffe
	s_cmp_ge_u32 s15, s13
	s_cselect_b32 s19, -1, 0
	s_cmp_ge_u32 s9, s12
	s_cselect_b32 s9, -1, 0
	s_cmp_eq_u32 s15, s13
	s_wait_alu 0xfffe
	s_cselect_b32 s9, s9, s19
	s_wait_alu 0xfffe
	s_cmp_lg_u32 s9, 0
	s_mov_b32 s9, 0
	s_cselect_b32 s27, s23, s17
	s_cselect_b32 s26, s18, s16
.LBB196_13:                             ;   in Loop: Header=BB196_11 Depth=1
	s_wait_alu 0xfffe
	s_and_not1_b32 vcc_lo, exec_lo, s9
	s_cbranch_vccnz .LBB196_15
; %bb.14:                               ;   in Loop: Header=BB196_11 Depth=1
	v_cvt_f32_u32_e32 v1, s12
	s_sub_co_i32 s15, 0, s12
	s_mov_b32 s27, s8
	s_delay_alu instid0(VALU_DEP_1) | instskip(NEXT) | instid1(TRANS32_DEP_1)
	v_rcp_iflag_f32_e32 v1, v1
	v_mul_f32_e32 v1, 0x4f7ffffe, v1
	s_delay_alu instid0(VALU_DEP_1) | instskip(NEXT) | instid1(VALU_DEP_1)
	v_cvt_u32_f32_e32 v1, v1
	v_readfirstlane_b32 s9, v1
	s_wait_alu 0xfffe
	s_mul_i32 s15, s15, s9
	s_wait_alu 0xfffe
	s_mul_hi_u32 s15, s9, s15
	s_wait_alu 0xfffe
	s_add_co_i32 s9, s9, s15
	s_wait_alu 0xfffe
	s_mul_hi_u32 s9, s4, s9
	s_wait_alu 0xfffe
	s_mul_i32 s15, s9, s12
	s_add_co_i32 s16, s9, 1
	s_wait_alu 0xfffe
	s_sub_co_i32 s15, s4, s15
	s_wait_alu 0xfffe
	s_sub_co_i32 s17, s15, s12
	s_cmp_ge_u32 s15, s12
	s_cselect_b32 s9, s16, s9
	s_cselect_b32 s15, s17, s15
	s_wait_alu 0xfffe
	s_add_co_i32 s16, s9, 1
	s_cmp_ge_u32 s15, s12
	s_cselect_b32 s26, s16, s9
.LBB196_15:                             ;   in Loop: Header=BB196_11 Depth=1
	s_load_b64 s[16:17], s[10:11], 0xc8
	s_mul_u64 s[12:13], s[26:27], s[12:13]
	s_add_co_i32 s14, s14, -1
	s_wait_alu 0xfffe
	s_sub_nc_u64 s[4:5], s[4:5], s[12:13]
	s_cmp_gt_u32 s14, 2
	s_add_nc_u64 s[10:11], s[10:11], -8
	s_wait_kmcnt 0x0
	s_wait_alu 0xfffe
	s_mul_u64 s[4:5], s[16:17], s[4:5]
	s_wait_alu 0xfffe
	s_add_nc_u64 s[20:21], s[4:5], s[20:21]
	s_cbranch_scc0 .LBB196_18
; %bb.16:                               ;   in Loop: Header=BB196_11 Depth=1
	s_mov_b64 s[4:5], s[26:27]
	s_branch .LBB196_11
.LBB196_17:
	s_mov_b64 s[26:27], s[4:5]
.LBB196_18:
	s_clause 0x2
	s_load_b64 s[4:5], s[0:1], 0xd0
	s_load_b32 s9, s[0:1], 0x360
	s_load_b64 s[30:31], s[0:1], 0x0
	s_wait_kmcnt 0x0
	s_mul_u64 s[18:19], s[4:5], s[6:7]
	s_bitcmp1_b32 s9, 0
	s_mov_b32 s4, -1
	s_cselect_b32 s33, -1, 0
	s_lshl_b64 s[34:35], s[18:19], 3
	s_lshl_b64 s[36:37], s[2:3], 3
	s_and_b32 s2, s33, exec_lo
	s_cselect_b32 s5, -1, 0x7fffffff
	s_wait_alu 0xfffe
	s_mov_b32 s6, s4
	s_mov_b32 s8, s4
	;; [unrolled: 1-line block ×14, first 2 shown]
	v_dual_mov_b32 v1, s4 :: v_dual_and_b32 v68, 0x3ff, v0
	v_mov_b32_e32 v18, s5
	s_wait_alu 0xfffe
	v_dual_mov_b32 v2, s5 :: v_dual_mov_b32 v3, s6
	s_delay_alu instid0(VALU_DEP_3)
	v_cmp_gt_u32_e64 s2, s22, v68
	v_dual_mov_b32 v4, s7 :: v_dual_mov_b32 v5, s8
	v_dual_mov_b32 v6, s9 :: v_dual_mov_b32 v7, s10
	;; [unrolled: 1-line block ×7, first 2 shown]
	s_add_nc_u64 s[30:31], s[30:31], s[34:35]
	s_delay_alu instid0(SALU_CYCLE_1)
	s_add_nc_u64 s[30:31], s[30:31], s[36:37]
	s_and_saveexec_b32 s3, s2
	s_cbranch_execz .LBB196_20
; %bb.19:
	v_mad_co_u64_u32 v[1:2], null, s28, v68, 0
	s_delay_alu instid0(VALU_DEP_1) | instskip(NEXT) | instid1(VALU_DEP_1)
	v_mad_co_u64_u32 v[2:3], null, s29, v68, v[2:3]
	v_lshlrev_b64_e32 v[1:2], 3, v[1:2]
	s_delay_alu instid0(VALU_DEP_1) | instskip(NEXT) | instid1(VALU_DEP_1)
	v_add_co_u32 v1, vcc_lo, s30, v1
	v_add_co_ci_u32_e64 v2, null, s31, v2, vcc_lo
	global_load_b64 v[17:18], v[1:2], off
	v_dual_mov_b32 v1, s4 :: v_dual_mov_b32 v2, s5
	v_dual_mov_b32 v3, s6 :: v_dual_mov_b32 v4, s7
	;; [unrolled: 1-line block ×8, first 2 shown]
.LBB196_20:
	s_or_b32 exec_lo, exec_lo, s3
	v_add_nc_u32_e32 v34, 0x100, v68
	s_delay_alu instid0(VALU_DEP_1)
	v_cmp_gt_u32_e64 s3, s22, v34
	s_and_saveexec_b32 s4, s3
	s_cbranch_execz .LBB196_22
; %bb.21:
	v_mad_co_u64_u32 v[1:2], null, s28, v34, 0
	s_delay_alu instid0(VALU_DEP_1) | instskip(NEXT) | instid1(VALU_DEP_1)
	v_mad_co_u64_u32 v[2:3], null, s29, v34, v[2:3]
	v_lshlrev_b64_e32 v[1:2], 3, v[1:2]
	s_delay_alu instid0(VALU_DEP_1) | instskip(SKIP_1) | instid1(VALU_DEP_2)
	v_add_co_u32 v1, vcc_lo, s30, v1
	s_wait_alu 0xfffd
	v_add_co_ci_u32_e64 v2, null, s31, v2, vcc_lo
	global_load_b64 v[3:4], v[1:2], off
.LBB196_22:
	s_wait_alu 0xfffe
	s_or_b32 exec_lo, exec_lo, s4
	v_add_nc_u32_e32 v35, 0x200, v68
	s_delay_alu instid0(VALU_DEP_1)
	v_cmp_gt_u32_e64 s4, s22, v35
	s_and_saveexec_b32 s5, s4
	s_cbranch_execz .LBB196_24
; %bb.23:
	v_mad_co_u64_u32 v[1:2], null, s28, v35, 0
	s_wait_loadcnt 0x0
	s_delay_alu instid0(VALU_DEP_1) | instskip(NEXT) | instid1(VALU_DEP_1)
	v_mad_co_u64_u32 v[5:6], null, s29, v35, v[2:3]
	v_mov_b32_e32 v2, v5
	s_delay_alu instid0(VALU_DEP_1) | instskip(NEXT) | instid1(VALU_DEP_1)
	v_lshlrev_b64_e32 v[1:2], 3, v[1:2]
	v_add_co_u32 v1, vcc_lo, s30, v1
	s_wait_alu 0xfffd
	s_delay_alu instid0(VALU_DEP_2)
	v_add_co_ci_u32_e64 v2, null, s31, v2, vcc_lo
	global_load_b64 v[5:6], v[1:2], off
.LBB196_24:
	s_wait_alu 0xfffe
	s_or_b32 exec_lo, exec_lo, s5
	v_add_nc_u32_e32 v36, 0x300, v68
	s_delay_alu instid0(VALU_DEP_1)
	v_cmp_gt_u32_e64 s5, s22, v36
	s_and_saveexec_b32 s6, s5
	s_cbranch_execz .LBB196_26
; %bb.25:
	v_mad_co_u64_u32 v[1:2], null, s28, v36, 0
	s_wait_loadcnt 0x0
	s_delay_alu instid0(VALU_DEP_1) | instskip(NEXT) | instid1(VALU_DEP_1)
	v_mad_co_u64_u32 v[7:8], null, s29, v36, v[2:3]
	v_mov_b32_e32 v2, v7
	s_delay_alu instid0(VALU_DEP_1) | instskip(NEXT) | instid1(VALU_DEP_1)
	v_lshlrev_b64_e32 v[1:2], 3, v[1:2]
	v_add_co_u32 v1, vcc_lo, s30, v1
	s_wait_alu 0xfffd
	s_delay_alu instid0(VALU_DEP_2)
	v_add_co_ci_u32_e64 v2, null, s31, v2, vcc_lo
	global_load_b64 v[7:8], v[1:2], off
.LBB196_26:
	s_wait_alu 0xfffe
	s_or_b32 exec_lo, exec_lo, s6
	v_or_b32_e32 v37, 0x400, v68
	s_delay_alu instid0(VALU_DEP_1)
	v_cmp_gt_u32_e64 s6, s22, v37
	s_and_saveexec_b32 s7, s6
	s_cbranch_execz .LBB196_28
; %bb.27:
	v_mad_co_u64_u32 v[1:2], null, s28, v37, 0
	s_wait_loadcnt 0x0
	s_delay_alu instid0(VALU_DEP_1) | instskip(NEXT) | instid1(VALU_DEP_1)
	v_mad_co_u64_u32 v[9:10], null, s29, v37, v[2:3]
	v_mov_b32_e32 v2, v9
	s_delay_alu instid0(VALU_DEP_1) | instskip(NEXT) | instid1(VALU_DEP_1)
	v_lshlrev_b64_e32 v[1:2], 3, v[1:2]
	v_add_co_u32 v1, vcc_lo, s30, v1
	s_wait_alu 0xfffd
	s_delay_alu instid0(VALU_DEP_2)
	v_add_co_ci_u32_e64 v2, null, s31, v2, vcc_lo
	global_load_b64 v[9:10], v[1:2], off
.LBB196_28:
	s_wait_alu 0xfffe
	s_or_b32 exec_lo, exec_lo, s7
	v_add_nc_u32_e32 v38, 0x500, v68
	s_delay_alu instid0(VALU_DEP_1)
	v_cmp_gt_u32_e64 s7, s22, v38
	s_and_saveexec_b32 s8, s7
	s_cbranch_execz .LBB196_30
; %bb.29:
	v_mad_co_u64_u32 v[1:2], null, s28, v38, 0
	s_wait_loadcnt 0x0
	s_delay_alu instid0(VALU_DEP_1) | instskip(NEXT) | instid1(VALU_DEP_1)
	v_mad_co_u64_u32 v[11:12], null, s29, v38, v[2:3]
	v_mov_b32_e32 v2, v11
	s_delay_alu instid0(VALU_DEP_1) | instskip(NEXT) | instid1(VALU_DEP_1)
	v_lshlrev_b64_e32 v[1:2], 3, v[1:2]
	v_add_co_u32 v1, vcc_lo, s30, v1
	s_wait_alu 0xfffd
	s_delay_alu instid0(VALU_DEP_2)
	v_add_co_ci_u32_e64 v2, null, s31, v2, vcc_lo
	global_load_b64 v[11:12], v[1:2], off
.LBB196_30:
	s_wait_alu 0xfffe
	s_or_b32 exec_lo, exec_lo, s8
	v_add_nc_u32_e32 v39, 0x600, v68
	s_delay_alu instid0(VALU_DEP_1)
	v_cmp_gt_u32_e64 s8, s22, v39
	s_and_saveexec_b32 s9, s8
	s_cbranch_execz .LBB196_32
; %bb.31:
	v_mad_co_u64_u32 v[1:2], null, s28, v39, 0
	s_wait_loadcnt 0x0
	s_delay_alu instid0(VALU_DEP_1) | instskip(NEXT) | instid1(VALU_DEP_1)
	v_mad_co_u64_u32 v[13:14], null, s29, v39, v[2:3]
	v_mov_b32_e32 v2, v13
	s_delay_alu instid0(VALU_DEP_1) | instskip(NEXT) | instid1(VALU_DEP_1)
	v_lshlrev_b64_e32 v[1:2], 3, v[1:2]
	v_add_co_u32 v1, vcc_lo, s30, v1
	s_wait_alu 0xfffd
	s_delay_alu instid0(VALU_DEP_2)
	v_add_co_ci_u32_e64 v2, null, s31, v2, vcc_lo
	global_load_b64 v[13:14], v[1:2], off
.LBB196_32:
	s_wait_alu 0xfffe
	s_or_b32 exec_lo, exec_lo, s9
	s_clause 0x1
	s_load_b64 s[12:13], s[0:1], 0x288
	s_load_b64 s[10:11], s[0:1], 0x1b8
	v_add_nc_u32_e32 v40, 0x700, v68
	s_delay_alu instid0(VALU_DEP_1)
	v_cmp_gt_u32_e64 s9, s22, v40
	s_and_saveexec_b32 s14, s9
	s_cbranch_execz .LBB196_34
; %bb.33:
	v_mad_co_u64_u32 v[1:2], null, s28, v40, 0
	s_wait_loadcnt 0x0
	s_delay_alu instid0(VALU_DEP_1) | instskip(NEXT) | instid1(VALU_DEP_1)
	v_mad_co_u64_u32 v[15:16], null, s29, v40, v[2:3]
	v_mov_b32_e32 v2, v15
	s_delay_alu instid0(VALU_DEP_1) | instskip(NEXT) | instid1(VALU_DEP_1)
	v_lshlrev_b64_e32 v[1:2], 3, v[1:2]
	v_add_co_u32 v1, vcc_lo, s30, v1
	s_wait_alu 0xfffd
	s_delay_alu instid0(VALU_DEP_2)
	v_add_co_ci_u32_e64 v2, null, s31, v2, vcc_lo
	global_load_b64 v[15:16], v[1:2], off
.LBB196_34:
	s_wait_alu 0xfffe
	s_or_b32 exec_lo, exec_lo, s14
	v_lshrrev_b32_e32 v1, 2, v34
	v_lshrrev_b32_e32 v2, 2, v35
	;; [unrolled: 1-line block ×4, first 2 shown]
	v_lshlrev_b32_e32 v112, 3, v68
	v_and_b32_e32 v1, 0x1f8, v1
	v_and_b32_e32 v2, 0x1f8, v2
	;; [unrolled: 1-line block ×3, first 2 shown]
	v_lshrrev_b32_e32 v20, 2, v40
	v_lshl_add_u32 v103, v48, 3, v112
	v_add_nc_u32_e32 v104, v1, v112
	v_lshrrev_b32_e32 v1, 2, v37
	v_add_nc_u32_e32 v105, v2, v112
	v_add_nc_u32_e32 v106, v19, v112
	s_wait_loadcnt 0x0
	ds_store_b64 v103, v[17:18]
	ds_store_b64 v104, v[3:4] offset:2048
	ds_store_b64 v105, v[5:6] offset:4096
	;; [unrolled: 1-line block ×3, first 2 shown]
	v_and_b32_e32 v1, 0x1f8, v1
	v_lshlrev_b32_e32 v5, 1, v68
	v_lshrrev_b32_e32 v2, 2, v38
	v_lshrrev_b32_e32 v19, 2, v39
	s_load_b64 s[22:23], s[0:1], 0x358
	v_add_nc_u32_e32 v107, v1, v112
	v_and_b32_e32 v1, 0x7f8, v5
	s_wait_kmcnt 0x0
	s_mul_u64 s[12:13], s[12:13], s[26:27]
	s_lshl_b64 s[14:15], s[20:21], 3
	s_wait_alu 0xfffe
	s_lshl_b64 s[12:13], s[12:13], 3
	v_lshl_add_u32 v111, v68, 6, v1
	v_dual_mov_b32 v1, 0 :: v_dual_and_b32 v2, 0x3f8, v2
	v_and_b32_e32 v3, 0x3f8, v19
	v_and_b32_e32 v4, 0x3f8, v20
	s_wait_alu 0xfffe
	s_add_nc_u64 s[10:11], s[10:11], s[12:13]
	v_dual_mov_b32 v7, v1 :: v_dual_add_nc_u32 v108, v2, v112
	v_dual_mov_b32 v6, v1 :: v_dual_add_nc_u32 v109, v3, v112
	;; [unrolled: 1-line block ×3, first 2 shown]
	ds_store_b64 v107, v[9:10] offset:8192
	ds_store_b64 v108, v[11:12] offset:10240
	;; [unrolled: 1-line block ×4, first 2 shown]
	s_wait_dscnt 0x0
	s_barrier_signal -1
	s_barrier_wait -1
	global_inv scope:SCOPE_SE
	ds_load_2addr_b64 v[28:31], v111 offset1:1
	ds_load_2addr_b64 v[24:27], v111 offset0:2 offset1:3
	ds_load_2addr_b64 v[20:23], v111 offset0:4 offset1:5
	;; [unrolled: 1-line block ×3, first 2 shown]
	v_dual_mov_b32 v11, 0 :: v_dual_mov_b32 v2, v1
	v_dual_mov_b32 v3, v1 :: v_dual_mov_b32 v4, v1
	;; [unrolled: 1-line block ×5, first 2 shown]
	v_mov_b32_e32 v32, v1
	v_mov_b32_e32 v12, 0
	s_wait_alu 0xfffe
	s_add_nc_u64 s[34:35], s[10:11], s[14:15]
	s_wait_loadcnt_dscnt 0x0
	s_barrier_signal -1
	s_barrier_wait -1
	global_inv scope:SCOPE_SE
	s_and_saveexec_b32 s0, s2
	s_cbranch_execnz .LBB196_70
; %bb.35:
	s_or_b32 exec_lo, exec_lo, s0
	s_and_saveexec_b32 s0, s3
	s_cbranch_execnz .LBB196_71
.LBB196_36:
	s_or_b32 exec_lo, exec_lo, s0
	s_and_saveexec_b32 s0, s4
	s_cbranch_execnz .LBB196_72
.LBB196_37:
	s_or_b32 exec_lo, exec_lo, s0
	s_and_saveexec_b32 s0, s5
	s_cbranch_execnz .LBB196_73
.LBB196_38:
	s_or_b32 exec_lo, exec_lo, s0
	s_and_saveexec_b32 s0, s6
	s_cbranch_execnz .LBB196_74
.LBB196_39:
	s_or_b32 exec_lo, exec_lo, s0
	s_and_saveexec_b32 s0, s7
	s_cbranch_execnz .LBB196_75
.LBB196_40:
	s_or_b32 exec_lo, exec_lo, s0
	s_and_saveexec_b32 s0, s8
	s_cbranch_execnz .LBB196_76
.LBB196_41:
	s_or_b32 exec_lo, exec_lo, s0
	s_xor_b32 s0, s33, -1
	s_and_saveexec_b32 s1, s9
	s_cbranch_execz .LBB196_43
.LBB196_42:
	v_mad_co_u64_u32 v[32:33], null, s22, v40, 0
	s_delay_alu instid0(VALU_DEP_1) | instskip(NEXT) | instid1(VALU_DEP_1)
	v_mov_b32_e32 v15, v33
	v_mad_co_u64_u32 v[33:34], null, s23, v40, v[15:16]
	s_delay_alu instid0(VALU_DEP_1) | instskip(NEXT) | instid1(VALU_DEP_1)
	v_lshlrev_b64_e32 v[32:33], 3, v[32:33]
	v_add_co_u32 v32, vcc_lo, s34, v32
	s_wait_alu 0xfffd
	s_delay_alu instid0(VALU_DEP_2)
	v_add_co_ci_u32_e64 v33, null, s35, v33, vcc_lo
	global_load_b64 v[32:33], v[32:33], off
.LBB196_43:
	s_or_b32 exec_lo, exec_lo, s1
	s_wait_loadcnt 0x0
	ds_store_b64 v103, v[11:12]
	ds_store_b64 v104, v[1:2] offset:2048
	ds_store_b64 v105, v[3:4] offset:4096
	;; [unrolled: 1-line block ×7, first 2 shown]
	s_wait_dscnt 0x0
	s_barrier_signal -1
	s_barrier_wait -1
	global_inv scope:SCOPE_SE
	ds_load_2addr_b64 v[44:47], v111 offset1:1
	ds_load_2addr_b64 v[40:43], v111 offset0:2 offset1:3
	ds_load_2addr_b64 v[36:39], v111 offset0:4 offset1:5
	;; [unrolled: 1-line block ×3, first 2 shown]
	s_and_b32 vcc_lo, exec_lo, s0
	v_bfe_u32 v118, v0, 10, 10
	v_bfe_u32 v119, v0, 20, 10
	v_ashrrev_i32_e32 v127, 31, v29
	v_ashrrev_i32_e32 v126, 31, v31
	;; [unrolled: 1-line block ×8, first 2 shown]
	v_mbcnt_lo_u32_b32 v116, -1, 0
	v_and_b32_e32 v117, 0x3e0, v68
	v_lshlrev_b32_e32 v113, 2, v112
	v_cmp_gt_u32_e64 s0, 8, v68
	v_cmp_lt_u32_e64 s1, 31, v68
	v_cmp_eq_u32_e64 s10, 0, v68
	v_lshlrev_b32_e32 v114, 2, v48
	v_mul_i32_i24_e32 v115, 0xffffffe4, v68
	s_wait_loadcnt_dscnt 0x0
	s_barrier_signal -1
	s_barrier_wait -1
	global_inv scope:SCOPE_SE
	s_wait_alu 0xfffe
	s_cbranch_vccz .LBB196_77
; %bb.44:
	v_cmp_lt_i64_e32 vcc_lo, -1, v[28:29]
	v_or_b32_e32 v14, v116, v117
	s_getpc_b64 s[12:13]
	s_wait_alu 0xfffe
	s_sext_i32_i16 s13, s13
	s_add_co_u32 s12, s12, _ZN7rocprim17ROCPRIM_400000_NS16block_radix_sortIdLj256ELj8ElLj1ELj1ELj0ELNS0_26block_radix_rank_algorithmE1ELNS0_18block_padding_hintE2ELNS0_4arch9wavefront6targetE0EE19radix_bits_per_passE@rel32@lo+12
	s_wait_alu 0xfffe
	s_add_co_ci_u32 s13, s13, _ZN7rocprim17ROCPRIM_400000_NS16block_radix_sortIdLj256ELj8ElLj1ELj1ELj0ELNS0_26block_radix_rank_algorithmE1ELNS0_18block_padding_hintE2ELNS0_4arch9wavefront6targetE0EE19radix_bits_per_passE@rel32@hi+24
	v_and_or_b32 v49, 0x1f00, v112, v116
	s_load_b32 s33, s[12:13], 0x0
	s_mov_b32 s36, 0
	v_cndmask_b32_e64 v0, -1, 0x80000000, vcc_lo
	v_cmp_lt_i64_e32 vcc_lo, -1, v[30:31]
	v_lshlrev_b32_e32 v48, 6, v14
	v_lshlrev_b32_e32 v128, 3, v49
	v_xor_b32_e32 v14, v120, v18
	v_xor_b32_e32 v1, v0, v29
	;; [unrolled: 1-line block ×3, first 2 shown]
	s_wait_alu 0xfffd
	v_cndmask_b32_e64 v2, -1, 0x80000000, vcc_lo
	v_cmp_lt_i64_e32 vcc_lo, -1, v[24:25]
	s_mov_b32 s37, s36
	s_mov_b32 s38, s36
	;; [unrolled: 1-line block ×3, first 2 shown]
	v_xor_b32_e32 v3, v2, v31
	v_xor_b32_e32 v2, v126, v30
	s_wait_alu 0xfffd
	v_cndmask_b32_e64 v4, -1, 0x80000000, vcc_lo
	v_cmp_lt_i64_e32 vcc_lo, -1, v[26:27]
	v_add_nc_u32_e32 v130, -4, v114
	v_add_nc_u32_e32 v132, v113, v115
	s_mov_b32 s26, -1
	v_xor_b32_e32 v5, v4, v25
	v_xor_b32_e32 v4, v125, v24
	s_wait_alu 0xfffd
	v_cndmask_b32_e64 v6, -1, 0x80000000, vcc_lo
	v_cmp_lt_i64_e32 vcc_lo, -1, v[20:21]
	s_brev_b32 s27, -2
	s_delay_alu instid0(VALU_DEP_2)
	v_xor_b32_e32 v7, v6, v27
	v_xor_b32_e32 v6, v124, v26
	s_wait_alu 0xfffd
	v_cndmask_b32_e64 v8, -1, 0x80000000, vcc_lo
	v_cmp_lt_i64_e32 vcc_lo, -1, v[22:23]
	ds_store_b128 v48, v[0:3]
	ds_store_b128 v48, v[4:7] offset:16
	v_sub_co_u32 v3, s12, v116, 1
	v_xor_b32_e32 v9, v8, v21
	s_wait_alu 0xfffd
	v_cndmask_b32_e64 v10, -1, 0x80000000, vcc_lo
	v_cmp_lt_i64_e32 vcc_lo, -1, v[16:17]
	v_xor_b32_e32 v8, v123, v20
	v_and_b32_e32 v2, 15, v116
	s_delay_alu instid0(VALU_DEP_4)
	v_xor_b32_e32 v11, v10, v23
	v_xor_b32_e32 v10, v122, v22
	s_wait_alu 0xfffd
	v_cndmask_b32_e64 v12, -1, 0x80000000, vcc_lo
	v_cmp_lt_i64_e32 vcc_lo, -1, v[18:19]
	v_cmp_lt_u32_e64 s13, 1, v2
	v_cmp_lt_u32_e64 s15, 7, v2
	s_delay_alu instid0(VALU_DEP_4) | instskip(SKIP_4) | instid1(VALU_DEP_2)
	v_xor_b32_e32 v13, v12, v17
	v_xor_b32_e32 v12, v121, v16
	s_wait_alu 0xfffd
	v_cndmask_b32_e64 v15, -1, 0x80000000, vcc_lo
	v_cmp_gt_i32_e32 vcc_lo, 0, v3
	v_xor_b32_e32 v15, v15, v19
	s_wait_alu 0xfffd
	v_cndmask_b32_e32 v3, v3, v116, vcc_lo
	ds_store_b128 v48, v[8:11] offset:32
	ds_store_b128 v48, v[12:15] offset:48
	; wave barrier
	ds_load_2addr_b64 v[4:7], v128 offset1:32
	ds_load_2addr_b64 v[8:11], v128 offset0:64 offset1:96
	ds_load_2addr_b64 v[12:15], v128 offset0:128 offset1:160
	;; [unrolled: 1-line block ×3, first 2 shown]
	; wave barrier
	ds_store_b128 v48, v[44:47]
	ds_store_b128 v48, v[40:43] offset:16
	ds_store_b128 v48, v[36:39] offset:32
	ds_store_b128 v48, v[32:35] offset:48
	; wave barrier
	ds_load_2addr_b64 v[48:51], v128 offset1:32
	ds_load_2addr_b64 v[52:55], v128 offset0:64 offset1:96
	ds_load_2addr_b64 v[56:59], v128 offset0:128 offset1:160
	ds_load_2addr_b64 v[60:63], v128 offset0:192 offset1:224
	s_wait_loadcnt_dscnt 0x0
	s_barrier_signal -1
	s_barrier_wait -1
	global_inv scope:SCOPE_SE
	s_load_b32 s11, s[24:25], 0xc
	v_lshlrev_b32_e32 v129, 2, v3
	s_wait_kmcnt 0x0
	s_lshr_b32 s14, s11, 16
	s_and_b32 s11, s11, 0xffff
	s_wait_alu 0xfffe
	v_mad_u32_u24 v0, v119, s14, v118
	v_cmp_lt_u32_e64 s14, 3, v2
	s_delay_alu instid0(VALU_DEP_2) | instskip(SKIP_4) | instid1(VALU_DEP_4)
	v_mad_co_u64_u32 v[0:1], null, v0, s11, v[68:69]
	v_min_u32_e32 v1, 0xe0, v117
	v_cmp_eq_u32_e64 s11, 0, v2
	v_and_b32_e32 v69, 16, v116
	v_and_b32_e32 v2, 7, v116
	v_or_b32_e32 v1, 31, v1
	v_lshrrev_b32_e32 v0, 3, v0
	s_delay_alu instid0(VALU_DEP_3) | instskip(SKIP_1) | instid1(VALU_DEP_4)
	v_cmp_eq_u32_e64 s18, 0, v2
	v_cmp_lt_u32_e64 s19, 1, v2
	v_cmp_eq_u32_e64 s17, v68, v1
	v_cmp_lt_u32_e64 s20, 3, v2
	v_dual_mov_b32 v0, s36 :: v_dual_and_b32 v131, 0x1ffffffc, v0
	v_cmp_eq_u32_e64 s16, 0, v69
	v_mov_b32_e32 v69, 0
	v_dual_mov_b32 v70, 0 :: v_dual_mov_b32 v1, s37
	v_dual_mov_b32 v2, s38 :: v_dual_mov_b32 v3, s39
	s_mov_b32 s36, 64
	s_branch .LBB196_46
.LBB196_45:                             ;   in Loop: Header=BB196_46 Depth=1
	s_wait_alu 0xfffe
	s_and_not1_b32 vcc_lo, exec_lo, s21
	s_wait_alu 0xfffe
	s_cbranch_vccz .LBB196_78
.LBB196_46:                             ; =>This Inner Loop Header: Depth=1
	v_dual_mov_b32 v72, v5 :: v_dual_mov_b32 v71, v4
	s_wait_alu 0xfffe
	s_min_u32 s21, s33, s36
	v_mov_b32_e32 v84, v59
	s_wait_alu 0xfffe
	s_lshl_b32 s21, -1, s21
	v_mov_b32_e32 v92, v51
	v_cmp_ne_u64_e32 vcc_lo, s[26:27], v[71:72]
	s_wait_alu 0xfffe
	s_not_b32 s37, s21
	v_mov_b32_e32 v82, v61
	v_mov_b32_e32 v86, v57
	;; [unrolled: 1-line block ×3, first 2 shown]
	s_wait_alu 0xfffd
	v_dual_mov_b32 v74, v67 :: v_dual_cndmask_b32 v5, 0x80000000, v72
	v_dual_cndmask_b32 v4, 0, v71 :: v_dual_mov_b32 v73, v66
	v_mov_b32_e32 v85, v56
	v_mov_b32_e32 v93, v48
	ds_store_b128 v113, v[0:3] offset:32
	ds_store_b128 v113, v[0:3] offset:48
	v_lshrrev_b64 v[4:5], v69, v[4:5]
	s_wait_loadcnt_dscnt 0x0
	s_barrier_signal -1
	s_barrier_wait -1
	v_dual_mov_b32 v76, v65 :: v_dual_mov_b32 v75, v64
	s_wait_alu 0xfffe
	v_dual_mov_b32 v78, v15 :: v_dual_and_b32 v5, s37, v4
	v_dual_mov_b32 v77, v14 :: v_dual_mov_b32 v96, v13
	v_dual_mov_b32 v95, v12 :: v_dual_mov_b32 v98, v11
	s_delay_alu instid0(VALU_DEP_3) | instskip(SKIP_4) | instid1(VALU_DEP_4)
	v_lshlrev_b32_e32 v67, 26, v5
	v_and_b32_e32 v4, 1, v5
	v_lshlrev_b32_e32 v14, 30, v5
	v_lshlrev_b32_e32 v15, 29, v5
	v_dual_mov_b32 v97, v10 :: v_dual_lshlrev_b32 v64, 28, v5
	v_add_co_u32 v4, s21, v4, -1
	s_wait_alu 0xf1ff
	v_cndmask_b32_e64 v65, 0, 1, s21
	v_not_b32_e32 v80, v14
	v_cmp_gt_i32_e64 s21, 0, v14
	v_not_b32_e32 v14, v15
	v_lshlrev_b32_e32 v66, 27, v5
	v_cmp_ne_u32_e32 vcc_lo, 0, v65
	v_ashrrev_i32_e32 v80, 31, v80
	v_dual_mov_b32 v100, v9 :: v_dual_lshlrev_b32 v79, 25, v5
	v_ashrrev_i32_e32 v14, 31, v14
	s_wait_alu 0xfffd
	v_xor_b32_e32 v4, vcc_lo, v4
	v_cmp_gt_i32_e32 vcc_lo, 0, v15
	v_not_b32_e32 v15, v64
	s_wait_alu 0xf1ff
	v_xor_b32_e32 v80, s21, v80
	v_dual_mov_b32 v102, v7 :: v_dual_lshlrev_b32 v65, 24, v5
	v_dual_mov_b32 v101, v6 :: v_dual_and_b32 v4, exec_lo, v4
	v_cmp_gt_i32_e64 s21, 0, v64
	v_ashrrev_i32_e32 v15, 31, v15
	s_wait_alu 0xfffd
	v_xor_b32_e32 v14, vcc_lo, v14
	v_and_b32_e32 v4, v4, v80
	v_mov_b32_e32 v99, v8
	v_not_b32_e32 v64, v66
	v_cmp_gt_i32_e32 vcc_lo, 0, v66
	v_not_b32_e32 v66, v67
	s_wait_alu 0xf1ff
	v_xor_b32_e32 v15, s21, v15
	v_dual_mov_b32 v83, v58 :: v_dual_and_b32 v4, v4, v14
	v_ashrrev_i32_e32 v64, 31, v64
	v_cmp_gt_i32_e64 s21, 0, v67
	v_not_b32_e32 v14, v79
	v_ashrrev_i32_e32 v66, 31, v66
	v_and_b32_e32 v4, v4, v15
	s_wait_alu 0xfffd
	v_xor_b32_e32 v64, vcc_lo, v64
	v_dual_mov_b32 v88, v55 :: v_dual_lshlrev_b32 v5, 5, v5
	v_cmp_gt_i32_e32 vcc_lo, 0, v79
	v_not_b32_e32 v15, v65
	v_ashrrev_i32_e32 v14, 31, v14
	s_wait_alu 0xf1ff
	v_xor_b32_e32 v66, s21, v66
	v_dual_mov_b32 v87, v54 :: v_dual_and_b32 v4, v4, v64
	v_mov_b32_e32 v91, v50
	v_cmp_gt_i32_e64 s21, 0, v65
	v_ashrrev_i32_e32 v12, 31, v15
	s_wait_alu 0xfffd
	v_xor_b32_e32 v13, vcc_lo, v14
	v_and_b32_e32 v4, v4, v66
	v_dual_mov_b32 v80, v63 :: v_dual_mov_b32 v81, v60
	s_wait_alu 0xf1ff
	v_xor_b32_e32 v6, s21, v12
	v_mov_b32_e32 v90, v53
	v_dual_mov_b32 v79, v62 :: v_dual_and_b32 v4, v4, v13
	v_mov_b32_e32 v89, v52
	v_add_nc_u32_e32 v13, v131, v5
	global_inv scope:SCOPE_SE
	v_and_b32_e32 v4, v4, v6
	; wave barrier
	s_delay_alu instid0(VALU_DEP_1) | instskip(SKIP_1) | instid1(VALU_DEP_2)
	v_mbcnt_lo_u32_b32 v12, v4, 0
	v_cmp_ne_u32_e64 s21, 0, v4
	v_cmp_eq_u32_e32 vcc_lo, 0, v12
	s_and_b32 s38, s21, vcc_lo
	s_wait_alu 0xfffe
	s_and_saveexec_b32 s21, s38
; %bb.47:                               ;   in Loop: Header=BB196_46 Depth=1
	v_bcnt_u32_b32 v4, v4, 0
	ds_store_b32 v13, v4 offset:32
; %bb.48:                               ;   in Loop: Header=BB196_46 Depth=1
	s_wait_alu 0xfffe
	s_or_b32 exec_lo, exec_lo, s21
	v_cmp_ne_u64_e32 vcc_lo, s[26:27], v[101:102]
	; wave barrier
	s_wait_alu 0xfffd
	v_cndmask_b32_e32 v5, 0x80000000, v102, vcc_lo
	v_cndmask_b32_e32 v4, 0, v101, vcc_lo
	s_delay_alu instid0(VALU_DEP_1) | instskip(NEXT) | instid1(VALU_DEP_1)
	v_lshrrev_b64 v[4:5], v69, v[4:5]
	v_and_b32_e32 v4, s37, v4
	s_delay_alu instid0(VALU_DEP_1)
	v_and_b32_e32 v5, 1, v4
	v_lshlrev_b32_e32 v6, 30, v4
	v_lshlrev_b32_e32 v7, 29, v4
	v_lshlrev_b32_e32 v8, 28, v4
	v_lshlrev_b32_e32 v10, 27, v4
	v_add_co_u32 v5, s21, v5, -1
	s_wait_alu 0xf1ff
	v_cndmask_b32_e64 v9, 0, 1, s21
	v_not_b32_e32 v15, v6
	v_cmp_gt_i32_e64 s21, 0, v6
	v_not_b32_e32 v6, v7
	v_lshlrev_b32_e32 v11, 26, v4
	v_cmp_ne_u32_e32 vcc_lo, 0, v9
	v_ashrrev_i32_e32 v15, 31, v15
	v_lshlrev_b32_e32 v14, 25, v4
	v_ashrrev_i32_e32 v6, 31, v6
	v_lshlrev_b32_e32 v9, 24, v4
	s_wait_alu 0xfffd
	v_xor_b32_e32 v5, vcc_lo, v5
	v_cmp_gt_i32_e32 vcc_lo, 0, v7
	v_not_b32_e32 v7, v8
	s_wait_alu 0xf1ff
	v_xor_b32_e32 v15, s21, v15
	v_cmp_gt_i32_e64 s21, 0, v8
	v_and_b32_e32 v5, exec_lo, v5
	v_not_b32_e32 v8, v10
	v_ashrrev_i32_e32 v7, 31, v7
	s_wait_alu 0xfffd
	v_xor_b32_e32 v6, vcc_lo, v6
	v_cmp_gt_i32_e32 vcc_lo, 0, v10
	v_and_b32_e32 v5, v5, v15
	v_not_b32_e32 v10, v11
	v_ashrrev_i32_e32 v8, 31, v8
	s_wait_alu 0xf1ff
	v_xor_b32_e32 v7, s21, v7
	v_cmp_gt_i32_e64 s21, 0, v11
	v_and_b32_e32 v5, v5, v6
	v_not_b32_e32 v6, v14
	v_ashrrev_i32_e32 v10, 31, v10
	s_wait_alu 0xfffd
	v_xor_b32_e32 v8, vcc_lo, v8
	v_cmp_gt_i32_e32 vcc_lo, 0, v14
	v_and_b32_e32 v5, v5, v7
	v_not_b32_e32 v7, v9
	v_ashrrev_i32_e32 v6, 31, v6
	s_wait_alu 0xf1ff
	v_xor_b32_e32 v10, s21, v10
	v_lshlrev_b32_e32 v4, 5, v4
	v_and_b32_e32 v5, v5, v8
	v_cmp_gt_i32_e64 s21, 0, v9
	v_ashrrev_i32_e32 v7, 31, v7
	s_wait_alu 0xfffd
	v_xor_b32_e32 v6, vcc_lo, v6
	v_add_nc_u32_e32 v48, v131, v4
	v_and_b32_e32 v5, v5, v10
	s_wait_alu 0xf1ff
	v_xor_b32_e32 v4, s21, v7
	ds_load_b32 v14, v48 offset:32
	v_and_b32_e32 v5, v5, v6
	; wave barrier
	s_delay_alu instid0(VALU_DEP_1) | instskip(NEXT) | instid1(VALU_DEP_1)
	v_and_b32_e32 v4, v5, v4
	v_mbcnt_lo_u32_b32 v15, v4, 0
	v_cmp_ne_u32_e64 s21, 0, v4
	s_delay_alu instid0(VALU_DEP_2)
	v_cmp_eq_u32_e32 vcc_lo, 0, v15
	s_and_b32 s38, s21, vcc_lo
	s_wait_alu 0xfffe
	s_and_saveexec_b32 s21, s38
	s_cbranch_execz .LBB196_50
; %bb.49:                               ;   in Loop: Header=BB196_46 Depth=1
	s_wait_dscnt 0x0
	v_bcnt_u32_b32 v4, v4, v14
	ds_store_b32 v48, v4 offset:32
.LBB196_50:                             ;   in Loop: Header=BB196_46 Depth=1
	s_wait_alu 0xfffe
	s_or_b32 exec_lo, exec_lo, s21
	v_cmp_ne_u64_e32 vcc_lo, s[26:27], v[99:100]
	; wave barrier
	s_wait_alu 0xfffd
	v_cndmask_b32_e32 v5, 0x80000000, v100, vcc_lo
	v_cndmask_b32_e32 v4, 0, v99, vcc_lo
	s_delay_alu instid0(VALU_DEP_1) | instskip(NEXT) | instid1(VALU_DEP_1)
	v_lshrrev_b64 v[4:5], v69, v[4:5]
	v_and_b32_e32 v4, s37, v4
	s_delay_alu instid0(VALU_DEP_1)
	v_and_b32_e32 v5, 1, v4
	v_lshlrev_b32_e32 v6, 30, v4
	v_lshlrev_b32_e32 v7, 29, v4
	;; [unrolled: 1-line block ×4, first 2 shown]
	v_add_co_u32 v5, s21, v5, -1
	s_wait_alu 0xf1ff
	v_cndmask_b32_e64 v9, 0, 1, s21
	v_not_b32_e32 v50, v6
	v_cmp_gt_i32_e64 s21, 0, v6
	v_not_b32_e32 v6, v7
	v_lshlrev_b32_e32 v11, 26, v4
	v_cmp_ne_u32_e32 vcc_lo, 0, v9
	v_ashrrev_i32_e32 v50, 31, v50
	v_lshlrev_b32_e32 v49, 25, v4
	v_ashrrev_i32_e32 v6, 31, v6
	v_lshlrev_b32_e32 v9, 24, v4
	s_wait_alu 0xfffd
	v_xor_b32_e32 v5, vcc_lo, v5
	v_cmp_gt_i32_e32 vcc_lo, 0, v7
	v_not_b32_e32 v7, v8
	s_wait_alu 0xf1ff
	v_xor_b32_e32 v50, s21, v50
	v_cmp_gt_i32_e64 s21, 0, v8
	v_and_b32_e32 v5, exec_lo, v5
	v_not_b32_e32 v8, v10
	v_ashrrev_i32_e32 v7, 31, v7
	s_wait_alu 0xfffd
	v_xor_b32_e32 v6, vcc_lo, v6
	v_cmp_gt_i32_e32 vcc_lo, 0, v10
	v_and_b32_e32 v5, v5, v50
	v_not_b32_e32 v10, v11
	v_ashrrev_i32_e32 v8, 31, v8
	s_wait_alu 0xf1ff
	v_xor_b32_e32 v7, s21, v7
	v_cmp_gt_i32_e64 s21, 0, v11
	v_and_b32_e32 v5, v5, v6
	v_not_b32_e32 v6, v49
	v_ashrrev_i32_e32 v10, 31, v10
	s_wait_alu 0xfffd
	v_xor_b32_e32 v8, vcc_lo, v8
	v_cmp_gt_i32_e32 vcc_lo, 0, v49
	v_and_b32_e32 v5, v5, v7
	v_not_b32_e32 v7, v9
	v_ashrrev_i32_e32 v6, 31, v6
	s_wait_alu 0xf1ff
	v_xor_b32_e32 v10, s21, v10
	v_lshlrev_b32_e32 v4, 5, v4
	v_and_b32_e32 v5, v5, v8
	v_cmp_gt_i32_e64 s21, 0, v9
	v_ashrrev_i32_e32 v7, 31, v7
	s_wait_alu 0xfffd
	v_xor_b32_e32 v6, vcc_lo, v6
	v_add_nc_u32_e32 v51, v131, v4
	v_and_b32_e32 v5, v5, v10
	s_wait_alu 0xf1ff
	v_xor_b32_e32 v4, s21, v7
	ds_load_b32 v49, v51 offset:32
	v_and_b32_e32 v5, v5, v6
	; wave barrier
	s_delay_alu instid0(VALU_DEP_1) | instskip(NEXT) | instid1(VALU_DEP_1)
	v_and_b32_e32 v4, v5, v4
	v_mbcnt_lo_u32_b32 v50, v4, 0
	v_cmp_ne_u32_e64 s21, 0, v4
	s_delay_alu instid0(VALU_DEP_2)
	v_cmp_eq_u32_e32 vcc_lo, 0, v50
	s_and_b32 s38, s21, vcc_lo
	s_wait_alu 0xfffe
	s_and_saveexec_b32 s21, s38
	s_cbranch_execz .LBB196_52
; %bb.51:                               ;   in Loop: Header=BB196_46 Depth=1
	s_wait_dscnt 0x0
	v_bcnt_u32_b32 v4, v4, v49
	ds_store_b32 v51, v4 offset:32
.LBB196_52:                             ;   in Loop: Header=BB196_46 Depth=1
	s_wait_alu 0xfffe
	s_or_b32 exec_lo, exec_lo, s21
	v_cmp_ne_u64_e32 vcc_lo, s[26:27], v[97:98]
	; wave barrier
	s_wait_alu 0xfffd
	v_cndmask_b32_e32 v5, 0x80000000, v98, vcc_lo
	v_cndmask_b32_e32 v4, 0, v97, vcc_lo
	s_delay_alu instid0(VALU_DEP_1) | instskip(NEXT) | instid1(VALU_DEP_1)
	v_lshrrev_b64 v[4:5], v69, v[4:5]
	v_and_b32_e32 v4, s37, v4
	s_delay_alu instid0(VALU_DEP_1)
	v_and_b32_e32 v5, 1, v4
	v_lshlrev_b32_e32 v6, 30, v4
	v_lshlrev_b32_e32 v7, 29, v4
	;; [unrolled: 1-line block ×4, first 2 shown]
	v_add_co_u32 v5, s21, v5, -1
	s_wait_alu 0xf1ff
	v_cndmask_b32_e64 v9, 0, 1, s21
	v_not_b32_e32 v53, v6
	v_cmp_gt_i32_e64 s21, 0, v6
	v_not_b32_e32 v6, v7
	v_lshlrev_b32_e32 v11, 26, v4
	v_cmp_ne_u32_e32 vcc_lo, 0, v9
	v_ashrrev_i32_e32 v53, 31, v53
	v_lshlrev_b32_e32 v52, 25, v4
	v_ashrrev_i32_e32 v6, 31, v6
	v_lshlrev_b32_e32 v9, 24, v4
	s_wait_alu 0xfffd
	v_xor_b32_e32 v5, vcc_lo, v5
	v_cmp_gt_i32_e32 vcc_lo, 0, v7
	v_not_b32_e32 v7, v8
	s_wait_alu 0xf1ff
	v_xor_b32_e32 v53, s21, v53
	v_cmp_gt_i32_e64 s21, 0, v8
	v_and_b32_e32 v5, exec_lo, v5
	v_not_b32_e32 v8, v10
	v_ashrrev_i32_e32 v7, 31, v7
	s_wait_alu 0xfffd
	v_xor_b32_e32 v6, vcc_lo, v6
	v_cmp_gt_i32_e32 vcc_lo, 0, v10
	v_and_b32_e32 v5, v5, v53
	v_not_b32_e32 v10, v11
	v_ashrrev_i32_e32 v8, 31, v8
	s_wait_alu 0xf1ff
	v_xor_b32_e32 v7, s21, v7
	v_cmp_gt_i32_e64 s21, 0, v11
	v_and_b32_e32 v5, v5, v6
	v_not_b32_e32 v6, v52
	v_ashrrev_i32_e32 v10, 31, v10
	s_wait_alu 0xfffd
	v_xor_b32_e32 v8, vcc_lo, v8
	v_cmp_gt_i32_e32 vcc_lo, 0, v52
	v_and_b32_e32 v5, v5, v7
	v_not_b32_e32 v7, v9
	v_ashrrev_i32_e32 v6, 31, v6
	s_wait_alu 0xf1ff
	v_xor_b32_e32 v10, s21, v10
	v_lshlrev_b32_e32 v4, 5, v4
	v_and_b32_e32 v5, v5, v8
	v_cmp_gt_i32_e64 s21, 0, v9
	v_ashrrev_i32_e32 v7, 31, v7
	s_wait_alu 0xfffd
	v_xor_b32_e32 v6, vcc_lo, v6
	v_add_nc_u32_e32 v54, v131, v4
	v_and_b32_e32 v5, v5, v10
	s_wait_alu 0xf1ff
	v_xor_b32_e32 v4, s21, v7
	ds_load_b32 v52, v54 offset:32
	v_and_b32_e32 v5, v5, v6
	; wave barrier
	s_delay_alu instid0(VALU_DEP_1) | instskip(NEXT) | instid1(VALU_DEP_1)
	v_and_b32_e32 v4, v5, v4
	v_mbcnt_lo_u32_b32 v53, v4, 0
	v_cmp_ne_u32_e64 s21, 0, v4
	s_delay_alu instid0(VALU_DEP_2)
	v_cmp_eq_u32_e32 vcc_lo, 0, v53
	s_and_b32 s38, s21, vcc_lo
	s_wait_alu 0xfffe
	s_and_saveexec_b32 s21, s38
	s_cbranch_execz .LBB196_54
; %bb.53:                               ;   in Loop: Header=BB196_46 Depth=1
	s_wait_dscnt 0x0
	v_bcnt_u32_b32 v4, v4, v52
	ds_store_b32 v54, v4 offset:32
.LBB196_54:                             ;   in Loop: Header=BB196_46 Depth=1
	s_wait_alu 0xfffe
	s_or_b32 exec_lo, exec_lo, s21
	v_cmp_ne_u64_e32 vcc_lo, s[26:27], v[95:96]
	; wave barrier
	s_wait_alu 0xfffd
	v_cndmask_b32_e32 v5, 0x80000000, v96, vcc_lo
	v_cndmask_b32_e32 v4, 0, v95, vcc_lo
	s_delay_alu instid0(VALU_DEP_1) | instskip(NEXT) | instid1(VALU_DEP_1)
	v_lshrrev_b64 v[4:5], v69, v[4:5]
	v_and_b32_e32 v4, s37, v4
	s_delay_alu instid0(VALU_DEP_1)
	v_and_b32_e32 v5, 1, v4
	v_lshlrev_b32_e32 v6, 30, v4
	v_lshlrev_b32_e32 v7, 29, v4
	;; [unrolled: 1-line block ×4, first 2 shown]
	v_add_co_u32 v5, s21, v5, -1
	s_wait_alu 0xf1ff
	v_cndmask_b32_e64 v9, 0, 1, s21
	v_not_b32_e32 v56, v6
	v_cmp_gt_i32_e64 s21, 0, v6
	v_not_b32_e32 v6, v7
	v_lshlrev_b32_e32 v11, 26, v4
	v_cmp_ne_u32_e32 vcc_lo, 0, v9
	v_ashrrev_i32_e32 v56, 31, v56
	v_lshlrev_b32_e32 v55, 25, v4
	v_ashrrev_i32_e32 v6, 31, v6
	v_lshlrev_b32_e32 v9, 24, v4
	s_wait_alu 0xfffd
	v_xor_b32_e32 v5, vcc_lo, v5
	v_cmp_gt_i32_e32 vcc_lo, 0, v7
	v_not_b32_e32 v7, v8
	s_wait_alu 0xf1ff
	v_xor_b32_e32 v56, s21, v56
	v_cmp_gt_i32_e64 s21, 0, v8
	v_and_b32_e32 v5, exec_lo, v5
	v_not_b32_e32 v8, v10
	v_ashrrev_i32_e32 v7, 31, v7
	s_wait_alu 0xfffd
	v_xor_b32_e32 v6, vcc_lo, v6
	v_cmp_gt_i32_e32 vcc_lo, 0, v10
	v_and_b32_e32 v5, v5, v56
	v_not_b32_e32 v10, v11
	v_ashrrev_i32_e32 v8, 31, v8
	s_wait_alu 0xf1ff
	v_xor_b32_e32 v7, s21, v7
	v_cmp_gt_i32_e64 s21, 0, v11
	v_and_b32_e32 v5, v5, v6
	v_not_b32_e32 v6, v55
	v_ashrrev_i32_e32 v10, 31, v10
	s_wait_alu 0xfffd
	v_xor_b32_e32 v8, vcc_lo, v8
	v_cmp_gt_i32_e32 vcc_lo, 0, v55
	v_and_b32_e32 v5, v5, v7
	v_not_b32_e32 v7, v9
	v_ashrrev_i32_e32 v6, 31, v6
	s_wait_alu 0xf1ff
	v_xor_b32_e32 v10, s21, v10
	v_lshlrev_b32_e32 v4, 5, v4
	v_and_b32_e32 v5, v5, v8
	v_cmp_gt_i32_e64 s21, 0, v9
	v_ashrrev_i32_e32 v7, 31, v7
	s_wait_alu 0xfffd
	v_xor_b32_e32 v6, vcc_lo, v6
	v_add_nc_u32_e32 v57, v131, v4
	v_and_b32_e32 v5, v5, v10
	s_wait_alu 0xf1ff
	v_xor_b32_e32 v4, s21, v7
	ds_load_b32 v55, v57 offset:32
	v_and_b32_e32 v5, v5, v6
	; wave barrier
	s_delay_alu instid0(VALU_DEP_1) | instskip(NEXT) | instid1(VALU_DEP_1)
	v_and_b32_e32 v4, v5, v4
	v_mbcnt_lo_u32_b32 v56, v4, 0
	v_cmp_ne_u32_e64 s21, 0, v4
	s_delay_alu instid0(VALU_DEP_2)
	v_cmp_eq_u32_e32 vcc_lo, 0, v56
	s_and_b32 s38, s21, vcc_lo
	s_wait_alu 0xfffe
	s_and_saveexec_b32 s21, s38
	s_cbranch_execz .LBB196_56
; %bb.55:                               ;   in Loop: Header=BB196_46 Depth=1
	s_wait_dscnt 0x0
	v_bcnt_u32_b32 v4, v4, v55
	ds_store_b32 v57, v4 offset:32
.LBB196_56:                             ;   in Loop: Header=BB196_46 Depth=1
	s_wait_alu 0xfffe
	s_or_b32 exec_lo, exec_lo, s21
	v_cmp_ne_u64_e32 vcc_lo, s[26:27], v[77:78]
	; wave barrier
	s_wait_alu 0xfffd
	v_cndmask_b32_e32 v5, 0x80000000, v78, vcc_lo
	v_cndmask_b32_e32 v4, 0, v77, vcc_lo
	s_delay_alu instid0(VALU_DEP_1) | instskip(NEXT) | instid1(VALU_DEP_1)
	v_lshrrev_b64 v[4:5], v69, v[4:5]
	v_and_b32_e32 v4, s37, v4
	s_delay_alu instid0(VALU_DEP_1)
	v_and_b32_e32 v5, 1, v4
	v_lshlrev_b32_e32 v6, 30, v4
	v_lshlrev_b32_e32 v7, 29, v4
	;; [unrolled: 1-line block ×4, first 2 shown]
	v_add_co_u32 v5, s21, v5, -1
	s_wait_alu 0xf1ff
	v_cndmask_b32_e64 v9, 0, 1, s21
	v_not_b32_e32 v59, v6
	v_cmp_gt_i32_e64 s21, 0, v6
	v_not_b32_e32 v6, v7
	v_lshlrev_b32_e32 v11, 26, v4
	v_cmp_ne_u32_e32 vcc_lo, 0, v9
	v_ashrrev_i32_e32 v59, 31, v59
	v_lshlrev_b32_e32 v58, 25, v4
	v_ashrrev_i32_e32 v6, 31, v6
	v_lshlrev_b32_e32 v9, 24, v4
	s_wait_alu 0xfffd
	v_xor_b32_e32 v5, vcc_lo, v5
	v_cmp_gt_i32_e32 vcc_lo, 0, v7
	v_not_b32_e32 v7, v8
	s_wait_alu 0xf1ff
	v_xor_b32_e32 v59, s21, v59
	v_cmp_gt_i32_e64 s21, 0, v8
	v_and_b32_e32 v5, exec_lo, v5
	v_not_b32_e32 v8, v10
	v_ashrrev_i32_e32 v7, 31, v7
	s_wait_alu 0xfffd
	v_xor_b32_e32 v6, vcc_lo, v6
	v_cmp_gt_i32_e32 vcc_lo, 0, v10
	v_and_b32_e32 v5, v5, v59
	v_not_b32_e32 v10, v11
	v_ashrrev_i32_e32 v8, 31, v8
	s_wait_alu 0xf1ff
	v_xor_b32_e32 v7, s21, v7
	v_cmp_gt_i32_e64 s21, 0, v11
	v_and_b32_e32 v5, v5, v6
	v_not_b32_e32 v6, v58
	v_ashrrev_i32_e32 v10, 31, v10
	s_wait_alu 0xfffd
	v_xor_b32_e32 v8, vcc_lo, v8
	v_cmp_gt_i32_e32 vcc_lo, 0, v58
	v_and_b32_e32 v5, v5, v7
	v_not_b32_e32 v7, v9
	v_ashrrev_i32_e32 v6, 31, v6
	s_wait_alu 0xf1ff
	v_xor_b32_e32 v10, s21, v10
	v_lshlrev_b32_e32 v4, 5, v4
	v_and_b32_e32 v5, v5, v8
	v_cmp_gt_i32_e64 s21, 0, v9
	v_ashrrev_i32_e32 v7, 31, v7
	s_wait_alu 0xfffd
	v_xor_b32_e32 v6, vcc_lo, v6
	v_add_nc_u32_e32 v60, v131, v4
	v_and_b32_e32 v5, v5, v10
	s_wait_alu 0xf1ff
	v_xor_b32_e32 v4, s21, v7
	ds_load_b32 v58, v60 offset:32
	v_and_b32_e32 v5, v5, v6
	; wave barrier
	s_delay_alu instid0(VALU_DEP_1) | instskip(NEXT) | instid1(VALU_DEP_1)
	v_and_b32_e32 v4, v5, v4
	v_mbcnt_lo_u32_b32 v59, v4, 0
	v_cmp_ne_u32_e64 s21, 0, v4
	s_delay_alu instid0(VALU_DEP_2)
	v_cmp_eq_u32_e32 vcc_lo, 0, v59
	s_and_b32 s38, s21, vcc_lo
	s_wait_alu 0xfffe
	s_and_saveexec_b32 s21, s38
	s_cbranch_execz .LBB196_58
; %bb.57:                               ;   in Loop: Header=BB196_46 Depth=1
	s_wait_dscnt 0x0
	v_bcnt_u32_b32 v4, v4, v58
	ds_store_b32 v60, v4 offset:32
.LBB196_58:                             ;   in Loop: Header=BB196_46 Depth=1
	s_wait_alu 0xfffe
	s_or_b32 exec_lo, exec_lo, s21
	v_cmp_ne_u64_e32 vcc_lo, s[26:27], v[75:76]
	; wave barrier
	s_wait_alu 0xfffd
	v_cndmask_b32_e32 v5, 0x80000000, v76, vcc_lo
	v_cndmask_b32_e32 v4, 0, v75, vcc_lo
	s_delay_alu instid0(VALU_DEP_1) | instskip(NEXT) | instid1(VALU_DEP_1)
	v_lshrrev_b64 v[4:5], v69, v[4:5]
	v_and_b32_e32 v4, s37, v4
	s_delay_alu instid0(VALU_DEP_1)
	v_and_b32_e32 v5, 1, v4
	v_lshlrev_b32_e32 v6, 30, v4
	v_lshlrev_b32_e32 v7, 29, v4
	;; [unrolled: 1-line block ×4, first 2 shown]
	v_add_co_u32 v5, s21, v5, -1
	s_wait_alu 0xf1ff
	v_cndmask_b32_e64 v9, 0, 1, s21
	v_not_b32_e32 v62, v6
	v_cmp_gt_i32_e64 s21, 0, v6
	v_not_b32_e32 v6, v7
	v_lshlrev_b32_e32 v11, 26, v4
	v_cmp_ne_u32_e32 vcc_lo, 0, v9
	v_ashrrev_i32_e32 v62, 31, v62
	v_lshlrev_b32_e32 v61, 25, v4
	v_ashrrev_i32_e32 v6, 31, v6
	v_lshlrev_b32_e32 v9, 24, v4
	s_wait_alu 0xfffd
	v_xor_b32_e32 v5, vcc_lo, v5
	v_cmp_gt_i32_e32 vcc_lo, 0, v7
	v_not_b32_e32 v7, v8
	s_wait_alu 0xf1ff
	v_xor_b32_e32 v62, s21, v62
	v_cmp_gt_i32_e64 s21, 0, v8
	v_and_b32_e32 v5, exec_lo, v5
	v_not_b32_e32 v8, v10
	v_ashrrev_i32_e32 v7, 31, v7
	s_wait_alu 0xfffd
	v_xor_b32_e32 v6, vcc_lo, v6
	v_cmp_gt_i32_e32 vcc_lo, 0, v10
	v_and_b32_e32 v5, v5, v62
	v_not_b32_e32 v10, v11
	v_ashrrev_i32_e32 v8, 31, v8
	s_wait_alu 0xf1ff
	v_xor_b32_e32 v7, s21, v7
	v_cmp_gt_i32_e64 s21, 0, v11
	v_and_b32_e32 v5, v5, v6
	v_not_b32_e32 v6, v61
	v_ashrrev_i32_e32 v10, 31, v10
	s_wait_alu 0xfffd
	v_xor_b32_e32 v8, vcc_lo, v8
	v_cmp_gt_i32_e32 vcc_lo, 0, v61
	v_and_b32_e32 v5, v5, v7
	v_not_b32_e32 v7, v9
	v_ashrrev_i32_e32 v6, 31, v6
	s_wait_alu 0xf1ff
	v_xor_b32_e32 v10, s21, v10
	v_lshlrev_b32_e32 v4, 5, v4
	v_and_b32_e32 v5, v5, v8
	v_cmp_gt_i32_e64 s21, 0, v9
	v_ashrrev_i32_e32 v7, 31, v7
	s_wait_alu 0xfffd
	v_xor_b32_e32 v6, vcc_lo, v6
	v_add_nc_u32_e32 v63, v131, v4
	v_and_b32_e32 v5, v5, v10
	s_wait_alu 0xf1ff
	v_xor_b32_e32 v4, s21, v7
	ds_load_b32 v61, v63 offset:32
	v_and_b32_e32 v5, v5, v6
	; wave barrier
	s_delay_alu instid0(VALU_DEP_1) | instskip(NEXT) | instid1(VALU_DEP_1)
	v_and_b32_e32 v4, v5, v4
	v_mbcnt_lo_u32_b32 v62, v4, 0
	v_cmp_ne_u32_e64 s21, 0, v4
	s_delay_alu instid0(VALU_DEP_2)
	v_cmp_eq_u32_e32 vcc_lo, 0, v62
	s_and_b32 s38, s21, vcc_lo
	s_wait_alu 0xfffe
	s_and_saveexec_b32 s21, s38
	s_cbranch_execz .LBB196_60
; %bb.59:                               ;   in Loop: Header=BB196_46 Depth=1
	s_wait_dscnt 0x0
	v_bcnt_u32_b32 v4, v4, v61
	ds_store_b32 v63, v4 offset:32
.LBB196_60:                             ;   in Loop: Header=BB196_46 Depth=1
	s_wait_alu 0xfffe
	s_or_b32 exec_lo, exec_lo, s21
	v_cmp_ne_u64_e32 vcc_lo, s[26:27], v[73:74]
	; wave barrier
	s_wait_alu 0xfffd
	v_cndmask_b32_e32 v5, 0x80000000, v74, vcc_lo
	v_cndmask_b32_e32 v4, 0, v73, vcc_lo
	s_delay_alu instid0(VALU_DEP_1) | instskip(NEXT) | instid1(VALU_DEP_1)
	v_lshrrev_b64 v[4:5], v69, v[4:5]
	v_and_b32_e32 v4, s37, v4
	s_delay_alu instid0(VALU_DEP_1)
	v_and_b32_e32 v5, 1, v4
	v_lshlrev_b32_e32 v6, 30, v4
	v_lshlrev_b32_e32 v7, 29, v4
	v_lshlrev_b32_e32 v8, 28, v4
	v_lshlrev_b32_e32 v10, 27, v4
	v_add_co_u32 v5, s21, v5, -1
	s_wait_alu 0xf1ff
	v_cndmask_b32_e64 v9, 0, 1, s21
	v_not_b32_e32 v65, v6
	v_cmp_gt_i32_e64 s21, 0, v6
	v_not_b32_e32 v6, v7
	v_lshlrev_b32_e32 v11, 26, v4
	v_cmp_ne_u32_e32 vcc_lo, 0, v9
	v_ashrrev_i32_e32 v65, 31, v65
	v_lshlrev_b32_e32 v64, 25, v4
	v_ashrrev_i32_e32 v6, 31, v6
	v_lshlrev_b32_e32 v9, 24, v4
	s_wait_alu 0xfffd
	v_xor_b32_e32 v5, vcc_lo, v5
	v_cmp_gt_i32_e32 vcc_lo, 0, v7
	v_not_b32_e32 v7, v8
	s_wait_alu 0xf1ff
	v_xor_b32_e32 v65, s21, v65
	v_cmp_gt_i32_e64 s21, 0, v8
	v_and_b32_e32 v5, exec_lo, v5
	v_not_b32_e32 v8, v10
	v_ashrrev_i32_e32 v7, 31, v7
	s_wait_alu 0xfffd
	v_xor_b32_e32 v6, vcc_lo, v6
	v_cmp_gt_i32_e32 vcc_lo, 0, v10
	v_and_b32_e32 v5, v5, v65
	v_not_b32_e32 v10, v11
	v_ashrrev_i32_e32 v8, 31, v8
	s_wait_alu 0xf1ff
	v_xor_b32_e32 v7, s21, v7
	v_cmp_gt_i32_e64 s21, 0, v11
	v_and_b32_e32 v5, v5, v6
	v_not_b32_e32 v6, v64
	v_ashrrev_i32_e32 v10, 31, v10
	s_wait_alu 0xfffd
	v_xor_b32_e32 v8, vcc_lo, v8
	v_cmp_gt_i32_e32 vcc_lo, 0, v64
	v_and_b32_e32 v5, v5, v7
	v_not_b32_e32 v7, v9
	v_ashrrev_i32_e32 v6, 31, v6
	s_wait_alu 0xf1ff
	v_xor_b32_e32 v10, s21, v10
	v_lshlrev_b32_e32 v4, 5, v4
	v_and_b32_e32 v5, v5, v8
	v_cmp_gt_i32_e64 s21, 0, v9
	v_ashrrev_i32_e32 v7, 31, v7
	s_wait_alu 0xfffd
	v_xor_b32_e32 v6, vcc_lo, v6
	v_add_nc_u32_e32 v66, v131, v4
	v_and_b32_e32 v5, v5, v10
	s_wait_alu 0xf1ff
	v_xor_b32_e32 v4, s21, v7
	ds_load_b32 v64, v66 offset:32
	v_and_b32_e32 v5, v5, v6
	; wave barrier
	s_delay_alu instid0(VALU_DEP_1) | instskip(NEXT) | instid1(VALU_DEP_1)
	v_and_b32_e32 v4, v5, v4
	v_mbcnt_lo_u32_b32 v65, v4, 0
	v_cmp_ne_u32_e64 s21, 0, v4
	s_delay_alu instid0(VALU_DEP_2)
	v_cmp_eq_u32_e32 vcc_lo, 0, v65
	s_and_b32 s37, s21, vcc_lo
	s_wait_alu 0xfffe
	s_and_saveexec_b32 s21, s37
	s_cbranch_execz .LBB196_62
; %bb.61:                               ;   in Loop: Header=BB196_46 Depth=1
	s_wait_dscnt 0x0
	v_bcnt_u32_b32 v4, v4, v64
	ds_store_b32 v66, v4 offset:32
.LBB196_62:                             ;   in Loop: Header=BB196_46 Depth=1
	s_wait_alu 0xfffe
	s_or_b32 exec_lo, exec_lo, s21
	; wave barrier
	s_wait_loadcnt_dscnt 0x0
	s_barrier_signal -1
	s_barrier_wait -1
	global_inv scope:SCOPE_SE
	ds_load_b128 v[8:11], v113 offset:32
	ds_load_b128 v[4:7], v113 offset:48
	s_wait_dscnt 0x1
	v_add_nc_u32_e32 v67, v9, v8
	s_delay_alu instid0(VALU_DEP_1) | instskip(SKIP_1) | instid1(VALU_DEP_1)
	v_add3_u32 v67, v67, v10, v11
	s_wait_dscnt 0x0
	v_add3_u32 v67, v67, v4, v5
	s_delay_alu instid0(VALU_DEP_1) | instskip(NEXT) | instid1(VALU_DEP_1)
	v_add3_u32 v7, v67, v6, v7
	v_mov_b32_dpp v67, v7 row_shr:1 row_mask:0xf bank_mask:0xf
	s_delay_alu instid0(VALU_DEP_1) | instskip(NEXT) | instid1(VALU_DEP_1)
	v_cndmask_b32_e64 v67, v67, 0, s11
	v_add_nc_u32_e32 v7, v67, v7
	s_delay_alu instid0(VALU_DEP_1) | instskip(NEXT) | instid1(VALU_DEP_1)
	v_mov_b32_dpp v67, v7 row_shr:2 row_mask:0xf bank_mask:0xf
	v_cndmask_b32_e64 v67, 0, v67, s13
	s_delay_alu instid0(VALU_DEP_1) | instskip(NEXT) | instid1(VALU_DEP_1)
	v_add_nc_u32_e32 v7, v7, v67
	v_mov_b32_dpp v67, v7 row_shr:4 row_mask:0xf bank_mask:0xf
	s_delay_alu instid0(VALU_DEP_1) | instskip(NEXT) | instid1(VALU_DEP_1)
	v_cndmask_b32_e64 v67, 0, v67, s14
	v_add_nc_u32_e32 v7, v7, v67
	s_delay_alu instid0(VALU_DEP_1) | instskip(NEXT) | instid1(VALU_DEP_1)
	v_mov_b32_dpp v67, v7 row_shr:8 row_mask:0xf bank_mask:0xf
	v_cndmask_b32_e64 v67, 0, v67, s15
	s_delay_alu instid0(VALU_DEP_1) | instskip(SKIP_3) | instid1(VALU_DEP_1)
	v_add_nc_u32_e32 v7, v7, v67
	ds_swizzle_b32 v67, v7 offset:swizzle(BROADCAST,32,15)
	s_wait_dscnt 0x0
	v_cndmask_b32_e64 v67, v67, 0, s16
	v_add_nc_u32_e32 v7, v7, v67
	s_and_saveexec_b32 s21, s17
; %bb.63:                               ;   in Loop: Header=BB196_46 Depth=1
	ds_store_b32 v114, v7
; %bb.64:                               ;   in Loop: Header=BB196_46 Depth=1
	s_wait_alu 0xfffe
	s_or_b32 exec_lo, exec_lo, s21
	s_wait_loadcnt_dscnt 0x0
	s_barrier_signal -1
	s_barrier_wait -1
	global_inv scope:SCOPE_SE
	s_and_saveexec_b32 s21, s0
	s_cbranch_execz .LBB196_66
; %bb.65:                               ;   in Loop: Header=BB196_46 Depth=1
	ds_load_b32 v67, v132
	s_wait_dscnt 0x0
	v_mov_b32_dpp v133, v67 row_shr:1 row_mask:0xf bank_mask:0xf
	s_delay_alu instid0(VALU_DEP_1) | instskip(NEXT) | instid1(VALU_DEP_1)
	v_cndmask_b32_e64 v133, v133, 0, s18
	v_add_nc_u32_e32 v67, v133, v67
	s_delay_alu instid0(VALU_DEP_1) | instskip(NEXT) | instid1(VALU_DEP_1)
	v_mov_b32_dpp v133, v67 row_shr:2 row_mask:0xf bank_mask:0xf
	v_cndmask_b32_e64 v133, 0, v133, s19
	s_delay_alu instid0(VALU_DEP_1) | instskip(NEXT) | instid1(VALU_DEP_1)
	v_add_nc_u32_e32 v67, v67, v133
	v_mov_b32_dpp v133, v67 row_shr:4 row_mask:0xf bank_mask:0xf
	s_delay_alu instid0(VALU_DEP_1) | instskip(NEXT) | instid1(VALU_DEP_1)
	v_cndmask_b32_e64 v133, 0, v133, s20
	v_add_nc_u32_e32 v67, v67, v133
	ds_store_b32 v132, v67
.LBB196_66:                             ;   in Loop: Header=BB196_46 Depth=1
	s_wait_alu 0xfffe
	s_or_b32 exec_lo, exec_lo, s21
	v_mov_b32_e32 v67, 0
	s_wait_loadcnt_dscnt 0x0
	s_barrier_signal -1
	s_barrier_wait -1
	global_inv scope:SCOPE_SE
	s_and_saveexec_b32 s21, s1
; %bb.67:                               ;   in Loop: Header=BB196_46 Depth=1
	ds_load_b32 v67, v130
; %bb.68:                               ;   in Loop: Header=BB196_46 Depth=1
	s_wait_alu 0xfffe
	s_or_b32 exec_lo, exec_lo, s21
	s_wait_dscnt 0x0
	v_add_nc_u32_e32 v7, v67, v7
	v_cmp_lt_u32_e32 vcc_lo, 55, v69
	s_mov_b32 s21, -1
	ds_bpermute_b32 v7, v129, v7
	s_and_b32 vcc_lo, exec_lo, vcc_lo
	s_wait_dscnt 0x0
	v_cndmask_b32_e64 v7, v7, v67, s12
	s_delay_alu instid0(VALU_DEP_1) | instskip(NEXT) | instid1(VALU_DEP_1)
	v_cndmask_b32_e64 v7, v7, 0, s10
	v_add_nc_u32_e32 v8, v7, v8
	s_delay_alu instid0(VALU_DEP_1) | instskip(NEXT) | instid1(VALU_DEP_1)
	v_add_nc_u32_e32 v9, v8, v9
	v_add_nc_u32_e32 v10, v9, v10
	s_delay_alu instid0(VALU_DEP_1) | instskip(NEXT) | instid1(VALU_DEP_1)
	v_add_nc_u32_e32 v133, v10, v11
	;; [unrolled: 3-line block ×3, first 2 shown]
	v_add_nc_u32_e32 v136, v135, v6
	ds_store_b128 v113, v[7:10] offset:32
	ds_store_b128 v113, v[133:136] offset:48
	s_wait_loadcnt_dscnt 0x0
	s_barrier_signal -1
	s_barrier_wait -1
	global_inv scope:SCOPE_SE
	ds_load_b32 v4, v13 offset:32
	ds_load_b32 v5, v48 offset:32
	;; [unrolled: 1-line block ×8, first 2 shown]
	s_wait_dscnt 0x7
	v_add_nc_u32_e32 v140, v4, v12
	s_wait_dscnt 0x6
	v_add3_u32 v139, v15, v14, v5
	s_wait_dscnt 0x5
	v_add3_u32 v138, v50, v49, v6
	;; [unrolled: 2-line block ×7, first 2 shown]
                                        ; implicit-def: $vgpr66_vgpr67
                                        ; implicit-def: $vgpr14_vgpr15
                                        ; implicit-def: $vgpr10_vgpr11
                                        ; implicit-def: $vgpr6_vgpr7
                                        ; implicit-def: $vgpr62_vgpr63
                                        ; implicit-def: $vgpr58_vgpr59
                                        ; implicit-def: $vgpr54_vgpr55
                                        ; implicit-def: $vgpr50_vgpr51
	s_wait_alu 0xfffe
	s_cbranch_vccnz .LBB196_45
; %bb.69:                               ;   in Loop: Header=BB196_46 Depth=1
	v_lshlrev_b32_e32 v48, 3, v140
	v_lshlrev_b32_e32 v51, 3, v137
	;; [unrolled: 1-line block ×8, first 2 shown]
	s_wait_loadcnt 0x0
	s_barrier_signal -1
	s_barrier_wait -1
	global_inv scope:SCOPE_SE
	ds_store_b64 v48, v[71:72]
	ds_store_b64 v49, v[101:102]
	;; [unrolled: 1-line block ×8, first 2 shown]
	s_wait_loadcnt_dscnt 0x0
	s_barrier_signal -1
	s_barrier_wait -1
	global_inv scope:SCOPE_SE
	ds_load_2addr_b64 v[4:7], v128 offset1:32
	ds_load_2addr_b64 v[8:11], v128 offset0:64 offset1:96
	ds_load_2addr_b64 v[12:15], v128 offset0:128 offset1:160
	ds_load_2addr_b64 v[64:67], v128 offset0:192 offset1:224
	s_wait_loadcnt_dscnt 0x0
	s_barrier_signal -1
	s_barrier_wait -1
	global_inv scope:SCOPE_SE
	ds_store_b64 v48, v[93:94]
	ds_store_b64 v49, v[91:92]
	;; [unrolled: 1-line block ×8, first 2 shown]
	s_wait_loadcnt_dscnt 0x0
	s_barrier_signal -1
	s_barrier_wait -1
	global_inv scope:SCOPE_SE
	ds_load_2addr_b64 v[48:51], v128 offset1:32
	ds_load_2addr_b64 v[52:55], v128 offset0:64 offset1:96
	ds_load_2addr_b64 v[56:59], v128 offset0:128 offset1:160
	;; [unrolled: 1-line block ×3, first 2 shown]
	v_add_co_u32 v69, vcc_lo, v69, 8
	s_wait_alu 0xfffd
	v_add_co_ci_u32_e64 v70, null, 0, v70, vcc_lo
	s_add_co_i32 s36, s36, -8
	s_mov_b32 s21, 0
	s_wait_loadcnt_dscnt 0x0
	s_barrier_signal -1
	s_barrier_wait -1
	global_inv scope:SCOPE_SE
	s_branch .LBB196_45
.LBB196_70:
	v_mad_co_u64_u32 v[2:3], null, s22, v68, 0
	v_dual_mov_b32 v6, v1 :: v_dual_mov_b32 v7, v1
	v_dual_mov_b32 v8, v1 :: v_dual_mov_b32 v9, v1
	v_dual_mov_b32 v10, v1 :: v_dual_mov_b32 v13, v1
	s_delay_alu instid0(VALU_DEP_4) | instskip(SKIP_3) | instid1(VALU_DEP_4)
	v_mad_co_u64_u32 v[3:4], null, s23, v68, v[3:4]
	v_dual_mov_b32 v4, v1 :: v_dual_mov_b32 v5, v1
	v_dual_mov_b32 v14, v1 :: v_dual_mov_b32 v33, v1
	v_mov_b32_e32 v32, v1
	v_lshlrev_b64_e32 v[2:3], 3, v[2:3]
	s_delay_alu instid0(VALU_DEP_1) | instskip(SKIP_1) | instid1(VALU_DEP_2)
	v_add_co_u32 v2, vcc_lo, s34, v2
	s_wait_alu 0xfffd
	v_add_co_ci_u32_e64 v3, null, s35, v3, vcc_lo
	global_load_b64 v[11:12], v[2:3], off
	v_dual_mov_b32 v2, v1 :: v_dual_mov_b32 v3, v1
	s_or_b32 exec_lo, exec_lo, s0
	s_and_saveexec_b32 s0, s3
	s_cbranch_execz .LBB196_36
.LBB196_71:
	v_mad_co_u64_u32 v[1:2], null, s22, v34, 0
	s_delay_alu instid0(VALU_DEP_1) | instskip(NEXT) | instid1(VALU_DEP_1)
	v_mad_co_u64_u32 v[41:42], null, s23, v34, v[2:3]
	v_mov_b32_e32 v2, v41
	s_delay_alu instid0(VALU_DEP_1) | instskip(NEXT) | instid1(VALU_DEP_1)
	v_lshlrev_b64_e32 v[1:2], 3, v[1:2]
	v_add_co_u32 v1, vcc_lo, s34, v1
	s_wait_alu 0xfffd
	s_delay_alu instid0(VALU_DEP_2)
	v_add_co_ci_u32_e64 v2, null, s35, v2, vcc_lo
	global_load_b64 v[1:2], v[1:2], off
	s_or_b32 exec_lo, exec_lo, s0
	s_and_saveexec_b32 s0, s4
	s_cbranch_execz .LBB196_37
.LBB196_72:
	v_mad_co_u64_u32 v[3:4], null, s22, v35, 0
	s_delay_alu instid0(VALU_DEP_1) | instskip(NEXT) | instid1(VALU_DEP_1)
	v_mad_co_u64_u32 v[34:35], null, s23, v35, v[4:5]
	v_mov_b32_e32 v4, v34
	s_delay_alu instid0(VALU_DEP_1) | instskip(NEXT) | instid1(VALU_DEP_1)
	v_lshlrev_b64_e32 v[3:4], 3, v[3:4]
	v_add_co_u32 v3, vcc_lo, s34, v3
	s_wait_alu 0xfffd
	s_delay_alu instid0(VALU_DEP_2)
	v_add_co_ci_u32_e64 v4, null, s35, v4, vcc_lo
	global_load_b64 v[3:4], v[3:4], off
	s_or_b32 exec_lo, exec_lo, s0
	s_and_saveexec_b32 s0, s5
	s_cbranch_execz .LBB196_38
.LBB196_73:
	v_mad_co_u64_u32 v[5:6], null, s22, v36, 0
	s_delay_alu instid0(VALU_DEP_1) | instskip(NEXT) | instid1(VALU_DEP_1)
	v_mad_co_u64_u32 v[34:35], null, s23, v36, v[6:7]
	v_mov_b32_e32 v6, v34
	s_delay_alu instid0(VALU_DEP_1) | instskip(NEXT) | instid1(VALU_DEP_1)
	v_lshlrev_b64_e32 v[5:6], 3, v[5:6]
	v_add_co_u32 v5, vcc_lo, s34, v5
	s_wait_alu 0xfffd
	s_delay_alu instid0(VALU_DEP_2)
	v_add_co_ci_u32_e64 v6, null, s35, v6, vcc_lo
	global_load_b64 v[5:6], v[5:6], off
	s_or_b32 exec_lo, exec_lo, s0
	s_and_saveexec_b32 s0, s6
	s_cbranch_execz .LBB196_39
.LBB196_74:
	v_mad_co_u64_u32 v[7:8], null, s22, v37, 0
	s_delay_alu instid0(VALU_DEP_1) | instskip(NEXT) | instid1(VALU_DEP_1)
	v_mad_co_u64_u32 v[34:35], null, s23, v37, v[8:9]
	v_mov_b32_e32 v8, v34
	s_delay_alu instid0(VALU_DEP_1) | instskip(NEXT) | instid1(VALU_DEP_1)
	v_lshlrev_b64_e32 v[7:8], 3, v[7:8]
	v_add_co_u32 v7, vcc_lo, s34, v7
	s_wait_alu 0xfffd
	s_delay_alu instid0(VALU_DEP_2)
	v_add_co_ci_u32_e64 v8, null, s35, v8, vcc_lo
	global_load_b64 v[7:8], v[7:8], off
	s_or_b32 exec_lo, exec_lo, s0
	s_and_saveexec_b32 s0, s7
	s_cbranch_execz .LBB196_40
.LBB196_75:
	v_mad_co_u64_u32 v[9:10], null, s22, v38, 0
	s_wait_loadcnt 0x0
	s_delay_alu instid0(VALU_DEP_1) | instskip(NEXT) | instid1(VALU_DEP_1)
	v_mad_co_u64_u32 v[34:35], null, s23, v38, v[10:11]
	v_mov_b32_e32 v10, v34
	s_delay_alu instid0(VALU_DEP_1) | instskip(NEXT) | instid1(VALU_DEP_1)
	v_lshlrev_b64_e32 v[9:10], 3, v[9:10]
	v_add_co_u32 v9, vcc_lo, s34, v9
	s_wait_alu 0xfffd
	s_delay_alu instid0(VALU_DEP_2)
	v_add_co_ci_u32_e64 v10, null, s35, v10, vcc_lo
	global_load_b64 v[9:10], v[9:10], off
	s_or_b32 exec_lo, exec_lo, s0
	s_and_saveexec_b32 s0, s8
	s_cbranch_execz .LBB196_41
.LBB196_76:
	v_mad_co_u64_u32 v[13:14], null, s22, v39, 0
	s_delay_alu instid0(VALU_DEP_1) | instskip(NEXT) | instid1(VALU_DEP_1)
	v_mad_co_u64_u32 v[14:15], null, s23, v39, v[14:15]
	v_lshlrev_b64_e32 v[13:14], 3, v[13:14]
	s_delay_alu instid0(VALU_DEP_1) | instskip(SKIP_1) | instid1(VALU_DEP_2)
	v_add_co_u32 v13, vcc_lo, s34, v13
	s_wait_alu 0xfffd
	v_add_co_ci_u32_e64 v14, null, s35, v14, vcc_lo
	global_load_b64 v[13:14], v[13:14], off
	s_or_b32 exec_lo, exec_lo, s0
	s_xor_b32 s0, s33, -1
	s_and_saveexec_b32 s1, s9
	s_cbranch_execnz .LBB196_42
	s_branch .LBB196_43
.LBB196_77:
                                        ; implicit-def: $vgpr58_vgpr59
                                        ; implicit-def: $vgpr62_vgpr63
                                        ; implicit-def: $vgpr50_vgpr51
                                        ; implicit-def: $vgpr54_vgpr55
                                        ; implicit-def: $vgpr0_vgpr1_vgpr2_vgpr3_vgpr4_vgpr5_vgpr6_vgpr7_vgpr8_vgpr9_vgpr10_vgpr11_vgpr12_vgpr13_vgpr14_vgpr15
	s_cbranch_execnz .LBB196_79
	s_branch .LBB196_106
.LBB196_78:
	v_lshlrev_b32_e32 v48, 3, v140
	v_lshlrev_b32_e32 v51, 3, v137
	;; [unrolled: 1-line block ×9, first 2 shown]
	s_wait_loadcnt 0x0
	s_barrier_signal -1
	s_barrier_wait -1
	global_inv scope:SCOPE_SE
	ds_store_b64 v48, v[71:72]
	ds_store_b64 v49, v[101:102]
	;; [unrolled: 1-line block ×8, first 2 shown]
	s_wait_loadcnt_dscnt 0x0
	s_barrier_signal -1
	s_barrier_wait -1
	global_inv scope:SCOPE_SE
	ds_load_b128 v[0:3], v56
	ds_load_b128 v[4:7], v56 offset:16
	ds_load_b128 v[8:11], v56 offset:32
	;; [unrolled: 1-line block ×3, first 2 shown]
	s_wait_loadcnt_dscnt 0x0
	s_barrier_signal -1
	s_barrier_wait -1
	global_inv scope:SCOPE_SE
	ds_store_b64 v48, v[93:94]
	ds_store_b64 v49, v[91:92]
	;; [unrolled: 1-line block ×8, first 2 shown]
	s_wait_loadcnt_dscnt 0x0
	s_barrier_signal -1
	s_barrier_wait -1
	global_inv scope:SCOPE_SE
	ds_load_b128 v[52:55], v56
	ds_load_b128 v[48:51], v56 offset:16
	v_cmp_lt_i64_e32 vcc_lo, -1, v[0:1]
	v_ashrrev_i32_e32 v66, 31, v3
	v_ashrrev_i32_e32 v57, 31, v1
	s_wait_alu 0xfffd
	v_cndmask_b32_e64 v64, 0x80000000, -1, vcc_lo
	v_cmp_lt_i64_e32 vcc_lo, -1, v[2:3]
	v_not_b32_e32 v66, v66
	v_not_b32_e32 v65, v57
	ds_load_b128 v[60:63], v56 offset:32
	ds_load_b128 v[56:59], v56 offset:48
	v_xor_b32_e32 v1, v64, v1
	v_ashrrev_i32_e32 v64, 31, v5
	s_wait_alu 0xfffd
	v_cndmask_b32_e64 v67, 0x80000000, -1, vcc_lo
	v_cmp_lt_i64_e32 vcc_lo, -1, v[4:5]
	v_xor_b32_e32 v2, v66, v2
	v_xor_b32_e32 v0, v65, v0
	v_ashrrev_i32_e32 v65, 31, v7
	v_xor_b32_e32 v3, v67, v3
	v_not_b32_e32 v64, v64
	s_wait_alu 0xfffd
	v_cndmask_b32_e64 v66, 0x80000000, -1, vcc_lo
	v_cmp_lt_i64_e32 vcc_lo, -1, v[6:7]
	v_not_b32_e32 v65, v65
	v_xor_b32_e32 v4, v64, v4
	v_ashrrev_i32_e32 v64, 31, v9
	v_xor_b32_e32 v5, v66, v5
	s_wait_alu 0xfffd
	v_cndmask_b32_e64 v67, 0x80000000, -1, vcc_lo
	v_cmp_lt_i64_e32 vcc_lo, -1, v[8:9]
	v_xor_b32_e32 v6, v65, v6
	v_not_b32_e32 v64, v64
	v_ashrrev_i32_e32 v66, 31, v11
	v_xor_b32_e32 v7, v67, v7
	s_wait_alu 0xfffd
	v_cndmask_b32_e64 v65, 0x80000000, -1, vcc_lo
	v_cmp_lt_i64_e32 vcc_lo, -1, v[10:11]
	v_xor_b32_e32 v8, v64, v8
	v_not_b32_e32 v64, v66
	v_ashrrev_i32_e32 v66, 31, v15
	v_xor_b32_e32 v9, v65, v9
	v_ashrrev_i32_e32 v65, 31, v13
	s_wait_alu 0xfffd
	v_cndmask_b32_e64 v67, 0x80000000, -1, vcc_lo
	v_cmp_lt_i64_e32 vcc_lo, -1, v[12:13]
	v_not_b32_e32 v66, v66
	v_xor_b32_e32 v10, v64, v10
	v_not_b32_e32 v65, v65
	v_xor_b32_e32 v11, v67, v11
	s_wait_alu 0xfffd
	v_cndmask_b32_e64 v67, 0x80000000, -1, vcc_lo
	v_cmp_lt_i64_e32 vcc_lo, -1, v[14:15]
	v_xor_b32_e32 v12, v65, v12
	v_xor_b32_e32 v14, v66, v14
	s_delay_alu instid0(VALU_DEP_4) | instskip(SKIP_2) | instid1(VALU_DEP_1)
	v_xor_b32_e32 v13, v67, v13
	s_wait_alu 0xfffd
	v_cndmask_b32_e64 v69, 0x80000000, -1, vcc_lo
	v_xor_b32_e32 v15, v69, v15
	s_branch .LBB196_106
.LBB196_79:
	v_cmp_gt_i64_e32 vcc_lo, 0, v[28:29]
	v_not_b32_e32 v12, v122
	v_not_b32_e32 v8, v124
	;; [unrolled: 1-line block ×4, first 2 shown]
	v_or_b32_e32 v14, v116, v117
	s_wait_alu 0xfffd
	v_cndmask_b32_e64 v0, 0x7fffffff, 0, vcc_lo
	v_cmp_gt_i64_e32 vcc_lo, 0, v[30:31]
	s_getpc_b64 s[0:1]
	s_sext_i32_i16 s1, s1
	s_add_co_u32 s0, s0, _ZN7rocprim17ROCPRIM_400000_NS16block_radix_sortIdLj256ELj8ElLj1ELj1ELj0ELNS0_26block_radix_rank_algorithmE1ELNS0_18block_padding_hintE2ELNS0_4arch9wavefront6targetE0EE19radix_bits_per_passE@rel32@lo+8
	s_add_co_ci_u32 s1, s1, _ZN7rocprim17ROCPRIM_400000_NS16block_radix_sortIdLj256ELj8ElLj1ELj1ELj0ELNS0_26block_radix_rank_algorithmE1ELNS0_18block_padding_hintE2ELNS0_4arch9wavefront6targetE0EE19radix_bits_per_passE@rel32@hi+16
	v_cmp_gt_u32_e64 s15, 8, v68
	s_load_b32 s33, s[0:1], 0x0
	v_xor_b32_e32 v1, v0, v29
	v_xor_b32_e32 v0, v2, v28
	v_cndmask_b32_e64 v3, 0x7fffffff, 0, vcc_lo
	v_cmp_gt_i64_e32 vcc_lo, 0, v[24:25]
	v_xor_b32_e32 v2, v4, v30
	v_not_b32_e32 v4, v125
	v_cmp_lt_u32_e64 s16, 31, v68
	v_xor_b32_e32 v3, v3, v31
	v_cmp_eq_u32_e64 s17, 0, v68
	s_wait_alu 0xfffd
	v_cndmask_b32_e64 v5, 0x7fffffff, 0, vcc_lo
	v_cmp_gt_i64_e32 vcc_lo, 0, v[26:27]
	v_xor_b32_e32 v4, v4, v24
	v_add_nc_u32_e32 v73, -4, v114
	v_add_nc_u32_e32 v75, v113, v115
	v_xor_b32_e32 v5, v5, v25
	s_wait_alu 0xfffd
	v_cndmask_b32_e64 v6, 0x7fffffff, 0, vcc_lo
	v_cmp_gt_i64_e32 vcc_lo, 0, v[20:21]
	s_delay_alu instid0(VALU_DEP_2)
	v_xor_b32_e32 v7, v6, v27
	v_xor_b32_e32 v6, v8, v26
	s_wait_alu 0xfffd
	v_cndmask_b32_e64 v9, 0x7fffffff, 0, vcc_lo
	v_cmp_gt_i64_e32 vcc_lo, 0, v[22:23]
	v_not_b32_e32 v8, v123
	s_delay_alu instid0(VALU_DEP_3)
	v_xor_b32_e32 v9, v9, v21
	s_wait_alu 0xfffd
	v_cndmask_b32_e64 v10, 0x7fffffff, 0, vcc_lo
	v_cmp_gt_i64_e32 vcc_lo, 0, v[16:17]
	v_xor_b32_e32 v8, v8, v20
	v_lshlrev_b32_e32 v20, 6, v14
	ds_store_b128 v20, v[0:3]
	ds_store_b128 v20, v[4:7] offset:16
	s_wait_alu 0xfffd
	v_cndmask_b32_e64 v13, 0x7fffffff, 0, vcc_lo
	v_xor_b32_e32 v11, v10, v23
	v_xor_b32_e32 v10, v12, v22
	v_not_b32_e32 v12, v121
	v_cmp_gt_i64_e32 vcc_lo, 0, v[18:19]
	v_xor_b32_e32 v13, v13, v17
	v_not_b32_e32 v17, v120
	s_delay_alu instid0(VALU_DEP_4) | instskip(SKIP_4) | instid1(VALU_DEP_3)
	v_xor_b32_e32 v12, v12, v16
	v_and_or_b32 v16, 0x1f00, v112, v116
	s_wait_alu 0xfffd
	v_cndmask_b32_e64 v15, 0x7fffffff, 0, vcc_lo
	v_xor_b32_e32 v14, v17, v18
	v_lshlrev_b32_e32 v71, 3, v16
	s_delay_alu instid0(VALU_DEP_3)
	v_xor_b32_e32 v15, v15, v19
	ds_store_b128 v20, v[8:11] offset:32
	ds_store_b128 v20, v[12:15] offset:48
	; wave barrier
	ds_load_2addr_b64 v[4:7], v71 offset1:32
	ds_load_2addr_b64 v[8:11], v71 offset0:64 offset1:96
	ds_load_2addr_b64 v[12:15], v71 offset0:128 offset1:160
	s_wait_dscnt 0x9
	ds_load_2addr_b64 v[48:51], v71 offset0:192 offset1:224
	; wave barrier
	ds_store_b128 v20, v[44:47]
	ds_store_b128 v20, v[40:43] offset:16
	ds_store_b128 v20, v[36:39] offset:32
	;; [unrolled: 1-line block ×3, first 2 shown]
	; wave barrier
	ds_load_2addr_b64 v[16:19], v71 offset1:32
	ds_load_2addr_b64 v[20:23], v71 offset0:64 offset1:96
	ds_load_2addr_b64 v[24:27], v71 offset0:128 offset1:160
	ds_load_2addr_b64 v[28:31], v71 offset0:192 offset1:224
	s_wait_loadcnt_dscnt 0x0
	s_barrier_signal -1
	s_barrier_wait -1
	global_inv scope:SCOPE_SE
	s_load_b32 s10, s[24:25], 0xc
	s_mov_b32 s24, 0
	s_delay_alu instid0(SALU_CYCLE_1) | instskip(SKIP_4) | instid1(VALU_DEP_2)
	s_mov_b32 s25, s24
	s_mov_b32 s26, s24
	;; [unrolled: 1-line block ×3, first 2 shown]
	v_and_b32_e32 v2, 15, v116
	v_and_b32_e32 v3, 16, v116
	v_cmp_lt_u32_e64 s1, 1, v2
	v_cmp_lt_u32_e64 s12, 7, v2
	s_delay_alu instid0(VALU_DEP_3)
	v_cmp_eq_u32_e64 s13, 0, v3
	s_wait_kmcnt 0x0
	s_lshr_b32 s11, s10, 16
	s_and_b32 s0, s10, 0xffff
	s_wait_alu 0xfffe
	v_mad_u32_u24 v0, v119, s11, v118
	v_sub_co_u32 v32, s10, v116, 1
	v_cmp_lt_u32_e64 s11, 3, v2
	s_delay_alu instid0(VALU_DEP_3) | instskip(SKIP_1) | instid1(VALU_DEP_4)
	v_mad_co_u64_u32 v[0:1], null, v0, s0, v[68:69]
	v_min_u32_e32 v1, 0xe0, v117
	v_cmp_gt_i32_e32 vcc_lo, 0, v32
	v_cmp_eq_u32_e64 s0, 0, v2
	s_delay_alu instid0(VALU_DEP_3)
	v_or_b32_e32 v1, 31, v1
	s_wait_alu 0xfffd
	v_cndmask_b32_e32 v2, v32, v116, vcc_lo
	v_lshrrev_b32_e32 v0, 3, v0
	v_mov_b32_e32 v32, 0
	v_mov_b32_e32 v33, 0
	v_cmp_eq_u32_e64 s14, v68, v1
	v_and_b32_e32 v1, 7, v116
	v_lshlrev_b32_e32 v72, 2, v2
	v_and_b32_e32 v74, 0x1ffffffc, v0
	s_delay_alu instid0(VALU_DEP_3)
	v_cmp_eq_u32_e64 s18, 0, v1
	v_cmp_lt_u32_e64 s19, 1, v1
	v_cmp_lt_u32_e64 s20, 3, v1
	v_dual_mov_b32 v0, s24 :: v_dual_mov_b32 v1, s25
	v_dual_mov_b32 v2, s26 :: v_dual_mov_b32 v3, s27
	s_mov_b32 s26, 64
	s_brev_b32 s25, 1
	s_branch .LBB196_81
.LBB196_80:                             ;   in Loop: Header=BB196_81 Depth=1
	s_wait_alu 0xfffe
	s_and_not1_b32 vcc_lo, exec_lo, s21
	s_wait_alu 0xfffe
	s_cbranch_vccz .LBB196_105
.LBB196_81:                             ; =>This Inner Loop Header: Depth=1
	v_dual_mov_b32 v35, v5 :: v_dual_mov_b32 v34, v4
	s_wait_alu 0xfffe
	s_min_u32 s21, s33, s26
	v_dual_mov_b32 v70, v7 :: v_dual_mov_b32 v59, v19
	s_wait_alu 0xfffe
	s_lshl_b32 s21, -1, s21
	v_cmp_ne_u64_e32 vcc_lo, s[24:25], v[34:35]
	s_wait_alu 0xfffe
	s_not_b32 s27, s21
	v_mov_b32_e32 v58, v18
	ds_store_b128 v113, v[0:3] offset:32
	ds_store_b128 v113, v[0:3] offset:48
	s_wait_loadcnt_dscnt 0x0
	s_wait_alu 0xfffd
	v_dual_mov_b32 v36, v50 :: v_dual_cndmask_b32 v5, 0x7fffffff, v35
	v_dual_cndmask_b32 v4, -1, v34 :: v_dual_mov_b32 v37, v51
	s_barrier_signal -1
	s_barrier_wait -1
	global_inv scope:SCOPE_SE
	v_lshrrev_b64 v[4:5], v32, v[4:5]
	; wave barrier
	v_dual_mov_b32 v38, v48 :: v_dual_mov_b32 v39, v49
	v_mov_b32_e32 v63, v13
	s_wait_alu 0xfffe
	s_delay_alu instid0(VALU_DEP_3) | instskip(SKIP_2) | instid1(VALU_DEP_3)
	v_and_b32_e32 v5, s27, v4
	v_dual_mov_b32 v41, v15 :: v_dual_mov_b32 v40, v14
	v_dual_mov_b32 v65, v11 :: v_dual_mov_b32 v62, v12
	v_lshlrev_b32_e32 v15, 29, v5
	v_and_b32_e32 v4, 1, v5
	v_lshlrev_b32_e32 v14, 30, v5
	v_lshlrev_b32_e32 v42, 28, v5
	v_dual_mov_b32 v67, v9 :: v_dual_lshlrev_b32 v44, 27, v5
	s_delay_alu instid0(VALU_DEP_4)
	v_add_co_u32 v4, s21, v4, -1
	s_wait_alu 0xf1ff
	v_cndmask_b32_e64 v43, 0, 1, s21
	v_not_b32_e32 v47, v14
	v_cmp_gt_i32_e64 s21, 0, v14
	v_not_b32_e32 v14, v15
	v_dual_mov_b32 v64, v10 :: v_dual_lshlrev_b32 v45, 26, v5
	v_cmp_ne_u32_e32 vcc_lo, 0, v43
	v_ashrrev_i32_e32 v47, 31, v47
	s_delay_alu instid0(VALU_DEP_4)
	v_ashrrev_i32_e32 v14, 31, v14
	v_dual_mov_b32 v69, v6 :: v_dual_lshlrev_b32 v46, 25, v5
	s_wait_alu 0xfffd
	v_xor_b32_e32 v4, vcc_lo, v4
	v_cmp_gt_i32_e32 vcc_lo, 0, v15
	v_not_b32_e32 v15, v42
	s_wait_alu 0xf1ff
	v_xor_b32_e32 v47, s21, v47
	v_cmp_gt_i32_e64 s21, 0, v42
	v_and_b32_e32 v4, exec_lo, v4
	v_not_b32_e32 v42, v44
	v_ashrrev_i32_e32 v15, 31, v15
	s_wait_alu 0xfffd
	v_xor_b32_e32 v14, vcc_lo, v14
	v_cmp_gt_i32_e32 vcc_lo, 0, v44
	v_and_b32_e32 v4, v4, v47
	v_not_b32_e32 v44, v45
	v_ashrrev_i32_e32 v42, 31, v42
	s_wait_alu 0xf1ff
	v_xor_b32_e32 v15, s21, v15
	v_dual_mov_b32 v66, v8 :: v_dual_lshlrev_b32 v43, 24, v5
	v_and_b32_e32 v4, v4, v14
	v_cmp_gt_i32_e64 s21, 0, v45
	v_not_b32_e32 v14, v46
	v_ashrrev_i32_e32 v44, 31, v44
	s_wait_alu 0xfffd
	v_xor_b32_e32 v42, vcc_lo, v42
	v_cmp_gt_i32_e32 vcc_lo, 0, v46
	v_dual_mov_b32 v47, v27 :: v_dual_and_b32 v4, v4, v15
	v_mov_b32_e32 v53, v25
	v_not_b32_e32 v15, v43
	v_ashrrev_i32_e32 v14, 31, v14
	s_wait_alu 0xf1ff
	v_xor_b32_e32 v44, s21, v44
	v_dual_mov_b32 v55, v23 :: v_dual_and_b32 v4, v4, v42
	v_cmp_gt_i32_e64 s21, 0, v43
	v_ashrrev_i32_e32 v12, 31, v15
	s_wait_alu 0xfffd
	v_xor_b32_e32 v13, vcc_lo, v14
	v_dual_mov_b32 v57, v21 :: v_dual_and_b32 v4, v4, v44
	v_mov_b32_e32 v61, v17
	s_wait_alu 0xf1ff
	v_xor_b32_e32 v6, s21, v12
	s_delay_alu instid0(VALU_DEP_3) | instskip(SKIP_2) | instid1(VALU_DEP_3)
	v_dual_mov_b32 v43, v31 :: v_dual_and_b32 v4, v4, v13
	v_dual_mov_b32 v42, v30 :: v_dual_lshlrev_b32 v5, 5, v5
	v_dual_mov_b32 v45, v29 :: v_dual_mov_b32 v44, v28
	v_and_b32_e32 v4, v4, v6
	v_mov_b32_e32 v46, v26
	v_mov_b32_e32 v52, v24
	;; [unrolled: 1-line block ×4, first 2 shown]
	v_mbcnt_lo_u32_b32 v12, v4, 0
	v_cmp_ne_u32_e64 s21, 0, v4
	v_dual_mov_b32 v60, v16 :: v_dual_add_nc_u32 v13, v74, v5
	s_delay_alu instid0(VALU_DEP_3) | instskip(SKIP_1) | instid1(SALU_CYCLE_1)
	v_cmp_eq_u32_e32 vcc_lo, 0, v12
	s_and_b32 s36, s21, vcc_lo
	s_and_saveexec_b32 s21, s36
; %bb.82:                               ;   in Loop: Header=BB196_81 Depth=1
	v_bcnt_u32_b32 v4, v4, 0
	ds_store_b32 v13, v4 offset:32
; %bb.83:                               ;   in Loop: Header=BB196_81 Depth=1
	s_wait_alu 0xfffe
	s_or_b32 exec_lo, exec_lo, s21
	v_cmp_ne_u64_e32 vcc_lo, s[24:25], v[69:70]
	; wave barrier
	s_wait_alu 0xfffd
	v_cndmask_b32_e32 v5, 0x7fffffff, v70, vcc_lo
	v_cndmask_b32_e32 v4, -1, v69, vcc_lo
	s_delay_alu instid0(VALU_DEP_1) | instskip(NEXT) | instid1(VALU_DEP_1)
	v_lshrrev_b64 v[4:5], v32, v[4:5]
	v_and_b32_e32 v4, s27, v4
	s_delay_alu instid0(VALU_DEP_1)
	v_and_b32_e32 v5, 1, v4
	v_lshlrev_b32_e32 v6, 30, v4
	v_lshlrev_b32_e32 v7, 29, v4
	v_lshlrev_b32_e32 v8, 28, v4
	v_lshlrev_b32_e32 v10, 27, v4
	v_add_co_u32 v5, s21, v5, -1
	s_wait_alu 0xf1ff
	v_cndmask_b32_e64 v9, 0, 1, s21
	v_not_b32_e32 v15, v6
	v_cmp_gt_i32_e64 s21, 0, v6
	v_not_b32_e32 v6, v7
	v_lshlrev_b32_e32 v11, 26, v4
	v_cmp_ne_u32_e32 vcc_lo, 0, v9
	v_ashrrev_i32_e32 v15, 31, v15
	v_lshlrev_b32_e32 v14, 25, v4
	v_ashrrev_i32_e32 v6, 31, v6
	v_lshlrev_b32_e32 v9, 24, v4
	s_wait_alu 0xfffd
	v_xor_b32_e32 v5, vcc_lo, v5
	v_cmp_gt_i32_e32 vcc_lo, 0, v7
	v_not_b32_e32 v7, v8
	s_wait_alu 0xf1ff
	v_xor_b32_e32 v15, s21, v15
	v_cmp_gt_i32_e64 s21, 0, v8
	v_and_b32_e32 v5, exec_lo, v5
	v_not_b32_e32 v8, v10
	v_ashrrev_i32_e32 v7, 31, v7
	s_wait_alu 0xfffd
	v_xor_b32_e32 v6, vcc_lo, v6
	v_cmp_gt_i32_e32 vcc_lo, 0, v10
	v_and_b32_e32 v5, v5, v15
	v_not_b32_e32 v10, v11
	v_ashrrev_i32_e32 v8, 31, v8
	s_wait_alu 0xf1ff
	v_xor_b32_e32 v7, s21, v7
	v_cmp_gt_i32_e64 s21, 0, v11
	v_and_b32_e32 v5, v5, v6
	v_not_b32_e32 v6, v14
	v_ashrrev_i32_e32 v10, 31, v10
	s_wait_alu 0xfffd
	v_xor_b32_e32 v8, vcc_lo, v8
	v_cmp_gt_i32_e32 vcc_lo, 0, v14
	v_and_b32_e32 v5, v5, v7
	v_not_b32_e32 v7, v9
	v_ashrrev_i32_e32 v6, 31, v6
	s_wait_alu 0xf1ff
	v_xor_b32_e32 v10, s21, v10
	v_lshlrev_b32_e32 v4, 5, v4
	v_and_b32_e32 v5, v5, v8
	v_cmp_gt_i32_e64 s21, 0, v9
	v_ashrrev_i32_e32 v7, 31, v7
	s_wait_alu 0xfffd
	v_xor_b32_e32 v6, vcc_lo, v6
	v_add_nc_u32_e32 v16, v74, v4
	v_and_b32_e32 v5, v5, v10
	s_wait_alu 0xf1ff
	v_xor_b32_e32 v4, s21, v7
	ds_load_b32 v14, v16 offset:32
	v_and_b32_e32 v5, v5, v6
	; wave barrier
	s_delay_alu instid0(VALU_DEP_1) | instskip(NEXT) | instid1(VALU_DEP_1)
	v_and_b32_e32 v4, v5, v4
	v_mbcnt_lo_u32_b32 v15, v4, 0
	v_cmp_ne_u32_e64 s21, 0, v4
	s_delay_alu instid0(VALU_DEP_2) | instskip(SKIP_1) | instid1(SALU_CYCLE_1)
	v_cmp_eq_u32_e32 vcc_lo, 0, v15
	s_and_b32 s36, s21, vcc_lo
	s_and_saveexec_b32 s21, s36
	s_cbranch_execz .LBB196_85
; %bb.84:                               ;   in Loop: Header=BB196_81 Depth=1
	s_wait_dscnt 0x0
	v_bcnt_u32_b32 v4, v4, v14
	ds_store_b32 v16, v4 offset:32
.LBB196_85:                             ;   in Loop: Header=BB196_81 Depth=1
	s_wait_alu 0xfffe
	s_or_b32 exec_lo, exec_lo, s21
	v_cmp_ne_u64_e32 vcc_lo, s[24:25], v[66:67]
	; wave barrier
	s_wait_alu 0xfffd
	v_cndmask_b32_e32 v5, 0x7fffffff, v67, vcc_lo
	v_cndmask_b32_e32 v4, -1, v66, vcc_lo
	s_delay_alu instid0(VALU_DEP_1) | instskip(NEXT) | instid1(VALU_DEP_1)
	v_lshrrev_b64 v[4:5], v32, v[4:5]
	v_and_b32_e32 v4, s27, v4
	s_delay_alu instid0(VALU_DEP_1)
	v_and_b32_e32 v5, 1, v4
	v_lshlrev_b32_e32 v6, 30, v4
	v_lshlrev_b32_e32 v7, 29, v4
	;; [unrolled: 1-line block ×4, first 2 shown]
	v_add_co_u32 v5, s21, v5, -1
	s_wait_alu 0xf1ff
	v_cndmask_b32_e64 v9, 0, 1, s21
	v_not_b32_e32 v18, v6
	v_cmp_gt_i32_e64 s21, 0, v6
	v_not_b32_e32 v6, v7
	v_lshlrev_b32_e32 v11, 26, v4
	v_cmp_ne_u32_e32 vcc_lo, 0, v9
	v_ashrrev_i32_e32 v18, 31, v18
	v_lshlrev_b32_e32 v17, 25, v4
	v_ashrrev_i32_e32 v6, 31, v6
	v_lshlrev_b32_e32 v9, 24, v4
	s_wait_alu 0xfffd
	v_xor_b32_e32 v5, vcc_lo, v5
	v_cmp_gt_i32_e32 vcc_lo, 0, v7
	v_not_b32_e32 v7, v8
	s_wait_alu 0xf1ff
	v_xor_b32_e32 v18, s21, v18
	v_cmp_gt_i32_e64 s21, 0, v8
	v_and_b32_e32 v5, exec_lo, v5
	v_not_b32_e32 v8, v10
	v_ashrrev_i32_e32 v7, 31, v7
	s_wait_alu 0xfffd
	v_xor_b32_e32 v6, vcc_lo, v6
	v_cmp_gt_i32_e32 vcc_lo, 0, v10
	v_and_b32_e32 v5, v5, v18
	v_not_b32_e32 v10, v11
	v_ashrrev_i32_e32 v8, 31, v8
	s_wait_alu 0xf1ff
	v_xor_b32_e32 v7, s21, v7
	v_cmp_gt_i32_e64 s21, 0, v11
	v_and_b32_e32 v5, v5, v6
	v_not_b32_e32 v6, v17
	v_ashrrev_i32_e32 v10, 31, v10
	s_wait_alu 0xfffd
	v_xor_b32_e32 v8, vcc_lo, v8
	v_cmp_gt_i32_e32 vcc_lo, 0, v17
	v_and_b32_e32 v5, v5, v7
	v_not_b32_e32 v7, v9
	v_ashrrev_i32_e32 v6, 31, v6
	s_wait_alu 0xf1ff
	v_xor_b32_e32 v10, s21, v10
	v_lshlrev_b32_e32 v4, 5, v4
	v_and_b32_e32 v5, v5, v8
	v_cmp_gt_i32_e64 s21, 0, v9
	v_ashrrev_i32_e32 v7, 31, v7
	s_wait_alu 0xfffd
	v_xor_b32_e32 v6, vcc_lo, v6
	v_add_nc_u32_e32 v19, v74, v4
	v_and_b32_e32 v5, v5, v10
	s_wait_alu 0xf1ff
	v_xor_b32_e32 v4, s21, v7
	ds_load_b32 v17, v19 offset:32
	v_and_b32_e32 v5, v5, v6
	; wave barrier
	s_delay_alu instid0(VALU_DEP_1) | instskip(NEXT) | instid1(VALU_DEP_1)
	v_and_b32_e32 v4, v5, v4
	v_mbcnt_lo_u32_b32 v18, v4, 0
	v_cmp_ne_u32_e64 s21, 0, v4
	s_delay_alu instid0(VALU_DEP_2) | instskip(SKIP_1) | instid1(SALU_CYCLE_1)
	v_cmp_eq_u32_e32 vcc_lo, 0, v18
	s_and_b32 s36, s21, vcc_lo
	s_and_saveexec_b32 s21, s36
	s_cbranch_execz .LBB196_87
; %bb.86:                               ;   in Loop: Header=BB196_81 Depth=1
	s_wait_dscnt 0x0
	v_bcnt_u32_b32 v4, v4, v17
	ds_store_b32 v19, v4 offset:32
.LBB196_87:                             ;   in Loop: Header=BB196_81 Depth=1
	s_wait_alu 0xfffe
	s_or_b32 exec_lo, exec_lo, s21
	v_cmp_ne_u64_e32 vcc_lo, s[24:25], v[64:65]
	; wave barrier
	s_wait_alu 0xfffd
	v_cndmask_b32_e32 v5, 0x7fffffff, v65, vcc_lo
	v_cndmask_b32_e32 v4, -1, v64, vcc_lo
	s_delay_alu instid0(VALU_DEP_1) | instskip(NEXT) | instid1(VALU_DEP_1)
	v_lshrrev_b64 v[4:5], v32, v[4:5]
	v_and_b32_e32 v4, s27, v4
	s_delay_alu instid0(VALU_DEP_1)
	v_and_b32_e32 v5, 1, v4
	v_lshlrev_b32_e32 v6, 30, v4
	v_lshlrev_b32_e32 v7, 29, v4
	;; [unrolled: 1-line block ×4, first 2 shown]
	v_add_co_u32 v5, s21, v5, -1
	s_wait_alu 0xf1ff
	v_cndmask_b32_e64 v9, 0, 1, s21
	v_not_b32_e32 v21, v6
	v_cmp_gt_i32_e64 s21, 0, v6
	v_not_b32_e32 v6, v7
	v_lshlrev_b32_e32 v11, 26, v4
	v_cmp_ne_u32_e32 vcc_lo, 0, v9
	v_ashrrev_i32_e32 v21, 31, v21
	v_lshlrev_b32_e32 v20, 25, v4
	v_ashrrev_i32_e32 v6, 31, v6
	v_lshlrev_b32_e32 v9, 24, v4
	s_wait_alu 0xfffd
	v_xor_b32_e32 v5, vcc_lo, v5
	v_cmp_gt_i32_e32 vcc_lo, 0, v7
	v_not_b32_e32 v7, v8
	s_wait_alu 0xf1ff
	v_xor_b32_e32 v21, s21, v21
	v_cmp_gt_i32_e64 s21, 0, v8
	v_and_b32_e32 v5, exec_lo, v5
	v_not_b32_e32 v8, v10
	v_ashrrev_i32_e32 v7, 31, v7
	s_wait_alu 0xfffd
	v_xor_b32_e32 v6, vcc_lo, v6
	v_cmp_gt_i32_e32 vcc_lo, 0, v10
	v_and_b32_e32 v5, v5, v21
	v_not_b32_e32 v10, v11
	v_ashrrev_i32_e32 v8, 31, v8
	s_wait_alu 0xf1ff
	v_xor_b32_e32 v7, s21, v7
	v_cmp_gt_i32_e64 s21, 0, v11
	v_and_b32_e32 v5, v5, v6
	v_not_b32_e32 v6, v20
	v_ashrrev_i32_e32 v10, 31, v10
	s_wait_alu 0xfffd
	v_xor_b32_e32 v8, vcc_lo, v8
	v_cmp_gt_i32_e32 vcc_lo, 0, v20
	v_and_b32_e32 v5, v5, v7
	v_not_b32_e32 v7, v9
	v_ashrrev_i32_e32 v6, 31, v6
	s_wait_alu 0xf1ff
	v_xor_b32_e32 v10, s21, v10
	v_lshlrev_b32_e32 v4, 5, v4
	v_and_b32_e32 v5, v5, v8
	v_cmp_gt_i32_e64 s21, 0, v9
	v_ashrrev_i32_e32 v7, 31, v7
	s_wait_alu 0xfffd
	v_xor_b32_e32 v6, vcc_lo, v6
	v_add_nc_u32_e32 v22, v74, v4
	v_and_b32_e32 v5, v5, v10
	s_wait_alu 0xf1ff
	v_xor_b32_e32 v4, s21, v7
	ds_load_b32 v20, v22 offset:32
	v_and_b32_e32 v5, v5, v6
	; wave barrier
	s_delay_alu instid0(VALU_DEP_1) | instskip(NEXT) | instid1(VALU_DEP_1)
	v_and_b32_e32 v4, v5, v4
	v_mbcnt_lo_u32_b32 v21, v4, 0
	v_cmp_ne_u32_e64 s21, 0, v4
	s_delay_alu instid0(VALU_DEP_2) | instskip(SKIP_1) | instid1(SALU_CYCLE_1)
	v_cmp_eq_u32_e32 vcc_lo, 0, v21
	s_and_b32 s36, s21, vcc_lo
	s_and_saveexec_b32 s21, s36
	s_cbranch_execz .LBB196_89
; %bb.88:                               ;   in Loop: Header=BB196_81 Depth=1
	s_wait_dscnt 0x0
	v_bcnt_u32_b32 v4, v4, v20
	ds_store_b32 v22, v4 offset:32
.LBB196_89:                             ;   in Loop: Header=BB196_81 Depth=1
	s_wait_alu 0xfffe
	s_or_b32 exec_lo, exec_lo, s21
	v_cmp_ne_u64_e32 vcc_lo, s[24:25], v[62:63]
	; wave barrier
	s_wait_alu 0xfffd
	v_cndmask_b32_e32 v5, 0x7fffffff, v63, vcc_lo
	v_cndmask_b32_e32 v4, -1, v62, vcc_lo
	s_delay_alu instid0(VALU_DEP_1) | instskip(NEXT) | instid1(VALU_DEP_1)
	v_lshrrev_b64 v[4:5], v32, v[4:5]
	v_and_b32_e32 v4, s27, v4
	s_delay_alu instid0(VALU_DEP_1)
	v_and_b32_e32 v5, 1, v4
	v_lshlrev_b32_e32 v6, 30, v4
	v_lshlrev_b32_e32 v7, 29, v4
	v_lshlrev_b32_e32 v8, 28, v4
	v_lshlrev_b32_e32 v10, 27, v4
	v_add_co_u32 v5, s21, v5, -1
	s_wait_alu 0xf1ff
	v_cndmask_b32_e64 v9, 0, 1, s21
	v_not_b32_e32 v24, v6
	v_cmp_gt_i32_e64 s21, 0, v6
	v_not_b32_e32 v6, v7
	v_lshlrev_b32_e32 v11, 26, v4
	v_cmp_ne_u32_e32 vcc_lo, 0, v9
	v_ashrrev_i32_e32 v24, 31, v24
	v_lshlrev_b32_e32 v23, 25, v4
	v_ashrrev_i32_e32 v6, 31, v6
	v_lshlrev_b32_e32 v9, 24, v4
	s_wait_alu 0xfffd
	v_xor_b32_e32 v5, vcc_lo, v5
	v_cmp_gt_i32_e32 vcc_lo, 0, v7
	v_not_b32_e32 v7, v8
	s_wait_alu 0xf1ff
	v_xor_b32_e32 v24, s21, v24
	v_cmp_gt_i32_e64 s21, 0, v8
	v_and_b32_e32 v5, exec_lo, v5
	v_not_b32_e32 v8, v10
	v_ashrrev_i32_e32 v7, 31, v7
	s_wait_alu 0xfffd
	v_xor_b32_e32 v6, vcc_lo, v6
	v_cmp_gt_i32_e32 vcc_lo, 0, v10
	v_and_b32_e32 v5, v5, v24
	v_not_b32_e32 v10, v11
	v_ashrrev_i32_e32 v8, 31, v8
	s_wait_alu 0xf1ff
	v_xor_b32_e32 v7, s21, v7
	v_cmp_gt_i32_e64 s21, 0, v11
	v_and_b32_e32 v5, v5, v6
	v_not_b32_e32 v6, v23
	v_ashrrev_i32_e32 v10, 31, v10
	s_wait_alu 0xfffd
	v_xor_b32_e32 v8, vcc_lo, v8
	v_cmp_gt_i32_e32 vcc_lo, 0, v23
	v_and_b32_e32 v5, v5, v7
	v_not_b32_e32 v7, v9
	v_ashrrev_i32_e32 v6, 31, v6
	s_wait_alu 0xf1ff
	v_xor_b32_e32 v10, s21, v10
	v_lshlrev_b32_e32 v4, 5, v4
	v_and_b32_e32 v5, v5, v8
	v_cmp_gt_i32_e64 s21, 0, v9
	v_ashrrev_i32_e32 v7, 31, v7
	s_wait_alu 0xfffd
	v_xor_b32_e32 v6, vcc_lo, v6
	v_add_nc_u32_e32 v25, v74, v4
	v_and_b32_e32 v5, v5, v10
	s_wait_alu 0xf1ff
	v_xor_b32_e32 v4, s21, v7
	ds_load_b32 v23, v25 offset:32
	v_and_b32_e32 v5, v5, v6
	; wave barrier
	s_delay_alu instid0(VALU_DEP_1) | instskip(NEXT) | instid1(VALU_DEP_1)
	v_and_b32_e32 v4, v5, v4
	v_mbcnt_lo_u32_b32 v24, v4, 0
	v_cmp_ne_u32_e64 s21, 0, v4
	s_delay_alu instid0(VALU_DEP_2) | instskip(SKIP_1) | instid1(SALU_CYCLE_1)
	v_cmp_eq_u32_e32 vcc_lo, 0, v24
	s_and_b32 s36, s21, vcc_lo
	s_and_saveexec_b32 s21, s36
	s_cbranch_execz .LBB196_91
; %bb.90:                               ;   in Loop: Header=BB196_81 Depth=1
	s_wait_dscnt 0x0
	v_bcnt_u32_b32 v4, v4, v23
	ds_store_b32 v25, v4 offset:32
.LBB196_91:                             ;   in Loop: Header=BB196_81 Depth=1
	s_wait_alu 0xfffe
	s_or_b32 exec_lo, exec_lo, s21
	v_cmp_ne_u64_e32 vcc_lo, s[24:25], v[40:41]
	; wave barrier
	s_wait_alu 0xfffd
	v_cndmask_b32_e32 v5, 0x7fffffff, v41, vcc_lo
	v_cndmask_b32_e32 v4, -1, v40, vcc_lo
	s_delay_alu instid0(VALU_DEP_1) | instskip(NEXT) | instid1(VALU_DEP_1)
	v_lshrrev_b64 v[4:5], v32, v[4:5]
	v_and_b32_e32 v4, s27, v4
	s_delay_alu instid0(VALU_DEP_1)
	v_and_b32_e32 v5, 1, v4
	v_lshlrev_b32_e32 v6, 30, v4
	v_lshlrev_b32_e32 v7, 29, v4
	;; [unrolled: 1-line block ×4, first 2 shown]
	v_add_co_u32 v5, s21, v5, -1
	s_wait_alu 0xf1ff
	v_cndmask_b32_e64 v9, 0, 1, s21
	v_not_b32_e32 v27, v6
	v_cmp_gt_i32_e64 s21, 0, v6
	v_not_b32_e32 v6, v7
	v_lshlrev_b32_e32 v11, 26, v4
	v_cmp_ne_u32_e32 vcc_lo, 0, v9
	v_ashrrev_i32_e32 v27, 31, v27
	v_lshlrev_b32_e32 v26, 25, v4
	v_ashrrev_i32_e32 v6, 31, v6
	v_lshlrev_b32_e32 v9, 24, v4
	s_wait_alu 0xfffd
	v_xor_b32_e32 v5, vcc_lo, v5
	v_cmp_gt_i32_e32 vcc_lo, 0, v7
	v_not_b32_e32 v7, v8
	s_wait_alu 0xf1ff
	v_xor_b32_e32 v27, s21, v27
	v_cmp_gt_i32_e64 s21, 0, v8
	v_and_b32_e32 v5, exec_lo, v5
	v_not_b32_e32 v8, v10
	v_ashrrev_i32_e32 v7, 31, v7
	s_wait_alu 0xfffd
	v_xor_b32_e32 v6, vcc_lo, v6
	v_cmp_gt_i32_e32 vcc_lo, 0, v10
	v_and_b32_e32 v5, v5, v27
	v_not_b32_e32 v10, v11
	v_ashrrev_i32_e32 v8, 31, v8
	s_wait_alu 0xf1ff
	v_xor_b32_e32 v7, s21, v7
	v_cmp_gt_i32_e64 s21, 0, v11
	v_and_b32_e32 v5, v5, v6
	v_not_b32_e32 v6, v26
	v_ashrrev_i32_e32 v10, 31, v10
	s_wait_alu 0xfffd
	v_xor_b32_e32 v8, vcc_lo, v8
	v_cmp_gt_i32_e32 vcc_lo, 0, v26
	v_and_b32_e32 v5, v5, v7
	v_not_b32_e32 v7, v9
	v_ashrrev_i32_e32 v6, 31, v6
	s_wait_alu 0xf1ff
	v_xor_b32_e32 v10, s21, v10
	v_lshlrev_b32_e32 v4, 5, v4
	v_and_b32_e32 v5, v5, v8
	v_cmp_gt_i32_e64 s21, 0, v9
	v_ashrrev_i32_e32 v7, 31, v7
	s_wait_alu 0xfffd
	v_xor_b32_e32 v6, vcc_lo, v6
	v_add_nc_u32_e32 v28, v74, v4
	v_and_b32_e32 v5, v5, v10
	s_wait_alu 0xf1ff
	v_xor_b32_e32 v4, s21, v7
	ds_load_b32 v26, v28 offset:32
	v_and_b32_e32 v5, v5, v6
	; wave barrier
	s_delay_alu instid0(VALU_DEP_1) | instskip(NEXT) | instid1(VALU_DEP_1)
	v_and_b32_e32 v4, v5, v4
	v_mbcnt_lo_u32_b32 v27, v4, 0
	v_cmp_ne_u32_e64 s21, 0, v4
	s_delay_alu instid0(VALU_DEP_2) | instskip(SKIP_1) | instid1(SALU_CYCLE_1)
	v_cmp_eq_u32_e32 vcc_lo, 0, v27
	s_and_b32 s36, s21, vcc_lo
	s_and_saveexec_b32 s21, s36
	s_cbranch_execz .LBB196_93
; %bb.92:                               ;   in Loop: Header=BB196_81 Depth=1
	s_wait_dscnt 0x0
	v_bcnt_u32_b32 v4, v4, v26
	ds_store_b32 v28, v4 offset:32
.LBB196_93:                             ;   in Loop: Header=BB196_81 Depth=1
	s_wait_alu 0xfffe
	s_or_b32 exec_lo, exec_lo, s21
	v_cmp_ne_u64_e32 vcc_lo, s[24:25], v[38:39]
	; wave barrier
	s_wait_alu 0xfffd
	v_cndmask_b32_e32 v5, 0x7fffffff, v39, vcc_lo
	v_cndmask_b32_e32 v4, -1, v38, vcc_lo
	s_delay_alu instid0(VALU_DEP_1) | instskip(NEXT) | instid1(VALU_DEP_1)
	v_lshrrev_b64 v[4:5], v32, v[4:5]
	v_and_b32_e32 v4, s27, v4
	s_delay_alu instid0(VALU_DEP_1)
	v_and_b32_e32 v5, 1, v4
	v_lshlrev_b32_e32 v6, 30, v4
	v_lshlrev_b32_e32 v7, 29, v4
	;; [unrolled: 1-line block ×4, first 2 shown]
	v_add_co_u32 v5, s21, v5, -1
	s_wait_alu 0xf1ff
	v_cndmask_b32_e64 v9, 0, 1, s21
	v_not_b32_e32 v30, v6
	v_cmp_gt_i32_e64 s21, 0, v6
	v_not_b32_e32 v6, v7
	v_lshlrev_b32_e32 v11, 26, v4
	v_cmp_ne_u32_e32 vcc_lo, 0, v9
	v_ashrrev_i32_e32 v30, 31, v30
	v_lshlrev_b32_e32 v29, 25, v4
	v_ashrrev_i32_e32 v6, 31, v6
	v_lshlrev_b32_e32 v9, 24, v4
	s_wait_alu 0xfffd
	v_xor_b32_e32 v5, vcc_lo, v5
	v_cmp_gt_i32_e32 vcc_lo, 0, v7
	v_not_b32_e32 v7, v8
	s_wait_alu 0xf1ff
	v_xor_b32_e32 v30, s21, v30
	v_cmp_gt_i32_e64 s21, 0, v8
	v_and_b32_e32 v5, exec_lo, v5
	v_not_b32_e32 v8, v10
	v_ashrrev_i32_e32 v7, 31, v7
	s_wait_alu 0xfffd
	v_xor_b32_e32 v6, vcc_lo, v6
	v_cmp_gt_i32_e32 vcc_lo, 0, v10
	v_and_b32_e32 v5, v5, v30
	v_not_b32_e32 v10, v11
	v_ashrrev_i32_e32 v8, 31, v8
	s_wait_alu 0xf1ff
	v_xor_b32_e32 v7, s21, v7
	v_cmp_gt_i32_e64 s21, 0, v11
	v_and_b32_e32 v5, v5, v6
	v_not_b32_e32 v6, v29
	v_ashrrev_i32_e32 v10, 31, v10
	s_wait_alu 0xfffd
	v_xor_b32_e32 v8, vcc_lo, v8
	v_cmp_gt_i32_e32 vcc_lo, 0, v29
	v_and_b32_e32 v5, v5, v7
	v_not_b32_e32 v7, v9
	v_ashrrev_i32_e32 v6, 31, v6
	s_wait_alu 0xf1ff
	v_xor_b32_e32 v10, s21, v10
	v_lshlrev_b32_e32 v4, 5, v4
	v_and_b32_e32 v5, v5, v8
	v_cmp_gt_i32_e64 s21, 0, v9
	v_ashrrev_i32_e32 v7, 31, v7
	s_wait_alu 0xfffd
	v_xor_b32_e32 v6, vcc_lo, v6
	v_add_nc_u32_e32 v31, v74, v4
	v_and_b32_e32 v5, v5, v10
	s_wait_alu 0xf1ff
	v_xor_b32_e32 v4, s21, v7
	ds_load_b32 v29, v31 offset:32
	v_and_b32_e32 v5, v5, v6
	; wave barrier
	s_delay_alu instid0(VALU_DEP_1) | instskip(NEXT) | instid1(VALU_DEP_1)
	v_and_b32_e32 v4, v5, v4
	v_mbcnt_lo_u32_b32 v30, v4, 0
	v_cmp_ne_u32_e64 s21, 0, v4
	s_delay_alu instid0(VALU_DEP_2) | instskip(SKIP_1) | instid1(SALU_CYCLE_1)
	v_cmp_eq_u32_e32 vcc_lo, 0, v30
	s_and_b32 s36, s21, vcc_lo
	s_and_saveexec_b32 s21, s36
	s_cbranch_execz .LBB196_95
; %bb.94:                               ;   in Loop: Header=BB196_81 Depth=1
	s_wait_dscnt 0x0
	v_bcnt_u32_b32 v4, v4, v29
	ds_store_b32 v31, v4 offset:32
.LBB196_95:                             ;   in Loop: Header=BB196_81 Depth=1
	s_wait_alu 0xfffe
	s_or_b32 exec_lo, exec_lo, s21
	v_cmp_ne_u64_e32 vcc_lo, s[24:25], v[36:37]
	; wave barrier
	s_wait_alu 0xfffd
	v_cndmask_b32_e32 v5, 0x7fffffff, v37, vcc_lo
	v_cndmask_b32_e32 v4, -1, v36, vcc_lo
	s_delay_alu instid0(VALU_DEP_1) | instskip(NEXT) | instid1(VALU_DEP_1)
	v_lshrrev_b64 v[4:5], v32, v[4:5]
	v_and_b32_e32 v4, s27, v4
	s_delay_alu instid0(VALU_DEP_1)
	v_and_b32_e32 v5, 1, v4
	v_lshlrev_b32_e32 v6, 30, v4
	v_lshlrev_b32_e32 v7, 29, v4
	;; [unrolled: 1-line block ×4, first 2 shown]
	v_add_co_u32 v5, s21, v5, -1
	s_wait_alu 0xf1ff
	v_cndmask_b32_e64 v9, 0, 1, s21
	v_not_b32_e32 v49, v6
	v_cmp_gt_i32_e64 s21, 0, v6
	v_not_b32_e32 v6, v7
	v_lshlrev_b32_e32 v11, 26, v4
	v_cmp_ne_u32_e32 vcc_lo, 0, v9
	v_ashrrev_i32_e32 v49, 31, v49
	v_lshlrev_b32_e32 v48, 25, v4
	v_ashrrev_i32_e32 v6, 31, v6
	v_lshlrev_b32_e32 v9, 24, v4
	s_wait_alu 0xfffd
	v_xor_b32_e32 v5, vcc_lo, v5
	v_cmp_gt_i32_e32 vcc_lo, 0, v7
	v_not_b32_e32 v7, v8
	s_wait_alu 0xf1ff
	v_xor_b32_e32 v49, s21, v49
	v_cmp_gt_i32_e64 s21, 0, v8
	v_and_b32_e32 v5, exec_lo, v5
	v_not_b32_e32 v8, v10
	v_ashrrev_i32_e32 v7, 31, v7
	s_wait_alu 0xfffd
	v_xor_b32_e32 v6, vcc_lo, v6
	v_cmp_gt_i32_e32 vcc_lo, 0, v10
	v_and_b32_e32 v5, v5, v49
	v_not_b32_e32 v10, v11
	v_ashrrev_i32_e32 v8, 31, v8
	s_wait_alu 0xf1ff
	v_xor_b32_e32 v7, s21, v7
	v_cmp_gt_i32_e64 s21, 0, v11
	v_and_b32_e32 v5, v5, v6
	v_not_b32_e32 v6, v48
	v_ashrrev_i32_e32 v10, 31, v10
	s_wait_alu 0xfffd
	v_xor_b32_e32 v8, vcc_lo, v8
	v_cmp_gt_i32_e32 vcc_lo, 0, v48
	v_and_b32_e32 v5, v5, v7
	v_not_b32_e32 v7, v9
	v_ashrrev_i32_e32 v6, 31, v6
	s_wait_alu 0xf1ff
	v_xor_b32_e32 v10, s21, v10
	v_lshlrev_b32_e32 v4, 5, v4
	v_and_b32_e32 v5, v5, v8
	v_cmp_gt_i32_e64 s21, 0, v9
	v_ashrrev_i32_e32 v7, 31, v7
	s_wait_alu 0xfffd
	v_xor_b32_e32 v6, vcc_lo, v6
	v_add_nc_u32_e32 v50, v74, v4
	v_and_b32_e32 v5, v5, v10
	s_wait_alu 0xf1ff
	v_xor_b32_e32 v4, s21, v7
	ds_load_b32 v48, v50 offset:32
	v_and_b32_e32 v5, v5, v6
	; wave barrier
	s_delay_alu instid0(VALU_DEP_1) | instskip(NEXT) | instid1(VALU_DEP_1)
	v_and_b32_e32 v4, v5, v4
	v_mbcnt_lo_u32_b32 v49, v4, 0
	v_cmp_ne_u32_e64 s21, 0, v4
	s_delay_alu instid0(VALU_DEP_2)
	v_cmp_eq_u32_e32 vcc_lo, 0, v49
	s_and_b32 s27, s21, vcc_lo
	s_wait_alu 0xfffe
	s_and_saveexec_b32 s21, s27
	s_cbranch_execz .LBB196_97
; %bb.96:                               ;   in Loop: Header=BB196_81 Depth=1
	s_wait_dscnt 0x0
	v_bcnt_u32_b32 v4, v4, v48
	ds_store_b32 v50, v4 offset:32
.LBB196_97:                             ;   in Loop: Header=BB196_81 Depth=1
	s_wait_alu 0xfffe
	s_or_b32 exec_lo, exec_lo, s21
	; wave barrier
	s_wait_loadcnt_dscnt 0x0
	s_barrier_signal -1
	s_barrier_wait -1
	global_inv scope:SCOPE_SE
	ds_load_b128 v[8:11], v113 offset:32
	ds_load_b128 v[4:7], v113 offset:48
	s_wait_dscnt 0x1
	v_add_nc_u32_e32 v51, v9, v8
	s_delay_alu instid0(VALU_DEP_1) | instskip(SKIP_1) | instid1(VALU_DEP_1)
	v_add3_u32 v51, v51, v10, v11
	s_wait_dscnt 0x0
	v_add3_u32 v51, v51, v4, v5
	s_delay_alu instid0(VALU_DEP_1) | instskip(NEXT) | instid1(VALU_DEP_1)
	v_add3_u32 v7, v51, v6, v7
	v_mov_b32_dpp v51, v7 row_shr:1 row_mask:0xf bank_mask:0xf
	s_delay_alu instid0(VALU_DEP_1) | instskip(NEXT) | instid1(VALU_DEP_1)
	v_cndmask_b32_e64 v51, v51, 0, s0
	v_add_nc_u32_e32 v7, v51, v7
	s_delay_alu instid0(VALU_DEP_1) | instskip(NEXT) | instid1(VALU_DEP_1)
	v_mov_b32_dpp v51, v7 row_shr:2 row_mask:0xf bank_mask:0xf
	v_cndmask_b32_e64 v51, 0, v51, s1
	s_delay_alu instid0(VALU_DEP_1) | instskip(NEXT) | instid1(VALU_DEP_1)
	v_add_nc_u32_e32 v7, v7, v51
	v_mov_b32_dpp v51, v7 row_shr:4 row_mask:0xf bank_mask:0xf
	s_delay_alu instid0(VALU_DEP_1) | instskip(NEXT) | instid1(VALU_DEP_1)
	v_cndmask_b32_e64 v51, 0, v51, s11
	v_add_nc_u32_e32 v7, v7, v51
	s_delay_alu instid0(VALU_DEP_1) | instskip(NEXT) | instid1(VALU_DEP_1)
	v_mov_b32_dpp v51, v7 row_shr:8 row_mask:0xf bank_mask:0xf
	v_cndmask_b32_e64 v51, 0, v51, s12
	s_delay_alu instid0(VALU_DEP_1) | instskip(SKIP_3) | instid1(VALU_DEP_1)
	v_add_nc_u32_e32 v7, v7, v51
	ds_swizzle_b32 v51, v7 offset:swizzle(BROADCAST,32,15)
	s_wait_dscnt 0x0
	v_cndmask_b32_e64 v51, v51, 0, s13
	v_add_nc_u32_e32 v7, v7, v51
	s_and_saveexec_b32 s21, s14
; %bb.98:                               ;   in Loop: Header=BB196_81 Depth=1
	ds_store_b32 v114, v7
; %bb.99:                               ;   in Loop: Header=BB196_81 Depth=1
	s_wait_alu 0xfffe
	s_or_b32 exec_lo, exec_lo, s21
	s_wait_loadcnt_dscnt 0x0
	s_barrier_signal -1
	s_barrier_wait -1
	global_inv scope:SCOPE_SE
	s_and_saveexec_b32 s21, s15
	s_cbranch_execz .LBB196_101
; %bb.100:                              ;   in Loop: Header=BB196_81 Depth=1
	ds_load_b32 v51, v75
	s_wait_dscnt 0x0
	v_mov_b32_dpp v76, v51 row_shr:1 row_mask:0xf bank_mask:0xf
	s_delay_alu instid0(VALU_DEP_1) | instskip(NEXT) | instid1(VALU_DEP_1)
	v_cndmask_b32_e64 v76, v76, 0, s18
	v_add_nc_u32_e32 v51, v76, v51
	s_delay_alu instid0(VALU_DEP_1) | instskip(NEXT) | instid1(VALU_DEP_1)
	v_mov_b32_dpp v76, v51 row_shr:2 row_mask:0xf bank_mask:0xf
	v_cndmask_b32_e64 v76, 0, v76, s19
	s_delay_alu instid0(VALU_DEP_1) | instskip(NEXT) | instid1(VALU_DEP_1)
	v_add_nc_u32_e32 v51, v51, v76
	v_mov_b32_dpp v76, v51 row_shr:4 row_mask:0xf bank_mask:0xf
	s_delay_alu instid0(VALU_DEP_1) | instskip(NEXT) | instid1(VALU_DEP_1)
	v_cndmask_b32_e64 v76, 0, v76, s20
	v_add_nc_u32_e32 v51, v51, v76
	ds_store_b32 v75, v51
.LBB196_101:                            ;   in Loop: Header=BB196_81 Depth=1
	s_wait_alu 0xfffe
	s_or_b32 exec_lo, exec_lo, s21
	v_mov_b32_e32 v51, 0
	s_wait_loadcnt_dscnt 0x0
	s_barrier_signal -1
	s_barrier_wait -1
	global_inv scope:SCOPE_SE
	s_and_saveexec_b32 s21, s16
; %bb.102:                              ;   in Loop: Header=BB196_81 Depth=1
	ds_load_b32 v51, v73
; %bb.103:                              ;   in Loop: Header=BB196_81 Depth=1
	s_wait_alu 0xfffe
	s_or_b32 exec_lo, exec_lo, s21
	s_wait_dscnt 0x0
	v_add_nc_u32_e32 v7, v51, v7
	v_cmp_lt_u32_e32 vcc_lo, 55, v32
	s_mov_b32 s21, -1
	ds_bpermute_b32 v7, v72, v7
	s_and_b32 vcc_lo, exec_lo, vcc_lo
	s_wait_dscnt 0x0
	v_cndmask_b32_e64 v7, v7, v51, s10
	s_delay_alu instid0(VALU_DEP_1) | instskip(NEXT) | instid1(VALU_DEP_1)
	v_cndmask_b32_e64 v7, v7, 0, s17
	v_add_nc_u32_e32 v8, v7, v8
	s_delay_alu instid0(VALU_DEP_1) | instskip(NEXT) | instid1(VALU_DEP_1)
	v_add_nc_u32_e32 v9, v8, v9
	v_add_nc_u32_e32 v10, v9, v10
	s_delay_alu instid0(VALU_DEP_1) | instskip(NEXT) | instid1(VALU_DEP_1)
	v_add_nc_u32_e32 v76, v10, v11
	;; [unrolled: 3-line block ×3, first 2 shown]
	v_add_nc_u32_e32 v79, v78, v6
	ds_store_b128 v113, v[7:10] offset:32
	ds_store_b128 v113, v[76:79] offset:48
	s_wait_loadcnt_dscnt 0x0
	s_barrier_signal -1
	s_barrier_wait -1
	global_inv scope:SCOPE_SE
	ds_load_b32 v4, v13 offset:32
	ds_load_b32 v5, v16 offset:32
	;; [unrolled: 1-line block ×8, first 2 shown]
	s_wait_dscnt 0x7
	v_add_nc_u32_e32 v83, v4, v12
	s_wait_dscnt 0x6
	v_add3_u32 v82, v15, v14, v5
	s_wait_dscnt 0x5
	v_add3_u32 v81, v18, v17, v6
	;; [unrolled: 2-line block ×7, first 2 shown]
                                        ; implicit-def: $vgpr50_vgpr51
                                        ; implicit-def: $vgpr14_vgpr15
                                        ; implicit-def: $vgpr10_vgpr11
                                        ; implicit-def: $vgpr6_vgpr7
                                        ; implicit-def: $vgpr30_vgpr31
                                        ; implicit-def: $vgpr26_vgpr27
                                        ; implicit-def: $vgpr22_vgpr23
                                        ; implicit-def: $vgpr18_vgpr19
	s_wait_alu 0xfffe
	s_cbranch_vccnz .LBB196_80
; %bb.104:                              ;   in Loop: Header=BB196_81 Depth=1
	v_lshlrev_b32_e32 v16, 3, v83
	v_lshlrev_b32_e32 v19, 3, v80
	;; [unrolled: 1-line block ×8, first 2 shown]
	s_wait_loadcnt 0x0
	s_barrier_signal -1
	s_barrier_wait -1
	global_inv scope:SCOPE_SE
	ds_store_b64 v16, v[34:35]
	ds_store_b64 v17, v[69:70]
	ds_store_b64 v18, v[66:67]
	ds_store_b64 v19, v[64:65]
	ds_store_b64 v20, v[62:63]
	ds_store_b64 v21, v[40:41]
	ds_store_b64 v22, v[38:39]
	ds_store_b64 v23, v[36:37]
	s_wait_loadcnt_dscnt 0x0
	s_barrier_signal -1
	s_barrier_wait -1
	global_inv scope:SCOPE_SE
	ds_load_2addr_b64 v[4:7], v71 offset1:32
	ds_load_2addr_b64 v[8:11], v71 offset0:64 offset1:96
	ds_load_2addr_b64 v[12:15], v71 offset0:128 offset1:160
	;; [unrolled: 1-line block ×3, first 2 shown]
	s_wait_loadcnt_dscnt 0x0
	s_barrier_signal -1
	s_barrier_wait -1
	global_inv scope:SCOPE_SE
	ds_store_b64 v16, v[60:61]
	ds_store_b64 v17, v[58:59]
	;; [unrolled: 1-line block ×8, first 2 shown]
	s_wait_loadcnt_dscnt 0x0
	s_barrier_signal -1
	s_barrier_wait -1
	global_inv scope:SCOPE_SE
	ds_load_2addr_b64 v[16:19], v71 offset1:32
	ds_load_2addr_b64 v[20:23], v71 offset0:64 offset1:96
	ds_load_2addr_b64 v[24:27], v71 offset0:128 offset1:160
	;; [unrolled: 1-line block ×3, first 2 shown]
	v_add_co_u32 v32, vcc_lo, v32, 8
	s_wait_alu 0xfffd
	v_add_co_ci_u32_e64 v33, null, 0, v33, vcc_lo
	s_add_co_i32 s26, s26, -8
	s_mov_b32 s21, 0
	s_wait_loadcnt_dscnt 0x0
	s_barrier_signal -1
	s_barrier_wait -1
	global_inv scope:SCOPE_SE
	s_branch .LBB196_80
.LBB196_105:
	v_lshlrev_b32_e32 v16, 3, v83
	v_lshlrev_b32_e32 v19, 3, v80
	;; [unrolled: 1-line block ×9, first 2 shown]
	s_wait_loadcnt 0x0
	s_barrier_signal -1
	s_barrier_wait -1
	global_inv scope:SCOPE_SE
	ds_store_b64 v16, v[34:35]
	ds_store_b64 v17, v[69:70]
	;; [unrolled: 1-line block ×8, first 2 shown]
	s_wait_loadcnt_dscnt 0x0
	s_barrier_signal -1
	s_barrier_wait -1
	global_inv scope:SCOPE_SE
	ds_load_b128 v[0:3], v24
	ds_load_b128 v[4:7], v24 offset:16
	ds_load_b128 v[8:11], v24 offset:32
	;; [unrolled: 1-line block ×3, first 2 shown]
	s_wait_loadcnt_dscnt 0x0
	s_barrier_signal -1
	s_barrier_wait -1
	global_inv scope:SCOPE_SE
	ds_store_b64 v16, v[60:61]
	ds_store_b64 v17, v[58:59]
	ds_store_b64 v18, v[56:57]
	ds_store_b64 v19, v[54:55]
	ds_store_b64 v20, v[52:53]
	ds_store_b64 v21, v[46:47]
	ds_store_b64 v22, v[44:45]
	ds_store_b64 v23, v[42:43]
	s_wait_loadcnt_dscnt 0x0
	s_barrier_signal -1
	s_barrier_wait -1
	global_inv scope:SCOPE_SE
	ds_load_b128 v[52:55], v24
	ds_load_b128 v[48:51], v24 offset:16
	ds_load_b128 v[60:63], v24 offset:32
	;; [unrolled: 1-line block ×3, first 2 shown]
	v_cmp_gt_i64_e32 vcc_lo, 0, v[0:1]
	v_ashrrev_i32_e32 v18, 31, v3
	v_ashrrev_i32_e32 v16, 31, v1
	s_wait_alu 0xfffd
	v_cndmask_b32_e64 v17, 0x7fffffff, 0, vcc_lo
	v_cmp_gt_i64_e32 vcc_lo, 0, v[2:3]
	v_not_b32_e32 v18, v18
	v_not_b32_e32 v16, v16
	s_delay_alu instid0(VALU_DEP_4)
	v_xor_b32_e32 v1, v17, v1
	v_ashrrev_i32_e32 v17, 31, v7
	s_wait_alu 0xfffd
	v_cndmask_b32_e64 v19, 0x7fffffff, 0, vcc_lo
	v_cmp_gt_i64_e32 vcc_lo, 0, v[4:5]
	v_xor_b32_e32 v2, v18, v2
	v_xor_b32_e32 v0, v16, v0
	v_ashrrev_i32_e32 v16, 31, v5
	v_xor_b32_e32 v3, v19, v3
	v_not_b32_e32 v17, v17
	s_wait_alu 0xfffd
	v_cndmask_b32_e64 v18, 0x7fffffff, 0, vcc_lo
	v_cmp_gt_i64_e32 vcc_lo, 0, v[6:7]
	v_not_b32_e32 v16, v16
	v_xor_b32_e32 v6, v17, v6
	s_delay_alu instid0(VALU_DEP_4)
	v_xor_b32_e32 v5, v18, v5
	v_ashrrev_i32_e32 v18, 31, v11
	s_wait_alu 0xfffd
	v_cndmask_b32_e64 v19, 0x7fffffff, 0, vcc_lo
	v_cmp_gt_i64_e32 vcc_lo, 0, v[8:9]
	v_xor_b32_e32 v4, v16, v4
	v_ashrrev_i32_e32 v16, 31, v9
	s_delay_alu instid0(VALU_DEP_4) | instskip(SKIP_4) | instid1(VALU_DEP_3)
	v_xor_b32_e32 v7, v19, v7
	s_wait_alu 0xfffd
	v_cndmask_b32_e64 v17, 0x7fffffff, 0, vcc_lo
	v_cmp_gt_i64_e32 vcc_lo, 0, v[10:11]
	v_not_b32_e32 v16, v16
	v_xor_b32_e32 v9, v17, v9
	v_ashrrev_i32_e32 v17, 31, v13
	s_wait_alu 0xfffd
	v_cndmask_b32_e64 v19, 0x7fffffff, 0, vcc_lo
	v_cmp_gt_i64_e32 vcc_lo, 0, v[12:13]
	v_xor_b32_e32 v8, v16, v8
	v_not_b32_e32 v16, v18
	v_ashrrev_i32_e32 v18, 31, v15
	v_xor_b32_e32 v11, v19, v11
	v_not_b32_e32 v17, v17
	s_wait_alu 0xfffd
	v_cndmask_b32_e64 v19, 0x7fffffff, 0, vcc_lo
	v_cmp_gt_i64_e32 vcc_lo, 0, v[14:15]
	v_not_b32_e32 v18, v18
	v_xor_b32_e32 v10, v16, v10
	v_xor_b32_e32 v12, v17, v12
	;; [unrolled: 1-line block ×3, first 2 shown]
	s_wait_alu 0xfffd
	v_cndmask_b32_e64 v20, 0x7fffffff, 0, vcc_lo
	v_xor_b32_e32 v14, v18, v14
	s_delay_alu instid0(VALU_DEP_2)
	v_xor_b32_e32 v15, v20, v15
.LBB196_106:
	v_mad_co_u64_u32 v[16:17], null, s28, v68, 0
	s_wait_loadcnt_dscnt 0x0
	s_barrier_signal -1
	s_barrier_wait -1
	global_inv scope:SCOPE_SE
	ds_store_2addr_b64 v111, v[0:1], v[2:3] offset1:1
	ds_store_2addr_b64 v111, v[4:5], v[6:7] offset0:2 offset1:3
	ds_store_2addr_b64 v111, v[8:9], v[10:11] offset0:4 offset1:5
	;; [unrolled: 1-line block ×3, first 2 shown]
	s_wait_loadcnt_dscnt 0x0
	v_mov_b32_e32 v0, v17
	s_barrier_signal -1
	s_barrier_wait -1
	global_inv scope:SCOPE_SE
	v_mad_co_u64_u32 v[2:3], null, s29, v68, v[0:1]
	ds_load_b64 v[14:15], v104 offset:2048
	ds_load_b64 v[12:13], v105 offset:4096
	ds_load_b64 v[10:11], v106 offset:6144
	ds_load_b64 v[8:9], v107 offset:8192
	ds_load_b64 v[6:7], v108 offset:10240
	ds_load_b64 v[4:5], v109 offset:12288
	ds_load_b64 v[0:1], v110 offset:14336
	v_mov_b32_e32 v17, v2
	s_delay_alu instid0(VALU_DEP_1) | instskip(NEXT) | instid1(VALU_DEP_1)
	v_lshlrev_b64_e32 v[2:3], 3, v[16:17]
	v_add_co_u32 v2, vcc_lo, s30, v2
	s_wait_alu 0xfffd
	s_delay_alu instid0(VALU_DEP_2)
	v_add_co_ci_u32_e64 v3, null, s31, v3, vcc_lo
	s_and_saveexec_b32 s0, s2
	s_cbranch_execnz .LBB196_125
; %bb.107:
	s_wait_alu 0xfffe
	s_or_b32 exec_lo, exec_lo, s0
	s_and_saveexec_b32 s0, s3
	s_cbranch_execnz .LBB196_126
.LBB196_108:
	s_wait_alu 0xfffe
	s_or_b32 exec_lo, exec_lo, s0
	s_and_saveexec_b32 s0, s4
	s_cbranch_execnz .LBB196_127
.LBB196_109:
	s_wait_alu 0xfffe
	s_or_b32 exec_lo, exec_lo, s0
	s_and_saveexec_b32 s0, s5
	s_cbranch_execnz .LBB196_128
.LBB196_110:
	s_wait_alu 0xfffe
	s_or_b32 exec_lo, exec_lo, s0
	s_and_saveexec_b32 s0, s6
	s_cbranch_execnz .LBB196_129
.LBB196_111:
	s_wait_alu 0xfffe
	s_or_b32 exec_lo, exec_lo, s0
	s_and_saveexec_b32 s0, s7
	s_cbranch_execnz .LBB196_130
.LBB196_112:
	s_wait_alu 0xfffe
	s_or_b32 exec_lo, exec_lo, s0
	s_and_saveexec_b32 s0, s8
	s_cbranch_execnz .LBB196_131
.LBB196_113:
	s_wait_alu 0xfffe
	s_or_b32 exec_lo, exec_lo, s0
	s_and_saveexec_b32 s0, s9
	s_cbranch_execz .LBB196_115
.LBB196_114:
	v_mad_co_u64_u32 v[2:3], null, 0x3800, s28, v[2:3]
	s_wait_dscnt 0x1
	s_delay_alu instid0(VALU_DEP_1)
	v_mad_co_u64_u32 v[3:4], null, 0x3800, s29, v[3:4]
	s_wait_dscnt 0x0
	global_store_b64 v[2:3], v[0:1], off
.LBB196_115:
	s_wait_alu 0xfffe
	s_or_b32 exec_lo, exec_lo, s0
	v_mad_co_u64_u32 v[2:3], null, s22, v68, 0
	s_wait_storecnt 0x0
	s_wait_loadcnt_dscnt 0x0
	s_barrier_signal -1
	s_barrier_wait -1
	global_inv scope:SCOPE_SE
	ds_store_2addr_b64 v111, v[52:53], v[54:55] offset1:1
	ds_store_2addr_b64 v111, v[48:49], v[50:51] offset0:2 offset1:3
	ds_store_2addr_b64 v111, v[60:61], v[62:63] offset0:4 offset1:5
	;; [unrolled: 1-line block ×3, first 2 shown]
	s_wait_loadcnt_dscnt 0x0
	v_mov_b32_e32 v0, v3
	s_barrier_signal -1
	s_barrier_wait -1
	global_inv scope:SCOPE_SE
	v_mad_co_u64_u32 v[3:4], null, s23, v68, v[0:1]
	ds_load_b64 v[14:15], v104 offset:2048
	ds_load_b64 v[12:13], v105 offset:4096
	;; [unrolled: 1-line block ×7, first 2 shown]
	v_lshlrev_b64_e32 v[2:3], 3, v[2:3]
	s_delay_alu instid0(VALU_DEP_1) | instskip(SKIP_1) | instid1(VALU_DEP_2)
	v_add_co_u32 v2, vcc_lo, s34, v2
	s_wait_alu 0xfffd
	v_add_co_ci_u32_e64 v3, null, s35, v3, vcc_lo
	s_and_saveexec_b32 s0, s2
	s_cbranch_execnz .LBB196_132
; %bb.116:
	s_wait_alu 0xfffe
	s_or_b32 exec_lo, exec_lo, s0
	s_and_saveexec_b32 s0, s3
	s_cbranch_execnz .LBB196_133
.LBB196_117:
	s_wait_alu 0xfffe
	s_or_b32 exec_lo, exec_lo, s0
	s_and_saveexec_b32 s0, s4
	s_cbranch_execnz .LBB196_134
.LBB196_118:
	s_wait_alu 0xfffe
	s_or_b32 exec_lo, exec_lo, s0
	s_and_saveexec_b32 s0, s5
	s_cbranch_execnz .LBB196_135
.LBB196_119:
	s_wait_alu 0xfffe
	s_or_b32 exec_lo, exec_lo, s0
	s_and_saveexec_b32 s0, s6
	s_cbranch_execnz .LBB196_136
.LBB196_120:
	s_wait_alu 0xfffe
	s_or_b32 exec_lo, exec_lo, s0
	s_and_saveexec_b32 s0, s7
	s_cbranch_execnz .LBB196_137
.LBB196_121:
	s_wait_alu 0xfffe
	s_or_b32 exec_lo, exec_lo, s0
	s_and_saveexec_b32 s0, s8
	s_cbranch_execnz .LBB196_138
.LBB196_122:
	s_wait_alu 0xfffe
	s_or_b32 exec_lo, exec_lo, s0
	s_and_saveexec_b32 s0, s9
	s_cbranch_execz .LBB196_124
.LBB196_123:
	v_mad_co_u64_u32 v[2:3], null, 0x3800, s22, v[2:3]
	s_wait_dscnt 0x1
	s_delay_alu instid0(VALU_DEP_1)
	v_mad_co_u64_u32 v[3:4], null, 0x3800, s23, v[3:4]
	s_wait_dscnt 0x0
	global_store_b64 v[2:3], v[0:1], off
.LBB196_124:
	s_nop 0
	s_sendmsg sendmsg(MSG_DEALLOC_VGPRS)
	s_endpgm
.LBB196_125:
	ds_load_b64 v[16:17], v103
	s_wait_dscnt 0x0
	global_store_b64 v[2:3], v[16:17], off
	s_wait_alu 0xfffe
	s_or_b32 exec_lo, exec_lo, s0
	s_and_saveexec_b32 s0, s3
	s_cbranch_execz .LBB196_108
.LBB196_126:
	s_lshl_b64 s[10:11], s[28:29], 11
	s_wait_alu 0xfffe
	v_add_co_u32 v16, vcc_lo, v2, s10
	s_wait_alu 0xfffd
	v_add_co_ci_u32_e64 v17, null, s11, v3, vcc_lo
	s_wait_dscnt 0x6
	global_store_b64 v[16:17], v[14:15], off
	s_or_b32 exec_lo, exec_lo, s0
	s_and_saveexec_b32 s0, s4
	s_cbranch_execz .LBB196_109
.LBB196_127:
	s_lshl_b64 s[10:11], s[28:29], 12
	s_wait_dscnt 0x6
	s_wait_alu 0xfffe
	v_add_co_u32 v14, vcc_lo, v2, s10
	s_wait_alu 0xfffd
	v_add_co_ci_u32_e64 v15, null, s11, v3, vcc_lo
	s_wait_dscnt 0x5
	global_store_b64 v[14:15], v[12:13], off
	s_or_b32 exec_lo, exec_lo, s0
	s_and_saveexec_b32 s0, s5
	s_cbranch_execz .LBB196_110
.LBB196_128:
	s_wait_dscnt 0x5
	v_mad_co_u64_u32 v[12:13], null, 0x1800, s28, v[2:3]
	s_delay_alu instid0(VALU_DEP_1)
	v_mad_co_u64_u32 v[13:14], null, 0x1800, s29, v[13:14]
	s_wait_dscnt 0x4
	global_store_b64 v[12:13], v[10:11], off
	s_wait_alu 0xfffe
	s_or_b32 exec_lo, exec_lo, s0
	s_and_saveexec_b32 s0, s6
	s_cbranch_execz .LBB196_111
.LBB196_129:
	s_lshl_b64 s[10:11], s[28:29], 13
	s_wait_dscnt 0x4
	s_wait_alu 0xfffe
	v_add_co_u32 v10, vcc_lo, v2, s10
	s_wait_alu 0xfffd
	v_add_co_ci_u32_e64 v11, null, s11, v3, vcc_lo
	s_wait_dscnt 0x3
	global_store_b64 v[10:11], v[8:9], off
	s_or_b32 exec_lo, exec_lo, s0
	s_and_saveexec_b32 s0, s7
	s_cbranch_execz .LBB196_112
.LBB196_130:
	s_wait_dscnt 0x3
	v_mad_co_u64_u32 v[8:9], null, 0x2800, s28, v[2:3]
	s_delay_alu instid0(VALU_DEP_1)
	v_mad_co_u64_u32 v[9:10], null, 0x2800, s29, v[9:10]
	s_wait_dscnt 0x2
	global_store_b64 v[8:9], v[6:7], off
	s_wait_alu 0xfffe
	s_or_b32 exec_lo, exec_lo, s0
	s_and_saveexec_b32 s0, s8
	s_cbranch_execz .LBB196_113
.LBB196_131:
	s_wait_dscnt 0x2
	v_mad_co_u64_u32 v[6:7], null, 0x3000, s28, v[2:3]
	s_delay_alu instid0(VALU_DEP_1)
	v_mad_co_u64_u32 v[7:8], null, 0x3000, s29, v[7:8]
	s_wait_dscnt 0x1
	global_store_b64 v[6:7], v[4:5], off
	s_wait_alu 0xfffe
	s_or_b32 exec_lo, exec_lo, s0
	s_and_saveexec_b32 s0, s9
	s_cbranch_execnz .LBB196_114
	s_branch .LBB196_115
.LBB196_132:
	ds_load_b64 v[16:17], v103
	s_wait_dscnt 0x0
	global_store_b64 v[2:3], v[16:17], off
	s_wait_alu 0xfffe
	s_or_b32 exec_lo, exec_lo, s0
	s_and_saveexec_b32 s0, s3
	s_cbranch_execz .LBB196_117
.LBB196_133:
	s_lshl_b64 s[2:3], s[22:23], 11
	s_delay_alu instid0(SALU_CYCLE_1)
	v_add_co_u32 v16, vcc_lo, v2, s2
	s_wait_alu 0xfffd
	v_add_co_ci_u32_e64 v17, null, s3, v3, vcc_lo
	s_wait_dscnt 0x6
	global_store_b64 v[16:17], v[14:15], off
	s_wait_alu 0xfffe
	s_or_b32 exec_lo, exec_lo, s0
	s_and_saveexec_b32 s0, s4
	s_cbranch_execz .LBB196_118
.LBB196_134:
	s_lshl_b64 s[2:3], s[22:23], 12
	s_wait_dscnt 0x6
	s_wait_alu 0xfffe
	v_add_co_u32 v14, vcc_lo, v2, s2
	s_wait_alu 0xfffd
	v_add_co_ci_u32_e64 v15, null, s3, v3, vcc_lo
	s_wait_dscnt 0x5
	global_store_b64 v[14:15], v[12:13], off
	s_or_b32 exec_lo, exec_lo, s0
	s_and_saveexec_b32 s0, s5
	s_cbranch_execz .LBB196_119
.LBB196_135:
	s_wait_dscnt 0x5
	v_mad_co_u64_u32 v[12:13], null, 0x1800, s22, v[2:3]
	s_delay_alu instid0(VALU_DEP_1)
	v_mad_co_u64_u32 v[13:14], null, 0x1800, s23, v[13:14]
	s_wait_dscnt 0x4
	global_store_b64 v[12:13], v[10:11], off
	s_wait_alu 0xfffe
	s_or_b32 exec_lo, exec_lo, s0
	s_and_saveexec_b32 s0, s6
	s_cbranch_execz .LBB196_120
.LBB196_136:
	s_lshl_b64 s[2:3], s[22:23], 13
	s_wait_dscnt 0x4
	s_wait_alu 0xfffe
	v_add_co_u32 v10, vcc_lo, v2, s2
	s_wait_alu 0xfffd
	v_add_co_ci_u32_e64 v11, null, s3, v3, vcc_lo
	s_wait_dscnt 0x3
	global_store_b64 v[10:11], v[8:9], off
	s_or_b32 exec_lo, exec_lo, s0
	s_and_saveexec_b32 s0, s7
	s_cbranch_execz .LBB196_121
.LBB196_137:
	s_wait_dscnt 0x3
	v_mad_co_u64_u32 v[8:9], null, 0x2800, s22, v[2:3]
	s_delay_alu instid0(VALU_DEP_1)
	v_mad_co_u64_u32 v[9:10], null, 0x2800, s23, v[9:10]
	s_wait_dscnt 0x2
	global_store_b64 v[8:9], v[6:7], off
	s_wait_alu 0xfffe
	s_or_b32 exec_lo, exec_lo, s0
	s_and_saveexec_b32 s0, s8
	s_cbranch_execz .LBB196_122
.LBB196_138:
	s_wait_dscnt 0x2
	v_mad_co_u64_u32 v[6:7], null, 0x3000, s22, v[2:3]
	s_delay_alu instid0(VALU_DEP_1)
	v_mad_co_u64_u32 v[7:8], null, 0x3000, s23, v[7:8]
	s_wait_dscnt 0x1
	global_store_b64 v[6:7], v[4:5], off
	s_wait_alu 0xfffe
	s_or_b32 exec_lo, exec_lo, s0
	s_and_saveexec_b32 s0, s9
	s_cbranch_execnz .LBB196_123
	s_branch .LBB196_124
	.section	.rodata,"a",@progbits
	.p2align	6, 0x0
	.amdhsa_kernel _ZN2at6native18radixSortKVInPlaceILin1ELin1ELi256ELi8EdlmEEvNS_4cuda6detail10TensorInfoIT3_T5_EES6_S6_S6_NS4_IT4_S6_EES6_b
		.amdhsa_group_segment_fixed_size 16896
		.amdhsa_private_segment_fixed_size 0
		.amdhsa_kernarg_size 1128
		.amdhsa_user_sgpr_count 2
		.amdhsa_user_sgpr_dispatch_ptr 0
		.amdhsa_user_sgpr_queue_ptr 0
		.amdhsa_user_sgpr_kernarg_segment_ptr 1
		.amdhsa_user_sgpr_dispatch_id 0
		.amdhsa_user_sgpr_private_segment_size 0
		.amdhsa_wavefront_size32 1
		.amdhsa_uses_dynamic_stack 0
		.amdhsa_enable_private_segment 0
		.amdhsa_system_sgpr_workgroup_id_x 1
		.amdhsa_system_sgpr_workgroup_id_y 1
		.amdhsa_system_sgpr_workgroup_id_z 1
		.amdhsa_system_sgpr_workgroup_info 0
		.amdhsa_system_vgpr_workitem_id 2
		.amdhsa_next_free_vgpr 141
		.amdhsa_next_free_sgpr 40
		.amdhsa_reserve_vcc 1
		.amdhsa_float_round_mode_32 0
		.amdhsa_float_round_mode_16_64 0
		.amdhsa_float_denorm_mode_32 3
		.amdhsa_float_denorm_mode_16_64 3
		.amdhsa_fp16_overflow 0
		.amdhsa_workgroup_processor_mode 1
		.amdhsa_memory_ordered 1
		.amdhsa_forward_progress 1
		.amdhsa_inst_pref_size 135
		.amdhsa_round_robin_scheduling 0
		.amdhsa_exception_fp_ieee_invalid_op 0
		.amdhsa_exception_fp_denorm_src 0
		.amdhsa_exception_fp_ieee_div_zero 0
		.amdhsa_exception_fp_ieee_overflow 0
		.amdhsa_exception_fp_ieee_underflow 0
		.amdhsa_exception_fp_ieee_inexact 0
		.amdhsa_exception_int_div_zero 0
	.end_amdhsa_kernel
	.section	.text._ZN2at6native18radixSortKVInPlaceILin1ELin1ELi256ELi8EdlmEEvNS_4cuda6detail10TensorInfoIT3_T5_EES6_S6_S6_NS4_IT4_S6_EES6_b,"axG",@progbits,_ZN2at6native18radixSortKVInPlaceILin1ELin1ELi256ELi8EdlmEEvNS_4cuda6detail10TensorInfoIT3_T5_EES6_S6_S6_NS4_IT4_S6_EES6_b,comdat
.Lfunc_end196:
	.size	_ZN2at6native18radixSortKVInPlaceILin1ELin1ELi256ELi8EdlmEEvNS_4cuda6detail10TensorInfoIT3_T5_EES6_S6_S6_NS4_IT4_S6_EES6_b, .Lfunc_end196-_ZN2at6native18radixSortKVInPlaceILin1ELin1ELi256ELi8EdlmEEvNS_4cuda6detail10TensorInfoIT3_T5_EES6_S6_S6_NS4_IT4_S6_EES6_b
                                        ; -- End function
	.set _ZN2at6native18radixSortKVInPlaceILin1ELin1ELi256ELi8EdlmEEvNS_4cuda6detail10TensorInfoIT3_T5_EES6_S6_S6_NS4_IT4_S6_EES6_b.num_vgpr, 141
	.set _ZN2at6native18radixSortKVInPlaceILin1ELin1ELi256ELi8EdlmEEvNS_4cuda6detail10TensorInfoIT3_T5_EES6_S6_S6_NS4_IT4_S6_EES6_b.num_agpr, 0
	.set _ZN2at6native18radixSortKVInPlaceILin1ELin1ELi256ELi8EdlmEEvNS_4cuda6detail10TensorInfoIT3_T5_EES6_S6_S6_NS4_IT4_S6_EES6_b.numbered_sgpr, 40
	.set _ZN2at6native18radixSortKVInPlaceILin1ELin1ELi256ELi8EdlmEEvNS_4cuda6detail10TensorInfoIT3_T5_EES6_S6_S6_NS4_IT4_S6_EES6_b.num_named_barrier, 0
	.set _ZN2at6native18radixSortKVInPlaceILin1ELin1ELi256ELi8EdlmEEvNS_4cuda6detail10TensorInfoIT3_T5_EES6_S6_S6_NS4_IT4_S6_EES6_b.private_seg_size, 0
	.set _ZN2at6native18radixSortKVInPlaceILin1ELin1ELi256ELi8EdlmEEvNS_4cuda6detail10TensorInfoIT3_T5_EES6_S6_S6_NS4_IT4_S6_EES6_b.uses_vcc, 1
	.set _ZN2at6native18radixSortKVInPlaceILin1ELin1ELi256ELi8EdlmEEvNS_4cuda6detail10TensorInfoIT3_T5_EES6_S6_S6_NS4_IT4_S6_EES6_b.uses_flat_scratch, 0
	.set _ZN2at6native18radixSortKVInPlaceILin1ELin1ELi256ELi8EdlmEEvNS_4cuda6detail10TensorInfoIT3_T5_EES6_S6_S6_NS4_IT4_S6_EES6_b.has_dyn_sized_stack, 0
	.set _ZN2at6native18radixSortKVInPlaceILin1ELin1ELi256ELi8EdlmEEvNS_4cuda6detail10TensorInfoIT3_T5_EES6_S6_S6_NS4_IT4_S6_EES6_b.has_recursion, 0
	.set _ZN2at6native18radixSortKVInPlaceILin1ELin1ELi256ELi8EdlmEEvNS_4cuda6detail10TensorInfoIT3_T5_EES6_S6_S6_NS4_IT4_S6_EES6_b.has_indirect_call, 0
	.section	.AMDGPU.csdata,"",@progbits
; Kernel info:
; codeLenInByte = 17200
; TotalNumSgprs: 42
; NumVgprs: 141
; ScratchSize: 0
; MemoryBound: 0
; FloatMode: 240
; IeeeMode: 1
; LDSByteSize: 16896 bytes/workgroup (compile time only)
; SGPRBlocks: 0
; VGPRBlocks: 17
; NumSGPRsForWavesPerEU: 42
; NumVGPRsForWavesPerEU: 141
; Occupancy: 10
; WaveLimiterHint : 1
; COMPUTE_PGM_RSRC2:SCRATCH_EN: 0
; COMPUTE_PGM_RSRC2:USER_SGPR: 2
; COMPUTE_PGM_RSRC2:TRAP_HANDLER: 0
; COMPUTE_PGM_RSRC2:TGID_X_EN: 1
; COMPUTE_PGM_RSRC2:TGID_Y_EN: 1
; COMPUTE_PGM_RSRC2:TGID_Z_EN: 1
; COMPUTE_PGM_RSRC2:TIDIG_COMP_CNT: 2
	.section	.text._ZN2at6native18radixSortKVInPlaceILin1ELin1ELi128ELi8EdlmEEvNS_4cuda6detail10TensorInfoIT3_T5_EES6_S6_S6_NS4_IT4_S6_EES6_b,"axG",@progbits,_ZN2at6native18radixSortKVInPlaceILin1ELin1ELi128ELi8EdlmEEvNS_4cuda6detail10TensorInfoIT3_T5_EES6_S6_S6_NS4_IT4_S6_EES6_b,comdat
	.protected	_ZN2at6native18radixSortKVInPlaceILin1ELin1ELi128ELi8EdlmEEvNS_4cuda6detail10TensorInfoIT3_T5_EES6_S6_S6_NS4_IT4_S6_EES6_b ; -- Begin function _ZN2at6native18radixSortKVInPlaceILin1ELin1ELi128ELi8EdlmEEvNS_4cuda6detail10TensorInfoIT3_T5_EES6_S6_S6_NS4_IT4_S6_EES6_b
	.globl	_ZN2at6native18radixSortKVInPlaceILin1ELin1ELi128ELi8EdlmEEvNS_4cuda6detail10TensorInfoIT3_T5_EES6_S6_S6_NS4_IT4_S6_EES6_b
	.p2align	8
	.type	_ZN2at6native18radixSortKVInPlaceILin1ELin1ELi128ELi8EdlmEEvNS_4cuda6detail10TensorInfoIT3_T5_EES6_S6_S6_NS4_IT4_S6_EES6_b,@function
_ZN2at6native18radixSortKVInPlaceILin1ELin1ELi128ELi8EdlmEEvNS_4cuda6detail10TensorInfoIT3_T5_EES6_S6_S6_NS4_IT4_S6_EES6_b: ; @_ZN2at6native18radixSortKVInPlaceILin1ELin1ELi128ELi8EdlmEEvNS_4cuda6detail10TensorInfoIT3_T5_EES6_S6_S6_NS4_IT4_S6_EES6_b
; %bb.0:
	s_clause 0x1
	s_load_b64 s[2:3], s[0:1], 0x368
	s_load_b128 s[20:23], s[0:1], 0x1a0
	s_lshr_b32 s4, ttmp7, 16
	s_and_b32 s5, ttmp7, 0xffff
	s_wait_kmcnt 0x0
	s_mul_i32 s3, s3, s4
	s_delay_alu instid0(SALU_CYCLE_1) | instskip(SKIP_2) | instid1(SALU_CYCLE_1)
	s_add_co_i32 s3, s3, s5
	s_mov_b32 s5, 0
	s_mul_i32 s2, s3, s2
	s_add_co_i32 s4, s2, ttmp9
	s_delay_alu instid0(SALU_CYCLE_1)
	v_cmp_le_u64_e64 s2, s[20:21], s[4:5]
	s_and_b32 vcc_lo, exec_lo, s2
	s_cbranch_vccnz .LBB197_124
; %bb.1:
	s_clause 0x1
	s_load_b32 s9, s[0:1], 0x198
	s_load_b64 s[28:29], s[0:1], 0x1b0
	s_mov_b64 s[2:3], 0
	s_mov_b64 s[6:7], s[4:5]
	s_wait_kmcnt 0x0
	s_cmp_lt_i32 s9, 2
	s_cbranch_scc1 .LBB197_9
; %bb.2:
	s_mov_b32 s8, 0
	s_add_co_i32 s2, s9, -1
	s_mov_b32 s3, s8
	s_add_co_i32 s16, s9, 1
	s_lshl_b64 s[2:3], s[2:3], 3
	s_mov_b64 s[12:13], s[4:5]
	s_add_nc_u64 s[6:7], s[0:1], s[2:3]
	s_mov_b64 s[2:3], 0
	s_add_nc_u64 s[10:11], s[6:7], 8
.LBB197_3:                              ; =>This Inner Loop Header: Depth=1
	s_load_b64 s[14:15], s[10:11], 0x0
	s_wait_kmcnt 0x0
	s_or_b64 s[6:7], s[12:13], s[14:15]
	s_wait_alu 0xfffe
	s_mov_b32 s9, s7
                                        ; implicit-def: $sgpr6_sgpr7
	s_delay_alu instid0(SALU_CYCLE_1)
	s_cmp_lg_u64 s[8:9], 0
	s_mov_b32 s9, -1
	s_cbranch_scc0 .LBB197_5
; %bb.4:                                ;   in Loop: Header=BB197_3 Depth=1
	s_cvt_f32_u32 s6, s14
	s_cvt_f32_u32 s7, s15
	s_sub_nc_u64 s[18:19], 0, s[14:15]
	s_mov_b32 s21, s8
	s_mov_b32 s27, s8
	s_wait_alu 0xfffe
	s_fmamk_f32 s6, s7, 0x4f800000, s6
	s_wait_alu 0xfffe
	s_delay_alu instid0(SALU_CYCLE_2) | instskip(NEXT) | instid1(TRANS32_DEP_1)
	v_s_rcp_f32 s6, s6
	s_mul_f32 s6, s6, 0x5f7ffffc
	s_wait_alu 0xfffe
	s_delay_alu instid0(SALU_CYCLE_2) | instskip(SKIP_1) | instid1(SALU_CYCLE_2)
	s_mul_f32 s7, s6, 0x2f800000
	s_wait_alu 0xfffe
	s_trunc_f32 s7, s7
	s_wait_alu 0xfffe
	s_delay_alu instid0(SALU_CYCLE_2) | instskip(SKIP_2) | instid1(SALU_CYCLE_1)
	s_fmamk_f32 s6, s7, 0xcf800000, s6
	s_cvt_u32_f32 s7, s7
	s_wait_alu 0xfffe
	s_cvt_u32_f32 s6, s6
	s_wait_alu 0xfffe
	s_delay_alu instid0(SALU_CYCLE_2) | instskip(NEXT) | instid1(SALU_CYCLE_1)
	s_mul_u64 s[24:25], s[18:19], s[6:7]
	s_mul_hi_u32 s31, s6, s25
	s_mul_i32 s30, s6, s25
	s_mul_hi_u32 s20, s6, s24
	s_mul_i32 s17, s7, s24
	s_wait_alu 0xfffe
	s_add_nc_u64 s[20:21], s[20:21], s[30:31]
	s_mul_hi_u32 s9, s7, s24
	s_mul_hi_u32 s23, s7, s25
	s_wait_alu 0xfffe
	s_add_co_u32 s17, s20, s17
	s_add_co_ci_u32 s26, s21, s9
	s_mul_i32 s24, s7, s25
	s_add_co_ci_u32 s25, s23, 0
	s_delay_alu instid0(SALU_CYCLE_1) | instskip(SKIP_4) | instid1(SALU_CYCLE_1)
	s_add_nc_u64 s[20:21], s[26:27], s[24:25]
	s_mov_b32 s25, s8
	s_wait_alu 0xfffe
	s_add_co_u32 s6, s6, s20
	s_cselect_b32 s9, -1, 0
	s_cmp_lg_u32 s9, 0
	s_add_co_ci_u32 s7, s7, s21
	s_mov_b32 s21, s8
	s_wait_alu 0xfffe
	s_mul_u64 s[18:19], s[18:19], s[6:7]
	s_delay_alu instid0(SALU_CYCLE_1)
	s_mul_hi_u32 s27, s6, s19
	s_mul_i32 s26, s6, s19
	s_mul_hi_u32 s20, s6, s18
	s_mul_i32 s17, s7, s18
	s_wait_alu 0xfffe
	s_add_nc_u64 s[20:21], s[20:21], s[26:27]
	s_mul_hi_u32 s9, s7, s18
	s_mul_hi_u32 s23, s7, s19
	s_wait_alu 0xfffe
	s_add_co_u32 s17, s20, s17
	s_add_co_ci_u32 s24, s21, s9
	s_mul_i32 s18, s7, s19
	s_add_co_ci_u32 s19, s23, 0
	s_mov_b32 s21, s8
	s_add_nc_u64 s[18:19], s[24:25], s[18:19]
	s_delay_alu instid0(SALU_CYCLE_1)
	s_add_co_u32 s6, s6, s18
	s_cselect_b32 s9, -1, 0
	s_wait_alu 0xfffe
	s_mul_hi_u32 s20, s12, s6
	s_cmp_lg_u32 s9, 0
	s_mul_hi_u32 s9, s13, s6
	s_add_co_ci_u32 s17, s7, s19
	s_mul_i32 s19, s13, s6
	s_mul_hi_u32 s7, s12, s17
	s_mul_i32 s6, s12, s17
	s_mul_hi_u32 s23, s13, s17
	s_wait_alu 0xfffe
	s_add_nc_u64 s[6:7], s[20:21], s[6:7]
	s_mul_i32 s18, s13, s17
	s_wait_alu 0xfffe
	s_add_co_u32 s6, s6, s19
	s_add_co_ci_u32 s24, s7, s9
	s_add_co_ci_u32 s19, s23, 0
	s_delay_alu instid0(SALU_CYCLE_1) | instskip(SKIP_2) | instid1(SALU_CYCLE_1)
	s_add_nc_u64 s[6:7], s[24:25], s[18:19]
	s_wait_alu 0xfffe
	s_mul_u64 s[18:19], s[14:15], s[6:7]
	s_sub_co_u32 s9, s12, s18
	s_cselect_b32 s17, -1, 0
	s_sub_co_i32 s18, s13, s19
	s_cmp_lg_u32 s17, 0
	s_sub_co_ci_u32 s18, s18, s15
	s_sub_co_u32 s20, s9, s14
	s_cselect_b32 s21, -1, 0
	s_wait_alu 0xfffe
	s_cmp_lg_u32 s21, 0
	s_sub_co_ci_u32 s18, s18, 0
	s_delay_alu instid0(SALU_CYCLE_1)
	s_cmp_ge_u32 s18, s15
	s_cselect_b32 s23, -1, 0
	s_cmp_ge_u32 s20, s14
	s_add_nc_u64 s[20:21], s[6:7], 1
	s_cselect_b32 s24, -1, 0
	s_cmp_eq_u32 s18, s15
	s_cselect_b32 s18, s24, s23
	s_add_nc_u64 s[24:25], s[6:7], 2
	s_cmp_lg_u32 s18, 0
	s_wait_alu 0xfffe
	s_cselect_b32 s18, s24, s20
	s_cselect_b32 s20, s25, s21
	s_cmp_lg_u32 s17, 0
	s_sub_co_ci_u32 s17, s13, s19
	s_delay_alu instid0(SALU_CYCLE_1)
	s_cmp_ge_u32 s17, s15
	s_cselect_b32 s19, -1, 0
	s_cmp_ge_u32 s9, s14
	s_cselect_b32 s9, -1, 0
	s_cmp_eq_u32 s17, s15
	s_cselect_b32 s9, s9, s19
	s_delay_alu instid0(SALU_CYCLE_1)
	s_cmp_lg_u32 s9, 0
	s_mov_b32 s9, 0
	s_wait_alu 0xfffe
	s_cselect_b32 s7, s20, s7
	s_cselect_b32 s6, s18, s6
.LBB197_5:                              ;   in Loop: Header=BB197_3 Depth=1
	s_and_not1_b32 vcc_lo, exec_lo, s9
	s_cbranch_vccnz .LBB197_7
; %bb.6:                                ;   in Loop: Header=BB197_3 Depth=1
	v_cvt_f32_u32_e32 v1, s14
	s_sub_co_i32 s7, 0, s14
	s_delay_alu instid0(VALU_DEP_1) | instskip(NEXT) | instid1(TRANS32_DEP_1)
	v_rcp_iflag_f32_e32 v1, v1
	v_mul_f32_e32 v1, 0x4f7ffffe, v1
	s_delay_alu instid0(VALU_DEP_1) | instskip(NEXT) | instid1(VALU_DEP_1)
	v_cvt_u32_f32_e32 v1, v1
	v_readfirstlane_b32 s6, v1
	s_wait_alu 0xfffe
	s_mul_i32 s7, s7, s6
	s_wait_alu 0xfffe
	s_mul_hi_u32 s7, s6, s7
	s_wait_alu 0xfffe
	s_add_co_i32 s6, s6, s7
	s_wait_alu 0xfffe
	s_mul_hi_u32 s6, s12, s6
	s_wait_alu 0xfffe
	s_mul_i32 s7, s6, s14
	s_add_co_i32 s9, s6, 1
	s_wait_alu 0xfffe
	s_sub_co_i32 s7, s12, s7
	s_wait_alu 0xfffe
	s_sub_co_i32 s17, s7, s14
	s_cmp_ge_u32 s7, s14
	s_cselect_b32 s6, s9, s6
	s_cselect_b32 s7, s17, s7
	s_wait_alu 0xfffe
	s_add_co_i32 s9, s6, 1
	s_cmp_ge_u32 s7, s14
	s_mov_b32 s7, s8
	s_cselect_b32 s6, s9, s6
.LBB197_7:                              ;   in Loop: Header=BB197_3 Depth=1
	s_load_b64 s[18:19], s[10:11], 0xc8
	s_mul_u64 s[14:15], s[6:7], s[14:15]
	s_add_co_i32 s16, s16, -1
	s_wait_alu 0xfffe
	s_sub_nc_u64 s[12:13], s[12:13], s[14:15]
	s_cmp_gt_u32 s16, 2
	s_add_nc_u64 s[10:11], s[10:11], -8
	s_wait_kmcnt 0x0
	s_mul_u64 s[12:13], s[18:19], s[12:13]
	s_delay_alu instid0(SALU_CYCLE_1)
	s_add_nc_u64 s[2:3], s[12:13], s[2:3]
	s_cbranch_scc0 .LBB197_9
; %bb.8:                                ;   in Loop: Header=BB197_3 Depth=1
	s_mov_b64 s[12:13], s[6:7]
	s_branch .LBB197_3
.LBB197_9:
	s_load_b32 s9, s[0:1], 0x350
	s_add_nc_u64 s[24:25], s[0:1], 0x368
	s_mov_b64 s[20:21], 0
	s_wait_kmcnt 0x0
	s_cmp_lt_i32 s9, 2
	s_cbranch_scc1 .LBB197_17
; %bb.10:
	s_mov_b32 s8, 0
	s_add_co_i32 s10, s9, -1
	s_mov_b32 s11, s8
	s_add_co_i32 s14, s9, 1
	s_lshl_b64 s[10:11], s[10:11], 3
	s_delay_alu instid0(SALU_CYCLE_1) | instskip(NEXT) | instid1(SALU_CYCLE_1)
	s_add_nc_u64 s[10:11], s[0:1], s[10:11]
	s_add_nc_u64 s[10:11], s[10:11], 0x1c0
.LBB197_11:                             ; =>This Inner Loop Header: Depth=1
	s_load_b64 s[12:13], s[10:11], 0x0
                                        ; implicit-def: $sgpr26_sgpr27
	s_wait_kmcnt 0x0
	s_or_b64 s[16:17], s[4:5], s[12:13]
	s_delay_alu instid0(SALU_CYCLE_1)
	s_mov_b32 s9, s17
	s_wait_alu 0xfffe
	s_cmp_lg_u64 s[8:9], 0
	s_mov_b32 s9, -1
	s_cbranch_scc0 .LBB197_13
; %bb.12:                               ;   in Loop: Header=BB197_11 Depth=1
	s_cvt_f32_u32 s9, s12
	s_cvt_f32_u32 s15, s13
	s_sub_nc_u64 s[18:19], 0, s[12:13]
	s_mov_b32 s27, s8
	s_mov_b32 s35, s8
	s_wait_alu 0xfffe
	s_fmamk_f32 s9, s15, 0x4f800000, s9
	s_wait_alu 0xfffe
	s_delay_alu instid0(SALU_CYCLE_2) | instskip(NEXT) | instid1(TRANS32_DEP_1)
	v_s_rcp_f32 s9, s9
	s_mul_f32 s9, s9, 0x5f7ffffc
	s_wait_alu 0xfffe
	s_delay_alu instid0(SALU_CYCLE_2) | instskip(SKIP_1) | instid1(SALU_CYCLE_2)
	s_mul_f32 s15, s9, 0x2f800000
	s_wait_alu 0xfffe
	s_trunc_f32 s15, s15
	s_wait_alu 0xfffe
	s_delay_alu instid0(SALU_CYCLE_2) | instskip(SKIP_2) | instid1(SALU_CYCLE_1)
	s_fmamk_f32 s9, s15, 0xcf800000, s9
	s_cvt_u32_f32 s17, s15
	s_wait_alu 0xfffe
	s_cvt_u32_f32 s16, s9
	s_delay_alu instid0(SALU_CYCLE_3) | instskip(NEXT) | instid1(SALU_CYCLE_1)
	s_mul_u64 s[30:31], s[18:19], s[16:17]
	s_mul_hi_u32 s37, s16, s31
	s_mul_i32 s36, s16, s31
	s_mul_hi_u32 s26, s16, s30
	s_mul_i32 s15, s17, s30
	s_add_nc_u64 s[26:27], s[26:27], s[36:37]
	s_mul_hi_u32 s9, s17, s30
	s_mul_hi_u32 s23, s17, s31
	s_wait_alu 0xfffe
	s_add_co_u32 s15, s26, s15
	s_add_co_ci_u32 s34, s27, s9
	s_mul_i32 s30, s17, s31
	s_add_co_ci_u32 s31, s23, 0
	s_delay_alu instid0(SALU_CYCLE_1)
	s_add_nc_u64 s[26:27], s[34:35], s[30:31]
	s_mov_b32 s31, s8
	s_add_co_u32 s16, s16, s26
	s_cselect_b32 s9, -1, 0
	s_wait_alu 0xfffe
	s_cmp_lg_u32 s9, 0
	s_add_co_ci_u32 s17, s17, s27
	s_mov_b32 s27, s8
	s_mul_u64 s[18:19], s[18:19], s[16:17]
	s_delay_alu instid0(SALU_CYCLE_1)
	s_mul_hi_u32 s35, s16, s19
	s_mul_i32 s34, s16, s19
	s_mul_hi_u32 s26, s16, s18
	s_mul_i32 s15, s17, s18
	s_add_nc_u64 s[26:27], s[26:27], s[34:35]
	s_mul_hi_u32 s9, s17, s18
	s_mul_hi_u32 s23, s17, s19
	s_wait_alu 0xfffe
	s_add_co_u32 s15, s26, s15
	s_add_co_ci_u32 s30, s27, s9
	s_mul_i32 s18, s17, s19
	s_add_co_ci_u32 s19, s23, 0
	s_mov_b32 s27, s8
	s_add_nc_u64 s[18:19], s[30:31], s[18:19]
	s_delay_alu instid0(SALU_CYCLE_1)
	s_add_co_u32 s9, s16, s18
	s_cselect_b32 s15, -1, 0
	s_wait_alu 0xfffe
	s_mul_hi_u32 s26, s4, s9
	s_cmp_lg_u32 s15, 0
	s_mul_hi_u32 s15, s5, s9
	s_add_co_ci_u32 s18, s17, s19
	s_mul_i32 s9, s5, s9
	s_mul_hi_u32 s17, s4, s18
	s_mul_i32 s16, s4, s18
	s_mul_hi_u32 s19, s5, s18
	s_add_nc_u64 s[16:17], s[26:27], s[16:17]
	s_mul_i32 s18, s5, s18
	s_wait_alu 0xfffe
	s_add_co_u32 s9, s16, s9
	s_add_co_ci_u32 s30, s17, s15
	s_add_co_ci_u32 s19, s19, 0
	s_delay_alu instid0(SALU_CYCLE_1) | instskip(NEXT) | instid1(SALU_CYCLE_1)
	s_add_nc_u64 s[16:17], s[30:31], s[18:19]
	s_mul_u64 s[18:19], s[12:13], s[16:17]
	s_delay_alu instid0(SALU_CYCLE_1)
	s_sub_co_u32 s9, s4, s18
	s_cselect_b32 s15, -1, 0
	s_sub_co_i32 s18, s5, s19
	s_wait_alu 0xfffe
	s_cmp_lg_u32 s15, 0
	s_sub_co_ci_u32 s18, s18, s13
	s_sub_co_u32 s23, s9, s12
	s_cselect_b32 s26, -1, 0
	s_delay_alu instid0(SALU_CYCLE_1) | instskip(SKIP_2) | instid1(SALU_CYCLE_1)
	s_cmp_lg_u32 s26, 0
	s_add_nc_u64 s[26:27], s[16:17], 1
	s_sub_co_ci_u32 s18, s18, 0
	s_cmp_ge_u32 s18, s13
	s_cselect_b32 s30, -1, 0
	s_cmp_ge_u32 s23, s12
	s_cselect_b32 s23, -1, 0
	s_cmp_eq_u32 s18, s13
	s_cselect_b32 s18, s23, s30
	s_add_nc_u64 s[30:31], s[16:17], 2
	s_cmp_lg_u32 s18, 0
	s_cselect_b32 s18, s30, s26
	s_cselect_b32 s23, s31, s27
	s_cmp_lg_u32 s15, 0
	s_sub_co_ci_u32 s15, s5, s19
	s_wait_alu 0xfffe
	s_cmp_ge_u32 s15, s13
	s_cselect_b32 s19, -1, 0
	s_cmp_ge_u32 s9, s12
	s_cselect_b32 s9, -1, 0
	s_cmp_eq_u32 s15, s13
	s_wait_alu 0xfffe
	s_cselect_b32 s9, s9, s19
	s_wait_alu 0xfffe
	s_cmp_lg_u32 s9, 0
	s_mov_b32 s9, 0
	s_cselect_b32 s27, s23, s17
	s_cselect_b32 s26, s18, s16
.LBB197_13:                             ;   in Loop: Header=BB197_11 Depth=1
	s_wait_alu 0xfffe
	s_and_not1_b32 vcc_lo, exec_lo, s9
	s_cbranch_vccnz .LBB197_15
; %bb.14:                               ;   in Loop: Header=BB197_11 Depth=1
	v_cvt_f32_u32_e32 v1, s12
	s_sub_co_i32 s15, 0, s12
	s_mov_b32 s27, s8
	s_delay_alu instid0(VALU_DEP_1) | instskip(NEXT) | instid1(TRANS32_DEP_1)
	v_rcp_iflag_f32_e32 v1, v1
	v_mul_f32_e32 v1, 0x4f7ffffe, v1
	s_delay_alu instid0(VALU_DEP_1) | instskip(NEXT) | instid1(VALU_DEP_1)
	v_cvt_u32_f32_e32 v1, v1
	v_readfirstlane_b32 s9, v1
	s_wait_alu 0xfffe
	s_mul_i32 s15, s15, s9
	s_wait_alu 0xfffe
	s_mul_hi_u32 s15, s9, s15
	s_wait_alu 0xfffe
	s_add_co_i32 s9, s9, s15
	s_wait_alu 0xfffe
	s_mul_hi_u32 s9, s4, s9
	s_wait_alu 0xfffe
	s_mul_i32 s15, s9, s12
	s_add_co_i32 s16, s9, 1
	s_wait_alu 0xfffe
	s_sub_co_i32 s15, s4, s15
	s_wait_alu 0xfffe
	s_sub_co_i32 s17, s15, s12
	s_cmp_ge_u32 s15, s12
	s_cselect_b32 s9, s16, s9
	s_cselect_b32 s15, s17, s15
	s_wait_alu 0xfffe
	s_add_co_i32 s16, s9, 1
	s_cmp_ge_u32 s15, s12
	s_cselect_b32 s26, s16, s9
.LBB197_15:                             ;   in Loop: Header=BB197_11 Depth=1
	s_load_b64 s[16:17], s[10:11], 0xc8
	s_mul_u64 s[12:13], s[26:27], s[12:13]
	s_add_co_i32 s14, s14, -1
	s_wait_alu 0xfffe
	s_sub_nc_u64 s[4:5], s[4:5], s[12:13]
	s_cmp_gt_u32 s14, 2
	s_add_nc_u64 s[10:11], s[10:11], -8
	s_wait_kmcnt 0x0
	s_wait_alu 0xfffe
	s_mul_u64 s[4:5], s[16:17], s[4:5]
	s_wait_alu 0xfffe
	s_add_nc_u64 s[20:21], s[4:5], s[20:21]
	s_cbranch_scc0 .LBB197_18
; %bb.16:                               ;   in Loop: Header=BB197_11 Depth=1
	s_mov_b64 s[4:5], s[26:27]
	s_branch .LBB197_11
.LBB197_17:
	s_mov_b64 s[26:27], s[4:5]
.LBB197_18:
	s_clause 0x2
	s_load_b64 s[4:5], s[0:1], 0xd0
	s_load_b32 s9, s[0:1], 0x360
	s_load_b64 s[30:31], s[0:1], 0x0
	s_wait_kmcnt 0x0
	s_mul_u64 s[18:19], s[4:5], s[6:7]
	s_bitcmp1_b32 s9, 0
	s_mov_b32 s4, -1
	s_cselect_b32 s33, -1, 0
	s_lshl_b64 s[34:35], s[18:19], 3
	s_lshl_b64 s[36:37], s[2:3], 3
	s_and_b32 s2, s33, exec_lo
	s_cselect_b32 s5, -1, 0x7fffffff
	s_wait_alu 0xfffe
	s_mov_b32 s6, s4
	s_mov_b32 s8, s4
	;; [unrolled: 1-line block ×14, first 2 shown]
	v_dual_mov_b32 v1, s4 :: v_dual_and_b32 v68, 0x3ff, v0
	v_mov_b32_e32 v18, s5
	s_wait_alu 0xfffe
	v_dual_mov_b32 v2, s5 :: v_dual_mov_b32 v3, s6
	s_delay_alu instid0(VALU_DEP_3)
	v_cmp_gt_u32_e64 s2, s22, v68
	v_dual_mov_b32 v4, s7 :: v_dual_mov_b32 v5, s8
	v_dual_mov_b32 v6, s9 :: v_dual_mov_b32 v7, s10
	;; [unrolled: 1-line block ×7, first 2 shown]
	s_add_nc_u64 s[30:31], s[30:31], s[34:35]
	s_delay_alu instid0(SALU_CYCLE_1)
	s_add_nc_u64 s[30:31], s[30:31], s[36:37]
	s_and_saveexec_b32 s3, s2
	s_cbranch_execz .LBB197_20
; %bb.19:
	v_mad_co_u64_u32 v[1:2], null, s28, v68, 0
	s_delay_alu instid0(VALU_DEP_1) | instskip(NEXT) | instid1(VALU_DEP_1)
	v_mad_co_u64_u32 v[2:3], null, s29, v68, v[2:3]
	v_lshlrev_b64_e32 v[1:2], 3, v[1:2]
	s_delay_alu instid0(VALU_DEP_1) | instskip(NEXT) | instid1(VALU_DEP_1)
	v_add_co_u32 v1, vcc_lo, s30, v1
	v_add_co_ci_u32_e64 v2, null, s31, v2, vcc_lo
	global_load_b64 v[17:18], v[1:2], off
	v_dual_mov_b32 v1, s4 :: v_dual_mov_b32 v2, s5
	v_dual_mov_b32 v3, s6 :: v_dual_mov_b32 v4, s7
	;; [unrolled: 1-line block ×8, first 2 shown]
.LBB197_20:
	s_or_b32 exec_lo, exec_lo, s3
	v_add_nc_u32_e32 v34, 0x80, v68
	s_delay_alu instid0(VALU_DEP_1)
	v_cmp_gt_u32_e64 s3, s22, v34
	s_and_saveexec_b32 s4, s3
	s_cbranch_execz .LBB197_22
; %bb.21:
	v_mad_co_u64_u32 v[1:2], null, s28, v34, 0
	s_delay_alu instid0(VALU_DEP_1) | instskip(NEXT) | instid1(VALU_DEP_1)
	v_mad_co_u64_u32 v[2:3], null, s29, v34, v[2:3]
	v_lshlrev_b64_e32 v[1:2], 3, v[1:2]
	s_delay_alu instid0(VALU_DEP_1) | instskip(SKIP_1) | instid1(VALU_DEP_2)
	v_add_co_u32 v1, vcc_lo, s30, v1
	s_wait_alu 0xfffd
	v_add_co_ci_u32_e64 v2, null, s31, v2, vcc_lo
	global_load_b64 v[3:4], v[1:2], off
.LBB197_22:
	s_wait_alu 0xfffe
	s_or_b32 exec_lo, exec_lo, s4
	v_add_nc_u32_e32 v35, 0x100, v68
	s_delay_alu instid0(VALU_DEP_1)
	v_cmp_gt_u32_e64 s4, s22, v35
	s_and_saveexec_b32 s5, s4
	s_cbranch_execz .LBB197_24
; %bb.23:
	v_mad_co_u64_u32 v[1:2], null, s28, v35, 0
	s_wait_loadcnt 0x0
	s_delay_alu instid0(VALU_DEP_1) | instskip(NEXT) | instid1(VALU_DEP_1)
	v_mad_co_u64_u32 v[5:6], null, s29, v35, v[2:3]
	v_mov_b32_e32 v2, v5
	s_delay_alu instid0(VALU_DEP_1) | instskip(NEXT) | instid1(VALU_DEP_1)
	v_lshlrev_b64_e32 v[1:2], 3, v[1:2]
	v_add_co_u32 v1, vcc_lo, s30, v1
	s_wait_alu 0xfffd
	s_delay_alu instid0(VALU_DEP_2)
	v_add_co_ci_u32_e64 v2, null, s31, v2, vcc_lo
	global_load_b64 v[5:6], v[1:2], off
.LBB197_24:
	s_wait_alu 0xfffe
	s_or_b32 exec_lo, exec_lo, s5
	v_add_nc_u32_e32 v36, 0x180, v68
	s_delay_alu instid0(VALU_DEP_1)
	v_cmp_gt_u32_e64 s5, s22, v36
	s_and_saveexec_b32 s6, s5
	s_cbranch_execz .LBB197_26
; %bb.25:
	v_mad_co_u64_u32 v[1:2], null, s28, v36, 0
	s_wait_loadcnt 0x0
	s_delay_alu instid0(VALU_DEP_1) | instskip(NEXT) | instid1(VALU_DEP_1)
	v_mad_co_u64_u32 v[7:8], null, s29, v36, v[2:3]
	v_mov_b32_e32 v2, v7
	s_delay_alu instid0(VALU_DEP_1) | instskip(NEXT) | instid1(VALU_DEP_1)
	v_lshlrev_b64_e32 v[1:2], 3, v[1:2]
	v_add_co_u32 v1, vcc_lo, s30, v1
	s_wait_alu 0xfffd
	s_delay_alu instid0(VALU_DEP_2)
	v_add_co_ci_u32_e64 v2, null, s31, v2, vcc_lo
	global_load_b64 v[7:8], v[1:2], off
.LBB197_26:
	;; [unrolled: 21-line block ×5, first 2 shown]
	s_wait_alu 0xfffe
	s_or_b32 exec_lo, exec_lo, s9
	s_clause 0x1
	s_load_b64 s[12:13], s[0:1], 0x288
	s_load_b64 s[10:11], s[0:1], 0x1b8
	v_add_nc_u32_e32 v40, 0x380, v68
	s_delay_alu instid0(VALU_DEP_1)
	v_cmp_gt_u32_e64 s9, s22, v40
	s_and_saveexec_b32 s14, s9
	s_cbranch_execz .LBB197_34
; %bb.33:
	v_mad_co_u64_u32 v[1:2], null, s28, v40, 0
	s_wait_loadcnt 0x0
	s_delay_alu instid0(VALU_DEP_1) | instskip(NEXT) | instid1(VALU_DEP_1)
	v_mad_co_u64_u32 v[15:16], null, s29, v40, v[2:3]
	v_mov_b32_e32 v2, v15
	s_delay_alu instid0(VALU_DEP_1) | instskip(NEXT) | instid1(VALU_DEP_1)
	v_lshlrev_b64_e32 v[1:2], 3, v[1:2]
	v_add_co_u32 v1, vcc_lo, s30, v1
	s_wait_alu 0xfffd
	s_delay_alu instid0(VALU_DEP_2)
	v_add_co_ci_u32_e64 v2, null, s31, v2, vcc_lo
	global_load_b64 v[15:16], v[1:2], off
.LBB197_34:
	s_wait_alu 0xfffe
	s_or_b32 exec_lo, exec_lo, s14
	v_lshrrev_b32_e32 v1, 2, v34
	v_lshrrev_b32_e32 v2, 2, v35
	;; [unrolled: 1-line block ×4, first 2 shown]
	v_lshlrev_b32_e32 v112, 3, v68
	v_and_b32_e32 v1, 0x1f8, v1
	v_and_b32_e32 v2, 0x1f8, v2
	;; [unrolled: 1-line block ×3, first 2 shown]
	v_lshrrev_b32_e32 v20, 2, v40
	v_lshl_add_u32 v103, v48, 3, v112
	v_add_nc_u32_e32 v104, v1, v112
	v_lshrrev_b32_e32 v1, 2, v37
	v_add_nc_u32_e32 v105, v2, v112
	v_add_nc_u32_e32 v106, v19, v112
	s_wait_loadcnt 0x0
	ds_store_b64 v103, v[17:18]
	ds_store_b64 v104, v[3:4] offset:1024
	ds_store_b64 v105, v[5:6] offset:2048
	;; [unrolled: 1-line block ×3, first 2 shown]
	v_and_b32_e32 v1, 0x1f8, v1
	v_lshlrev_b32_e32 v5, 1, v68
	v_lshrrev_b32_e32 v2, 2, v38
	v_lshrrev_b32_e32 v19, 2, v39
	s_load_b64 s[22:23], s[0:1], 0x358
	v_add_nc_u32_e32 v107, v1, v112
	v_and_b32_e32 v1, 0x7f8, v5
	s_wait_kmcnt 0x0
	s_mul_u64 s[12:13], s[12:13], s[26:27]
	s_lshl_b64 s[14:15], s[20:21], 3
	s_wait_alu 0xfffe
	s_lshl_b64 s[12:13], s[12:13], 3
	v_lshl_add_u32 v111, v68, 6, v1
	v_dual_mov_b32 v1, 0 :: v_dual_and_b32 v2, 0x1f8, v2
	v_and_b32_e32 v3, 0x1f8, v19
	v_and_b32_e32 v4, 0x1f8, v20
	s_wait_alu 0xfffe
	s_add_nc_u64 s[10:11], s[10:11], s[12:13]
	v_dual_mov_b32 v7, v1 :: v_dual_add_nc_u32 v108, v2, v112
	v_dual_mov_b32 v6, v1 :: v_dual_add_nc_u32 v109, v3, v112
	;; [unrolled: 1-line block ×3, first 2 shown]
	ds_store_b64 v107, v[9:10] offset:4096
	ds_store_b64 v108, v[11:12] offset:5120
	ds_store_b64 v109, v[13:14] offset:6144
	ds_store_b64 v110, v[15:16] offset:7168
	s_wait_dscnt 0x0
	s_barrier_signal -1
	s_barrier_wait -1
	global_inv scope:SCOPE_SE
	ds_load_2addr_b64 v[28:31], v111 offset1:1
	ds_load_2addr_b64 v[24:27], v111 offset0:2 offset1:3
	ds_load_2addr_b64 v[20:23], v111 offset0:4 offset1:5
	ds_load_2addr_b64 v[16:19], v111 offset0:6 offset1:7
	v_dual_mov_b32 v11, 0 :: v_dual_mov_b32 v2, v1
	v_dual_mov_b32 v3, v1 :: v_dual_mov_b32 v4, v1
	;; [unrolled: 1-line block ×5, first 2 shown]
	v_mov_b32_e32 v32, v1
	v_mov_b32_e32 v12, 0
	s_wait_alu 0xfffe
	s_add_nc_u64 s[34:35], s[10:11], s[14:15]
	s_wait_loadcnt_dscnt 0x0
	s_barrier_signal -1
	s_barrier_wait -1
	global_inv scope:SCOPE_SE
	s_and_saveexec_b32 s0, s2
	s_cbranch_execnz .LBB197_70
; %bb.35:
	s_or_b32 exec_lo, exec_lo, s0
	s_and_saveexec_b32 s0, s3
	s_cbranch_execnz .LBB197_71
.LBB197_36:
	s_or_b32 exec_lo, exec_lo, s0
	s_and_saveexec_b32 s0, s4
	s_cbranch_execnz .LBB197_72
.LBB197_37:
	s_or_b32 exec_lo, exec_lo, s0
	s_and_saveexec_b32 s0, s5
	s_cbranch_execnz .LBB197_73
.LBB197_38:
	s_or_b32 exec_lo, exec_lo, s0
	s_and_saveexec_b32 s0, s6
	s_cbranch_execnz .LBB197_74
.LBB197_39:
	s_or_b32 exec_lo, exec_lo, s0
	s_and_saveexec_b32 s0, s7
	s_cbranch_execnz .LBB197_75
.LBB197_40:
	s_or_b32 exec_lo, exec_lo, s0
	s_and_saveexec_b32 s0, s8
	s_cbranch_execnz .LBB197_76
.LBB197_41:
	s_or_b32 exec_lo, exec_lo, s0
	s_xor_b32 s0, s33, -1
	s_and_saveexec_b32 s1, s9
	s_cbranch_execz .LBB197_43
.LBB197_42:
	v_mad_co_u64_u32 v[32:33], null, s22, v40, 0
	s_delay_alu instid0(VALU_DEP_1) | instskip(NEXT) | instid1(VALU_DEP_1)
	v_mov_b32_e32 v15, v33
	v_mad_co_u64_u32 v[33:34], null, s23, v40, v[15:16]
	s_delay_alu instid0(VALU_DEP_1) | instskip(NEXT) | instid1(VALU_DEP_1)
	v_lshlrev_b64_e32 v[32:33], 3, v[32:33]
	v_add_co_u32 v32, vcc_lo, s34, v32
	s_wait_alu 0xfffd
	s_delay_alu instid0(VALU_DEP_2)
	v_add_co_ci_u32_e64 v33, null, s35, v33, vcc_lo
	global_load_b64 v[32:33], v[32:33], off
.LBB197_43:
	s_or_b32 exec_lo, exec_lo, s1
	s_wait_loadcnt 0x0
	ds_store_b64 v103, v[11:12]
	ds_store_b64 v104, v[1:2] offset:1024
	ds_store_b64 v105, v[3:4] offset:2048
	;; [unrolled: 1-line block ×7, first 2 shown]
	s_wait_dscnt 0x0
	s_barrier_signal -1
	s_barrier_wait -1
	global_inv scope:SCOPE_SE
	ds_load_2addr_b64 v[44:47], v111 offset1:1
	ds_load_2addr_b64 v[40:43], v111 offset0:2 offset1:3
	ds_load_2addr_b64 v[36:39], v111 offset0:4 offset1:5
	;; [unrolled: 1-line block ×3, first 2 shown]
	s_and_b32 vcc_lo, exec_lo, s0
	v_bfe_u32 v118, v0, 10, 10
	v_bfe_u32 v119, v0, 20, 10
	v_ashrrev_i32_e32 v127, 31, v29
	v_ashrrev_i32_e32 v126, 31, v31
	;; [unrolled: 1-line block ×8, first 2 shown]
	v_mbcnt_lo_u32_b32 v116, -1, 0
	v_and_b32_e32 v117, 0x3e0, v68
	v_lshlrev_b32_e32 v113, 2, v112
	v_cmp_gt_u32_e64 s0, 4, v68
	v_cmp_lt_u32_e64 s1, 31, v68
	v_cmp_eq_u32_e64 s10, 0, v68
	v_lshlrev_b32_e32 v114, 2, v48
	v_mul_i32_i24_e32 v115, 0xffffffe4, v68
	s_wait_loadcnt_dscnt 0x0
	s_barrier_signal -1
	s_barrier_wait -1
	global_inv scope:SCOPE_SE
	s_wait_alu 0xfffe
	s_cbranch_vccz .LBB197_77
; %bb.44:
	v_cmp_lt_i64_e32 vcc_lo, -1, v[28:29]
	v_or_b32_e32 v14, v116, v117
	s_getpc_b64 s[12:13]
	s_wait_alu 0xfffe
	s_sext_i32_i16 s13, s13
	s_add_co_u32 s12, s12, _ZN7rocprim17ROCPRIM_400000_NS16block_radix_sortIdLj128ELj8ElLj1ELj1ELj0ELNS0_26block_radix_rank_algorithmE1ELNS0_18block_padding_hintE2ELNS0_4arch9wavefront6targetE0EE19radix_bits_per_passE@rel32@lo+12
	s_wait_alu 0xfffe
	s_add_co_ci_u32 s13, s13, _ZN7rocprim17ROCPRIM_400000_NS16block_radix_sortIdLj128ELj8ElLj1ELj1ELj0ELNS0_26block_radix_rank_algorithmE1ELNS0_18block_padding_hintE2ELNS0_4arch9wavefront6targetE0EE19radix_bits_per_passE@rel32@hi+24
	v_and_or_b32 v49, 0x1f00, v112, v116
	s_load_b32 s21, s[12:13], 0x0
	s_mov_b32 s36, 0
	v_cndmask_b32_e64 v0, -1, 0x80000000, vcc_lo
	v_cmp_lt_i64_e32 vcc_lo, -1, v[30:31]
	v_lshlrev_b32_e32 v48, 6, v14
	v_lshlrev_b32_e32 v128, 3, v49
	v_xor_b32_e32 v14, v120, v18
	v_xor_b32_e32 v1, v0, v29
	;; [unrolled: 1-line block ×3, first 2 shown]
	s_wait_alu 0xfffd
	v_cndmask_b32_e64 v2, -1, 0x80000000, vcc_lo
	v_cmp_lt_i64_e32 vcc_lo, -1, v[24:25]
	s_mov_b32 s37, s36
	s_mov_b32 s38, s36
	;; [unrolled: 1-line block ×3, first 2 shown]
	v_xor_b32_e32 v3, v2, v31
	v_xor_b32_e32 v2, v126, v30
	s_wait_alu 0xfffd
	v_cndmask_b32_e64 v4, -1, 0x80000000, vcc_lo
	v_cmp_lt_i64_e32 vcc_lo, -1, v[26:27]
	v_add_nc_u32_e32 v130, -4, v114
	v_add_nc_u32_e32 v132, v113, v115
	s_mov_b32 s26, -1
	v_xor_b32_e32 v5, v4, v25
	v_xor_b32_e32 v4, v125, v24
	s_wait_alu 0xfffd
	v_cndmask_b32_e64 v6, -1, 0x80000000, vcc_lo
	v_cmp_lt_i64_e32 vcc_lo, -1, v[20:21]
	s_brev_b32 s27, -2
	s_mov_b32 s33, 64
	s_delay_alu instid0(VALU_DEP_2)
	v_xor_b32_e32 v7, v6, v27
	v_xor_b32_e32 v6, v124, v26
	s_wait_alu 0xfffd
	v_cndmask_b32_e64 v8, -1, 0x80000000, vcc_lo
	v_cmp_lt_i64_e32 vcc_lo, -1, v[22:23]
	ds_store_b128 v48, v[0:3]
	ds_store_b128 v48, v[4:7] offset:16
	v_sub_co_u32 v3, s13, v116, 1
	v_xor_b32_e32 v9, v8, v21
	s_wait_alu 0xfffd
	v_cndmask_b32_e64 v10, -1, 0x80000000, vcc_lo
	v_cmp_lt_i64_e32 vcc_lo, -1, v[16:17]
	v_xor_b32_e32 v8, v123, v20
	v_and_b32_e32 v2, 15, v116
	s_delay_alu instid0(VALU_DEP_4)
	v_xor_b32_e32 v11, v10, v23
	v_xor_b32_e32 v10, v122, v22
	s_wait_alu 0xfffd
	v_cndmask_b32_e64 v12, -1, 0x80000000, vcc_lo
	v_cmp_lt_i64_e32 vcc_lo, -1, v[18:19]
	v_cmp_lt_u32_e64 s12, 1, v2
	v_cmp_lt_u32_e64 s15, 7, v2
	s_delay_alu instid0(VALU_DEP_4) | instskip(SKIP_4) | instid1(VALU_DEP_2)
	v_xor_b32_e32 v13, v12, v17
	v_xor_b32_e32 v12, v121, v16
	s_wait_alu 0xfffd
	v_cndmask_b32_e64 v15, -1, 0x80000000, vcc_lo
	v_cmp_gt_i32_e32 vcc_lo, 0, v3
	v_xor_b32_e32 v15, v15, v19
	s_wait_alu 0xfffd
	v_cndmask_b32_e32 v3, v3, v116, vcc_lo
	ds_store_b128 v48, v[8:11] offset:32
	ds_store_b128 v48, v[12:15] offset:48
	; wave barrier
	ds_load_2addr_b64 v[4:7], v128 offset1:32
	ds_load_2addr_b64 v[8:11], v128 offset0:64 offset1:96
	ds_load_2addr_b64 v[12:15], v128 offset0:128 offset1:160
	;; [unrolled: 1-line block ×3, first 2 shown]
	; wave barrier
	ds_store_b128 v48, v[44:47]
	ds_store_b128 v48, v[40:43] offset:16
	ds_store_b128 v48, v[36:39] offset:32
	;; [unrolled: 1-line block ×3, first 2 shown]
	; wave barrier
	ds_load_2addr_b64 v[48:51], v128 offset1:32
	ds_load_2addr_b64 v[52:55], v128 offset0:64 offset1:96
	ds_load_2addr_b64 v[56:59], v128 offset0:128 offset1:160
	ds_load_2addr_b64 v[60:63], v128 offset0:192 offset1:224
	s_wait_loadcnt_dscnt 0x0
	s_barrier_signal -1
	s_barrier_wait -1
	global_inv scope:SCOPE_SE
	s_load_b32 s11, s[24:25], 0xc
	v_lshlrev_b32_e32 v129, 2, v3
	s_wait_kmcnt 0x0
	s_lshr_b32 s14, s11, 16
	s_and_b32 s11, s11, 0xffff
	s_wait_alu 0xfffe
	v_mad_u32_u24 v0, v119, s14, v118
	v_cmp_lt_u32_e64 s14, 3, v2
	s_delay_alu instid0(VALU_DEP_2) | instskip(SKIP_4) | instid1(VALU_DEP_4)
	v_mad_co_u64_u32 v[0:1], null, v0, s11, v[68:69]
	v_min_u32_e32 v1, 0x60, v117
	v_cmp_eq_u32_e64 s11, 0, v2
	v_and_b32_e32 v2, 16, v116
	v_and_b32_e32 v69, 3, v116
	v_or_b32_e32 v1, 31, v1
	v_lshrrev_b32_e32 v0, 3, v0
	s_delay_alu instid0(VALU_DEP_4) | instskip(NEXT) | instid1(VALU_DEP_3)
	v_cmp_eq_u32_e64 s16, 0, v2
	v_cmp_eq_u32_e64 s17, v68, v1
	s_delay_alu instid0(VALU_DEP_3)
	v_dual_mov_b32 v0, s36 :: v_dual_and_b32 v131, 0x1ffffffc, v0
	v_cmp_eq_u32_e64 s18, 0, v69
	v_cmp_lt_u32_e64 s19, 1, v69
	v_mov_b32_e32 v69, 0
	v_dual_mov_b32 v70, 0 :: v_dual_mov_b32 v1, s37
	v_dual_mov_b32 v2, s38 :: v_dual_mov_b32 v3, s39
	s_branch .LBB197_46
.LBB197_45:                             ;   in Loop: Header=BB197_46 Depth=1
	s_wait_alu 0xfffe
	s_and_not1_b32 vcc_lo, exec_lo, s20
	s_wait_alu 0xfffe
	s_cbranch_vccz .LBB197_78
.LBB197_46:                             ; =>This Inner Loop Header: Depth=1
	v_dual_mov_b32 v72, v5 :: v_dual_mov_b32 v71, v4
	s_min_u32 s20, s21, s33
	v_mov_b32_e32 v84, v59
	s_wait_alu 0xfffe
	s_lshl_b32 s20, -1, s20
	v_mov_b32_e32 v92, v51
	v_cmp_ne_u64_e32 vcc_lo, s[26:27], v[71:72]
	s_wait_alu 0xfffe
	s_not_b32 s36, s20
	v_mov_b32_e32 v82, v61
	v_mov_b32_e32 v86, v57
	;; [unrolled: 1-line block ×3, first 2 shown]
	s_wait_alu 0xfffd
	v_dual_mov_b32 v74, v67 :: v_dual_cndmask_b32 v5, 0x80000000, v72
	v_dual_cndmask_b32 v4, 0, v71 :: v_dual_mov_b32 v73, v66
	v_mov_b32_e32 v85, v56
	v_mov_b32_e32 v93, v48
	ds_store_b128 v113, v[0:3] offset:16
	ds_store_b128 v113, v[0:3] offset:32
	v_lshrrev_b64 v[4:5], v69, v[4:5]
	s_wait_loadcnt_dscnt 0x0
	s_barrier_signal -1
	s_barrier_wait -1
	v_dual_mov_b32 v76, v65 :: v_dual_mov_b32 v75, v64
	s_wait_alu 0xfffe
	v_dual_mov_b32 v78, v15 :: v_dual_and_b32 v5, s36, v4
	v_dual_mov_b32 v77, v14 :: v_dual_mov_b32 v96, v13
	v_dual_mov_b32 v95, v12 :: v_dual_mov_b32 v98, v11
	s_delay_alu instid0(VALU_DEP_3) | instskip(SKIP_4) | instid1(VALU_DEP_4)
	v_lshlrev_b32_e32 v67, 26, v5
	v_and_b32_e32 v4, 1, v5
	v_lshlrev_b32_e32 v14, 30, v5
	v_lshlrev_b32_e32 v15, 29, v5
	v_dual_mov_b32 v97, v10 :: v_dual_lshlrev_b32 v64, 28, v5
	v_add_co_u32 v4, s20, v4, -1
	s_wait_alu 0xf1ff
	v_cndmask_b32_e64 v65, 0, 1, s20
	v_not_b32_e32 v80, v14
	v_cmp_gt_i32_e64 s20, 0, v14
	v_not_b32_e32 v14, v15
	v_lshlrev_b32_e32 v66, 27, v5
	v_cmp_ne_u32_e32 vcc_lo, 0, v65
	v_ashrrev_i32_e32 v80, 31, v80
	v_dual_mov_b32 v100, v9 :: v_dual_lshlrev_b32 v79, 25, v5
	v_ashrrev_i32_e32 v14, 31, v14
	s_wait_alu 0xfffd
	v_xor_b32_e32 v4, vcc_lo, v4
	v_cmp_gt_i32_e32 vcc_lo, 0, v15
	v_not_b32_e32 v15, v64
	s_wait_alu 0xf1ff
	v_xor_b32_e32 v80, s20, v80
	v_dual_mov_b32 v102, v7 :: v_dual_lshlrev_b32 v65, 24, v5
	v_dual_mov_b32 v101, v6 :: v_dual_and_b32 v4, exec_lo, v4
	v_cmp_gt_i32_e64 s20, 0, v64
	v_ashrrev_i32_e32 v15, 31, v15
	s_wait_alu 0xfffd
	v_xor_b32_e32 v14, vcc_lo, v14
	v_and_b32_e32 v4, v4, v80
	v_mov_b32_e32 v99, v8
	v_not_b32_e32 v64, v66
	v_cmp_gt_i32_e32 vcc_lo, 0, v66
	v_not_b32_e32 v66, v67
	s_wait_alu 0xf1ff
	v_xor_b32_e32 v15, s20, v15
	v_dual_mov_b32 v83, v58 :: v_dual_and_b32 v4, v4, v14
	v_ashrrev_i32_e32 v64, 31, v64
	v_cmp_gt_i32_e64 s20, 0, v67
	v_not_b32_e32 v14, v79
	v_ashrrev_i32_e32 v66, 31, v66
	v_and_b32_e32 v4, v4, v15
	s_wait_alu 0xfffd
	v_xor_b32_e32 v64, vcc_lo, v64
	v_dual_mov_b32 v88, v55 :: v_dual_lshlrev_b32 v5, 4, v5
	v_cmp_gt_i32_e32 vcc_lo, 0, v79
	v_not_b32_e32 v15, v65
	v_ashrrev_i32_e32 v14, 31, v14
	s_wait_alu 0xf1ff
	v_xor_b32_e32 v66, s20, v66
	v_dual_mov_b32 v87, v54 :: v_dual_and_b32 v4, v4, v64
	v_mov_b32_e32 v91, v50
	v_cmp_gt_i32_e64 s20, 0, v65
	v_ashrrev_i32_e32 v12, 31, v15
	s_wait_alu 0xfffd
	v_xor_b32_e32 v13, vcc_lo, v14
	v_and_b32_e32 v4, v4, v66
	v_dual_mov_b32 v80, v63 :: v_dual_mov_b32 v81, v60
	s_wait_alu 0xf1ff
	v_xor_b32_e32 v6, s20, v12
	v_mov_b32_e32 v90, v53
	v_dual_mov_b32 v79, v62 :: v_dual_and_b32 v4, v4, v13
	v_mov_b32_e32 v89, v52
	v_add_nc_u32_e32 v13, v131, v5
	global_inv scope:SCOPE_SE
	v_and_b32_e32 v4, v4, v6
	; wave barrier
	s_delay_alu instid0(VALU_DEP_1) | instskip(SKIP_1) | instid1(VALU_DEP_2)
	v_mbcnt_lo_u32_b32 v12, v4, 0
	v_cmp_ne_u32_e64 s20, 0, v4
	v_cmp_eq_u32_e32 vcc_lo, 0, v12
	s_and_b32 s37, s20, vcc_lo
	s_wait_alu 0xfffe
	s_and_saveexec_b32 s20, s37
; %bb.47:                               ;   in Loop: Header=BB197_46 Depth=1
	v_bcnt_u32_b32 v4, v4, 0
	ds_store_b32 v13, v4 offset:16
; %bb.48:                               ;   in Loop: Header=BB197_46 Depth=1
	s_wait_alu 0xfffe
	s_or_b32 exec_lo, exec_lo, s20
	v_cmp_ne_u64_e32 vcc_lo, s[26:27], v[101:102]
	; wave barrier
	s_wait_alu 0xfffd
	v_cndmask_b32_e32 v5, 0x80000000, v102, vcc_lo
	v_cndmask_b32_e32 v4, 0, v101, vcc_lo
	s_delay_alu instid0(VALU_DEP_1) | instskip(NEXT) | instid1(VALU_DEP_1)
	v_lshrrev_b64 v[4:5], v69, v[4:5]
	v_and_b32_e32 v4, s36, v4
	s_delay_alu instid0(VALU_DEP_1)
	v_and_b32_e32 v5, 1, v4
	v_lshlrev_b32_e32 v6, 30, v4
	v_lshlrev_b32_e32 v7, 29, v4
	;; [unrolled: 1-line block ×4, first 2 shown]
	v_add_co_u32 v5, s20, v5, -1
	s_wait_alu 0xf1ff
	v_cndmask_b32_e64 v9, 0, 1, s20
	v_not_b32_e32 v15, v6
	v_cmp_gt_i32_e64 s20, 0, v6
	v_not_b32_e32 v6, v7
	v_lshlrev_b32_e32 v11, 26, v4
	v_cmp_ne_u32_e32 vcc_lo, 0, v9
	v_ashrrev_i32_e32 v15, 31, v15
	v_lshlrev_b32_e32 v14, 25, v4
	v_ashrrev_i32_e32 v6, 31, v6
	v_lshlrev_b32_e32 v9, 24, v4
	s_wait_alu 0xfffd
	v_xor_b32_e32 v5, vcc_lo, v5
	v_cmp_gt_i32_e32 vcc_lo, 0, v7
	v_not_b32_e32 v7, v8
	s_wait_alu 0xf1ff
	v_xor_b32_e32 v15, s20, v15
	v_cmp_gt_i32_e64 s20, 0, v8
	v_and_b32_e32 v5, exec_lo, v5
	v_not_b32_e32 v8, v10
	v_ashrrev_i32_e32 v7, 31, v7
	s_wait_alu 0xfffd
	v_xor_b32_e32 v6, vcc_lo, v6
	v_cmp_gt_i32_e32 vcc_lo, 0, v10
	v_and_b32_e32 v5, v5, v15
	v_not_b32_e32 v10, v11
	v_ashrrev_i32_e32 v8, 31, v8
	s_wait_alu 0xf1ff
	v_xor_b32_e32 v7, s20, v7
	v_cmp_gt_i32_e64 s20, 0, v11
	v_and_b32_e32 v5, v5, v6
	v_not_b32_e32 v6, v14
	v_ashrrev_i32_e32 v10, 31, v10
	s_wait_alu 0xfffd
	v_xor_b32_e32 v8, vcc_lo, v8
	v_cmp_gt_i32_e32 vcc_lo, 0, v14
	v_and_b32_e32 v5, v5, v7
	v_not_b32_e32 v7, v9
	v_ashrrev_i32_e32 v6, 31, v6
	s_wait_alu 0xf1ff
	v_xor_b32_e32 v10, s20, v10
	v_lshlrev_b32_e32 v4, 4, v4
	v_and_b32_e32 v5, v5, v8
	v_cmp_gt_i32_e64 s20, 0, v9
	v_ashrrev_i32_e32 v7, 31, v7
	s_wait_alu 0xfffd
	v_xor_b32_e32 v6, vcc_lo, v6
	v_add_nc_u32_e32 v48, v131, v4
	v_and_b32_e32 v5, v5, v10
	s_wait_alu 0xf1ff
	v_xor_b32_e32 v4, s20, v7
	ds_load_b32 v14, v48 offset:16
	v_and_b32_e32 v5, v5, v6
	; wave barrier
	s_delay_alu instid0(VALU_DEP_1) | instskip(NEXT) | instid1(VALU_DEP_1)
	v_and_b32_e32 v4, v5, v4
	v_mbcnt_lo_u32_b32 v15, v4, 0
	v_cmp_ne_u32_e64 s20, 0, v4
	s_delay_alu instid0(VALU_DEP_2)
	v_cmp_eq_u32_e32 vcc_lo, 0, v15
	s_and_b32 s37, s20, vcc_lo
	s_wait_alu 0xfffe
	s_and_saveexec_b32 s20, s37
	s_cbranch_execz .LBB197_50
; %bb.49:                               ;   in Loop: Header=BB197_46 Depth=1
	s_wait_dscnt 0x0
	v_bcnt_u32_b32 v4, v4, v14
	ds_store_b32 v48, v4 offset:16
.LBB197_50:                             ;   in Loop: Header=BB197_46 Depth=1
	s_wait_alu 0xfffe
	s_or_b32 exec_lo, exec_lo, s20
	v_cmp_ne_u64_e32 vcc_lo, s[26:27], v[99:100]
	; wave barrier
	s_wait_alu 0xfffd
	v_cndmask_b32_e32 v5, 0x80000000, v100, vcc_lo
	v_cndmask_b32_e32 v4, 0, v99, vcc_lo
	s_delay_alu instid0(VALU_DEP_1) | instskip(NEXT) | instid1(VALU_DEP_1)
	v_lshrrev_b64 v[4:5], v69, v[4:5]
	v_and_b32_e32 v4, s36, v4
	s_delay_alu instid0(VALU_DEP_1)
	v_and_b32_e32 v5, 1, v4
	v_lshlrev_b32_e32 v6, 30, v4
	v_lshlrev_b32_e32 v7, 29, v4
	;; [unrolled: 1-line block ×4, first 2 shown]
	v_add_co_u32 v5, s20, v5, -1
	s_wait_alu 0xf1ff
	v_cndmask_b32_e64 v9, 0, 1, s20
	v_not_b32_e32 v50, v6
	v_cmp_gt_i32_e64 s20, 0, v6
	v_not_b32_e32 v6, v7
	v_lshlrev_b32_e32 v11, 26, v4
	v_cmp_ne_u32_e32 vcc_lo, 0, v9
	v_ashrrev_i32_e32 v50, 31, v50
	v_lshlrev_b32_e32 v49, 25, v4
	v_ashrrev_i32_e32 v6, 31, v6
	v_lshlrev_b32_e32 v9, 24, v4
	s_wait_alu 0xfffd
	v_xor_b32_e32 v5, vcc_lo, v5
	v_cmp_gt_i32_e32 vcc_lo, 0, v7
	v_not_b32_e32 v7, v8
	s_wait_alu 0xf1ff
	v_xor_b32_e32 v50, s20, v50
	v_cmp_gt_i32_e64 s20, 0, v8
	v_and_b32_e32 v5, exec_lo, v5
	v_not_b32_e32 v8, v10
	v_ashrrev_i32_e32 v7, 31, v7
	s_wait_alu 0xfffd
	v_xor_b32_e32 v6, vcc_lo, v6
	v_cmp_gt_i32_e32 vcc_lo, 0, v10
	v_and_b32_e32 v5, v5, v50
	v_not_b32_e32 v10, v11
	v_ashrrev_i32_e32 v8, 31, v8
	s_wait_alu 0xf1ff
	v_xor_b32_e32 v7, s20, v7
	v_cmp_gt_i32_e64 s20, 0, v11
	v_and_b32_e32 v5, v5, v6
	v_not_b32_e32 v6, v49
	v_ashrrev_i32_e32 v10, 31, v10
	s_wait_alu 0xfffd
	v_xor_b32_e32 v8, vcc_lo, v8
	v_cmp_gt_i32_e32 vcc_lo, 0, v49
	v_and_b32_e32 v5, v5, v7
	v_not_b32_e32 v7, v9
	v_ashrrev_i32_e32 v6, 31, v6
	s_wait_alu 0xf1ff
	v_xor_b32_e32 v10, s20, v10
	v_lshlrev_b32_e32 v4, 4, v4
	v_and_b32_e32 v5, v5, v8
	v_cmp_gt_i32_e64 s20, 0, v9
	v_ashrrev_i32_e32 v7, 31, v7
	s_wait_alu 0xfffd
	v_xor_b32_e32 v6, vcc_lo, v6
	v_add_nc_u32_e32 v51, v131, v4
	v_and_b32_e32 v5, v5, v10
	s_wait_alu 0xf1ff
	v_xor_b32_e32 v4, s20, v7
	ds_load_b32 v49, v51 offset:16
	v_and_b32_e32 v5, v5, v6
	; wave barrier
	s_delay_alu instid0(VALU_DEP_1) | instskip(NEXT) | instid1(VALU_DEP_1)
	v_and_b32_e32 v4, v5, v4
	v_mbcnt_lo_u32_b32 v50, v4, 0
	v_cmp_ne_u32_e64 s20, 0, v4
	s_delay_alu instid0(VALU_DEP_2)
	v_cmp_eq_u32_e32 vcc_lo, 0, v50
	s_and_b32 s37, s20, vcc_lo
	s_wait_alu 0xfffe
	s_and_saveexec_b32 s20, s37
	s_cbranch_execz .LBB197_52
; %bb.51:                               ;   in Loop: Header=BB197_46 Depth=1
	s_wait_dscnt 0x0
	v_bcnt_u32_b32 v4, v4, v49
	ds_store_b32 v51, v4 offset:16
.LBB197_52:                             ;   in Loop: Header=BB197_46 Depth=1
	s_wait_alu 0xfffe
	s_or_b32 exec_lo, exec_lo, s20
	v_cmp_ne_u64_e32 vcc_lo, s[26:27], v[97:98]
	; wave barrier
	s_wait_alu 0xfffd
	v_cndmask_b32_e32 v5, 0x80000000, v98, vcc_lo
	v_cndmask_b32_e32 v4, 0, v97, vcc_lo
	s_delay_alu instid0(VALU_DEP_1) | instskip(NEXT) | instid1(VALU_DEP_1)
	v_lshrrev_b64 v[4:5], v69, v[4:5]
	v_and_b32_e32 v4, s36, v4
	s_delay_alu instid0(VALU_DEP_1)
	v_and_b32_e32 v5, 1, v4
	v_lshlrev_b32_e32 v6, 30, v4
	v_lshlrev_b32_e32 v7, 29, v4
	;; [unrolled: 1-line block ×4, first 2 shown]
	v_add_co_u32 v5, s20, v5, -1
	s_wait_alu 0xf1ff
	v_cndmask_b32_e64 v9, 0, 1, s20
	v_not_b32_e32 v53, v6
	v_cmp_gt_i32_e64 s20, 0, v6
	v_not_b32_e32 v6, v7
	v_lshlrev_b32_e32 v11, 26, v4
	v_cmp_ne_u32_e32 vcc_lo, 0, v9
	v_ashrrev_i32_e32 v53, 31, v53
	v_lshlrev_b32_e32 v52, 25, v4
	v_ashrrev_i32_e32 v6, 31, v6
	v_lshlrev_b32_e32 v9, 24, v4
	s_wait_alu 0xfffd
	v_xor_b32_e32 v5, vcc_lo, v5
	v_cmp_gt_i32_e32 vcc_lo, 0, v7
	v_not_b32_e32 v7, v8
	s_wait_alu 0xf1ff
	v_xor_b32_e32 v53, s20, v53
	v_cmp_gt_i32_e64 s20, 0, v8
	v_and_b32_e32 v5, exec_lo, v5
	v_not_b32_e32 v8, v10
	v_ashrrev_i32_e32 v7, 31, v7
	s_wait_alu 0xfffd
	v_xor_b32_e32 v6, vcc_lo, v6
	v_cmp_gt_i32_e32 vcc_lo, 0, v10
	v_and_b32_e32 v5, v5, v53
	v_not_b32_e32 v10, v11
	v_ashrrev_i32_e32 v8, 31, v8
	s_wait_alu 0xf1ff
	v_xor_b32_e32 v7, s20, v7
	v_cmp_gt_i32_e64 s20, 0, v11
	v_and_b32_e32 v5, v5, v6
	v_not_b32_e32 v6, v52
	v_ashrrev_i32_e32 v10, 31, v10
	s_wait_alu 0xfffd
	v_xor_b32_e32 v8, vcc_lo, v8
	v_cmp_gt_i32_e32 vcc_lo, 0, v52
	v_and_b32_e32 v5, v5, v7
	v_not_b32_e32 v7, v9
	v_ashrrev_i32_e32 v6, 31, v6
	s_wait_alu 0xf1ff
	v_xor_b32_e32 v10, s20, v10
	v_lshlrev_b32_e32 v4, 4, v4
	v_and_b32_e32 v5, v5, v8
	v_cmp_gt_i32_e64 s20, 0, v9
	v_ashrrev_i32_e32 v7, 31, v7
	s_wait_alu 0xfffd
	v_xor_b32_e32 v6, vcc_lo, v6
	v_add_nc_u32_e32 v54, v131, v4
	v_and_b32_e32 v5, v5, v10
	s_wait_alu 0xf1ff
	v_xor_b32_e32 v4, s20, v7
	ds_load_b32 v52, v54 offset:16
	v_and_b32_e32 v5, v5, v6
	; wave barrier
	s_delay_alu instid0(VALU_DEP_1) | instskip(NEXT) | instid1(VALU_DEP_1)
	v_and_b32_e32 v4, v5, v4
	v_mbcnt_lo_u32_b32 v53, v4, 0
	v_cmp_ne_u32_e64 s20, 0, v4
	s_delay_alu instid0(VALU_DEP_2)
	v_cmp_eq_u32_e32 vcc_lo, 0, v53
	s_and_b32 s37, s20, vcc_lo
	s_wait_alu 0xfffe
	s_and_saveexec_b32 s20, s37
	s_cbranch_execz .LBB197_54
; %bb.53:                               ;   in Loop: Header=BB197_46 Depth=1
	s_wait_dscnt 0x0
	v_bcnt_u32_b32 v4, v4, v52
	ds_store_b32 v54, v4 offset:16
.LBB197_54:                             ;   in Loop: Header=BB197_46 Depth=1
	s_wait_alu 0xfffe
	s_or_b32 exec_lo, exec_lo, s20
	v_cmp_ne_u64_e32 vcc_lo, s[26:27], v[95:96]
	; wave barrier
	s_wait_alu 0xfffd
	v_cndmask_b32_e32 v5, 0x80000000, v96, vcc_lo
	v_cndmask_b32_e32 v4, 0, v95, vcc_lo
	s_delay_alu instid0(VALU_DEP_1) | instskip(NEXT) | instid1(VALU_DEP_1)
	v_lshrrev_b64 v[4:5], v69, v[4:5]
	v_and_b32_e32 v4, s36, v4
	s_delay_alu instid0(VALU_DEP_1)
	v_and_b32_e32 v5, 1, v4
	v_lshlrev_b32_e32 v6, 30, v4
	v_lshlrev_b32_e32 v7, 29, v4
	;; [unrolled: 1-line block ×4, first 2 shown]
	v_add_co_u32 v5, s20, v5, -1
	s_wait_alu 0xf1ff
	v_cndmask_b32_e64 v9, 0, 1, s20
	v_not_b32_e32 v56, v6
	v_cmp_gt_i32_e64 s20, 0, v6
	v_not_b32_e32 v6, v7
	v_lshlrev_b32_e32 v11, 26, v4
	v_cmp_ne_u32_e32 vcc_lo, 0, v9
	v_ashrrev_i32_e32 v56, 31, v56
	v_lshlrev_b32_e32 v55, 25, v4
	v_ashrrev_i32_e32 v6, 31, v6
	v_lshlrev_b32_e32 v9, 24, v4
	s_wait_alu 0xfffd
	v_xor_b32_e32 v5, vcc_lo, v5
	v_cmp_gt_i32_e32 vcc_lo, 0, v7
	v_not_b32_e32 v7, v8
	s_wait_alu 0xf1ff
	v_xor_b32_e32 v56, s20, v56
	v_cmp_gt_i32_e64 s20, 0, v8
	v_and_b32_e32 v5, exec_lo, v5
	v_not_b32_e32 v8, v10
	v_ashrrev_i32_e32 v7, 31, v7
	s_wait_alu 0xfffd
	v_xor_b32_e32 v6, vcc_lo, v6
	v_cmp_gt_i32_e32 vcc_lo, 0, v10
	v_and_b32_e32 v5, v5, v56
	v_not_b32_e32 v10, v11
	v_ashrrev_i32_e32 v8, 31, v8
	s_wait_alu 0xf1ff
	v_xor_b32_e32 v7, s20, v7
	v_cmp_gt_i32_e64 s20, 0, v11
	v_and_b32_e32 v5, v5, v6
	v_not_b32_e32 v6, v55
	v_ashrrev_i32_e32 v10, 31, v10
	s_wait_alu 0xfffd
	v_xor_b32_e32 v8, vcc_lo, v8
	v_cmp_gt_i32_e32 vcc_lo, 0, v55
	v_and_b32_e32 v5, v5, v7
	v_not_b32_e32 v7, v9
	v_ashrrev_i32_e32 v6, 31, v6
	s_wait_alu 0xf1ff
	v_xor_b32_e32 v10, s20, v10
	v_lshlrev_b32_e32 v4, 4, v4
	v_and_b32_e32 v5, v5, v8
	v_cmp_gt_i32_e64 s20, 0, v9
	v_ashrrev_i32_e32 v7, 31, v7
	s_wait_alu 0xfffd
	v_xor_b32_e32 v6, vcc_lo, v6
	v_add_nc_u32_e32 v57, v131, v4
	v_and_b32_e32 v5, v5, v10
	s_wait_alu 0xf1ff
	v_xor_b32_e32 v4, s20, v7
	ds_load_b32 v55, v57 offset:16
	v_and_b32_e32 v5, v5, v6
	; wave barrier
	s_delay_alu instid0(VALU_DEP_1) | instskip(NEXT) | instid1(VALU_DEP_1)
	v_and_b32_e32 v4, v5, v4
	v_mbcnt_lo_u32_b32 v56, v4, 0
	v_cmp_ne_u32_e64 s20, 0, v4
	s_delay_alu instid0(VALU_DEP_2)
	v_cmp_eq_u32_e32 vcc_lo, 0, v56
	s_and_b32 s37, s20, vcc_lo
	s_wait_alu 0xfffe
	s_and_saveexec_b32 s20, s37
	s_cbranch_execz .LBB197_56
; %bb.55:                               ;   in Loop: Header=BB197_46 Depth=1
	s_wait_dscnt 0x0
	v_bcnt_u32_b32 v4, v4, v55
	ds_store_b32 v57, v4 offset:16
.LBB197_56:                             ;   in Loop: Header=BB197_46 Depth=1
	s_wait_alu 0xfffe
	s_or_b32 exec_lo, exec_lo, s20
	v_cmp_ne_u64_e32 vcc_lo, s[26:27], v[77:78]
	; wave barrier
	s_wait_alu 0xfffd
	v_cndmask_b32_e32 v5, 0x80000000, v78, vcc_lo
	v_cndmask_b32_e32 v4, 0, v77, vcc_lo
	s_delay_alu instid0(VALU_DEP_1) | instskip(NEXT) | instid1(VALU_DEP_1)
	v_lshrrev_b64 v[4:5], v69, v[4:5]
	v_and_b32_e32 v4, s36, v4
	s_delay_alu instid0(VALU_DEP_1)
	v_and_b32_e32 v5, 1, v4
	v_lshlrev_b32_e32 v6, 30, v4
	v_lshlrev_b32_e32 v7, 29, v4
	;; [unrolled: 1-line block ×4, first 2 shown]
	v_add_co_u32 v5, s20, v5, -1
	s_wait_alu 0xf1ff
	v_cndmask_b32_e64 v9, 0, 1, s20
	v_not_b32_e32 v59, v6
	v_cmp_gt_i32_e64 s20, 0, v6
	v_not_b32_e32 v6, v7
	v_lshlrev_b32_e32 v11, 26, v4
	v_cmp_ne_u32_e32 vcc_lo, 0, v9
	v_ashrrev_i32_e32 v59, 31, v59
	v_lshlrev_b32_e32 v58, 25, v4
	v_ashrrev_i32_e32 v6, 31, v6
	v_lshlrev_b32_e32 v9, 24, v4
	s_wait_alu 0xfffd
	v_xor_b32_e32 v5, vcc_lo, v5
	v_cmp_gt_i32_e32 vcc_lo, 0, v7
	v_not_b32_e32 v7, v8
	s_wait_alu 0xf1ff
	v_xor_b32_e32 v59, s20, v59
	v_cmp_gt_i32_e64 s20, 0, v8
	v_and_b32_e32 v5, exec_lo, v5
	v_not_b32_e32 v8, v10
	v_ashrrev_i32_e32 v7, 31, v7
	s_wait_alu 0xfffd
	v_xor_b32_e32 v6, vcc_lo, v6
	v_cmp_gt_i32_e32 vcc_lo, 0, v10
	v_and_b32_e32 v5, v5, v59
	v_not_b32_e32 v10, v11
	v_ashrrev_i32_e32 v8, 31, v8
	s_wait_alu 0xf1ff
	v_xor_b32_e32 v7, s20, v7
	v_cmp_gt_i32_e64 s20, 0, v11
	v_and_b32_e32 v5, v5, v6
	v_not_b32_e32 v6, v58
	v_ashrrev_i32_e32 v10, 31, v10
	s_wait_alu 0xfffd
	v_xor_b32_e32 v8, vcc_lo, v8
	v_cmp_gt_i32_e32 vcc_lo, 0, v58
	v_and_b32_e32 v5, v5, v7
	v_not_b32_e32 v7, v9
	v_ashrrev_i32_e32 v6, 31, v6
	s_wait_alu 0xf1ff
	v_xor_b32_e32 v10, s20, v10
	v_lshlrev_b32_e32 v4, 4, v4
	v_and_b32_e32 v5, v5, v8
	v_cmp_gt_i32_e64 s20, 0, v9
	v_ashrrev_i32_e32 v7, 31, v7
	s_wait_alu 0xfffd
	v_xor_b32_e32 v6, vcc_lo, v6
	v_add_nc_u32_e32 v60, v131, v4
	v_and_b32_e32 v5, v5, v10
	s_wait_alu 0xf1ff
	v_xor_b32_e32 v4, s20, v7
	ds_load_b32 v58, v60 offset:16
	v_and_b32_e32 v5, v5, v6
	; wave barrier
	s_delay_alu instid0(VALU_DEP_1) | instskip(NEXT) | instid1(VALU_DEP_1)
	v_and_b32_e32 v4, v5, v4
	v_mbcnt_lo_u32_b32 v59, v4, 0
	v_cmp_ne_u32_e64 s20, 0, v4
	s_delay_alu instid0(VALU_DEP_2)
	v_cmp_eq_u32_e32 vcc_lo, 0, v59
	s_and_b32 s37, s20, vcc_lo
	s_wait_alu 0xfffe
	s_and_saveexec_b32 s20, s37
	s_cbranch_execz .LBB197_58
; %bb.57:                               ;   in Loop: Header=BB197_46 Depth=1
	s_wait_dscnt 0x0
	v_bcnt_u32_b32 v4, v4, v58
	ds_store_b32 v60, v4 offset:16
.LBB197_58:                             ;   in Loop: Header=BB197_46 Depth=1
	s_wait_alu 0xfffe
	s_or_b32 exec_lo, exec_lo, s20
	v_cmp_ne_u64_e32 vcc_lo, s[26:27], v[75:76]
	; wave barrier
	s_wait_alu 0xfffd
	v_cndmask_b32_e32 v5, 0x80000000, v76, vcc_lo
	v_cndmask_b32_e32 v4, 0, v75, vcc_lo
	s_delay_alu instid0(VALU_DEP_1) | instskip(NEXT) | instid1(VALU_DEP_1)
	v_lshrrev_b64 v[4:5], v69, v[4:5]
	v_and_b32_e32 v4, s36, v4
	s_delay_alu instid0(VALU_DEP_1)
	v_and_b32_e32 v5, 1, v4
	v_lshlrev_b32_e32 v6, 30, v4
	v_lshlrev_b32_e32 v7, 29, v4
	;; [unrolled: 1-line block ×4, first 2 shown]
	v_add_co_u32 v5, s20, v5, -1
	s_wait_alu 0xf1ff
	v_cndmask_b32_e64 v9, 0, 1, s20
	v_not_b32_e32 v62, v6
	v_cmp_gt_i32_e64 s20, 0, v6
	v_not_b32_e32 v6, v7
	v_lshlrev_b32_e32 v11, 26, v4
	v_cmp_ne_u32_e32 vcc_lo, 0, v9
	v_ashrrev_i32_e32 v62, 31, v62
	v_lshlrev_b32_e32 v61, 25, v4
	v_ashrrev_i32_e32 v6, 31, v6
	v_lshlrev_b32_e32 v9, 24, v4
	s_wait_alu 0xfffd
	v_xor_b32_e32 v5, vcc_lo, v5
	v_cmp_gt_i32_e32 vcc_lo, 0, v7
	v_not_b32_e32 v7, v8
	s_wait_alu 0xf1ff
	v_xor_b32_e32 v62, s20, v62
	v_cmp_gt_i32_e64 s20, 0, v8
	v_and_b32_e32 v5, exec_lo, v5
	v_not_b32_e32 v8, v10
	v_ashrrev_i32_e32 v7, 31, v7
	s_wait_alu 0xfffd
	v_xor_b32_e32 v6, vcc_lo, v6
	v_cmp_gt_i32_e32 vcc_lo, 0, v10
	v_and_b32_e32 v5, v5, v62
	v_not_b32_e32 v10, v11
	v_ashrrev_i32_e32 v8, 31, v8
	s_wait_alu 0xf1ff
	v_xor_b32_e32 v7, s20, v7
	v_cmp_gt_i32_e64 s20, 0, v11
	v_and_b32_e32 v5, v5, v6
	v_not_b32_e32 v6, v61
	v_ashrrev_i32_e32 v10, 31, v10
	s_wait_alu 0xfffd
	v_xor_b32_e32 v8, vcc_lo, v8
	v_cmp_gt_i32_e32 vcc_lo, 0, v61
	v_and_b32_e32 v5, v5, v7
	v_not_b32_e32 v7, v9
	v_ashrrev_i32_e32 v6, 31, v6
	s_wait_alu 0xf1ff
	v_xor_b32_e32 v10, s20, v10
	v_lshlrev_b32_e32 v4, 4, v4
	v_and_b32_e32 v5, v5, v8
	v_cmp_gt_i32_e64 s20, 0, v9
	v_ashrrev_i32_e32 v7, 31, v7
	s_wait_alu 0xfffd
	v_xor_b32_e32 v6, vcc_lo, v6
	v_add_nc_u32_e32 v63, v131, v4
	v_and_b32_e32 v5, v5, v10
	s_wait_alu 0xf1ff
	v_xor_b32_e32 v4, s20, v7
	ds_load_b32 v61, v63 offset:16
	v_and_b32_e32 v5, v5, v6
	; wave barrier
	s_delay_alu instid0(VALU_DEP_1) | instskip(NEXT) | instid1(VALU_DEP_1)
	v_and_b32_e32 v4, v5, v4
	v_mbcnt_lo_u32_b32 v62, v4, 0
	v_cmp_ne_u32_e64 s20, 0, v4
	s_delay_alu instid0(VALU_DEP_2)
	v_cmp_eq_u32_e32 vcc_lo, 0, v62
	s_and_b32 s37, s20, vcc_lo
	s_wait_alu 0xfffe
	s_and_saveexec_b32 s20, s37
	s_cbranch_execz .LBB197_60
; %bb.59:                               ;   in Loop: Header=BB197_46 Depth=1
	s_wait_dscnt 0x0
	v_bcnt_u32_b32 v4, v4, v61
	ds_store_b32 v63, v4 offset:16
.LBB197_60:                             ;   in Loop: Header=BB197_46 Depth=1
	s_wait_alu 0xfffe
	s_or_b32 exec_lo, exec_lo, s20
	v_cmp_ne_u64_e32 vcc_lo, s[26:27], v[73:74]
	; wave barrier
	s_wait_alu 0xfffd
	v_cndmask_b32_e32 v5, 0x80000000, v74, vcc_lo
	v_cndmask_b32_e32 v4, 0, v73, vcc_lo
	s_delay_alu instid0(VALU_DEP_1) | instskip(NEXT) | instid1(VALU_DEP_1)
	v_lshrrev_b64 v[4:5], v69, v[4:5]
	v_and_b32_e32 v4, s36, v4
	s_delay_alu instid0(VALU_DEP_1)
	v_and_b32_e32 v5, 1, v4
	v_lshlrev_b32_e32 v6, 30, v4
	v_lshlrev_b32_e32 v7, 29, v4
	;; [unrolled: 1-line block ×4, first 2 shown]
	v_add_co_u32 v5, s20, v5, -1
	s_wait_alu 0xf1ff
	v_cndmask_b32_e64 v9, 0, 1, s20
	v_not_b32_e32 v65, v6
	v_cmp_gt_i32_e64 s20, 0, v6
	v_not_b32_e32 v6, v7
	v_lshlrev_b32_e32 v11, 26, v4
	v_cmp_ne_u32_e32 vcc_lo, 0, v9
	v_ashrrev_i32_e32 v65, 31, v65
	v_lshlrev_b32_e32 v64, 25, v4
	v_ashrrev_i32_e32 v6, 31, v6
	v_lshlrev_b32_e32 v9, 24, v4
	s_wait_alu 0xfffd
	v_xor_b32_e32 v5, vcc_lo, v5
	v_cmp_gt_i32_e32 vcc_lo, 0, v7
	v_not_b32_e32 v7, v8
	s_wait_alu 0xf1ff
	v_xor_b32_e32 v65, s20, v65
	v_cmp_gt_i32_e64 s20, 0, v8
	v_and_b32_e32 v5, exec_lo, v5
	v_not_b32_e32 v8, v10
	v_ashrrev_i32_e32 v7, 31, v7
	s_wait_alu 0xfffd
	v_xor_b32_e32 v6, vcc_lo, v6
	v_cmp_gt_i32_e32 vcc_lo, 0, v10
	v_and_b32_e32 v5, v5, v65
	v_not_b32_e32 v10, v11
	v_ashrrev_i32_e32 v8, 31, v8
	s_wait_alu 0xf1ff
	v_xor_b32_e32 v7, s20, v7
	v_cmp_gt_i32_e64 s20, 0, v11
	v_and_b32_e32 v5, v5, v6
	v_not_b32_e32 v6, v64
	v_ashrrev_i32_e32 v10, 31, v10
	s_wait_alu 0xfffd
	v_xor_b32_e32 v8, vcc_lo, v8
	v_cmp_gt_i32_e32 vcc_lo, 0, v64
	v_and_b32_e32 v5, v5, v7
	v_not_b32_e32 v7, v9
	v_ashrrev_i32_e32 v6, 31, v6
	s_wait_alu 0xf1ff
	v_xor_b32_e32 v10, s20, v10
	v_lshlrev_b32_e32 v4, 4, v4
	v_and_b32_e32 v5, v5, v8
	v_cmp_gt_i32_e64 s20, 0, v9
	v_ashrrev_i32_e32 v7, 31, v7
	s_wait_alu 0xfffd
	v_xor_b32_e32 v6, vcc_lo, v6
	v_add_nc_u32_e32 v66, v131, v4
	v_and_b32_e32 v5, v5, v10
	s_wait_alu 0xf1ff
	v_xor_b32_e32 v4, s20, v7
	ds_load_b32 v64, v66 offset:16
	v_and_b32_e32 v5, v5, v6
	; wave barrier
	s_delay_alu instid0(VALU_DEP_1) | instskip(NEXT) | instid1(VALU_DEP_1)
	v_and_b32_e32 v4, v5, v4
	v_mbcnt_lo_u32_b32 v65, v4, 0
	v_cmp_ne_u32_e64 s20, 0, v4
	s_delay_alu instid0(VALU_DEP_2)
	v_cmp_eq_u32_e32 vcc_lo, 0, v65
	s_and_b32 s36, s20, vcc_lo
	s_wait_alu 0xfffe
	s_and_saveexec_b32 s20, s36
	s_cbranch_execz .LBB197_62
; %bb.61:                               ;   in Loop: Header=BB197_46 Depth=1
	s_wait_dscnt 0x0
	v_bcnt_u32_b32 v4, v4, v64
	ds_store_b32 v66, v4 offset:16
.LBB197_62:                             ;   in Loop: Header=BB197_46 Depth=1
	s_wait_alu 0xfffe
	s_or_b32 exec_lo, exec_lo, s20
	; wave barrier
	s_wait_loadcnt_dscnt 0x0
	s_barrier_signal -1
	s_barrier_wait -1
	global_inv scope:SCOPE_SE
	ds_load_b128 v[8:11], v113 offset:16
	ds_load_b128 v[4:7], v113 offset:32
	s_wait_dscnt 0x1
	v_add_nc_u32_e32 v67, v9, v8
	s_delay_alu instid0(VALU_DEP_1) | instskip(SKIP_1) | instid1(VALU_DEP_1)
	v_add3_u32 v67, v67, v10, v11
	s_wait_dscnt 0x0
	v_add3_u32 v67, v67, v4, v5
	s_delay_alu instid0(VALU_DEP_1) | instskip(NEXT) | instid1(VALU_DEP_1)
	v_add3_u32 v7, v67, v6, v7
	v_mov_b32_dpp v67, v7 row_shr:1 row_mask:0xf bank_mask:0xf
	s_delay_alu instid0(VALU_DEP_1) | instskip(NEXT) | instid1(VALU_DEP_1)
	v_cndmask_b32_e64 v67, v67, 0, s11
	v_add_nc_u32_e32 v7, v67, v7
	s_delay_alu instid0(VALU_DEP_1) | instskip(NEXT) | instid1(VALU_DEP_1)
	v_mov_b32_dpp v67, v7 row_shr:2 row_mask:0xf bank_mask:0xf
	v_cndmask_b32_e64 v67, 0, v67, s12
	s_delay_alu instid0(VALU_DEP_1) | instskip(NEXT) | instid1(VALU_DEP_1)
	v_add_nc_u32_e32 v7, v7, v67
	v_mov_b32_dpp v67, v7 row_shr:4 row_mask:0xf bank_mask:0xf
	s_delay_alu instid0(VALU_DEP_1) | instskip(NEXT) | instid1(VALU_DEP_1)
	v_cndmask_b32_e64 v67, 0, v67, s14
	v_add_nc_u32_e32 v7, v7, v67
	s_delay_alu instid0(VALU_DEP_1) | instskip(NEXT) | instid1(VALU_DEP_1)
	v_mov_b32_dpp v67, v7 row_shr:8 row_mask:0xf bank_mask:0xf
	v_cndmask_b32_e64 v67, 0, v67, s15
	s_delay_alu instid0(VALU_DEP_1) | instskip(SKIP_3) | instid1(VALU_DEP_1)
	v_add_nc_u32_e32 v7, v7, v67
	ds_swizzle_b32 v67, v7 offset:swizzle(BROADCAST,32,15)
	s_wait_dscnt 0x0
	v_cndmask_b32_e64 v67, v67, 0, s16
	v_add_nc_u32_e32 v7, v7, v67
	s_and_saveexec_b32 s20, s17
; %bb.63:                               ;   in Loop: Header=BB197_46 Depth=1
	ds_store_b32 v114, v7
; %bb.64:                               ;   in Loop: Header=BB197_46 Depth=1
	s_wait_alu 0xfffe
	s_or_b32 exec_lo, exec_lo, s20
	s_wait_loadcnt_dscnt 0x0
	s_barrier_signal -1
	s_barrier_wait -1
	global_inv scope:SCOPE_SE
	s_and_saveexec_b32 s20, s0
	s_cbranch_execz .LBB197_66
; %bb.65:                               ;   in Loop: Header=BB197_46 Depth=1
	ds_load_b32 v67, v132
	s_wait_dscnt 0x0
	v_mov_b32_dpp v133, v67 row_shr:1 row_mask:0xf bank_mask:0xf
	s_delay_alu instid0(VALU_DEP_1) | instskip(NEXT) | instid1(VALU_DEP_1)
	v_cndmask_b32_e64 v133, v133, 0, s18
	v_add_nc_u32_e32 v67, v133, v67
	s_delay_alu instid0(VALU_DEP_1) | instskip(NEXT) | instid1(VALU_DEP_1)
	v_mov_b32_dpp v133, v67 row_shr:2 row_mask:0xf bank_mask:0xf
	v_cndmask_b32_e64 v133, 0, v133, s19
	s_delay_alu instid0(VALU_DEP_1)
	v_add_nc_u32_e32 v67, v67, v133
	ds_store_b32 v132, v67
.LBB197_66:                             ;   in Loop: Header=BB197_46 Depth=1
	s_wait_alu 0xfffe
	s_or_b32 exec_lo, exec_lo, s20
	v_mov_b32_e32 v67, 0
	s_wait_loadcnt_dscnt 0x0
	s_barrier_signal -1
	s_barrier_wait -1
	global_inv scope:SCOPE_SE
	s_and_saveexec_b32 s20, s1
; %bb.67:                               ;   in Loop: Header=BB197_46 Depth=1
	ds_load_b32 v67, v130
; %bb.68:                               ;   in Loop: Header=BB197_46 Depth=1
	s_wait_alu 0xfffe
	s_or_b32 exec_lo, exec_lo, s20
	s_wait_dscnt 0x0
	v_add_nc_u32_e32 v7, v67, v7
	v_cmp_lt_u32_e32 vcc_lo, 55, v69
	s_mov_b32 s20, -1
	ds_bpermute_b32 v7, v129, v7
	s_and_b32 vcc_lo, exec_lo, vcc_lo
	s_wait_dscnt 0x0
	v_cndmask_b32_e64 v7, v7, v67, s13
	s_delay_alu instid0(VALU_DEP_1) | instskip(NEXT) | instid1(VALU_DEP_1)
	v_cndmask_b32_e64 v7, v7, 0, s10
	v_add_nc_u32_e32 v8, v7, v8
	s_delay_alu instid0(VALU_DEP_1) | instskip(NEXT) | instid1(VALU_DEP_1)
	v_add_nc_u32_e32 v9, v8, v9
	v_add_nc_u32_e32 v10, v9, v10
	s_delay_alu instid0(VALU_DEP_1) | instskip(NEXT) | instid1(VALU_DEP_1)
	v_add_nc_u32_e32 v133, v10, v11
	;; [unrolled: 3-line block ×3, first 2 shown]
	v_add_nc_u32_e32 v136, v135, v6
	ds_store_b128 v113, v[7:10] offset:16
	ds_store_b128 v113, v[133:136] offset:32
	s_wait_loadcnt_dscnt 0x0
	s_barrier_signal -1
	s_barrier_wait -1
	global_inv scope:SCOPE_SE
	ds_load_b32 v4, v13 offset:16
	ds_load_b32 v5, v48 offset:16
	;; [unrolled: 1-line block ×8, first 2 shown]
	s_wait_dscnt 0x7
	v_add_nc_u32_e32 v140, v4, v12
	s_wait_dscnt 0x6
	v_add3_u32 v139, v15, v14, v5
	s_wait_dscnt 0x5
	v_add3_u32 v138, v50, v49, v6
	;; [unrolled: 2-line block ×7, first 2 shown]
                                        ; implicit-def: $vgpr66_vgpr67
                                        ; implicit-def: $vgpr14_vgpr15
                                        ; implicit-def: $vgpr10_vgpr11
                                        ; implicit-def: $vgpr6_vgpr7
                                        ; implicit-def: $vgpr62_vgpr63
                                        ; implicit-def: $vgpr58_vgpr59
                                        ; implicit-def: $vgpr54_vgpr55
                                        ; implicit-def: $vgpr50_vgpr51
	s_wait_alu 0xfffe
	s_cbranch_vccnz .LBB197_45
; %bb.69:                               ;   in Loop: Header=BB197_46 Depth=1
	v_lshlrev_b32_e32 v48, 3, v140
	v_lshlrev_b32_e32 v51, 3, v137
	;; [unrolled: 1-line block ×8, first 2 shown]
	s_wait_loadcnt 0x0
	s_barrier_signal -1
	s_barrier_wait -1
	global_inv scope:SCOPE_SE
	ds_store_b64 v48, v[71:72]
	ds_store_b64 v49, v[101:102]
	;; [unrolled: 1-line block ×8, first 2 shown]
	s_wait_loadcnt_dscnt 0x0
	s_barrier_signal -1
	s_barrier_wait -1
	global_inv scope:SCOPE_SE
	ds_load_2addr_b64 v[4:7], v128 offset1:32
	ds_load_2addr_b64 v[8:11], v128 offset0:64 offset1:96
	ds_load_2addr_b64 v[12:15], v128 offset0:128 offset1:160
	ds_load_2addr_b64 v[64:67], v128 offset0:192 offset1:224
	s_wait_loadcnt_dscnt 0x0
	s_barrier_signal -1
	s_barrier_wait -1
	global_inv scope:SCOPE_SE
	ds_store_b64 v48, v[93:94]
	ds_store_b64 v49, v[91:92]
	ds_store_b64 v50, v[89:90]
	ds_store_b64 v51, v[87:88]
	ds_store_b64 v52, v[85:86]
	ds_store_b64 v53, v[83:84]
	ds_store_b64 v54, v[81:82]
	ds_store_b64 v55, v[79:80]
	s_wait_loadcnt_dscnt 0x0
	s_barrier_signal -1
	s_barrier_wait -1
	global_inv scope:SCOPE_SE
	ds_load_2addr_b64 v[48:51], v128 offset1:32
	ds_load_2addr_b64 v[52:55], v128 offset0:64 offset1:96
	ds_load_2addr_b64 v[56:59], v128 offset0:128 offset1:160
	;; [unrolled: 1-line block ×3, first 2 shown]
	v_add_co_u32 v69, vcc_lo, v69, 8
	s_wait_alu 0xfffd
	v_add_co_ci_u32_e64 v70, null, 0, v70, vcc_lo
	s_add_co_i32 s33, s33, -8
	s_mov_b32 s20, 0
	s_wait_loadcnt_dscnt 0x0
	s_barrier_signal -1
	s_barrier_wait -1
	global_inv scope:SCOPE_SE
	s_branch .LBB197_45
.LBB197_70:
	v_mad_co_u64_u32 v[2:3], null, s22, v68, 0
	v_dual_mov_b32 v6, v1 :: v_dual_mov_b32 v7, v1
	v_dual_mov_b32 v8, v1 :: v_dual_mov_b32 v9, v1
	v_dual_mov_b32 v10, v1 :: v_dual_mov_b32 v13, v1
	s_delay_alu instid0(VALU_DEP_4) | instskip(SKIP_3) | instid1(VALU_DEP_4)
	v_mad_co_u64_u32 v[3:4], null, s23, v68, v[3:4]
	v_dual_mov_b32 v4, v1 :: v_dual_mov_b32 v5, v1
	v_dual_mov_b32 v14, v1 :: v_dual_mov_b32 v33, v1
	v_mov_b32_e32 v32, v1
	v_lshlrev_b64_e32 v[2:3], 3, v[2:3]
	s_delay_alu instid0(VALU_DEP_1) | instskip(SKIP_1) | instid1(VALU_DEP_2)
	v_add_co_u32 v2, vcc_lo, s34, v2
	s_wait_alu 0xfffd
	v_add_co_ci_u32_e64 v3, null, s35, v3, vcc_lo
	global_load_b64 v[11:12], v[2:3], off
	v_dual_mov_b32 v2, v1 :: v_dual_mov_b32 v3, v1
	s_or_b32 exec_lo, exec_lo, s0
	s_and_saveexec_b32 s0, s3
	s_cbranch_execz .LBB197_36
.LBB197_71:
	v_mad_co_u64_u32 v[1:2], null, s22, v34, 0
	s_delay_alu instid0(VALU_DEP_1) | instskip(NEXT) | instid1(VALU_DEP_1)
	v_mad_co_u64_u32 v[41:42], null, s23, v34, v[2:3]
	v_mov_b32_e32 v2, v41
	s_delay_alu instid0(VALU_DEP_1) | instskip(NEXT) | instid1(VALU_DEP_1)
	v_lshlrev_b64_e32 v[1:2], 3, v[1:2]
	v_add_co_u32 v1, vcc_lo, s34, v1
	s_wait_alu 0xfffd
	s_delay_alu instid0(VALU_DEP_2)
	v_add_co_ci_u32_e64 v2, null, s35, v2, vcc_lo
	global_load_b64 v[1:2], v[1:2], off
	s_or_b32 exec_lo, exec_lo, s0
	s_and_saveexec_b32 s0, s4
	s_cbranch_execz .LBB197_37
.LBB197_72:
	v_mad_co_u64_u32 v[3:4], null, s22, v35, 0
	s_delay_alu instid0(VALU_DEP_1) | instskip(NEXT) | instid1(VALU_DEP_1)
	v_mad_co_u64_u32 v[34:35], null, s23, v35, v[4:5]
	v_mov_b32_e32 v4, v34
	s_delay_alu instid0(VALU_DEP_1) | instskip(NEXT) | instid1(VALU_DEP_1)
	v_lshlrev_b64_e32 v[3:4], 3, v[3:4]
	v_add_co_u32 v3, vcc_lo, s34, v3
	s_wait_alu 0xfffd
	s_delay_alu instid0(VALU_DEP_2)
	v_add_co_ci_u32_e64 v4, null, s35, v4, vcc_lo
	global_load_b64 v[3:4], v[3:4], off
	s_or_b32 exec_lo, exec_lo, s0
	s_and_saveexec_b32 s0, s5
	s_cbranch_execz .LBB197_38
.LBB197_73:
	v_mad_co_u64_u32 v[5:6], null, s22, v36, 0
	s_delay_alu instid0(VALU_DEP_1) | instskip(NEXT) | instid1(VALU_DEP_1)
	v_mad_co_u64_u32 v[34:35], null, s23, v36, v[6:7]
	v_mov_b32_e32 v6, v34
	s_delay_alu instid0(VALU_DEP_1) | instskip(NEXT) | instid1(VALU_DEP_1)
	v_lshlrev_b64_e32 v[5:6], 3, v[5:6]
	v_add_co_u32 v5, vcc_lo, s34, v5
	s_wait_alu 0xfffd
	s_delay_alu instid0(VALU_DEP_2)
	v_add_co_ci_u32_e64 v6, null, s35, v6, vcc_lo
	global_load_b64 v[5:6], v[5:6], off
	s_or_b32 exec_lo, exec_lo, s0
	s_and_saveexec_b32 s0, s6
	s_cbranch_execz .LBB197_39
.LBB197_74:
	v_mad_co_u64_u32 v[7:8], null, s22, v37, 0
	s_delay_alu instid0(VALU_DEP_1) | instskip(NEXT) | instid1(VALU_DEP_1)
	v_mad_co_u64_u32 v[34:35], null, s23, v37, v[8:9]
	v_mov_b32_e32 v8, v34
	s_delay_alu instid0(VALU_DEP_1) | instskip(NEXT) | instid1(VALU_DEP_1)
	v_lshlrev_b64_e32 v[7:8], 3, v[7:8]
	v_add_co_u32 v7, vcc_lo, s34, v7
	s_wait_alu 0xfffd
	s_delay_alu instid0(VALU_DEP_2)
	v_add_co_ci_u32_e64 v8, null, s35, v8, vcc_lo
	global_load_b64 v[7:8], v[7:8], off
	s_or_b32 exec_lo, exec_lo, s0
	s_and_saveexec_b32 s0, s7
	s_cbranch_execz .LBB197_40
.LBB197_75:
	v_mad_co_u64_u32 v[9:10], null, s22, v38, 0
	s_wait_loadcnt 0x0
	s_delay_alu instid0(VALU_DEP_1) | instskip(NEXT) | instid1(VALU_DEP_1)
	v_mad_co_u64_u32 v[34:35], null, s23, v38, v[10:11]
	v_mov_b32_e32 v10, v34
	s_delay_alu instid0(VALU_DEP_1) | instskip(NEXT) | instid1(VALU_DEP_1)
	v_lshlrev_b64_e32 v[9:10], 3, v[9:10]
	v_add_co_u32 v9, vcc_lo, s34, v9
	s_wait_alu 0xfffd
	s_delay_alu instid0(VALU_DEP_2)
	v_add_co_ci_u32_e64 v10, null, s35, v10, vcc_lo
	global_load_b64 v[9:10], v[9:10], off
	s_or_b32 exec_lo, exec_lo, s0
	s_and_saveexec_b32 s0, s8
	s_cbranch_execz .LBB197_41
.LBB197_76:
	v_mad_co_u64_u32 v[13:14], null, s22, v39, 0
	s_delay_alu instid0(VALU_DEP_1) | instskip(NEXT) | instid1(VALU_DEP_1)
	v_mad_co_u64_u32 v[14:15], null, s23, v39, v[14:15]
	v_lshlrev_b64_e32 v[13:14], 3, v[13:14]
	s_delay_alu instid0(VALU_DEP_1) | instskip(SKIP_1) | instid1(VALU_DEP_2)
	v_add_co_u32 v13, vcc_lo, s34, v13
	s_wait_alu 0xfffd
	v_add_co_ci_u32_e64 v14, null, s35, v14, vcc_lo
	global_load_b64 v[13:14], v[13:14], off
	s_or_b32 exec_lo, exec_lo, s0
	s_xor_b32 s0, s33, -1
	s_and_saveexec_b32 s1, s9
	s_cbranch_execnz .LBB197_42
	s_branch .LBB197_43
.LBB197_77:
                                        ; implicit-def: $vgpr58_vgpr59
                                        ; implicit-def: $vgpr62_vgpr63
                                        ; implicit-def: $vgpr50_vgpr51
                                        ; implicit-def: $vgpr54_vgpr55
                                        ; implicit-def: $vgpr0_vgpr1_vgpr2_vgpr3_vgpr4_vgpr5_vgpr6_vgpr7_vgpr8_vgpr9_vgpr10_vgpr11_vgpr12_vgpr13_vgpr14_vgpr15
	s_cbranch_execnz .LBB197_79
	s_branch .LBB197_106
.LBB197_78:
	v_lshlrev_b32_e32 v48, 3, v140
	v_lshlrev_b32_e32 v51, 3, v137
	;; [unrolled: 1-line block ×9, first 2 shown]
	s_wait_loadcnt 0x0
	s_barrier_signal -1
	s_barrier_wait -1
	global_inv scope:SCOPE_SE
	ds_store_b64 v48, v[71:72]
	ds_store_b64 v49, v[101:102]
	;; [unrolled: 1-line block ×8, first 2 shown]
	s_wait_loadcnt_dscnt 0x0
	s_barrier_signal -1
	s_barrier_wait -1
	global_inv scope:SCOPE_SE
	ds_load_b128 v[0:3], v56
	ds_load_b128 v[4:7], v56 offset:16
	ds_load_b128 v[8:11], v56 offset:32
	ds_load_b128 v[12:15], v56 offset:48
	s_wait_loadcnt_dscnt 0x0
	s_barrier_signal -1
	s_barrier_wait -1
	global_inv scope:SCOPE_SE
	ds_store_b64 v48, v[93:94]
	ds_store_b64 v49, v[91:92]
	;; [unrolled: 1-line block ×8, first 2 shown]
	s_wait_loadcnt_dscnt 0x0
	s_barrier_signal -1
	s_barrier_wait -1
	global_inv scope:SCOPE_SE
	ds_load_b128 v[52:55], v56
	ds_load_b128 v[48:51], v56 offset:16
	v_cmp_lt_i64_e32 vcc_lo, -1, v[0:1]
	v_ashrrev_i32_e32 v66, 31, v3
	v_ashrrev_i32_e32 v57, 31, v1
	s_wait_alu 0xfffd
	v_cndmask_b32_e64 v64, 0x80000000, -1, vcc_lo
	v_cmp_lt_i64_e32 vcc_lo, -1, v[2:3]
	v_not_b32_e32 v66, v66
	v_not_b32_e32 v65, v57
	ds_load_b128 v[60:63], v56 offset:32
	ds_load_b128 v[56:59], v56 offset:48
	v_xor_b32_e32 v1, v64, v1
	v_ashrrev_i32_e32 v64, 31, v5
	s_wait_alu 0xfffd
	v_cndmask_b32_e64 v67, 0x80000000, -1, vcc_lo
	v_cmp_lt_i64_e32 vcc_lo, -1, v[4:5]
	v_xor_b32_e32 v2, v66, v2
	v_xor_b32_e32 v0, v65, v0
	v_ashrrev_i32_e32 v65, 31, v7
	v_xor_b32_e32 v3, v67, v3
	v_not_b32_e32 v64, v64
	s_wait_alu 0xfffd
	v_cndmask_b32_e64 v66, 0x80000000, -1, vcc_lo
	v_cmp_lt_i64_e32 vcc_lo, -1, v[6:7]
	v_not_b32_e32 v65, v65
	v_xor_b32_e32 v4, v64, v4
	v_ashrrev_i32_e32 v64, 31, v9
	v_xor_b32_e32 v5, v66, v5
	s_wait_alu 0xfffd
	v_cndmask_b32_e64 v67, 0x80000000, -1, vcc_lo
	v_cmp_lt_i64_e32 vcc_lo, -1, v[8:9]
	v_xor_b32_e32 v6, v65, v6
	v_not_b32_e32 v64, v64
	v_ashrrev_i32_e32 v66, 31, v11
	v_xor_b32_e32 v7, v67, v7
	s_wait_alu 0xfffd
	v_cndmask_b32_e64 v65, 0x80000000, -1, vcc_lo
	v_cmp_lt_i64_e32 vcc_lo, -1, v[10:11]
	v_xor_b32_e32 v8, v64, v8
	v_not_b32_e32 v64, v66
	v_ashrrev_i32_e32 v66, 31, v15
	v_xor_b32_e32 v9, v65, v9
	v_ashrrev_i32_e32 v65, 31, v13
	s_wait_alu 0xfffd
	v_cndmask_b32_e64 v67, 0x80000000, -1, vcc_lo
	v_cmp_lt_i64_e32 vcc_lo, -1, v[12:13]
	v_not_b32_e32 v66, v66
	v_xor_b32_e32 v10, v64, v10
	v_not_b32_e32 v65, v65
	v_xor_b32_e32 v11, v67, v11
	s_wait_alu 0xfffd
	v_cndmask_b32_e64 v67, 0x80000000, -1, vcc_lo
	v_cmp_lt_i64_e32 vcc_lo, -1, v[14:15]
	v_xor_b32_e32 v12, v65, v12
	v_xor_b32_e32 v14, v66, v14
	s_delay_alu instid0(VALU_DEP_4) | instskip(SKIP_2) | instid1(VALU_DEP_1)
	v_xor_b32_e32 v13, v67, v13
	s_wait_alu 0xfffd
	v_cndmask_b32_e64 v69, 0x80000000, -1, vcc_lo
	v_xor_b32_e32 v15, v69, v15
	s_branch .LBB197_106
.LBB197_79:
	v_cmp_gt_i64_e32 vcc_lo, 0, v[28:29]
	v_not_b32_e32 v12, v122
	v_not_b32_e32 v8, v124
	;; [unrolled: 1-line block ×4, first 2 shown]
	v_or_b32_e32 v14, v116, v117
	s_wait_alu 0xfffd
	v_cndmask_b32_e64 v0, 0x7fffffff, 0, vcc_lo
	v_cmp_gt_i64_e32 vcc_lo, 0, v[30:31]
	s_getpc_b64 s[0:1]
	s_sext_i32_i16 s1, s1
	s_add_co_u32 s0, s0, _ZN7rocprim17ROCPRIM_400000_NS16block_radix_sortIdLj128ELj8ElLj1ELj1ELj0ELNS0_26block_radix_rank_algorithmE1ELNS0_18block_padding_hintE2ELNS0_4arch9wavefront6targetE0EE19radix_bits_per_passE@rel32@lo+8
	s_add_co_ci_u32 s1, s1, _ZN7rocprim17ROCPRIM_400000_NS16block_radix_sortIdLj128ELj8ElLj1ELj1ELj0ELNS0_26block_radix_rank_algorithmE1ELNS0_18block_padding_hintE2ELNS0_4arch9wavefront6targetE0EE19radix_bits_per_passE@rel32@hi+16
	v_cmp_gt_u32_e64 s15, 4, v68
	s_load_b32 s21, s[0:1], 0x0
	v_xor_b32_e32 v1, v0, v29
	v_xor_b32_e32 v0, v2, v28
	v_cndmask_b32_e64 v3, 0x7fffffff, 0, vcc_lo
	v_cmp_gt_i64_e32 vcc_lo, 0, v[24:25]
	v_xor_b32_e32 v2, v4, v30
	v_not_b32_e32 v4, v125
	v_cmp_lt_u32_e64 s16, 31, v68
	v_xor_b32_e32 v3, v3, v31
	v_cmp_eq_u32_e64 s17, 0, v68
	s_wait_alu 0xfffd
	v_cndmask_b32_e64 v5, 0x7fffffff, 0, vcc_lo
	v_cmp_gt_i64_e32 vcc_lo, 0, v[26:27]
	v_xor_b32_e32 v4, v4, v24
	v_add_nc_u32_e32 v73, -4, v114
	v_add_nc_u32_e32 v75, v113, v115
	v_xor_b32_e32 v5, v5, v25
	s_wait_alu 0xfffd
	v_cndmask_b32_e64 v6, 0x7fffffff, 0, vcc_lo
	v_cmp_gt_i64_e32 vcc_lo, 0, v[20:21]
	s_delay_alu instid0(VALU_DEP_2)
	v_xor_b32_e32 v7, v6, v27
	v_xor_b32_e32 v6, v8, v26
	s_wait_alu 0xfffd
	v_cndmask_b32_e64 v9, 0x7fffffff, 0, vcc_lo
	v_cmp_gt_i64_e32 vcc_lo, 0, v[22:23]
	v_not_b32_e32 v8, v123
	s_delay_alu instid0(VALU_DEP_3)
	v_xor_b32_e32 v9, v9, v21
	s_wait_alu 0xfffd
	v_cndmask_b32_e64 v10, 0x7fffffff, 0, vcc_lo
	v_cmp_gt_i64_e32 vcc_lo, 0, v[16:17]
	v_xor_b32_e32 v8, v8, v20
	v_lshlrev_b32_e32 v20, 6, v14
	ds_store_b128 v20, v[0:3]
	ds_store_b128 v20, v[4:7] offset:16
	s_wait_alu 0xfffd
	v_cndmask_b32_e64 v13, 0x7fffffff, 0, vcc_lo
	v_xor_b32_e32 v11, v10, v23
	v_xor_b32_e32 v10, v12, v22
	v_not_b32_e32 v12, v121
	v_cmp_gt_i64_e32 vcc_lo, 0, v[18:19]
	v_xor_b32_e32 v13, v13, v17
	v_not_b32_e32 v17, v120
	s_delay_alu instid0(VALU_DEP_4) | instskip(SKIP_4) | instid1(VALU_DEP_3)
	v_xor_b32_e32 v12, v12, v16
	v_and_or_b32 v16, 0x1f00, v112, v116
	s_wait_alu 0xfffd
	v_cndmask_b32_e64 v15, 0x7fffffff, 0, vcc_lo
	v_xor_b32_e32 v14, v17, v18
	v_lshlrev_b32_e32 v71, 3, v16
	s_delay_alu instid0(VALU_DEP_3)
	v_xor_b32_e32 v15, v15, v19
	ds_store_b128 v20, v[8:11] offset:32
	ds_store_b128 v20, v[12:15] offset:48
	; wave barrier
	ds_load_2addr_b64 v[4:7], v71 offset1:32
	ds_load_2addr_b64 v[8:11], v71 offset0:64 offset1:96
	ds_load_2addr_b64 v[12:15], v71 offset0:128 offset1:160
	s_wait_dscnt 0x9
	ds_load_2addr_b64 v[48:51], v71 offset0:192 offset1:224
	; wave barrier
	ds_store_b128 v20, v[44:47]
	ds_store_b128 v20, v[40:43] offset:16
	ds_store_b128 v20, v[36:39] offset:32
	;; [unrolled: 1-line block ×3, first 2 shown]
	; wave barrier
	ds_load_2addr_b64 v[16:19], v71 offset1:32
	ds_load_2addr_b64 v[20:23], v71 offset0:64 offset1:96
	ds_load_2addr_b64 v[24:27], v71 offset0:128 offset1:160
	;; [unrolled: 1-line block ×3, first 2 shown]
	s_wait_loadcnt_dscnt 0x0
	s_barrier_signal -1
	s_barrier_wait -1
	global_inv scope:SCOPE_SE
	s_load_b32 s10, s[24:25], 0xc
	s_mov_b32 s24, 0
	s_delay_alu instid0(SALU_CYCLE_1) | instskip(SKIP_4) | instid1(VALU_DEP_2)
	s_mov_b32 s25, s24
	s_mov_b32 s26, s24
	s_mov_b32 s27, s24
	v_and_b32_e32 v2, 15, v116
	v_and_b32_e32 v3, 16, v116
	v_cmp_lt_u32_e64 s1, 1, v2
	v_cmp_lt_u32_e64 s12, 7, v2
	s_delay_alu instid0(VALU_DEP_3)
	v_cmp_eq_u32_e64 s13, 0, v3
	s_wait_kmcnt 0x0
	s_lshr_b32 s11, s10, 16
	s_and_b32 s0, s10, 0xffff
	s_wait_alu 0xfffe
	v_mad_u32_u24 v0, v119, s11, v118
	v_sub_co_u32 v32, s10, v116, 1
	v_cmp_lt_u32_e64 s11, 3, v2
	s_delay_alu instid0(VALU_DEP_3) | instskip(SKIP_1) | instid1(VALU_DEP_4)
	v_mad_co_u64_u32 v[0:1], null, v0, s0, v[68:69]
	v_min_u32_e32 v1, 0x60, v117
	v_cmp_gt_i32_e32 vcc_lo, 0, v32
	v_cmp_eq_u32_e64 s0, 0, v2
	s_delay_alu instid0(VALU_DEP_3)
	v_or_b32_e32 v1, 31, v1
	s_wait_alu 0xfffd
	v_cndmask_b32_e32 v2, v32, v116, vcc_lo
	v_lshrrev_b32_e32 v0, 3, v0
	v_mov_b32_e32 v32, 0
	v_mov_b32_e32 v33, 0
	v_cmp_eq_u32_e64 s14, v68, v1
	v_and_b32_e32 v1, 3, v116
	v_lshlrev_b32_e32 v72, 2, v2
	v_and_b32_e32 v74, 0x1ffffffc, v0
	s_delay_alu instid0(VALU_DEP_3)
	v_cmp_eq_u32_e64 s18, 0, v1
	v_cmp_lt_u32_e64 s19, 1, v1
	v_dual_mov_b32 v0, s24 :: v_dual_mov_b32 v1, s25
	v_dual_mov_b32 v2, s26 :: v_dual_mov_b32 v3, s27
	s_mov_b32 s26, 64
	s_brev_b32 s25, 1
	s_branch .LBB197_81
.LBB197_80:                             ;   in Loop: Header=BB197_81 Depth=1
	s_wait_alu 0xfffe
	s_and_not1_b32 vcc_lo, exec_lo, s20
	s_wait_alu 0xfffe
	s_cbranch_vccz .LBB197_105
.LBB197_81:                             ; =>This Inner Loop Header: Depth=1
	v_dual_mov_b32 v35, v5 :: v_dual_mov_b32 v34, v4
	s_wait_alu 0xfffe
	s_min_u32 s20, s21, s26
	v_dual_mov_b32 v70, v7 :: v_dual_mov_b32 v59, v19
	s_wait_alu 0xfffe
	s_lshl_b32 s20, -1, s20
	v_cmp_ne_u64_e32 vcc_lo, s[24:25], v[34:35]
	s_wait_alu 0xfffe
	s_not_b32 s27, s20
	v_mov_b32_e32 v58, v18
	ds_store_b128 v113, v[0:3] offset:16
	ds_store_b128 v113, v[0:3] offset:32
	s_wait_loadcnt_dscnt 0x0
	s_wait_alu 0xfffd
	v_dual_mov_b32 v36, v50 :: v_dual_cndmask_b32 v5, 0x7fffffff, v35
	v_dual_cndmask_b32 v4, -1, v34 :: v_dual_mov_b32 v37, v51
	s_barrier_signal -1
	s_barrier_wait -1
	global_inv scope:SCOPE_SE
	v_lshrrev_b64 v[4:5], v32, v[4:5]
	; wave barrier
	v_dual_mov_b32 v38, v48 :: v_dual_mov_b32 v39, v49
	v_mov_b32_e32 v63, v13
	s_wait_alu 0xfffe
	s_delay_alu instid0(VALU_DEP_3) | instskip(SKIP_2) | instid1(VALU_DEP_3)
	v_and_b32_e32 v5, s27, v4
	v_dual_mov_b32 v41, v15 :: v_dual_mov_b32 v40, v14
	v_dual_mov_b32 v65, v11 :: v_dual_mov_b32 v62, v12
	v_lshlrev_b32_e32 v15, 29, v5
	v_and_b32_e32 v4, 1, v5
	v_lshlrev_b32_e32 v14, 30, v5
	v_lshlrev_b32_e32 v42, 28, v5
	v_dual_mov_b32 v67, v9 :: v_dual_lshlrev_b32 v44, 27, v5
	s_delay_alu instid0(VALU_DEP_4)
	v_add_co_u32 v4, s20, v4, -1
	s_wait_alu 0xf1ff
	v_cndmask_b32_e64 v43, 0, 1, s20
	v_not_b32_e32 v47, v14
	v_cmp_gt_i32_e64 s20, 0, v14
	v_not_b32_e32 v14, v15
	v_dual_mov_b32 v64, v10 :: v_dual_lshlrev_b32 v45, 26, v5
	v_cmp_ne_u32_e32 vcc_lo, 0, v43
	v_ashrrev_i32_e32 v47, 31, v47
	s_delay_alu instid0(VALU_DEP_4)
	v_ashrrev_i32_e32 v14, 31, v14
	v_dual_mov_b32 v69, v6 :: v_dual_lshlrev_b32 v46, 25, v5
	s_wait_alu 0xfffd
	v_xor_b32_e32 v4, vcc_lo, v4
	v_cmp_gt_i32_e32 vcc_lo, 0, v15
	v_not_b32_e32 v15, v42
	s_wait_alu 0xf1ff
	v_xor_b32_e32 v47, s20, v47
	v_cmp_gt_i32_e64 s20, 0, v42
	v_and_b32_e32 v4, exec_lo, v4
	v_not_b32_e32 v42, v44
	v_ashrrev_i32_e32 v15, 31, v15
	s_wait_alu 0xfffd
	v_xor_b32_e32 v14, vcc_lo, v14
	v_cmp_gt_i32_e32 vcc_lo, 0, v44
	v_and_b32_e32 v4, v4, v47
	v_not_b32_e32 v44, v45
	v_ashrrev_i32_e32 v42, 31, v42
	s_wait_alu 0xf1ff
	v_xor_b32_e32 v15, s20, v15
	v_dual_mov_b32 v66, v8 :: v_dual_lshlrev_b32 v43, 24, v5
	v_and_b32_e32 v4, v4, v14
	v_cmp_gt_i32_e64 s20, 0, v45
	v_not_b32_e32 v14, v46
	v_ashrrev_i32_e32 v44, 31, v44
	s_wait_alu 0xfffd
	v_xor_b32_e32 v42, vcc_lo, v42
	v_cmp_gt_i32_e32 vcc_lo, 0, v46
	v_dual_mov_b32 v47, v27 :: v_dual_and_b32 v4, v4, v15
	v_mov_b32_e32 v53, v25
	v_not_b32_e32 v15, v43
	v_ashrrev_i32_e32 v14, 31, v14
	s_wait_alu 0xf1ff
	v_xor_b32_e32 v44, s20, v44
	v_dual_mov_b32 v55, v23 :: v_dual_and_b32 v4, v4, v42
	v_cmp_gt_i32_e64 s20, 0, v43
	v_ashrrev_i32_e32 v12, 31, v15
	s_wait_alu 0xfffd
	v_xor_b32_e32 v13, vcc_lo, v14
	v_dual_mov_b32 v57, v21 :: v_dual_and_b32 v4, v4, v44
	v_mov_b32_e32 v61, v17
	s_wait_alu 0xf1ff
	v_xor_b32_e32 v6, s20, v12
	s_delay_alu instid0(VALU_DEP_3) | instskip(SKIP_2) | instid1(VALU_DEP_3)
	v_dual_mov_b32 v43, v31 :: v_dual_and_b32 v4, v4, v13
	v_dual_mov_b32 v42, v30 :: v_dual_lshlrev_b32 v5, 4, v5
	v_dual_mov_b32 v45, v29 :: v_dual_mov_b32 v44, v28
	v_and_b32_e32 v4, v4, v6
	v_mov_b32_e32 v46, v26
	v_mov_b32_e32 v52, v24
	;; [unrolled: 1-line block ×4, first 2 shown]
	v_mbcnt_lo_u32_b32 v12, v4, 0
	v_cmp_ne_u32_e64 s20, 0, v4
	v_dual_mov_b32 v60, v16 :: v_dual_add_nc_u32 v13, v74, v5
	s_delay_alu instid0(VALU_DEP_3) | instskip(SKIP_1) | instid1(SALU_CYCLE_1)
	v_cmp_eq_u32_e32 vcc_lo, 0, v12
	s_and_b32 s33, s20, vcc_lo
	s_and_saveexec_b32 s20, s33
; %bb.82:                               ;   in Loop: Header=BB197_81 Depth=1
	v_bcnt_u32_b32 v4, v4, 0
	ds_store_b32 v13, v4 offset:16
; %bb.83:                               ;   in Loop: Header=BB197_81 Depth=1
	s_wait_alu 0xfffe
	s_or_b32 exec_lo, exec_lo, s20
	v_cmp_ne_u64_e32 vcc_lo, s[24:25], v[69:70]
	; wave barrier
	s_wait_alu 0xfffd
	v_cndmask_b32_e32 v5, 0x7fffffff, v70, vcc_lo
	v_cndmask_b32_e32 v4, -1, v69, vcc_lo
	s_delay_alu instid0(VALU_DEP_1) | instskip(NEXT) | instid1(VALU_DEP_1)
	v_lshrrev_b64 v[4:5], v32, v[4:5]
	v_and_b32_e32 v4, s27, v4
	s_delay_alu instid0(VALU_DEP_1)
	v_and_b32_e32 v5, 1, v4
	v_lshlrev_b32_e32 v6, 30, v4
	v_lshlrev_b32_e32 v7, 29, v4
	;; [unrolled: 1-line block ×4, first 2 shown]
	v_add_co_u32 v5, s20, v5, -1
	s_wait_alu 0xf1ff
	v_cndmask_b32_e64 v9, 0, 1, s20
	v_not_b32_e32 v15, v6
	v_cmp_gt_i32_e64 s20, 0, v6
	v_not_b32_e32 v6, v7
	v_lshlrev_b32_e32 v11, 26, v4
	v_cmp_ne_u32_e32 vcc_lo, 0, v9
	v_ashrrev_i32_e32 v15, 31, v15
	v_lshlrev_b32_e32 v14, 25, v4
	v_ashrrev_i32_e32 v6, 31, v6
	v_lshlrev_b32_e32 v9, 24, v4
	s_wait_alu 0xfffd
	v_xor_b32_e32 v5, vcc_lo, v5
	v_cmp_gt_i32_e32 vcc_lo, 0, v7
	v_not_b32_e32 v7, v8
	s_wait_alu 0xf1ff
	v_xor_b32_e32 v15, s20, v15
	v_cmp_gt_i32_e64 s20, 0, v8
	v_and_b32_e32 v5, exec_lo, v5
	v_not_b32_e32 v8, v10
	v_ashrrev_i32_e32 v7, 31, v7
	s_wait_alu 0xfffd
	v_xor_b32_e32 v6, vcc_lo, v6
	v_cmp_gt_i32_e32 vcc_lo, 0, v10
	v_and_b32_e32 v5, v5, v15
	v_not_b32_e32 v10, v11
	v_ashrrev_i32_e32 v8, 31, v8
	s_wait_alu 0xf1ff
	v_xor_b32_e32 v7, s20, v7
	v_cmp_gt_i32_e64 s20, 0, v11
	v_and_b32_e32 v5, v5, v6
	v_not_b32_e32 v6, v14
	v_ashrrev_i32_e32 v10, 31, v10
	s_wait_alu 0xfffd
	v_xor_b32_e32 v8, vcc_lo, v8
	v_cmp_gt_i32_e32 vcc_lo, 0, v14
	v_and_b32_e32 v5, v5, v7
	v_not_b32_e32 v7, v9
	v_ashrrev_i32_e32 v6, 31, v6
	s_wait_alu 0xf1ff
	v_xor_b32_e32 v10, s20, v10
	v_lshlrev_b32_e32 v4, 4, v4
	v_and_b32_e32 v5, v5, v8
	v_cmp_gt_i32_e64 s20, 0, v9
	v_ashrrev_i32_e32 v7, 31, v7
	s_wait_alu 0xfffd
	v_xor_b32_e32 v6, vcc_lo, v6
	v_add_nc_u32_e32 v16, v74, v4
	v_and_b32_e32 v5, v5, v10
	s_wait_alu 0xf1ff
	v_xor_b32_e32 v4, s20, v7
	ds_load_b32 v14, v16 offset:16
	v_and_b32_e32 v5, v5, v6
	; wave barrier
	s_delay_alu instid0(VALU_DEP_1) | instskip(NEXT) | instid1(VALU_DEP_1)
	v_and_b32_e32 v4, v5, v4
	v_mbcnt_lo_u32_b32 v15, v4, 0
	v_cmp_ne_u32_e64 s20, 0, v4
	s_delay_alu instid0(VALU_DEP_2) | instskip(SKIP_1) | instid1(SALU_CYCLE_1)
	v_cmp_eq_u32_e32 vcc_lo, 0, v15
	s_and_b32 s33, s20, vcc_lo
	s_and_saveexec_b32 s20, s33
	s_cbranch_execz .LBB197_85
; %bb.84:                               ;   in Loop: Header=BB197_81 Depth=1
	s_wait_dscnt 0x0
	v_bcnt_u32_b32 v4, v4, v14
	ds_store_b32 v16, v4 offset:16
.LBB197_85:                             ;   in Loop: Header=BB197_81 Depth=1
	s_wait_alu 0xfffe
	s_or_b32 exec_lo, exec_lo, s20
	v_cmp_ne_u64_e32 vcc_lo, s[24:25], v[66:67]
	; wave barrier
	s_wait_alu 0xfffd
	v_cndmask_b32_e32 v5, 0x7fffffff, v67, vcc_lo
	v_cndmask_b32_e32 v4, -1, v66, vcc_lo
	s_delay_alu instid0(VALU_DEP_1) | instskip(NEXT) | instid1(VALU_DEP_1)
	v_lshrrev_b64 v[4:5], v32, v[4:5]
	v_and_b32_e32 v4, s27, v4
	s_delay_alu instid0(VALU_DEP_1)
	v_and_b32_e32 v5, 1, v4
	v_lshlrev_b32_e32 v6, 30, v4
	v_lshlrev_b32_e32 v7, 29, v4
	;; [unrolled: 1-line block ×4, first 2 shown]
	v_add_co_u32 v5, s20, v5, -1
	s_wait_alu 0xf1ff
	v_cndmask_b32_e64 v9, 0, 1, s20
	v_not_b32_e32 v18, v6
	v_cmp_gt_i32_e64 s20, 0, v6
	v_not_b32_e32 v6, v7
	v_lshlrev_b32_e32 v11, 26, v4
	v_cmp_ne_u32_e32 vcc_lo, 0, v9
	v_ashrrev_i32_e32 v18, 31, v18
	v_lshlrev_b32_e32 v17, 25, v4
	v_ashrrev_i32_e32 v6, 31, v6
	v_lshlrev_b32_e32 v9, 24, v4
	s_wait_alu 0xfffd
	v_xor_b32_e32 v5, vcc_lo, v5
	v_cmp_gt_i32_e32 vcc_lo, 0, v7
	v_not_b32_e32 v7, v8
	s_wait_alu 0xf1ff
	v_xor_b32_e32 v18, s20, v18
	v_cmp_gt_i32_e64 s20, 0, v8
	v_and_b32_e32 v5, exec_lo, v5
	v_not_b32_e32 v8, v10
	v_ashrrev_i32_e32 v7, 31, v7
	s_wait_alu 0xfffd
	v_xor_b32_e32 v6, vcc_lo, v6
	v_cmp_gt_i32_e32 vcc_lo, 0, v10
	v_and_b32_e32 v5, v5, v18
	v_not_b32_e32 v10, v11
	v_ashrrev_i32_e32 v8, 31, v8
	s_wait_alu 0xf1ff
	v_xor_b32_e32 v7, s20, v7
	v_cmp_gt_i32_e64 s20, 0, v11
	v_and_b32_e32 v5, v5, v6
	v_not_b32_e32 v6, v17
	v_ashrrev_i32_e32 v10, 31, v10
	s_wait_alu 0xfffd
	v_xor_b32_e32 v8, vcc_lo, v8
	v_cmp_gt_i32_e32 vcc_lo, 0, v17
	v_and_b32_e32 v5, v5, v7
	v_not_b32_e32 v7, v9
	v_ashrrev_i32_e32 v6, 31, v6
	s_wait_alu 0xf1ff
	v_xor_b32_e32 v10, s20, v10
	v_lshlrev_b32_e32 v4, 4, v4
	v_and_b32_e32 v5, v5, v8
	v_cmp_gt_i32_e64 s20, 0, v9
	v_ashrrev_i32_e32 v7, 31, v7
	s_wait_alu 0xfffd
	v_xor_b32_e32 v6, vcc_lo, v6
	v_add_nc_u32_e32 v19, v74, v4
	v_and_b32_e32 v5, v5, v10
	s_wait_alu 0xf1ff
	v_xor_b32_e32 v4, s20, v7
	ds_load_b32 v17, v19 offset:16
	v_and_b32_e32 v5, v5, v6
	; wave barrier
	s_delay_alu instid0(VALU_DEP_1) | instskip(NEXT) | instid1(VALU_DEP_1)
	v_and_b32_e32 v4, v5, v4
	v_mbcnt_lo_u32_b32 v18, v4, 0
	v_cmp_ne_u32_e64 s20, 0, v4
	s_delay_alu instid0(VALU_DEP_2) | instskip(SKIP_1) | instid1(SALU_CYCLE_1)
	v_cmp_eq_u32_e32 vcc_lo, 0, v18
	s_and_b32 s33, s20, vcc_lo
	s_and_saveexec_b32 s20, s33
	s_cbranch_execz .LBB197_87
; %bb.86:                               ;   in Loop: Header=BB197_81 Depth=1
	s_wait_dscnt 0x0
	v_bcnt_u32_b32 v4, v4, v17
	ds_store_b32 v19, v4 offset:16
.LBB197_87:                             ;   in Loop: Header=BB197_81 Depth=1
	s_wait_alu 0xfffe
	s_or_b32 exec_lo, exec_lo, s20
	v_cmp_ne_u64_e32 vcc_lo, s[24:25], v[64:65]
	; wave barrier
	s_wait_alu 0xfffd
	v_cndmask_b32_e32 v5, 0x7fffffff, v65, vcc_lo
	v_cndmask_b32_e32 v4, -1, v64, vcc_lo
	s_delay_alu instid0(VALU_DEP_1) | instskip(NEXT) | instid1(VALU_DEP_1)
	v_lshrrev_b64 v[4:5], v32, v[4:5]
	v_and_b32_e32 v4, s27, v4
	s_delay_alu instid0(VALU_DEP_1)
	v_and_b32_e32 v5, 1, v4
	v_lshlrev_b32_e32 v6, 30, v4
	v_lshlrev_b32_e32 v7, 29, v4
	;; [unrolled: 1-line block ×4, first 2 shown]
	v_add_co_u32 v5, s20, v5, -1
	s_wait_alu 0xf1ff
	v_cndmask_b32_e64 v9, 0, 1, s20
	v_not_b32_e32 v21, v6
	v_cmp_gt_i32_e64 s20, 0, v6
	v_not_b32_e32 v6, v7
	v_lshlrev_b32_e32 v11, 26, v4
	v_cmp_ne_u32_e32 vcc_lo, 0, v9
	v_ashrrev_i32_e32 v21, 31, v21
	v_lshlrev_b32_e32 v20, 25, v4
	v_ashrrev_i32_e32 v6, 31, v6
	v_lshlrev_b32_e32 v9, 24, v4
	s_wait_alu 0xfffd
	v_xor_b32_e32 v5, vcc_lo, v5
	v_cmp_gt_i32_e32 vcc_lo, 0, v7
	v_not_b32_e32 v7, v8
	s_wait_alu 0xf1ff
	v_xor_b32_e32 v21, s20, v21
	v_cmp_gt_i32_e64 s20, 0, v8
	v_and_b32_e32 v5, exec_lo, v5
	v_not_b32_e32 v8, v10
	v_ashrrev_i32_e32 v7, 31, v7
	s_wait_alu 0xfffd
	v_xor_b32_e32 v6, vcc_lo, v6
	v_cmp_gt_i32_e32 vcc_lo, 0, v10
	v_and_b32_e32 v5, v5, v21
	v_not_b32_e32 v10, v11
	v_ashrrev_i32_e32 v8, 31, v8
	s_wait_alu 0xf1ff
	v_xor_b32_e32 v7, s20, v7
	v_cmp_gt_i32_e64 s20, 0, v11
	v_and_b32_e32 v5, v5, v6
	v_not_b32_e32 v6, v20
	v_ashrrev_i32_e32 v10, 31, v10
	s_wait_alu 0xfffd
	v_xor_b32_e32 v8, vcc_lo, v8
	v_cmp_gt_i32_e32 vcc_lo, 0, v20
	v_and_b32_e32 v5, v5, v7
	v_not_b32_e32 v7, v9
	v_ashrrev_i32_e32 v6, 31, v6
	s_wait_alu 0xf1ff
	v_xor_b32_e32 v10, s20, v10
	v_lshlrev_b32_e32 v4, 4, v4
	v_and_b32_e32 v5, v5, v8
	v_cmp_gt_i32_e64 s20, 0, v9
	v_ashrrev_i32_e32 v7, 31, v7
	s_wait_alu 0xfffd
	v_xor_b32_e32 v6, vcc_lo, v6
	v_add_nc_u32_e32 v22, v74, v4
	v_and_b32_e32 v5, v5, v10
	s_wait_alu 0xf1ff
	v_xor_b32_e32 v4, s20, v7
	ds_load_b32 v20, v22 offset:16
	v_and_b32_e32 v5, v5, v6
	; wave barrier
	s_delay_alu instid0(VALU_DEP_1) | instskip(NEXT) | instid1(VALU_DEP_1)
	v_and_b32_e32 v4, v5, v4
	v_mbcnt_lo_u32_b32 v21, v4, 0
	v_cmp_ne_u32_e64 s20, 0, v4
	s_delay_alu instid0(VALU_DEP_2) | instskip(SKIP_1) | instid1(SALU_CYCLE_1)
	v_cmp_eq_u32_e32 vcc_lo, 0, v21
	s_and_b32 s33, s20, vcc_lo
	s_and_saveexec_b32 s20, s33
	s_cbranch_execz .LBB197_89
; %bb.88:                               ;   in Loop: Header=BB197_81 Depth=1
	s_wait_dscnt 0x0
	v_bcnt_u32_b32 v4, v4, v20
	ds_store_b32 v22, v4 offset:16
.LBB197_89:                             ;   in Loop: Header=BB197_81 Depth=1
	s_wait_alu 0xfffe
	s_or_b32 exec_lo, exec_lo, s20
	v_cmp_ne_u64_e32 vcc_lo, s[24:25], v[62:63]
	; wave barrier
	s_wait_alu 0xfffd
	v_cndmask_b32_e32 v5, 0x7fffffff, v63, vcc_lo
	v_cndmask_b32_e32 v4, -1, v62, vcc_lo
	s_delay_alu instid0(VALU_DEP_1) | instskip(NEXT) | instid1(VALU_DEP_1)
	v_lshrrev_b64 v[4:5], v32, v[4:5]
	v_and_b32_e32 v4, s27, v4
	s_delay_alu instid0(VALU_DEP_1)
	v_and_b32_e32 v5, 1, v4
	v_lshlrev_b32_e32 v6, 30, v4
	v_lshlrev_b32_e32 v7, 29, v4
	;; [unrolled: 1-line block ×4, first 2 shown]
	v_add_co_u32 v5, s20, v5, -1
	s_wait_alu 0xf1ff
	v_cndmask_b32_e64 v9, 0, 1, s20
	v_not_b32_e32 v24, v6
	v_cmp_gt_i32_e64 s20, 0, v6
	v_not_b32_e32 v6, v7
	v_lshlrev_b32_e32 v11, 26, v4
	v_cmp_ne_u32_e32 vcc_lo, 0, v9
	v_ashrrev_i32_e32 v24, 31, v24
	v_lshlrev_b32_e32 v23, 25, v4
	v_ashrrev_i32_e32 v6, 31, v6
	v_lshlrev_b32_e32 v9, 24, v4
	s_wait_alu 0xfffd
	v_xor_b32_e32 v5, vcc_lo, v5
	v_cmp_gt_i32_e32 vcc_lo, 0, v7
	v_not_b32_e32 v7, v8
	s_wait_alu 0xf1ff
	v_xor_b32_e32 v24, s20, v24
	v_cmp_gt_i32_e64 s20, 0, v8
	v_and_b32_e32 v5, exec_lo, v5
	v_not_b32_e32 v8, v10
	v_ashrrev_i32_e32 v7, 31, v7
	s_wait_alu 0xfffd
	v_xor_b32_e32 v6, vcc_lo, v6
	v_cmp_gt_i32_e32 vcc_lo, 0, v10
	v_and_b32_e32 v5, v5, v24
	v_not_b32_e32 v10, v11
	v_ashrrev_i32_e32 v8, 31, v8
	s_wait_alu 0xf1ff
	v_xor_b32_e32 v7, s20, v7
	v_cmp_gt_i32_e64 s20, 0, v11
	v_and_b32_e32 v5, v5, v6
	v_not_b32_e32 v6, v23
	v_ashrrev_i32_e32 v10, 31, v10
	s_wait_alu 0xfffd
	v_xor_b32_e32 v8, vcc_lo, v8
	v_cmp_gt_i32_e32 vcc_lo, 0, v23
	v_and_b32_e32 v5, v5, v7
	v_not_b32_e32 v7, v9
	v_ashrrev_i32_e32 v6, 31, v6
	s_wait_alu 0xf1ff
	v_xor_b32_e32 v10, s20, v10
	v_lshlrev_b32_e32 v4, 4, v4
	v_and_b32_e32 v5, v5, v8
	v_cmp_gt_i32_e64 s20, 0, v9
	v_ashrrev_i32_e32 v7, 31, v7
	s_wait_alu 0xfffd
	v_xor_b32_e32 v6, vcc_lo, v6
	v_add_nc_u32_e32 v25, v74, v4
	v_and_b32_e32 v5, v5, v10
	s_wait_alu 0xf1ff
	v_xor_b32_e32 v4, s20, v7
	ds_load_b32 v23, v25 offset:16
	v_and_b32_e32 v5, v5, v6
	; wave barrier
	s_delay_alu instid0(VALU_DEP_1) | instskip(NEXT) | instid1(VALU_DEP_1)
	v_and_b32_e32 v4, v5, v4
	v_mbcnt_lo_u32_b32 v24, v4, 0
	v_cmp_ne_u32_e64 s20, 0, v4
	s_delay_alu instid0(VALU_DEP_2) | instskip(SKIP_1) | instid1(SALU_CYCLE_1)
	v_cmp_eq_u32_e32 vcc_lo, 0, v24
	s_and_b32 s33, s20, vcc_lo
	s_and_saveexec_b32 s20, s33
	s_cbranch_execz .LBB197_91
; %bb.90:                               ;   in Loop: Header=BB197_81 Depth=1
	s_wait_dscnt 0x0
	v_bcnt_u32_b32 v4, v4, v23
	ds_store_b32 v25, v4 offset:16
.LBB197_91:                             ;   in Loop: Header=BB197_81 Depth=1
	s_wait_alu 0xfffe
	s_or_b32 exec_lo, exec_lo, s20
	v_cmp_ne_u64_e32 vcc_lo, s[24:25], v[40:41]
	; wave barrier
	s_wait_alu 0xfffd
	v_cndmask_b32_e32 v5, 0x7fffffff, v41, vcc_lo
	v_cndmask_b32_e32 v4, -1, v40, vcc_lo
	s_delay_alu instid0(VALU_DEP_1) | instskip(NEXT) | instid1(VALU_DEP_1)
	v_lshrrev_b64 v[4:5], v32, v[4:5]
	v_and_b32_e32 v4, s27, v4
	s_delay_alu instid0(VALU_DEP_1)
	v_and_b32_e32 v5, 1, v4
	v_lshlrev_b32_e32 v6, 30, v4
	v_lshlrev_b32_e32 v7, 29, v4
	;; [unrolled: 1-line block ×4, first 2 shown]
	v_add_co_u32 v5, s20, v5, -1
	s_wait_alu 0xf1ff
	v_cndmask_b32_e64 v9, 0, 1, s20
	v_not_b32_e32 v27, v6
	v_cmp_gt_i32_e64 s20, 0, v6
	v_not_b32_e32 v6, v7
	v_lshlrev_b32_e32 v11, 26, v4
	v_cmp_ne_u32_e32 vcc_lo, 0, v9
	v_ashrrev_i32_e32 v27, 31, v27
	v_lshlrev_b32_e32 v26, 25, v4
	v_ashrrev_i32_e32 v6, 31, v6
	v_lshlrev_b32_e32 v9, 24, v4
	s_wait_alu 0xfffd
	v_xor_b32_e32 v5, vcc_lo, v5
	v_cmp_gt_i32_e32 vcc_lo, 0, v7
	v_not_b32_e32 v7, v8
	s_wait_alu 0xf1ff
	v_xor_b32_e32 v27, s20, v27
	v_cmp_gt_i32_e64 s20, 0, v8
	v_and_b32_e32 v5, exec_lo, v5
	v_not_b32_e32 v8, v10
	v_ashrrev_i32_e32 v7, 31, v7
	s_wait_alu 0xfffd
	v_xor_b32_e32 v6, vcc_lo, v6
	v_cmp_gt_i32_e32 vcc_lo, 0, v10
	v_and_b32_e32 v5, v5, v27
	v_not_b32_e32 v10, v11
	v_ashrrev_i32_e32 v8, 31, v8
	s_wait_alu 0xf1ff
	v_xor_b32_e32 v7, s20, v7
	v_cmp_gt_i32_e64 s20, 0, v11
	v_and_b32_e32 v5, v5, v6
	v_not_b32_e32 v6, v26
	v_ashrrev_i32_e32 v10, 31, v10
	s_wait_alu 0xfffd
	v_xor_b32_e32 v8, vcc_lo, v8
	v_cmp_gt_i32_e32 vcc_lo, 0, v26
	v_and_b32_e32 v5, v5, v7
	v_not_b32_e32 v7, v9
	v_ashrrev_i32_e32 v6, 31, v6
	s_wait_alu 0xf1ff
	v_xor_b32_e32 v10, s20, v10
	v_lshlrev_b32_e32 v4, 4, v4
	v_and_b32_e32 v5, v5, v8
	v_cmp_gt_i32_e64 s20, 0, v9
	v_ashrrev_i32_e32 v7, 31, v7
	s_wait_alu 0xfffd
	v_xor_b32_e32 v6, vcc_lo, v6
	v_add_nc_u32_e32 v28, v74, v4
	v_and_b32_e32 v5, v5, v10
	s_wait_alu 0xf1ff
	v_xor_b32_e32 v4, s20, v7
	ds_load_b32 v26, v28 offset:16
	v_and_b32_e32 v5, v5, v6
	; wave barrier
	s_delay_alu instid0(VALU_DEP_1) | instskip(NEXT) | instid1(VALU_DEP_1)
	v_and_b32_e32 v4, v5, v4
	v_mbcnt_lo_u32_b32 v27, v4, 0
	v_cmp_ne_u32_e64 s20, 0, v4
	s_delay_alu instid0(VALU_DEP_2) | instskip(SKIP_1) | instid1(SALU_CYCLE_1)
	v_cmp_eq_u32_e32 vcc_lo, 0, v27
	s_and_b32 s33, s20, vcc_lo
	s_and_saveexec_b32 s20, s33
	s_cbranch_execz .LBB197_93
; %bb.92:                               ;   in Loop: Header=BB197_81 Depth=1
	s_wait_dscnt 0x0
	v_bcnt_u32_b32 v4, v4, v26
	ds_store_b32 v28, v4 offset:16
.LBB197_93:                             ;   in Loop: Header=BB197_81 Depth=1
	s_wait_alu 0xfffe
	s_or_b32 exec_lo, exec_lo, s20
	v_cmp_ne_u64_e32 vcc_lo, s[24:25], v[38:39]
	; wave barrier
	s_wait_alu 0xfffd
	v_cndmask_b32_e32 v5, 0x7fffffff, v39, vcc_lo
	v_cndmask_b32_e32 v4, -1, v38, vcc_lo
	s_delay_alu instid0(VALU_DEP_1) | instskip(NEXT) | instid1(VALU_DEP_1)
	v_lshrrev_b64 v[4:5], v32, v[4:5]
	v_and_b32_e32 v4, s27, v4
	s_delay_alu instid0(VALU_DEP_1)
	v_and_b32_e32 v5, 1, v4
	v_lshlrev_b32_e32 v6, 30, v4
	v_lshlrev_b32_e32 v7, 29, v4
	;; [unrolled: 1-line block ×4, first 2 shown]
	v_add_co_u32 v5, s20, v5, -1
	s_wait_alu 0xf1ff
	v_cndmask_b32_e64 v9, 0, 1, s20
	v_not_b32_e32 v30, v6
	v_cmp_gt_i32_e64 s20, 0, v6
	v_not_b32_e32 v6, v7
	v_lshlrev_b32_e32 v11, 26, v4
	v_cmp_ne_u32_e32 vcc_lo, 0, v9
	v_ashrrev_i32_e32 v30, 31, v30
	v_lshlrev_b32_e32 v29, 25, v4
	v_ashrrev_i32_e32 v6, 31, v6
	v_lshlrev_b32_e32 v9, 24, v4
	s_wait_alu 0xfffd
	v_xor_b32_e32 v5, vcc_lo, v5
	v_cmp_gt_i32_e32 vcc_lo, 0, v7
	v_not_b32_e32 v7, v8
	s_wait_alu 0xf1ff
	v_xor_b32_e32 v30, s20, v30
	v_cmp_gt_i32_e64 s20, 0, v8
	v_and_b32_e32 v5, exec_lo, v5
	v_not_b32_e32 v8, v10
	v_ashrrev_i32_e32 v7, 31, v7
	s_wait_alu 0xfffd
	v_xor_b32_e32 v6, vcc_lo, v6
	v_cmp_gt_i32_e32 vcc_lo, 0, v10
	v_and_b32_e32 v5, v5, v30
	v_not_b32_e32 v10, v11
	v_ashrrev_i32_e32 v8, 31, v8
	s_wait_alu 0xf1ff
	v_xor_b32_e32 v7, s20, v7
	v_cmp_gt_i32_e64 s20, 0, v11
	v_and_b32_e32 v5, v5, v6
	v_not_b32_e32 v6, v29
	v_ashrrev_i32_e32 v10, 31, v10
	s_wait_alu 0xfffd
	v_xor_b32_e32 v8, vcc_lo, v8
	v_cmp_gt_i32_e32 vcc_lo, 0, v29
	v_and_b32_e32 v5, v5, v7
	v_not_b32_e32 v7, v9
	v_ashrrev_i32_e32 v6, 31, v6
	s_wait_alu 0xf1ff
	v_xor_b32_e32 v10, s20, v10
	v_lshlrev_b32_e32 v4, 4, v4
	v_and_b32_e32 v5, v5, v8
	v_cmp_gt_i32_e64 s20, 0, v9
	v_ashrrev_i32_e32 v7, 31, v7
	s_wait_alu 0xfffd
	v_xor_b32_e32 v6, vcc_lo, v6
	v_add_nc_u32_e32 v31, v74, v4
	v_and_b32_e32 v5, v5, v10
	s_wait_alu 0xf1ff
	v_xor_b32_e32 v4, s20, v7
	ds_load_b32 v29, v31 offset:16
	v_and_b32_e32 v5, v5, v6
	; wave barrier
	s_delay_alu instid0(VALU_DEP_1) | instskip(NEXT) | instid1(VALU_DEP_1)
	v_and_b32_e32 v4, v5, v4
	v_mbcnt_lo_u32_b32 v30, v4, 0
	v_cmp_ne_u32_e64 s20, 0, v4
	s_delay_alu instid0(VALU_DEP_2) | instskip(SKIP_1) | instid1(SALU_CYCLE_1)
	v_cmp_eq_u32_e32 vcc_lo, 0, v30
	s_and_b32 s33, s20, vcc_lo
	s_and_saveexec_b32 s20, s33
	s_cbranch_execz .LBB197_95
; %bb.94:                               ;   in Loop: Header=BB197_81 Depth=1
	s_wait_dscnt 0x0
	v_bcnt_u32_b32 v4, v4, v29
	ds_store_b32 v31, v4 offset:16
.LBB197_95:                             ;   in Loop: Header=BB197_81 Depth=1
	s_wait_alu 0xfffe
	s_or_b32 exec_lo, exec_lo, s20
	v_cmp_ne_u64_e32 vcc_lo, s[24:25], v[36:37]
	; wave barrier
	s_wait_alu 0xfffd
	v_cndmask_b32_e32 v5, 0x7fffffff, v37, vcc_lo
	v_cndmask_b32_e32 v4, -1, v36, vcc_lo
	s_delay_alu instid0(VALU_DEP_1) | instskip(NEXT) | instid1(VALU_DEP_1)
	v_lshrrev_b64 v[4:5], v32, v[4:5]
	v_and_b32_e32 v4, s27, v4
	s_delay_alu instid0(VALU_DEP_1)
	v_and_b32_e32 v5, 1, v4
	v_lshlrev_b32_e32 v6, 30, v4
	v_lshlrev_b32_e32 v7, 29, v4
	;; [unrolled: 1-line block ×4, first 2 shown]
	v_add_co_u32 v5, s20, v5, -1
	s_wait_alu 0xf1ff
	v_cndmask_b32_e64 v9, 0, 1, s20
	v_not_b32_e32 v49, v6
	v_cmp_gt_i32_e64 s20, 0, v6
	v_not_b32_e32 v6, v7
	v_lshlrev_b32_e32 v11, 26, v4
	v_cmp_ne_u32_e32 vcc_lo, 0, v9
	v_ashrrev_i32_e32 v49, 31, v49
	v_lshlrev_b32_e32 v48, 25, v4
	v_ashrrev_i32_e32 v6, 31, v6
	v_lshlrev_b32_e32 v9, 24, v4
	s_wait_alu 0xfffd
	v_xor_b32_e32 v5, vcc_lo, v5
	v_cmp_gt_i32_e32 vcc_lo, 0, v7
	v_not_b32_e32 v7, v8
	s_wait_alu 0xf1ff
	v_xor_b32_e32 v49, s20, v49
	v_cmp_gt_i32_e64 s20, 0, v8
	v_and_b32_e32 v5, exec_lo, v5
	v_not_b32_e32 v8, v10
	v_ashrrev_i32_e32 v7, 31, v7
	s_wait_alu 0xfffd
	v_xor_b32_e32 v6, vcc_lo, v6
	v_cmp_gt_i32_e32 vcc_lo, 0, v10
	v_and_b32_e32 v5, v5, v49
	v_not_b32_e32 v10, v11
	v_ashrrev_i32_e32 v8, 31, v8
	s_wait_alu 0xf1ff
	v_xor_b32_e32 v7, s20, v7
	v_cmp_gt_i32_e64 s20, 0, v11
	v_and_b32_e32 v5, v5, v6
	v_not_b32_e32 v6, v48
	v_ashrrev_i32_e32 v10, 31, v10
	s_wait_alu 0xfffd
	v_xor_b32_e32 v8, vcc_lo, v8
	v_cmp_gt_i32_e32 vcc_lo, 0, v48
	v_and_b32_e32 v5, v5, v7
	v_not_b32_e32 v7, v9
	v_ashrrev_i32_e32 v6, 31, v6
	s_wait_alu 0xf1ff
	v_xor_b32_e32 v10, s20, v10
	v_lshlrev_b32_e32 v4, 4, v4
	v_and_b32_e32 v5, v5, v8
	v_cmp_gt_i32_e64 s20, 0, v9
	v_ashrrev_i32_e32 v7, 31, v7
	s_wait_alu 0xfffd
	v_xor_b32_e32 v6, vcc_lo, v6
	v_add_nc_u32_e32 v50, v74, v4
	v_and_b32_e32 v5, v5, v10
	s_wait_alu 0xf1ff
	v_xor_b32_e32 v4, s20, v7
	ds_load_b32 v48, v50 offset:16
	v_and_b32_e32 v5, v5, v6
	; wave barrier
	s_delay_alu instid0(VALU_DEP_1) | instskip(NEXT) | instid1(VALU_DEP_1)
	v_and_b32_e32 v4, v5, v4
	v_mbcnt_lo_u32_b32 v49, v4, 0
	v_cmp_ne_u32_e64 s20, 0, v4
	s_delay_alu instid0(VALU_DEP_2)
	v_cmp_eq_u32_e32 vcc_lo, 0, v49
	s_and_b32 s27, s20, vcc_lo
	s_wait_alu 0xfffe
	s_and_saveexec_b32 s20, s27
	s_cbranch_execz .LBB197_97
; %bb.96:                               ;   in Loop: Header=BB197_81 Depth=1
	s_wait_dscnt 0x0
	v_bcnt_u32_b32 v4, v4, v48
	ds_store_b32 v50, v4 offset:16
.LBB197_97:                             ;   in Loop: Header=BB197_81 Depth=1
	s_wait_alu 0xfffe
	s_or_b32 exec_lo, exec_lo, s20
	; wave barrier
	s_wait_loadcnt_dscnt 0x0
	s_barrier_signal -1
	s_barrier_wait -1
	global_inv scope:SCOPE_SE
	ds_load_b128 v[8:11], v113 offset:16
	ds_load_b128 v[4:7], v113 offset:32
	s_wait_dscnt 0x1
	v_add_nc_u32_e32 v51, v9, v8
	s_delay_alu instid0(VALU_DEP_1) | instskip(SKIP_1) | instid1(VALU_DEP_1)
	v_add3_u32 v51, v51, v10, v11
	s_wait_dscnt 0x0
	v_add3_u32 v51, v51, v4, v5
	s_delay_alu instid0(VALU_DEP_1) | instskip(NEXT) | instid1(VALU_DEP_1)
	v_add3_u32 v7, v51, v6, v7
	v_mov_b32_dpp v51, v7 row_shr:1 row_mask:0xf bank_mask:0xf
	s_delay_alu instid0(VALU_DEP_1) | instskip(NEXT) | instid1(VALU_DEP_1)
	v_cndmask_b32_e64 v51, v51, 0, s0
	v_add_nc_u32_e32 v7, v51, v7
	s_delay_alu instid0(VALU_DEP_1) | instskip(NEXT) | instid1(VALU_DEP_1)
	v_mov_b32_dpp v51, v7 row_shr:2 row_mask:0xf bank_mask:0xf
	v_cndmask_b32_e64 v51, 0, v51, s1
	s_delay_alu instid0(VALU_DEP_1) | instskip(NEXT) | instid1(VALU_DEP_1)
	v_add_nc_u32_e32 v7, v7, v51
	v_mov_b32_dpp v51, v7 row_shr:4 row_mask:0xf bank_mask:0xf
	s_delay_alu instid0(VALU_DEP_1) | instskip(NEXT) | instid1(VALU_DEP_1)
	v_cndmask_b32_e64 v51, 0, v51, s11
	v_add_nc_u32_e32 v7, v7, v51
	s_delay_alu instid0(VALU_DEP_1) | instskip(NEXT) | instid1(VALU_DEP_1)
	v_mov_b32_dpp v51, v7 row_shr:8 row_mask:0xf bank_mask:0xf
	v_cndmask_b32_e64 v51, 0, v51, s12
	s_delay_alu instid0(VALU_DEP_1) | instskip(SKIP_3) | instid1(VALU_DEP_1)
	v_add_nc_u32_e32 v7, v7, v51
	ds_swizzle_b32 v51, v7 offset:swizzle(BROADCAST,32,15)
	s_wait_dscnt 0x0
	v_cndmask_b32_e64 v51, v51, 0, s13
	v_add_nc_u32_e32 v7, v7, v51
	s_and_saveexec_b32 s20, s14
; %bb.98:                               ;   in Loop: Header=BB197_81 Depth=1
	ds_store_b32 v114, v7
; %bb.99:                               ;   in Loop: Header=BB197_81 Depth=1
	s_wait_alu 0xfffe
	s_or_b32 exec_lo, exec_lo, s20
	s_wait_loadcnt_dscnt 0x0
	s_barrier_signal -1
	s_barrier_wait -1
	global_inv scope:SCOPE_SE
	s_and_saveexec_b32 s20, s15
	s_cbranch_execz .LBB197_101
; %bb.100:                              ;   in Loop: Header=BB197_81 Depth=1
	ds_load_b32 v51, v75
	s_wait_dscnt 0x0
	v_mov_b32_dpp v76, v51 row_shr:1 row_mask:0xf bank_mask:0xf
	s_delay_alu instid0(VALU_DEP_1) | instskip(NEXT) | instid1(VALU_DEP_1)
	v_cndmask_b32_e64 v76, v76, 0, s18
	v_add_nc_u32_e32 v51, v76, v51
	s_delay_alu instid0(VALU_DEP_1) | instskip(NEXT) | instid1(VALU_DEP_1)
	v_mov_b32_dpp v76, v51 row_shr:2 row_mask:0xf bank_mask:0xf
	v_cndmask_b32_e64 v76, 0, v76, s19
	s_delay_alu instid0(VALU_DEP_1)
	v_add_nc_u32_e32 v51, v51, v76
	ds_store_b32 v75, v51
.LBB197_101:                            ;   in Loop: Header=BB197_81 Depth=1
	s_wait_alu 0xfffe
	s_or_b32 exec_lo, exec_lo, s20
	v_mov_b32_e32 v51, 0
	s_wait_loadcnt_dscnt 0x0
	s_barrier_signal -1
	s_barrier_wait -1
	global_inv scope:SCOPE_SE
	s_and_saveexec_b32 s20, s16
; %bb.102:                              ;   in Loop: Header=BB197_81 Depth=1
	ds_load_b32 v51, v73
; %bb.103:                              ;   in Loop: Header=BB197_81 Depth=1
	s_wait_alu 0xfffe
	s_or_b32 exec_lo, exec_lo, s20
	s_wait_dscnt 0x0
	v_add_nc_u32_e32 v7, v51, v7
	v_cmp_lt_u32_e32 vcc_lo, 55, v32
	s_mov_b32 s20, -1
	ds_bpermute_b32 v7, v72, v7
	s_and_b32 vcc_lo, exec_lo, vcc_lo
	s_wait_dscnt 0x0
	v_cndmask_b32_e64 v7, v7, v51, s10
	s_delay_alu instid0(VALU_DEP_1) | instskip(NEXT) | instid1(VALU_DEP_1)
	v_cndmask_b32_e64 v7, v7, 0, s17
	v_add_nc_u32_e32 v8, v7, v8
	s_delay_alu instid0(VALU_DEP_1) | instskip(NEXT) | instid1(VALU_DEP_1)
	v_add_nc_u32_e32 v9, v8, v9
	v_add_nc_u32_e32 v10, v9, v10
	s_delay_alu instid0(VALU_DEP_1) | instskip(NEXT) | instid1(VALU_DEP_1)
	v_add_nc_u32_e32 v76, v10, v11
	;; [unrolled: 3-line block ×3, first 2 shown]
	v_add_nc_u32_e32 v79, v78, v6
	ds_store_b128 v113, v[7:10] offset:16
	ds_store_b128 v113, v[76:79] offset:32
	s_wait_loadcnt_dscnt 0x0
	s_barrier_signal -1
	s_barrier_wait -1
	global_inv scope:SCOPE_SE
	ds_load_b32 v4, v13 offset:16
	ds_load_b32 v5, v16 offset:16
	;; [unrolled: 1-line block ×8, first 2 shown]
	s_wait_dscnt 0x7
	v_add_nc_u32_e32 v83, v4, v12
	s_wait_dscnt 0x6
	v_add3_u32 v82, v15, v14, v5
	s_wait_dscnt 0x5
	v_add3_u32 v81, v18, v17, v6
	;; [unrolled: 2-line block ×7, first 2 shown]
                                        ; implicit-def: $vgpr50_vgpr51
                                        ; implicit-def: $vgpr14_vgpr15
                                        ; implicit-def: $vgpr10_vgpr11
                                        ; implicit-def: $vgpr6_vgpr7
                                        ; implicit-def: $vgpr30_vgpr31
                                        ; implicit-def: $vgpr26_vgpr27
                                        ; implicit-def: $vgpr22_vgpr23
                                        ; implicit-def: $vgpr18_vgpr19
	s_wait_alu 0xfffe
	s_cbranch_vccnz .LBB197_80
; %bb.104:                              ;   in Loop: Header=BB197_81 Depth=1
	v_lshlrev_b32_e32 v16, 3, v83
	v_lshlrev_b32_e32 v19, 3, v80
	;; [unrolled: 1-line block ×8, first 2 shown]
	s_wait_loadcnt 0x0
	s_barrier_signal -1
	s_barrier_wait -1
	global_inv scope:SCOPE_SE
	ds_store_b64 v16, v[34:35]
	ds_store_b64 v17, v[69:70]
	ds_store_b64 v18, v[66:67]
	ds_store_b64 v19, v[64:65]
	ds_store_b64 v20, v[62:63]
	ds_store_b64 v21, v[40:41]
	ds_store_b64 v22, v[38:39]
	ds_store_b64 v23, v[36:37]
	s_wait_loadcnt_dscnt 0x0
	s_barrier_signal -1
	s_barrier_wait -1
	global_inv scope:SCOPE_SE
	ds_load_2addr_b64 v[4:7], v71 offset1:32
	ds_load_2addr_b64 v[8:11], v71 offset0:64 offset1:96
	ds_load_2addr_b64 v[12:15], v71 offset0:128 offset1:160
	;; [unrolled: 1-line block ×3, first 2 shown]
	s_wait_loadcnt_dscnt 0x0
	s_barrier_signal -1
	s_barrier_wait -1
	global_inv scope:SCOPE_SE
	ds_store_b64 v16, v[60:61]
	ds_store_b64 v17, v[58:59]
	;; [unrolled: 1-line block ×8, first 2 shown]
	s_wait_loadcnt_dscnt 0x0
	s_barrier_signal -1
	s_barrier_wait -1
	global_inv scope:SCOPE_SE
	ds_load_2addr_b64 v[16:19], v71 offset1:32
	ds_load_2addr_b64 v[20:23], v71 offset0:64 offset1:96
	ds_load_2addr_b64 v[24:27], v71 offset0:128 offset1:160
	;; [unrolled: 1-line block ×3, first 2 shown]
	v_add_co_u32 v32, vcc_lo, v32, 8
	s_wait_alu 0xfffd
	v_add_co_ci_u32_e64 v33, null, 0, v33, vcc_lo
	s_add_co_i32 s26, s26, -8
	s_mov_b32 s20, 0
	s_wait_loadcnt_dscnt 0x0
	s_barrier_signal -1
	s_barrier_wait -1
	global_inv scope:SCOPE_SE
	s_branch .LBB197_80
.LBB197_105:
	v_lshlrev_b32_e32 v16, 3, v83
	v_lshlrev_b32_e32 v19, 3, v80
	v_lshlrev_b32_e32 v24, 3, v112
	v_lshlrev_b32_e32 v17, 3, v82
	v_lshlrev_b32_e32 v20, 3, v79
	v_lshlrev_b32_e32 v18, 3, v81
	v_lshlrev_b32_e32 v21, 3, v78
	v_lshlrev_b32_e32 v22, 3, v77
	v_lshlrev_b32_e32 v23, 3, v76
	s_wait_loadcnt 0x0
	s_barrier_signal -1
	s_barrier_wait -1
	global_inv scope:SCOPE_SE
	ds_store_b64 v16, v[34:35]
	ds_store_b64 v17, v[69:70]
	;; [unrolled: 1-line block ×8, first 2 shown]
	s_wait_loadcnt_dscnt 0x0
	s_barrier_signal -1
	s_barrier_wait -1
	global_inv scope:SCOPE_SE
	ds_load_b128 v[0:3], v24
	ds_load_b128 v[4:7], v24 offset:16
	ds_load_b128 v[8:11], v24 offset:32
	ds_load_b128 v[12:15], v24 offset:48
	s_wait_loadcnt_dscnt 0x0
	s_barrier_signal -1
	s_barrier_wait -1
	global_inv scope:SCOPE_SE
	ds_store_b64 v16, v[60:61]
	ds_store_b64 v17, v[58:59]
	;; [unrolled: 1-line block ×8, first 2 shown]
	s_wait_loadcnt_dscnt 0x0
	s_barrier_signal -1
	s_barrier_wait -1
	global_inv scope:SCOPE_SE
	ds_load_b128 v[52:55], v24
	ds_load_b128 v[48:51], v24 offset:16
	ds_load_b128 v[60:63], v24 offset:32
	;; [unrolled: 1-line block ×3, first 2 shown]
	v_cmp_gt_i64_e32 vcc_lo, 0, v[0:1]
	v_ashrrev_i32_e32 v18, 31, v3
	v_ashrrev_i32_e32 v16, 31, v1
	s_wait_alu 0xfffd
	v_cndmask_b32_e64 v17, 0x7fffffff, 0, vcc_lo
	v_cmp_gt_i64_e32 vcc_lo, 0, v[2:3]
	v_not_b32_e32 v18, v18
	v_not_b32_e32 v16, v16
	s_delay_alu instid0(VALU_DEP_4)
	v_xor_b32_e32 v1, v17, v1
	v_ashrrev_i32_e32 v17, 31, v7
	s_wait_alu 0xfffd
	v_cndmask_b32_e64 v19, 0x7fffffff, 0, vcc_lo
	v_cmp_gt_i64_e32 vcc_lo, 0, v[4:5]
	v_xor_b32_e32 v2, v18, v2
	v_xor_b32_e32 v0, v16, v0
	v_ashrrev_i32_e32 v16, 31, v5
	v_xor_b32_e32 v3, v19, v3
	v_not_b32_e32 v17, v17
	s_wait_alu 0xfffd
	v_cndmask_b32_e64 v18, 0x7fffffff, 0, vcc_lo
	v_cmp_gt_i64_e32 vcc_lo, 0, v[6:7]
	v_not_b32_e32 v16, v16
	v_xor_b32_e32 v6, v17, v6
	s_delay_alu instid0(VALU_DEP_4)
	v_xor_b32_e32 v5, v18, v5
	v_ashrrev_i32_e32 v18, 31, v11
	s_wait_alu 0xfffd
	v_cndmask_b32_e64 v19, 0x7fffffff, 0, vcc_lo
	v_cmp_gt_i64_e32 vcc_lo, 0, v[8:9]
	v_xor_b32_e32 v4, v16, v4
	v_ashrrev_i32_e32 v16, 31, v9
	s_delay_alu instid0(VALU_DEP_4) | instskip(SKIP_4) | instid1(VALU_DEP_3)
	v_xor_b32_e32 v7, v19, v7
	s_wait_alu 0xfffd
	v_cndmask_b32_e64 v17, 0x7fffffff, 0, vcc_lo
	v_cmp_gt_i64_e32 vcc_lo, 0, v[10:11]
	v_not_b32_e32 v16, v16
	v_xor_b32_e32 v9, v17, v9
	v_ashrrev_i32_e32 v17, 31, v13
	s_wait_alu 0xfffd
	v_cndmask_b32_e64 v19, 0x7fffffff, 0, vcc_lo
	v_cmp_gt_i64_e32 vcc_lo, 0, v[12:13]
	v_xor_b32_e32 v8, v16, v8
	v_not_b32_e32 v16, v18
	v_ashrrev_i32_e32 v18, 31, v15
	v_xor_b32_e32 v11, v19, v11
	v_not_b32_e32 v17, v17
	s_wait_alu 0xfffd
	v_cndmask_b32_e64 v19, 0x7fffffff, 0, vcc_lo
	v_cmp_gt_i64_e32 vcc_lo, 0, v[14:15]
	v_not_b32_e32 v18, v18
	v_xor_b32_e32 v10, v16, v10
	v_xor_b32_e32 v12, v17, v12
	;; [unrolled: 1-line block ×3, first 2 shown]
	s_wait_alu 0xfffd
	v_cndmask_b32_e64 v20, 0x7fffffff, 0, vcc_lo
	v_xor_b32_e32 v14, v18, v14
	s_delay_alu instid0(VALU_DEP_2)
	v_xor_b32_e32 v15, v20, v15
.LBB197_106:
	v_mad_co_u64_u32 v[16:17], null, s28, v68, 0
	s_wait_loadcnt_dscnt 0x0
	s_barrier_signal -1
	s_barrier_wait -1
	global_inv scope:SCOPE_SE
	ds_store_2addr_b64 v111, v[0:1], v[2:3] offset1:1
	ds_store_2addr_b64 v111, v[4:5], v[6:7] offset0:2 offset1:3
	ds_store_2addr_b64 v111, v[8:9], v[10:11] offset0:4 offset1:5
	;; [unrolled: 1-line block ×3, first 2 shown]
	s_wait_loadcnt_dscnt 0x0
	v_mov_b32_e32 v0, v17
	s_barrier_signal -1
	s_barrier_wait -1
	global_inv scope:SCOPE_SE
	v_mad_co_u64_u32 v[2:3], null, s29, v68, v[0:1]
	ds_load_b64 v[14:15], v104 offset:1024
	ds_load_b64 v[12:13], v105 offset:2048
	;; [unrolled: 1-line block ×7, first 2 shown]
	v_mov_b32_e32 v17, v2
	s_delay_alu instid0(VALU_DEP_1) | instskip(NEXT) | instid1(VALU_DEP_1)
	v_lshlrev_b64_e32 v[2:3], 3, v[16:17]
	v_add_co_u32 v2, vcc_lo, s30, v2
	s_wait_alu 0xfffd
	s_delay_alu instid0(VALU_DEP_2)
	v_add_co_ci_u32_e64 v3, null, s31, v3, vcc_lo
	s_and_saveexec_b32 s0, s2
	s_cbranch_execnz .LBB197_125
; %bb.107:
	s_wait_alu 0xfffe
	s_or_b32 exec_lo, exec_lo, s0
	s_and_saveexec_b32 s0, s3
	s_cbranch_execnz .LBB197_126
.LBB197_108:
	s_wait_alu 0xfffe
	s_or_b32 exec_lo, exec_lo, s0
	s_and_saveexec_b32 s0, s4
	s_cbranch_execnz .LBB197_127
.LBB197_109:
	s_wait_alu 0xfffe
	s_or_b32 exec_lo, exec_lo, s0
	s_and_saveexec_b32 s0, s5
	s_cbranch_execnz .LBB197_128
.LBB197_110:
	s_wait_alu 0xfffe
	s_or_b32 exec_lo, exec_lo, s0
	s_and_saveexec_b32 s0, s6
	s_cbranch_execnz .LBB197_129
.LBB197_111:
	s_wait_alu 0xfffe
	s_or_b32 exec_lo, exec_lo, s0
	s_and_saveexec_b32 s0, s7
	s_cbranch_execnz .LBB197_130
.LBB197_112:
	s_wait_alu 0xfffe
	s_or_b32 exec_lo, exec_lo, s0
	s_and_saveexec_b32 s0, s8
	s_cbranch_execnz .LBB197_131
.LBB197_113:
	s_wait_alu 0xfffe
	s_or_b32 exec_lo, exec_lo, s0
	s_and_saveexec_b32 s0, s9
	s_cbranch_execz .LBB197_115
.LBB197_114:
	v_mad_co_u64_u32 v[2:3], null, 0x1c00, s28, v[2:3]
	s_wait_dscnt 0x1
	s_delay_alu instid0(VALU_DEP_1)
	v_mad_co_u64_u32 v[3:4], null, 0x1c00, s29, v[3:4]
	s_wait_dscnt 0x0
	global_store_b64 v[2:3], v[0:1], off
.LBB197_115:
	s_wait_alu 0xfffe
	s_or_b32 exec_lo, exec_lo, s0
	v_mad_co_u64_u32 v[2:3], null, s22, v68, 0
	s_wait_storecnt 0x0
	s_wait_loadcnt_dscnt 0x0
	s_barrier_signal -1
	s_barrier_wait -1
	global_inv scope:SCOPE_SE
	ds_store_2addr_b64 v111, v[52:53], v[54:55] offset1:1
	ds_store_2addr_b64 v111, v[48:49], v[50:51] offset0:2 offset1:3
	ds_store_2addr_b64 v111, v[60:61], v[62:63] offset0:4 offset1:5
	;; [unrolled: 1-line block ×3, first 2 shown]
	s_wait_loadcnt_dscnt 0x0
	v_mov_b32_e32 v0, v3
	s_barrier_signal -1
	s_barrier_wait -1
	global_inv scope:SCOPE_SE
	v_mad_co_u64_u32 v[3:4], null, s23, v68, v[0:1]
	ds_load_b64 v[14:15], v104 offset:1024
	ds_load_b64 v[12:13], v105 offset:2048
	;; [unrolled: 1-line block ×7, first 2 shown]
	v_lshlrev_b64_e32 v[2:3], 3, v[2:3]
	s_delay_alu instid0(VALU_DEP_1) | instskip(SKIP_1) | instid1(VALU_DEP_2)
	v_add_co_u32 v2, vcc_lo, s34, v2
	s_wait_alu 0xfffd
	v_add_co_ci_u32_e64 v3, null, s35, v3, vcc_lo
	s_and_saveexec_b32 s0, s2
	s_cbranch_execnz .LBB197_132
; %bb.116:
	s_wait_alu 0xfffe
	s_or_b32 exec_lo, exec_lo, s0
	s_and_saveexec_b32 s0, s3
	s_cbranch_execnz .LBB197_133
.LBB197_117:
	s_wait_alu 0xfffe
	s_or_b32 exec_lo, exec_lo, s0
	s_and_saveexec_b32 s0, s4
	s_cbranch_execnz .LBB197_134
.LBB197_118:
	s_wait_alu 0xfffe
	s_or_b32 exec_lo, exec_lo, s0
	s_and_saveexec_b32 s0, s5
	s_cbranch_execnz .LBB197_135
.LBB197_119:
	s_wait_alu 0xfffe
	s_or_b32 exec_lo, exec_lo, s0
	s_and_saveexec_b32 s0, s6
	s_cbranch_execnz .LBB197_136
.LBB197_120:
	s_wait_alu 0xfffe
	s_or_b32 exec_lo, exec_lo, s0
	s_and_saveexec_b32 s0, s7
	s_cbranch_execnz .LBB197_137
.LBB197_121:
	s_wait_alu 0xfffe
	s_or_b32 exec_lo, exec_lo, s0
	s_and_saveexec_b32 s0, s8
	s_cbranch_execnz .LBB197_138
.LBB197_122:
	s_wait_alu 0xfffe
	s_or_b32 exec_lo, exec_lo, s0
	s_and_saveexec_b32 s0, s9
	s_cbranch_execz .LBB197_124
.LBB197_123:
	v_mad_co_u64_u32 v[2:3], null, 0x1c00, s22, v[2:3]
	s_wait_dscnt 0x1
	s_delay_alu instid0(VALU_DEP_1)
	v_mad_co_u64_u32 v[3:4], null, 0x1c00, s23, v[3:4]
	s_wait_dscnt 0x0
	global_store_b64 v[2:3], v[0:1], off
.LBB197_124:
	s_nop 0
	s_sendmsg sendmsg(MSG_DEALLOC_VGPRS)
	s_endpgm
.LBB197_125:
	ds_load_b64 v[16:17], v103
	s_wait_dscnt 0x0
	global_store_b64 v[2:3], v[16:17], off
	s_wait_alu 0xfffe
	s_or_b32 exec_lo, exec_lo, s0
	s_and_saveexec_b32 s0, s3
	s_cbranch_execz .LBB197_108
.LBB197_126:
	s_lshl_b64 s[10:11], s[28:29], 10
	s_wait_alu 0xfffe
	v_add_co_u32 v16, vcc_lo, v2, s10
	s_wait_alu 0xfffd
	v_add_co_ci_u32_e64 v17, null, s11, v3, vcc_lo
	s_wait_dscnt 0x6
	global_store_b64 v[16:17], v[14:15], off
	s_or_b32 exec_lo, exec_lo, s0
	s_and_saveexec_b32 s0, s4
	s_cbranch_execz .LBB197_109
.LBB197_127:
	s_lshl_b64 s[10:11], s[28:29], 11
	s_wait_dscnt 0x6
	s_wait_alu 0xfffe
	v_add_co_u32 v14, vcc_lo, v2, s10
	s_wait_alu 0xfffd
	v_add_co_ci_u32_e64 v15, null, s11, v3, vcc_lo
	s_wait_dscnt 0x5
	global_store_b64 v[14:15], v[12:13], off
	s_or_b32 exec_lo, exec_lo, s0
	s_and_saveexec_b32 s0, s5
	s_cbranch_execz .LBB197_110
.LBB197_128:
	s_wait_dscnt 0x5
	v_mad_co_u64_u32 v[12:13], null, 0xc00, s28, v[2:3]
	s_delay_alu instid0(VALU_DEP_1)
	v_mad_co_u64_u32 v[13:14], null, 0xc00, s29, v[13:14]
	s_wait_dscnt 0x4
	global_store_b64 v[12:13], v[10:11], off
	s_wait_alu 0xfffe
	s_or_b32 exec_lo, exec_lo, s0
	s_and_saveexec_b32 s0, s6
	s_cbranch_execz .LBB197_111
.LBB197_129:
	s_lshl_b64 s[10:11], s[28:29], 12
	s_wait_dscnt 0x4
	s_wait_alu 0xfffe
	v_add_co_u32 v10, vcc_lo, v2, s10
	s_wait_alu 0xfffd
	v_add_co_ci_u32_e64 v11, null, s11, v3, vcc_lo
	s_wait_dscnt 0x3
	global_store_b64 v[10:11], v[8:9], off
	s_or_b32 exec_lo, exec_lo, s0
	s_and_saveexec_b32 s0, s7
	s_cbranch_execz .LBB197_112
.LBB197_130:
	s_wait_dscnt 0x3
	v_mad_co_u64_u32 v[8:9], null, 0x1400, s28, v[2:3]
	s_delay_alu instid0(VALU_DEP_1)
	v_mad_co_u64_u32 v[9:10], null, 0x1400, s29, v[9:10]
	s_wait_dscnt 0x2
	global_store_b64 v[8:9], v[6:7], off
	s_wait_alu 0xfffe
	s_or_b32 exec_lo, exec_lo, s0
	s_and_saveexec_b32 s0, s8
	s_cbranch_execz .LBB197_113
.LBB197_131:
	s_wait_dscnt 0x2
	v_mad_co_u64_u32 v[6:7], null, 0x1800, s28, v[2:3]
	s_delay_alu instid0(VALU_DEP_1)
	v_mad_co_u64_u32 v[7:8], null, 0x1800, s29, v[7:8]
	s_wait_dscnt 0x1
	global_store_b64 v[6:7], v[4:5], off
	s_wait_alu 0xfffe
	s_or_b32 exec_lo, exec_lo, s0
	s_and_saveexec_b32 s0, s9
	s_cbranch_execnz .LBB197_114
	s_branch .LBB197_115
.LBB197_132:
	ds_load_b64 v[16:17], v103
	s_wait_dscnt 0x0
	global_store_b64 v[2:3], v[16:17], off
	s_wait_alu 0xfffe
	s_or_b32 exec_lo, exec_lo, s0
	s_and_saveexec_b32 s0, s3
	s_cbranch_execz .LBB197_117
.LBB197_133:
	s_lshl_b64 s[2:3], s[22:23], 10
	s_delay_alu instid0(SALU_CYCLE_1)
	v_add_co_u32 v16, vcc_lo, v2, s2
	s_wait_alu 0xfffd
	v_add_co_ci_u32_e64 v17, null, s3, v3, vcc_lo
	s_wait_dscnt 0x6
	global_store_b64 v[16:17], v[14:15], off
	s_wait_alu 0xfffe
	s_or_b32 exec_lo, exec_lo, s0
	s_and_saveexec_b32 s0, s4
	s_cbranch_execz .LBB197_118
.LBB197_134:
	s_lshl_b64 s[2:3], s[22:23], 11
	s_wait_dscnt 0x6
	s_wait_alu 0xfffe
	v_add_co_u32 v14, vcc_lo, v2, s2
	s_wait_alu 0xfffd
	v_add_co_ci_u32_e64 v15, null, s3, v3, vcc_lo
	s_wait_dscnt 0x5
	global_store_b64 v[14:15], v[12:13], off
	s_or_b32 exec_lo, exec_lo, s0
	s_and_saveexec_b32 s0, s5
	s_cbranch_execz .LBB197_119
.LBB197_135:
	s_wait_dscnt 0x5
	v_mad_co_u64_u32 v[12:13], null, 0xc00, s22, v[2:3]
	s_delay_alu instid0(VALU_DEP_1)
	v_mad_co_u64_u32 v[13:14], null, 0xc00, s23, v[13:14]
	s_wait_dscnt 0x4
	global_store_b64 v[12:13], v[10:11], off
	s_wait_alu 0xfffe
	s_or_b32 exec_lo, exec_lo, s0
	s_and_saveexec_b32 s0, s6
	s_cbranch_execz .LBB197_120
.LBB197_136:
	s_lshl_b64 s[2:3], s[22:23], 12
	s_wait_dscnt 0x4
	s_wait_alu 0xfffe
	v_add_co_u32 v10, vcc_lo, v2, s2
	s_wait_alu 0xfffd
	v_add_co_ci_u32_e64 v11, null, s3, v3, vcc_lo
	s_wait_dscnt 0x3
	global_store_b64 v[10:11], v[8:9], off
	s_or_b32 exec_lo, exec_lo, s0
	s_and_saveexec_b32 s0, s7
	s_cbranch_execz .LBB197_121
.LBB197_137:
	s_wait_dscnt 0x3
	v_mad_co_u64_u32 v[8:9], null, 0x1400, s22, v[2:3]
	s_delay_alu instid0(VALU_DEP_1)
	v_mad_co_u64_u32 v[9:10], null, 0x1400, s23, v[9:10]
	s_wait_dscnt 0x2
	global_store_b64 v[8:9], v[6:7], off
	s_wait_alu 0xfffe
	s_or_b32 exec_lo, exec_lo, s0
	s_and_saveexec_b32 s0, s8
	s_cbranch_execz .LBB197_122
.LBB197_138:
	s_wait_dscnt 0x2
	v_mad_co_u64_u32 v[6:7], null, 0x1800, s22, v[2:3]
	s_delay_alu instid0(VALU_DEP_1)
	v_mad_co_u64_u32 v[7:8], null, 0x1800, s23, v[7:8]
	s_wait_dscnt 0x1
	global_store_b64 v[6:7], v[4:5], off
	s_wait_alu 0xfffe
	s_or_b32 exec_lo, exec_lo, s0
	s_and_saveexec_b32 s0, s9
	s_cbranch_execnz .LBB197_123
	s_branch .LBB197_124
	.section	.rodata,"a",@progbits
	.p2align	6, 0x0
	.amdhsa_kernel _ZN2at6native18radixSortKVInPlaceILin1ELin1ELi128ELi8EdlmEEvNS_4cuda6detail10TensorInfoIT3_T5_EES6_S6_S6_NS4_IT4_S6_EES6_b
		.amdhsa_group_segment_fixed_size 8448
		.amdhsa_private_segment_fixed_size 0
		.amdhsa_kernarg_size 1128
		.amdhsa_user_sgpr_count 2
		.amdhsa_user_sgpr_dispatch_ptr 0
		.amdhsa_user_sgpr_queue_ptr 0
		.amdhsa_user_sgpr_kernarg_segment_ptr 1
		.amdhsa_user_sgpr_dispatch_id 0
		.amdhsa_user_sgpr_private_segment_size 0
		.amdhsa_wavefront_size32 1
		.amdhsa_uses_dynamic_stack 0
		.amdhsa_enable_private_segment 0
		.amdhsa_system_sgpr_workgroup_id_x 1
		.amdhsa_system_sgpr_workgroup_id_y 1
		.amdhsa_system_sgpr_workgroup_id_z 1
		.amdhsa_system_sgpr_workgroup_info 0
		.amdhsa_system_vgpr_workitem_id 2
		.amdhsa_next_free_vgpr 141
		.amdhsa_next_free_sgpr 40
		.amdhsa_reserve_vcc 1
		.amdhsa_float_round_mode_32 0
		.amdhsa_float_round_mode_16_64 0
		.amdhsa_float_denorm_mode_32 3
		.amdhsa_float_denorm_mode_16_64 3
		.amdhsa_fp16_overflow 0
		.amdhsa_workgroup_processor_mode 1
		.amdhsa_memory_ordered 1
		.amdhsa_forward_progress 1
		.amdhsa_inst_pref_size 134
		.amdhsa_round_robin_scheduling 0
		.amdhsa_exception_fp_ieee_invalid_op 0
		.amdhsa_exception_fp_denorm_src 0
		.amdhsa_exception_fp_ieee_div_zero 0
		.amdhsa_exception_fp_ieee_overflow 0
		.amdhsa_exception_fp_ieee_underflow 0
		.amdhsa_exception_fp_ieee_inexact 0
		.amdhsa_exception_int_div_zero 0
	.end_amdhsa_kernel
	.section	.text._ZN2at6native18radixSortKVInPlaceILin1ELin1ELi128ELi8EdlmEEvNS_4cuda6detail10TensorInfoIT3_T5_EES6_S6_S6_NS4_IT4_S6_EES6_b,"axG",@progbits,_ZN2at6native18radixSortKVInPlaceILin1ELin1ELi128ELi8EdlmEEvNS_4cuda6detail10TensorInfoIT3_T5_EES6_S6_S6_NS4_IT4_S6_EES6_b,comdat
.Lfunc_end197:
	.size	_ZN2at6native18radixSortKVInPlaceILin1ELin1ELi128ELi8EdlmEEvNS_4cuda6detail10TensorInfoIT3_T5_EES6_S6_S6_NS4_IT4_S6_EES6_b, .Lfunc_end197-_ZN2at6native18radixSortKVInPlaceILin1ELin1ELi128ELi8EdlmEEvNS_4cuda6detail10TensorInfoIT3_T5_EES6_S6_S6_NS4_IT4_S6_EES6_b
                                        ; -- End function
	.set _ZN2at6native18radixSortKVInPlaceILin1ELin1ELi128ELi8EdlmEEvNS_4cuda6detail10TensorInfoIT3_T5_EES6_S6_S6_NS4_IT4_S6_EES6_b.num_vgpr, 141
	.set _ZN2at6native18radixSortKVInPlaceILin1ELin1ELi128ELi8EdlmEEvNS_4cuda6detail10TensorInfoIT3_T5_EES6_S6_S6_NS4_IT4_S6_EES6_b.num_agpr, 0
	.set _ZN2at6native18radixSortKVInPlaceILin1ELin1ELi128ELi8EdlmEEvNS_4cuda6detail10TensorInfoIT3_T5_EES6_S6_S6_NS4_IT4_S6_EES6_b.numbered_sgpr, 40
	.set _ZN2at6native18radixSortKVInPlaceILin1ELin1ELi128ELi8EdlmEEvNS_4cuda6detail10TensorInfoIT3_T5_EES6_S6_S6_NS4_IT4_S6_EES6_b.num_named_barrier, 0
	.set _ZN2at6native18radixSortKVInPlaceILin1ELin1ELi128ELi8EdlmEEvNS_4cuda6detail10TensorInfoIT3_T5_EES6_S6_S6_NS4_IT4_S6_EES6_b.private_seg_size, 0
	.set _ZN2at6native18radixSortKVInPlaceILin1ELin1ELi128ELi8EdlmEEvNS_4cuda6detail10TensorInfoIT3_T5_EES6_S6_S6_NS4_IT4_S6_EES6_b.uses_vcc, 1
	.set _ZN2at6native18radixSortKVInPlaceILin1ELin1ELi128ELi8EdlmEEvNS_4cuda6detail10TensorInfoIT3_T5_EES6_S6_S6_NS4_IT4_S6_EES6_b.uses_flat_scratch, 0
	.set _ZN2at6native18radixSortKVInPlaceILin1ELin1ELi128ELi8EdlmEEvNS_4cuda6detail10TensorInfoIT3_T5_EES6_S6_S6_NS4_IT4_S6_EES6_b.has_dyn_sized_stack, 0
	.set _ZN2at6native18radixSortKVInPlaceILin1ELin1ELi128ELi8EdlmEEvNS_4cuda6detail10TensorInfoIT3_T5_EES6_S6_S6_NS4_IT4_S6_EES6_b.has_recursion, 0
	.set _ZN2at6native18radixSortKVInPlaceILin1ELin1ELi128ELi8EdlmEEvNS_4cuda6detail10TensorInfoIT3_T5_EES6_S6_S6_NS4_IT4_S6_EES6_b.has_indirect_call, 0
	.section	.AMDGPU.csdata,"",@progbits
; Kernel info:
; codeLenInByte = 17136
; TotalNumSgprs: 42
; NumVgprs: 141
; ScratchSize: 0
; MemoryBound: 0
; FloatMode: 240
; IeeeMode: 1
; LDSByteSize: 8448 bytes/workgroup (compile time only)
; SGPRBlocks: 0
; VGPRBlocks: 17
; NumSGPRsForWavesPerEU: 42
; NumVGPRsForWavesPerEU: 141
; Occupancy: 10
; WaveLimiterHint : 1
; COMPUTE_PGM_RSRC2:SCRATCH_EN: 0
; COMPUTE_PGM_RSRC2:USER_SGPR: 2
; COMPUTE_PGM_RSRC2:TRAP_HANDLER: 0
; COMPUTE_PGM_RSRC2:TGID_X_EN: 1
; COMPUTE_PGM_RSRC2:TGID_Y_EN: 1
; COMPUTE_PGM_RSRC2:TGID_Z_EN: 1
; COMPUTE_PGM_RSRC2:TIDIG_COMP_CNT: 2
	.section	.text._ZN2at6native18radixSortKVInPlaceILin1ELin1ELi32ELi4EdlmEEvNS_4cuda6detail10TensorInfoIT3_T5_EES6_S6_S6_NS4_IT4_S6_EES6_b,"axG",@progbits,_ZN2at6native18radixSortKVInPlaceILin1ELin1ELi32ELi4EdlmEEvNS_4cuda6detail10TensorInfoIT3_T5_EES6_S6_S6_NS4_IT4_S6_EES6_b,comdat
	.protected	_ZN2at6native18radixSortKVInPlaceILin1ELin1ELi32ELi4EdlmEEvNS_4cuda6detail10TensorInfoIT3_T5_EES6_S6_S6_NS4_IT4_S6_EES6_b ; -- Begin function _ZN2at6native18radixSortKVInPlaceILin1ELin1ELi32ELi4EdlmEEvNS_4cuda6detail10TensorInfoIT3_T5_EES6_S6_S6_NS4_IT4_S6_EES6_b
	.globl	_ZN2at6native18radixSortKVInPlaceILin1ELin1ELi32ELi4EdlmEEvNS_4cuda6detail10TensorInfoIT3_T5_EES6_S6_S6_NS4_IT4_S6_EES6_b
	.p2align	8
	.type	_ZN2at6native18radixSortKVInPlaceILin1ELin1ELi32ELi4EdlmEEvNS_4cuda6detail10TensorInfoIT3_T5_EES6_S6_S6_NS4_IT4_S6_EES6_b,@function
_ZN2at6native18radixSortKVInPlaceILin1ELin1ELi32ELi4EdlmEEvNS_4cuda6detail10TensorInfoIT3_T5_EES6_S6_S6_NS4_IT4_S6_EES6_b: ; @_ZN2at6native18radixSortKVInPlaceILin1ELin1ELi32ELi4EdlmEEvNS_4cuda6detail10TensorInfoIT3_T5_EES6_S6_S6_NS4_IT4_S6_EES6_b
; %bb.0:
	s_clause 0x1
	s_load_b64 s[2:3], s[0:1], 0x368
	s_load_b128 s[12:15], s[0:1], 0x1a0
	s_lshr_b32 s4, ttmp7, 16
	s_and_b32 s5, ttmp7, 0xffff
	s_wait_kmcnt 0x0
	s_mul_i32 s3, s3, s4
	s_delay_alu instid0(SALU_CYCLE_1) | instskip(SKIP_2) | instid1(SALU_CYCLE_1)
	s_add_co_i32 s3, s3, s5
	s_mov_b32 s5, 0
	s_mul_i32 s2, s3, s2
	s_add_co_i32 s4, s2, ttmp9
	s_delay_alu instid0(SALU_CYCLE_1)
	v_cmp_le_u64_e64 s2, s[12:13], s[4:5]
	s_and_b32 vcc_lo, exec_lo, s2
	s_cbranch_vccnz .LBB198_76
; %bb.1:
	s_clause 0x1
	s_load_b32 s9, s[0:1], 0x198
	s_load_b64 s[12:13], s[0:1], 0x1b0
	s_mov_b64 s[2:3], 0
	s_mov_b64 s[6:7], s[4:5]
	s_wait_kmcnt 0x0
	s_cmp_lt_i32 s9, 2
	s_cbranch_scc1 .LBB198_9
; %bb.2:
	s_mov_b32 s8, 0
	s_add_co_i32 s2, s9, -1
	s_mov_b32 s3, s8
	s_add_co_i32 s15, s9, 1
	s_lshl_b64 s[2:3], s[2:3], 3
	s_mov_b64 s[16:17], s[4:5]
	s_add_nc_u64 s[6:7], s[0:1], s[2:3]
	s_mov_b64 s[2:3], 0
	s_add_nc_u64 s[10:11], s[6:7], 8
.LBB198_3:                              ; =>This Inner Loop Header: Depth=1
	s_load_b64 s[18:19], s[10:11], 0x0
	s_wait_kmcnt 0x0
	s_or_b64 s[6:7], s[16:17], s[18:19]
	s_wait_alu 0xfffe
	s_mov_b32 s9, s7
                                        ; implicit-def: $sgpr6_sgpr7
	s_delay_alu instid0(SALU_CYCLE_1)
	s_cmp_lg_u64 s[8:9], 0
	s_mov_b32 s9, -1
	s_cbranch_scc0 .LBB198_5
; %bb.4:                                ;   in Loop: Header=BB198_3 Depth=1
	s_cvt_f32_u32 s6, s18
	s_cvt_f32_u32 s7, s19
	s_sub_nc_u64 s[20:21], 0, s[18:19]
	s_mov_b32 s23, s8
	s_mov_b32 s27, s8
	s_wait_alu 0xfffe
	s_fmamk_f32 s6, s7, 0x4f800000, s6
	s_wait_alu 0xfffe
	s_delay_alu instid0(SALU_CYCLE_2) | instskip(NEXT) | instid1(TRANS32_DEP_1)
	v_s_rcp_f32 s6, s6
	s_mul_f32 s6, s6, 0x5f7ffffc
	s_wait_alu 0xfffe
	s_delay_alu instid0(SALU_CYCLE_2) | instskip(SKIP_1) | instid1(SALU_CYCLE_2)
	s_mul_f32 s7, s6, 0x2f800000
	s_wait_alu 0xfffe
	s_trunc_f32 s7, s7
	s_wait_alu 0xfffe
	s_delay_alu instid0(SALU_CYCLE_2) | instskip(SKIP_2) | instid1(SALU_CYCLE_1)
	s_fmamk_f32 s6, s7, 0xcf800000, s6
	s_cvt_u32_f32 s7, s7
	s_wait_alu 0xfffe
	s_cvt_u32_f32 s6, s6
	s_wait_alu 0xfffe
	s_delay_alu instid0(SALU_CYCLE_2) | instskip(NEXT) | instid1(SALU_CYCLE_1)
	s_mul_u64 s[24:25], s[20:21], s[6:7]
	s_mul_hi_u32 s29, s6, s25
	s_mul_i32 s28, s6, s25
	s_mul_hi_u32 s22, s6, s24
	s_mul_i32 s26, s7, s24
	s_add_nc_u64 s[22:23], s[22:23], s[28:29]
	s_mul_hi_u32 s9, s7, s24
	s_mul_hi_u32 s30, s7, s25
	s_add_co_u32 s22, s22, s26
	s_add_co_ci_u32 s26, s23, s9
	s_mul_i32 s24, s7, s25
	s_add_co_ci_u32 s25, s30, 0
	s_delay_alu instid0(SALU_CYCLE_1) | instskip(SKIP_3) | instid1(SALU_CYCLE_1)
	s_add_nc_u64 s[22:23], s[26:27], s[24:25]
	s_mov_b32 s25, s8
	s_add_co_u32 s6, s6, s22
	s_cselect_b32 s9, -1, 0
	s_cmp_lg_u32 s9, 0
	s_add_co_ci_u32 s7, s7, s23
	s_mov_b32 s23, s8
	s_wait_alu 0xfffe
	s_mul_u64 s[20:21], s[20:21], s[6:7]
	s_delay_alu instid0(SALU_CYCLE_1)
	s_mul_hi_u32 s27, s6, s21
	s_mul_i32 s26, s6, s21
	s_mul_hi_u32 s22, s6, s20
	s_mul_i32 s24, s7, s20
	s_add_nc_u64 s[22:23], s[22:23], s[26:27]
	s_mul_hi_u32 s9, s7, s20
	s_mul_hi_u32 s28, s7, s21
	s_mul_i32 s20, s7, s21
	s_add_co_u32 s21, s22, s24
	s_add_co_ci_u32 s24, s23, s9
	s_add_co_ci_u32 s21, s28, 0
	s_mov_b32 s23, s8
	s_add_nc_u64 s[20:21], s[24:25], s[20:21]
	s_delay_alu instid0(SALU_CYCLE_1)
	s_add_co_u32 s6, s6, s20
	s_cselect_b32 s9, -1, 0
	s_wait_alu 0xfffe
	s_mul_hi_u32 s22, s16, s6
	s_cmp_lg_u32 s9, 0
	s_mul_hi_u32 s9, s17, s6
	s_add_co_ci_u32 s20, s7, s21
	s_mul_i32 s21, s17, s6
	s_mul_hi_u32 s7, s16, s20
	s_mul_i32 s6, s16, s20
	s_mul_hi_u32 s26, s17, s20
	s_wait_alu 0xfffe
	s_add_nc_u64 s[6:7], s[22:23], s[6:7]
	s_mul_i32 s20, s17, s20
	s_wait_alu 0xfffe
	s_add_co_u32 s6, s6, s21
	s_add_co_ci_u32 s24, s7, s9
	s_add_co_ci_u32 s21, s26, 0
	s_delay_alu instid0(SALU_CYCLE_1) | instskip(SKIP_2) | instid1(SALU_CYCLE_1)
	s_add_nc_u64 s[6:7], s[24:25], s[20:21]
	s_wait_alu 0xfffe
	s_mul_u64 s[20:21], s[18:19], s[6:7]
	s_sub_co_u32 s9, s16, s20
	s_cselect_b32 s20, -1, 0
	s_sub_co_i32 s22, s17, s21
	s_cmp_lg_u32 s20, 0
	s_sub_co_ci_u32 s22, s22, s19
	s_sub_co_u32 s23, s9, s18
	s_cselect_b32 s24, -1, 0
	s_delay_alu instid0(SALU_CYCLE_1) | instskip(SKIP_1) | instid1(SALU_CYCLE_1)
	s_cmp_lg_u32 s24, 0
	s_sub_co_ci_u32 s22, s22, 0
	s_cmp_ge_u32 s22, s19
	s_cselect_b32 s24, -1, 0
	s_cmp_ge_u32 s23, s18
	s_cselect_b32 s25, -1, 0
	s_cmp_eq_u32 s22, s19
	s_add_nc_u64 s[22:23], s[6:7], 1
	s_cselect_b32 s26, s25, s24
	s_add_nc_u64 s[24:25], s[6:7], 2
	s_cmp_lg_u32 s26, 0
	s_cselect_b32 s22, s24, s22
	s_cselect_b32 s23, s25, s23
	s_cmp_lg_u32 s20, 0
	s_sub_co_ci_u32 s20, s17, s21
	s_delay_alu instid0(SALU_CYCLE_1)
	s_cmp_ge_u32 s20, s19
	s_cselect_b32 s21, -1, 0
	s_cmp_ge_u32 s9, s18
	s_cselect_b32 s9, -1, 0
	s_cmp_eq_u32 s20, s19
	s_cselect_b32 s9, s9, s21
	s_delay_alu instid0(SALU_CYCLE_1)
	s_cmp_lg_u32 s9, 0
	s_mov_b32 s9, 0
	s_cselect_b32 s7, s23, s7
	s_cselect_b32 s6, s22, s6
.LBB198_5:                              ;   in Loop: Header=BB198_3 Depth=1
	s_and_not1_b32 vcc_lo, exec_lo, s9
	s_cbranch_vccnz .LBB198_7
; %bb.6:                                ;   in Loop: Header=BB198_3 Depth=1
	v_cvt_f32_u32_e32 v1, s18
	s_sub_co_i32 s7, 0, s18
	s_delay_alu instid0(VALU_DEP_1) | instskip(NEXT) | instid1(TRANS32_DEP_1)
	v_rcp_iflag_f32_e32 v1, v1
	v_mul_f32_e32 v1, 0x4f7ffffe, v1
	s_delay_alu instid0(VALU_DEP_1) | instskip(NEXT) | instid1(VALU_DEP_1)
	v_cvt_u32_f32_e32 v1, v1
	v_readfirstlane_b32 s6, v1
	s_wait_alu 0xfffe
	s_mul_i32 s7, s7, s6
	s_wait_alu 0xfffe
	s_mul_hi_u32 s7, s6, s7
	s_wait_alu 0xfffe
	s_add_co_i32 s6, s6, s7
	s_wait_alu 0xfffe
	s_mul_hi_u32 s6, s16, s6
	s_wait_alu 0xfffe
	s_mul_i32 s7, s6, s18
	s_add_co_i32 s9, s6, 1
	s_wait_alu 0xfffe
	s_sub_co_i32 s7, s16, s7
	s_wait_alu 0xfffe
	s_sub_co_i32 s20, s7, s18
	s_cmp_ge_u32 s7, s18
	s_cselect_b32 s6, s9, s6
	s_cselect_b32 s7, s20, s7
	s_wait_alu 0xfffe
	s_add_co_i32 s9, s6, 1
	s_cmp_ge_u32 s7, s18
	s_mov_b32 s7, s8
	s_cselect_b32 s6, s9, s6
.LBB198_7:                              ;   in Loop: Header=BB198_3 Depth=1
	s_load_b64 s[20:21], s[10:11], 0xc8
	s_mul_u64 s[18:19], s[6:7], s[18:19]
	s_add_co_i32 s15, s15, -1
	s_wait_alu 0xfffe
	s_sub_nc_u64 s[16:17], s[16:17], s[18:19]
	s_cmp_gt_u32 s15, 2
	s_add_nc_u64 s[10:11], s[10:11], -8
	s_wait_kmcnt 0x0
	s_mul_u64 s[16:17], s[20:21], s[16:17]
	s_delay_alu instid0(SALU_CYCLE_1)
	s_add_nc_u64 s[2:3], s[16:17], s[2:3]
	s_cbranch_scc0 .LBB198_9
; %bb.8:                                ;   in Loop: Header=BB198_3 Depth=1
	s_mov_b64 s[16:17], s[6:7]
	s_branch .LBB198_3
.LBB198_9:
	s_load_b32 s9, s[0:1], 0x350
	s_add_nc_u64 s[20:21], s[0:1], 0x368
	s_mov_b64 s[18:19], 0
	s_wait_kmcnt 0x0
	s_cmp_lt_i32 s9, 2
	s_cbranch_scc1 .LBB198_17
; %bb.10:
	s_mov_b32 s8, 0
	s_add_co_i32 s10, s9, -1
	s_mov_b32 s11, s8
	s_add_co_i32 s15, s9, 1
	s_lshl_b64 s[10:11], s[10:11], 3
	s_delay_alu instid0(SALU_CYCLE_1) | instskip(NEXT) | instid1(SALU_CYCLE_1)
	s_add_nc_u64 s[10:11], s[0:1], s[10:11]
	s_add_nc_u64 s[10:11], s[10:11], 0x1c0
.LBB198_11:                             ; =>This Inner Loop Header: Depth=1
	s_load_b64 s[16:17], s[10:11], 0x0
	s_wait_kmcnt 0x0
	s_or_b64 s[22:23], s[4:5], s[16:17]
	s_delay_alu instid0(SALU_CYCLE_1)
	s_mov_b32 s9, s23
                                        ; implicit-def: $sgpr22_sgpr23
	s_wait_alu 0xfffe
	s_cmp_lg_u64 s[8:9], 0
	s_mov_b32 s9, -1
	s_cbranch_scc0 .LBB198_13
; %bb.12:                               ;   in Loop: Header=BB198_11 Depth=1
	s_cvt_f32_u32 s9, s16
	s_cvt_f32_u32 s22, s17
	s_sub_nc_u64 s[24:25], 0, s[16:17]
	s_mov_b32 s27, s8
	s_mov_b32 s31, s8
	s_wait_alu 0xfffe
	s_fmamk_f32 s9, s22, 0x4f800000, s9
	s_wait_alu 0xfffe
	s_delay_alu instid0(SALU_CYCLE_2) | instskip(NEXT) | instid1(TRANS32_DEP_1)
	v_s_rcp_f32 s9, s9
	s_mul_f32 s9, s9, 0x5f7ffffc
	s_wait_alu 0xfffe
	s_delay_alu instid0(SALU_CYCLE_2) | instskip(NEXT) | instid1(SALU_CYCLE_3)
	s_mul_f32 s22, s9, 0x2f800000
	s_trunc_f32 s22, s22
	s_delay_alu instid0(SALU_CYCLE_3) | instskip(SKIP_2) | instid1(SALU_CYCLE_1)
	s_fmamk_f32 s9, s22, 0xcf800000, s9
	s_cvt_u32_f32 s23, s22
	s_wait_alu 0xfffe
	s_cvt_u32_f32 s22, s9
	s_delay_alu instid0(SALU_CYCLE_3) | instskip(NEXT) | instid1(SALU_CYCLE_1)
	s_mul_u64 s[28:29], s[24:25], s[22:23]
	s_mul_hi_u32 s35, s22, s29
	s_mul_i32 s34, s22, s29
	s_mul_hi_u32 s26, s22, s28
	s_mul_i32 s30, s23, s28
	s_add_nc_u64 s[26:27], s[26:27], s[34:35]
	s_mul_hi_u32 s9, s23, s28
	s_mul_hi_u32 s33, s23, s29
	s_add_co_u32 s26, s26, s30
	s_wait_alu 0xfffe
	s_add_co_ci_u32 s30, s27, s9
	s_mul_i32 s28, s23, s29
	s_add_co_ci_u32 s29, s33, 0
	s_delay_alu instid0(SALU_CYCLE_1)
	s_add_nc_u64 s[26:27], s[30:31], s[28:29]
	s_mov_b32 s29, s8
	s_add_co_u32 s22, s22, s26
	s_cselect_b32 s9, -1, 0
	s_wait_alu 0xfffe
	s_cmp_lg_u32 s9, 0
	s_add_co_ci_u32 s23, s23, s27
	s_mov_b32 s27, s8
	s_mul_u64 s[24:25], s[24:25], s[22:23]
	s_delay_alu instid0(SALU_CYCLE_1)
	s_mul_hi_u32 s31, s22, s25
	s_mul_i32 s30, s22, s25
	s_mul_hi_u32 s26, s22, s24
	s_mul_i32 s28, s23, s24
	s_add_nc_u64 s[26:27], s[26:27], s[30:31]
	s_mul_hi_u32 s9, s23, s24
	s_mul_hi_u32 s33, s23, s25
	s_mul_i32 s24, s23, s25
	s_add_co_u32 s25, s26, s28
	s_wait_alu 0xfffe
	s_add_co_ci_u32 s28, s27, s9
	s_add_co_ci_u32 s25, s33, 0
	s_mov_b32 s27, s8
	s_add_nc_u64 s[24:25], s[28:29], s[24:25]
	s_delay_alu instid0(SALU_CYCLE_1)
	s_add_co_u32 s9, s22, s24
	s_cselect_b32 s22, -1, 0
	s_wait_alu 0xfffe
	s_mul_hi_u32 s26, s4, s9
	s_cmp_lg_u32 s22, 0
	s_mul_hi_u32 s28, s5, s9
	s_add_co_ci_u32 s24, s23, s25
	s_mul_i32 s9, s5, s9
	s_mul_hi_u32 s23, s4, s24
	s_mul_i32 s22, s4, s24
	s_mul_hi_u32 s25, s5, s24
	s_add_nc_u64 s[22:23], s[26:27], s[22:23]
	s_mul_i32 s24, s5, s24
	s_wait_alu 0xfffe
	s_add_co_u32 s9, s22, s9
	s_add_co_ci_u32 s28, s23, s28
	s_add_co_ci_u32 s25, s25, 0
	s_delay_alu instid0(SALU_CYCLE_1) | instskip(NEXT) | instid1(SALU_CYCLE_1)
	s_add_nc_u64 s[22:23], s[28:29], s[24:25]
	s_mul_u64 s[24:25], s[16:17], s[22:23]
	s_delay_alu instid0(SALU_CYCLE_1)
	s_sub_co_u32 s9, s4, s24
	s_cselect_b32 s24, -1, 0
	s_sub_co_i32 s26, s5, s25
	s_cmp_lg_u32 s24, 0
	s_sub_co_ci_u32 s26, s26, s17
	s_wait_alu 0xfffe
	s_sub_co_u32 s27, s9, s16
	s_cselect_b32 s28, -1, 0
	s_delay_alu instid0(SALU_CYCLE_1) | instskip(SKIP_1) | instid1(SALU_CYCLE_1)
	s_cmp_lg_u32 s28, 0
	s_sub_co_ci_u32 s26, s26, 0
	s_cmp_ge_u32 s26, s17
	s_cselect_b32 s28, -1, 0
	s_cmp_ge_u32 s27, s16
	s_cselect_b32 s29, -1, 0
	s_cmp_eq_u32 s26, s17
	s_add_nc_u64 s[26:27], s[22:23], 1
	s_cselect_b32 s30, s29, s28
	s_add_nc_u64 s[28:29], s[22:23], 2
	s_cmp_lg_u32 s30, 0
	s_cselect_b32 s26, s28, s26
	s_cselect_b32 s27, s29, s27
	s_cmp_lg_u32 s24, 0
	s_sub_co_ci_u32 s24, s5, s25
	s_delay_alu instid0(SALU_CYCLE_1)
	s_cmp_ge_u32 s24, s17
	s_cselect_b32 s25, -1, 0
	s_cmp_ge_u32 s9, s16
	s_cselect_b32 s9, -1, 0
	s_cmp_eq_u32 s24, s17
	s_wait_alu 0xfffe
	s_cselect_b32 s9, s9, s25
	s_wait_alu 0xfffe
	s_cmp_lg_u32 s9, 0
	s_mov_b32 s9, 0
	s_cselect_b32 s23, s27, s23
	s_cselect_b32 s22, s26, s22
.LBB198_13:                             ;   in Loop: Header=BB198_11 Depth=1
	s_wait_alu 0xfffe
	s_and_not1_b32 vcc_lo, exec_lo, s9
	s_cbranch_vccnz .LBB198_15
; %bb.14:                               ;   in Loop: Header=BB198_11 Depth=1
	v_cvt_f32_u32_e32 v1, s16
	s_sub_co_i32 s22, 0, s16
	s_delay_alu instid0(VALU_DEP_1) | instskip(NEXT) | instid1(TRANS32_DEP_1)
	v_rcp_iflag_f32_e32 v1, v1
	v_mul_f32_e32 v1, 0x4f7ffffe, v1
	s_delay_alu instid0(VALU_DEP_1) | instskip(NEXT) | instid1(VALU_DEP_1)
	v_cvt_u32_f32_e32 v1, v1
	v_readfirstlane_b32 s9, v1
	s_mul_i32 s22, s22, s9
	s_delay_alu instid0(SALU_CYCLE_1) | instskip(NEXT) | instid1(SALU_CYCLE_1)
	s_mul_hi_u32 s22, s9, s22
	s_add_co_i32 s9, s9, s22
	s_wait_alu 0xfffe
	s_mul_hi_u32 s9, s4, s9
	s_wait_alu 0xfffe
	s_mul_i32 s22, s9, s16
	s_add_co_i32 s23, s9, 1
	s_sub_co_i32 s22, s4, s22
	s_delay_alu instid0(SALU_CYCLE_1)
	s_sub_co_i32 s24, s22, s16
	s_cmp_ge_u32 s22, s16
	s_cselect_b32 s9, s23, s9
	s_cselect_b32 s22, s24, s22
	s_wait_alu 0xfffe
	s_add_co_i32 s23, s9, 1
	s_cmp_ge_u32 s22, s16
	s_cselect_b32 s22, s23, s9
	s_mov_b32 s23, s8
.LBB198_15:                             ;   in Loop: Header=BB198_11 Depth=1
	s_load_b64 s[24:25], s[10:11], 0xc8
	s_mul_u64 s[16:17], s[22:23], s[16:17]
	s_add_co_i32 s15, s15, -1
	s_wait_alu 0xfffe
	s_sub_nc_u64 s[4:5], s[4:5], s[16:17]
	s_cmp_gt_u32 s15, 2
	s_add_nc_u64 s[10:11], s[10:11], -8
	s_wait_kmcnt 0x0
	s_wait_alu 0xfffe
	s_mul_u64 s[4:5], s[24:25], s[4:5]
	s_wait_alu 0xfffe
	s_add_nc_u64 s[18:19], s[4:5], s[18:19]
	s_cbranch_scc0 .LBB198_18
; %bb.16:                               ;   in Loop: Header=BB198_11 Depth=1
	s_mov_b64 s[4:5], s[22:23]
	s_branch .LBB198_11
.LBB198_17:
	s_mov_b64 s[22:23], s[4:5]
.LBB198_18:
	s_clause 0x2
	s_load_b64 s[4:5], s[0:1], 0xd0
	s_load_b32 s8, s[0:1], 0x360
	s_load_b64 s[16:17], s[0:1], 0x0
	s_wait_kmcnt 0x0
	s_mul_u64 s[10:11], s[4:5], s[6:7]
	s_bitcmp1_b32 s8, 0
	s_mov_b32 s4, -1
	s_cselect_b32 s24, -1, 0
	s_lshl_b64 s[26:27], s[10:11], 3
	s_lshl_b64 s[28:29], s[2:3], 3
	s_and_b32 s2, s24, exec_lo
	s_cselect_b32 s5, -1, 0x7fffffff
	s_wait_alu 0xfffe
	s_mov_b32 s6, s4
	s_mov_b32 s8, s4
	;; [unrolled: 1-line block ×6, first 2 shown]
	v_dual_mov_b32 v1, s4 :: v_dual_and_b32 v32, 0x3ff, v0
	v_mov_b32_e32 v10, s5
	s_wait_alu 0xfffe
	v_dual_mov_b32 v2, s5 :: v_dual_mov_b32 v3, s6
	s_delay_alu instid0(VALU_DEP_3)
	v_cmp_gt_u32_e64 s2, s14, v32
	v_dual_mov_b32 v4, s7 :: v_dual_mov_b32 v5, s8
	v_dual_mov_b32 v6, s9 :: v_dual_mov_b32 v7, s10
	;; [unrolled: 1-line block ×3, first 2 shown]
	s_add_nc_u64 s[16:17], s[16:17], s[26:27]
	s_wait_alu 0xfffe
	s_add_nc_u64 s[16:17], s[16:17], s[28:29]
	s_and_saveexec_b32 s3, s2
	s_cbranch_execz .LBB198_20
; %bb.19:
	v_mad_co_u64_u32 v[1:2], null, s12, v32, 0
	s_delay_alu instid0(VALU_DEP_1) | instskip(NEXT) | instid1(VALU_DEP_1)
	v_mad_co_u64_u32 v[2:3], null, s13, v32, v[2:3]
	v_lshlrev_b64_e32 v[1:2], 3, v[1:2]
	s_wait_alu 0xfffe
	s_delay_alu instid0(VALU_DEP_1) | instskip(NEXT) | instid1(VALU_DEP_1)
	v_add_co_u32 v1, vcc_lo, s16, v1
	v_add_co_ci_u32_e64 v2, null, s17, v2, vcc_lo
	global_load_b64 v[9:10], v[1:2], off
	v_dual_mov_b32 v1, s4 :: v_dual_mov_b32 v2, s5
	v_dual_mov_b32 v3, s6 :: v_dual_mov_b32 v4, s7
	;; [unrolled: 1-line block ×4, first 2 shown]
.LBB198_20:
	s_or_b32 exec_lo, exec_lo, s3
	v_add_nc_u32_e32 v11, 32, v32
	s_delay_alu instid0(VALU_DEP_1)
	v_cmp_gt_u32_e64 s3, s14, v11
	s_and_saveexec_b32 s4, s3
	s_cbranch_execz .LBB198_22
; %bb.21:
	v_mad_co_u64_u32 v[1:2], null, s12, v11, 0
	s_delay_alu instid0(VALU_DEP_1) | instskip(NEXT) | instid1(VALU_DEP_1)
	v_mad_co_u64_u32 v[2:3], null, s13, v11, v[2:3]
	v_lshlrev_b64_e32 v[1:2], 3, v[1:2]
	s_wait_alu 0xfffe
	s_delay_alu instid0(VALU_DEP_1) | instskip(SKIP_1) | instid1(VALU_DEP_2)
	v_add_co_u32 v1, vcc_lo, s16, v1
	s_wait_alu 0xfffd
	v_add_co_ci_u32_e64 v2, null, s17, v2, vcc_lo
	global_load_b64 v[3:4], v[1:2], off
.LBB198_22:
	s_wait_alu 0xfffe
	s_or_b32 exec_lo, exec_lo, s4
	v_add_nc_u32_e32 v12, 64, v32
	s_delay_alu instid0(VALU_DEP_1)
	v_cmp_gt_u32_e64 s4, s14, v12
	s_and_saveexec_b32 s5, s4
	s_cbranch_execz .LBB198_24
; %bb.23:
	v_mad_co_u64_u32 v[1:2], null, s12, v12, 0
	s_wait_loadcnt 0x0
	s_delay_alu instid0(VALU_DEP_1) | instskip(NEXT) | instid1(VALU_DEP_1)
	v_mad_co_u64_u32 v[5:6], null, s13, v12, v[2:3]
	v_mov_b32_e32 v2, v5
	s_delay_alu instid0(VALU_DEP_1) | instskip(NEXT) | instid1(VALU_DEP_1)
	v_lshlrev_b64_e32 v[1:2], 3, v[1:2]
	v_add_co_u32 v1, vcc_lo, s16, v1
	s_wait_alu 0xfffd
	s_delay_alu instid0(VALU_DEP_2)
	v_add_co_ci_u32_e64 v2, null, s17, v2, vcc_lo
	global_load_b64 v[5:6], v[1:2], off
.LBB198_24:
	s_wait_alu 0xfffe
	s_or_b32 exec_lo, exec_lo, s5
	s_clause 0x1
	s_load_b64 s[8:9], s[0:1], 0x288
	s_load_b64 s[6:7], s[0:1], 0x1b8
	v_add_nc_u32_e32 v13, 0x60, v32
	s_delay_alu instid0(VALU_DEP_1)
	v_cmp_gt_u32_e64 s5, s14, v13
	s_and_saveexec_b32 s10, s5
	s_cbranch_execz .LBB198_26
; %bb.25:
	v_mad_co_u64_u32 v[1:2], null, s12, v13, 0
	s_wait_loadcnt 0x0
	s_delay_alu instid0(VALU_DEP_1) | instskip(NEXT) | instid1(VALU_DEP_1)
	v_mad_co_u64_u32 v[7:8], null, s13, v13, v[2:3]
	v_mov_b32_e32 v2, v7
	s_delay_alu instid0(VALU_DEP_1) | instskip(NEXT) | instid1(VALU_DEP_1)
	v_lshlrev_b64_e32 v[1:2], 3, v[1:2]
	v_add_co_u32 v1, vcc_lo, s16, v1
	s_wait_alu 0xfffd
	s_delay_alu instid0(VALU_DEP_2)
	v_add_co_ci_u32_e64 v2, null, s17, v2, vcc_lo
	global_load_b64 v[7:8], v[1:2], off
.LBB198_26:
	s_wait_alu 0xfffe
	s_or_b32 exec_lo, exec_lo, s10
	v_lshrrev_b32_e32 v1, 2, v32
	v_lshrrev_b32_e32 v2, 2, v11
	v_lshlrev_b32_e32 v14, 3, v32
	v_lshrrev_b32_e32 v15, 2, v12
	v_lshrrev_b32_e32 v16, 2, v13
	v_and_b32_e32 v1, 0xf8, v1
	v_and_b32_e32 v2, 0x1f8, v2
	s_load_b64 s[14:15], s[0:1], 0x358
	v_and_b32_e32 v15, 0x1f8, v15
	v_and_b32_e32 v16, 0x1f8, v16
	v_add_nc_u32_e32 v51, v1, v14
	v_and_b32_e32 v1, 0x3f8, v32
	v_add_nc_u32_e32 v52, v2, v14
	s_wait_kmcnt 0x0
	s_mul_u64 s[0:1], s[8:9], s[22:23]
	s_wait_loadcnt 0x0
	ds_store_b64 v51, v[9:10]
	ds_store_b64 v52, v[3:4] offset:256
	v_lshl_add_u32 v55, v32, 5, v1
	v_mov_b32_e32 v1, 0
	v_dual_mov_b32 v2, 0 :: v_dual_add_nc_u32 v53, v15, v14
	v_add_nc_u32_e32 v54, v16, v14
	ds_store_b64 v53, v[5:6] offset:512
	ds_store_b64 v54, v[7:8] offset:768
	s_wait_dscnt 0x0
	; wave barrier
	global_inv scope:SCOPE_SE
	ds_load_2addr_b64 v[20:23], v55 offset1:1
	ds_load_2addr_b64 v[16:19], v55 offset0:2 offset1:3
	s_lshl_b64 s[0:1], s[0:1], 3
	v_mov_b32_e32 v3, 0
	v_mov_b32_e32 v4, 0
	s_add_nc_u64 s[0:1], s[6:7], s[0:1]
	s_lshl_b64 s[6:7], s[18:19], 3
	s_wait_loadcnt_dscnt 0x0
	s_wait_alu 0xfffe
	s_add_nc_u64 s[18:19], s[0:1], s[6:7]
	; wave barrier
	global_inv scope:SCOPE_SE
	s_and_saveexec_b32 s0, s2
	s_cbranch_execz .LBB198_28
; %bb.27:
	v_mad_co_u64_u32 v[3:4], null, s14, v32, 0
	s_delay_alu instid0(VALU_DEP_1) | instskip(NEXT) | instid1(VALU_DEP_1)
	v_mad_co_u64_u32 v[4:5], null, s15, v32, v[4:5]
	v_lshlrev_b64_e32 v[3:4], 3, v[3:4]
	s_wait_alu 0xfffe
	s_delay_alu instid0(VALU_DEP_1) | instskip(SKIP_1) | instid1(VALU_DEP_2)
	v_add_co_u32 v3, vcc_lo, s18, v3
	s_wait_alu 0xfffd
	v_add_co_ci_u32_e64 v4, null, s19, v4, vcc_lo
	global_load_b64 v[3:4], v[3:4], off
.LBB198_28:
	s_or_b32 exec_lo, exec_lo, s0
	s_and_saveexec_b32 s0, s3
	s_cbranch_execz .LBB198_30
; %bb.29:
	v_mad_co_u64_u32 v[1:2], null, s14, v11, 0
	s_wait_loadcnt 0x0
	s_delay_alu instid0(VALU_DEP_1) | instskip(NEXT) | instid1(VALU_DEP_1)
	v_mad_co_u64_u32 v[5:6], null, s15, v11, v[2:3]
	v_mov_b32_e32 v2, v5
	s_delay_alu instid0(VALU_DEP_1) | instskip(SKIP_1) | instid1(VALU_DEP_1)
	v_lshlrev_b64_e32 v[1:2], 3, v[1:2]
	s_wait_alu 0xfffe
	v_add_co_u32 v1, vcc_lo, s18, v1
	s_wait_alu 0xfffd
	s_delay_alu instid0(VALU_DEP_2)
	v_add_co_ci_u32_e64 v2, null, s19, v2, vcc_lo
	global_load_b64 v[1:2], v[1:2], off
.LBB198_30:
	s_or_b32 exec_lo, exec_lo, s0
	v_mov_b32_e32 v5, 0
	v_dual_mov_b32 v6, 0 :: v_dual_mov_b32 v7, 0
	v_mov_b32_e32 v8, 0
	s_and_saveexec_b32 s0, s4
	s_cbranch_execz .LBB198_32
; %bb.31:
	v_mad_co_u64_u32 v[7:8], null, s14, v12, 0
	s_delay_alu instid0(VALU_DEP_1) | instskip(NEXT) | instid1(VALU_DEP_1)
	v_mad_co_u64_u32 v[8:9], null, s15, v12, v[8:9]
	v_lshlrev_b64_e32 v[7:8], 3, v[7:8]
	s_wait_alu 0xfffe
	s_delay_alu instid0(VALU_DEP_1) | instskip(SKIP_1) | instid1(VALU_DEP_2)
	v_add_co_u32 v7, vcc_lo, s18, v7
	s_wait_alu 0xfffd
	v_add_co_ci_u32_e64 v8, null, s19, v8, vcc_lo
	global_load_b64 v[7:8], v[7:8], off
.LBB198_32:
	s_or_b32 exec_lo, exec_lo, s0
	s_xor_b32 s0, s24, -1
	s_and_saveexec_b32 s1, s5
	s_cbranch_execz .LBB198_34
; %bb.33:
	v_mad_co_u64_u32 v[5:6], null, s14, v13, 0
	s_wait_loadcnt 0x0
	s_delay_alu instid0(VALU_DEP_1) | instskip(NEXT) | instid1(VALU_DEP_1)
	v_mad_co_u64_u32 v[9:10], null, s15, v13, v[6:7]
	v_mov_b32_e32 v6, v9
	s_delay_alu instid0(VALU_DEP_1) | instskip(SKIP_1) | instid1(VALU_DEP_1)
	v_lshlrev_b64_e32 v[5:6], 3, v[5:6]
	s_wait_alu 0xfffe
	v_add_co_u32 v5, vcc_lo, s18, v5
	s_wait_alu 0xfffd
	s_delay_alu instid0(VALU_DEP_2)
	v_add_co_ci_u32_e64 v6, null, s19, v6, vcc_lo
	global_load_b64 v[5:6], v[5:6], off
.LBB198_34:
	s_or_b32 exec_lo, exec_lo, s1
	s_wait_loadcnt 0x0
	ds_store_b64 v51, v[3:4]
	ds_store_b64 v52, v[1:2] offset:256
	ds_store_b64 v53, v[7:8] offset:512
	;; [unrolled: 1-line block ×3, first 2 shown]
	s_wait_dscnt 0x0
	; wave barrier
	global_inv scope:SCOPE_SE
	ds_load_2addr_b64 v[12:15], v55 offset1:1
	ds_load_2addr_b64 v[8:11], v55 offset0:2 offset1:3
	v_mbcnt_lo_u32_b32 v58, -1, 0
	v_lshlrev_b32_e32 v56, 2, v32
	s_and_b32 vcc_lo, exec_lo, s0
	v_bfe_u32 v62, v0, 10, 10
	v_bfe_u32 v63, v0, 20, 10
	v_and_b32_e32 v65, 3, v58
	v_and_b32_e32 v64, 28, v58
	v_ashrrev_i32_e32 v69, 31, v21
	v_ashrrev_i32_e32 v68, 31, v23
	;; [unrolled: 1-line block ×4, first 2 shown]
	v_cmp_eq_u32_e64 s8, 0, v65
	v_cmp_eq_u32_e64 s7, 1, v65
	;; [unrolled: 1-line block ×4, first 2 shown]
	v_lshlrev_b32_e32 v57, 5, v32
	v_and_b32_e32 v60, 15, v58
	v_and_b32_e32 v61, 16, v58
	v_cmp_eq_u32_e64 s0, 31, v32
	v_cmp_eq_u32_e64 s10, 0, v32
	v_and_or_b32 v59, 0xf80, v56, v58
	s_mov_b32 s9, -1
	; wave barrier
	s_wait_loadcnt_dscnt 0x0
	global_inv scope:SCOPE_SE
	s_wait_alu 0xfffe
	s_cbranch_vccz .LBB198_49
; %bb.35:
	v_cmp_lt_i64_e32 vcc_lo, -1, v[20:21]
	v_xor_b32_e32 v2, v69, v20
	v_xor_b32_e32 v4, v68, v22
	;; [unrolled: 1-line block ×4, first 2 shown]
	ds_bpermute_b32 v43, v64, v14 offset:96
	s_wait_alu 0xfffd
	v_cndmask_b32_e64 v0, -1, 0x80000000, vcc_lo
	v_cmp_lt_i64_e32 vcc_lo, -1, v[22:23]
	ds_bpermute_b32 v3, v64, v2
	ds_bpermute_b32 v7, v64, v4
	;; [unrolled: 1-line block ×3, first 2 shown]
	v_xor_b32_e32 v0, v0, v21
	ds_bpermute_b32 v31, v64, v2 offset:32
	s_wait_alu 0xfffd
	v_cndmask_b32_e64 v1, -1, 0x80000000, vcc_lo
	v_cmp_lt_i64_e32 vcc_lo, -1, v[16:17]
	ds_bpermute_b32 v33, v64, v4 offset:32
	ds_bpermute_b32 v28, v64, v0 offset:32
	ds_bpermute_b32 v37, v64, v0 offset:64
	v_xor_b32_e32 v5, v1, v23
	ds_bpermute_b32 v1, v64, v0
	s_wait_alu 0xfffd
	v_cndmask_b32_e64 v24, -1, 0x80000000, vcc_lo
	v_cmp_lt_i64_e32 vcc_lo, -1, v[18:19]
	ds_bpermute_b32 v39, v64, v4 offset:64
	ds_bpermute_b32 v26, v64, v5
	ds_bpermute_b32 v34, v64, v5 offset:32
	v_xor_b32_e32 v24, v24, v17
	ds_bpermute_b32 v38, v64, v5 offset:64
	s_wait_alu 0xfffd
	v_cndmask_b32_e64 v27, -1, 0x80000000, vcc_lo
	s_wait_dscnt 0xb
	s_wait_alu 0xf1ff
	v_cndmask_b32_e64 v3, 0, v3, s8
	ds_bpermute_b32 v42, v64, v6 offset:64
	ds_bpermute_b32 v30, v64, v24
	ds_bpermute_b32 v36, v64, v24 offset:32
	v_xor_b32_e32 v27, v27, v19
	s_wait_dscnt 0xd
	v_cndmask_b32_e64 v3, v3, v7, s7
	ds_bpermute_b32 v7, v64, v2 offset:64
	s_wait_dscnt 0xc
	v_cndmask_b32_e64 v31, 0, v31, s8
	s_wait_dscnt 0xa
	v_cndmask_b32_e64 v28, 0, v28, s8
	ds_bpermute_b32 v35, v64, v27
	v_cndmask_b32_e64 v3, v3, v25, s6
	s_wait_dscnt 0x9
	v_cndmask_b32_e64 v1, 0, v1, s8
	ds_bpermute_b32 v25, v64, v29
	ds_bpermute_b32 v40, v64, v27 offset:32
	ds_bpermute_b32 v4, v64, v4 offset:96
	;; [unrolled: 1-line block ×3, first 2 shown]
	s_wait_dscnt 0xb
	v_cndmask_b32_e64 v1, v1, v26, s7
	ds_bpermute_b32 v26, v64, v6 offset:32
	s_wait_dscnt 0xb
	v_cndmask_b32_e64 v28, v28, v34, s7
	ds_bpermute_b32 v34, v64, v27 offset:64
	ds_bpermute_b32 v27, v64, v27 offset:96
	;; [unrolled: 1-line block ×3, first 2 shown]
	s_wait_dscnt 0xb
	v_cndmask_b32_e64 v1, v1, v30, s6
	ds_bpermute_b32 v30, v64, v24 offset:64
	s_wait_dscnt 0xb
	v_cndmask_b32_e64 v28, v28, v36, s6
	ds_bpermute_b32 v36, v64, v5 offset:96
	ds_bpermute_b32 v24, v64, v24 offset:96
	s_wait_dscnt 0xc
	v_cndmask_b32_e64 v7, 0, v7, s8
	ds_bpermute_b32 v44, v64, v15 offset:96
	s_wait_dscnt 0xc
	v_cndmask_b32_e64 v1, v1, v35, s1
	ds_bpermute_b32 v35, v64, v0 offset:96
	v_cndmask_b32_e64 v0, v31, v33, s7
	v_cndmask_b32_e64 v31, 0, v37, s8
	ds_bpermute_b32 v33, v64, v2 offset:96
	v_cndmask_b32_e64 v7, v7, v39, s7
	ds_bpermute_b32 v39, v64, v15 offset:32
	ds_bpermute_b32 v37, v64, v12 offset:32
	s_wait_dscnt 0xb
	v_cndmask_b32_e64 v2, v0, v26, s6
	v_cndmask_b32_e64 v5, v31, v38, s7
	ds_bpermute_b32 v26, v64, v13
	v_cndmask_b32_e64 v0, v3, v25, s1
	v_cndmask_b32_e64 v3, v28, v40, s1
	ds_bpermute_b32 v25, v64, v29 offset:64
	s_wait_dscnt 0x9
	v_cndmask_b32_e64 v5, v5, v30, s6
	ds_bpermute_b32 v30, v64, v12
	ds_bpermute_b32 v31, v64, v15
	ds_bpermute_b32 v29, v64, v29 offset:96
	ds_bpermute_b32 v38, v64, v8
	v_cndmask_b32_e64 v5, v5, v34, s1
	ds_bpermute_b32 v34, v64, v14
	s_wait_dscnt 0xa
	v_cndmask_b32_e64 v28, 0, v35, s8
	ds_bpermute_b32 v35, v64, v13 offset:32
	ds_bpermute_b32 v40, v64, v11
	s_wait_dscnt 0xb
	v_cndmask_b32_e64 v33, 0, v33, s8
	v_cndmask_b32_e64 v7, v7, v42, s6
	;; [unrolled: 1-line block ×3, first 2 shown]
	ds_bpermute_b32 v36, v64, v9
	v_cndmask_b32_e64 v2, v2, v41, s1
	v_cndmask_b32_e64 v33, v33, v4, s7
	s_wait_dscnt 0x9
	v_cndmask_b32_e64 v26, 0, v26, s8
	v_cndmask_b32_e64 v24, v28, v24, s6
	ds_bpermute_b32 v28, v64, v9 offset:32
	ds_bpermute_b32 v41, v64, v14 offset:32
	s_wait_dscnt 0xa
	v_cndmask_b32_e64 v4, v7, v25, s1
	s_wait_dscnt 0x9
	v_cndmask_b32_e64 v25, 0, v30, s8
	v_cndmask_b32_e64 v7, v24, v27, s1
	s_wait_dscnt 0x8
	v_cndmask_b32_e64 v24, v26, v31, s7
	v_cndmask_b32_e64 v6, v33, v6, s6
	ds_bpermute_b32 v26, v64, v12 offset:64
	ds_bpermute_b32 v27, v64, v13 offset:64
	s_wait_dscnt 0x7
	v_cndmask_b32_e64 v25, v25, v34, s7
	ds_bpermute_b32 v33, v64, v10
	v_cndmask_b32_e64 v6, v6, v29, s1
	s_wait_dscnt 0x7
	v_cndmask_b32_e64 v29, 0, v35, s8
	ds_bpermute_b32 v34, v64, v8 offset:32
	v_cndmask_b32_e64 v31, v25, v38, s6
	s_wait_dscnt 0x6
	v_cndmask_b32_e64 v24, v24, v36, s6
	ds_bpermute_b32 v36, v64, v14 offset:64
	v_cndmask_b32_e64 v29, v29, v39, s7
	ds_bpermute_b32 v38, v64, v12 offset:96
	v_cndmask_b32_e64 v30, 0, v37, s8
	v_cndmask_b32_e64 v25, v24, v40, s1
	ds_bpermute_b32 v24, v64, v15 offset:64
	ds_bpermute_b32 v40, v64, v13 offset:96
	;; [unrolled: 1-line block ×5, first 2 shown]
	s_wait_dscnt 0xc
	v_cndmask_b32_e64 v28, v29, v28, s6
	ds_bpermute_b32 v29, v64, v10 offset:32
	; wave barrier
	s_wait_loadcnt_dscnt 0x0
	global_inv scope:SCOPE_SE
	s_load_b32 s24, s[20:21], 0xc
	v_cndmask_b32_e64 v30, v30, v41, s7
	ds_bpermute_b32 v41, v64, v10 offset:64
	ds_bpermute_b32 v42, v64, v11 offset:64
	;; [unrolled: 1-line block ×4, first 2 shown]
	v_cndmask_b32_e64 v26, 0, v26, s8
	v_cndmask_b32_e64 v27, 0, v27, s8
	;; [unrolled: 1-line block ×3, first 2 shown]
	s_mov_b32 s22, -1
	s_brev_b32 s23, -2
	v_cndmask_b32_e64 v26, v26, v36, s7
	v_cndmask_b32_e64 v46, v27, v24, s7
	;; [unrolled: 1-line block ×8, first 2 shown]
	s_getpc_b64 s[8:9]
	s_wait_alu 0xfffe
	s_sext_i32_i16 s9, s9
	s_add_co_u32 s8, s8, _ZN7rocprim17ROCPRIM_400000_NS16block_radix_sortIdLj32ELj4ElLj1ELj1ELj0ELNS0_26block_radix_rank_algorithmE1ELNS0_18block_padding_hintE2ELNS0_4arch9wavefront6targetE0EE19radix_bits_per_passE@rel32@lo+12
	s_wait_alu 0xfffe
	s_add_co_ci_u32 s9, s9, _ZN7rocprim17ROCPRIM_400000_NS16block_radix_sortIdLj32ELj4ElLj1ELj1ELj0ELNS0_26block_radix_rank_algorithmE1ELNS0_18block_padding_hintE2ELNS0_4arch9wavefront6targetE0EE19radix_bits_per_passE@rel32@hi+24
	v_cndmask_b32_e64 v26, v30, v29, s1
	v_cndmask_b32_e64 v30, v31, v43, s7
	;; [unrolled: 1-line block ×3, first 2 shown]
	s_wait_kmcnt 0x0
	s_lshr_b32 s7, s24, 16
	s_wait_dscnt 0x2
	v_cndmask_b32_e64 v29, v28, v42, s1
	v_cndmask_b32_e64 v28, v33, v41, s1
	s_wait_alu 0xfffe
	v_mad_u32_u24 v33, v63, s7, v62
	ds_bpermute_b32 v35, v64, v11 offset:96
	ds_bpermute_b32 v36, v64, v10 offset:96
	s_wait_dscnt 0x3
	v_cndmask_b32_e64 v30, v30, v45, s6
	s_wait_dscnt 0x2
	v_cndmask_b32_e64 v31, v31, v47, s6
	s_and_b32 s6, s24, 0xffff
	s_load_b32 s11, s[8:9], 0x0
	v_mad_co_u64_u32 v[33:34], null, v33, s6, v[32:33]
	v_sub_co_u32 v34, s24, v58, 1
	v_lshlrev_b32_e32 v71, 3, v59
	v_cmp_lt_u32_e64 s6, 1, v60
	v_cmp_lt_u32_e64 s7, 3, v60
	s_delay_alu instid0(VALU_DEP_4)
	v_cmp_gt_i32_e32 vcc_lo, 0, v34
	v_lshrrev_b32_e32 v33, 3, v33
	v_cmp_lt_u32_e64 s8, 7, v60
	v_cmp_eq_u32_e64 s9, 0, v61
	s_wait_alu 0xfffd
	v_dual_mov_b32 v73, 0 :: v_dual_cndmask_b32 v34, v34, v58
	v_and_b32_e32 v72, 0x1ffffffc, v33
	s_wait_dscnt 0x1
	v_cndmask_b32_e64 v31, v31, v35, s1
	s_wait_dscnt 0x0
	v_cndmask_b32_e64 v30, v30, v36, s1
	v_cmp_eq_u32_e64 s1, 0, v60
	v_dual_mov_b32 v33, 0 :: v_dual_lshlrev_b32 v70, 2, v34
	v_mov_b32_e32 v34, 0
	s_or_b32 s24, s10, s24
	s_mov_b32 s25, 64
	s_branch .LBB198_37
.LBB198_36:                             ;   in Loop: Header=BB198_37 Depth=1
	s_wait_alu 0xfffe
	s_and_not1_b32 vcc_lo, exec_lo, s10
	s_wait_alu 0xfffe
	s_cbranch_vccz .LBB198_50
.LBB198_37:                             ; =>This Inner Loop Header: Depth=1
	v_dual_mov_b32 v36, v1 :: v_dual_mov_b32 v35, v0
	s_wait_kmcnt 0x0
	s_min_u32 s10, s11, s25
	ds_store_2addr_b32 v57, v73, v73 offset0:1 offset1:2
	ds_store_2addr_b32 v57, v73, v73 offset0:3 offset1:4
	;; [unrolled: 1-line block ×4, first 2 shown]
	s_wait_alu 0xfffe
	s_lshl_b32 s10, -1, s10
	s_wait_loadcnt_dscnt 0x0
	v_cmp_ne_u64_e32 vcc_lo, s[22:23], v[35:36]
	s_wait_alu 0xfffe
	s_not_b32 s26, s10
	; wave barrier
	global_inv scope:SCOPE_SE
	; wave barrier
	s_wait_alu 0xfffd
	v_dual_mov_b32 v46, v7 :: v_dual_cndmask_b32 v1, 0x80000000, v36
	v_dual_cndmask_b32 v0, 0, v35 :: v_dual_mov_b32 v45, v6
	v_mov_b32_e32 v48, v5
	v_dual_mov_b32 v50, v3 :: v_dual_mov_b32 v47, v4
	s_delay_alu instid0(VALU_DEP_3) | instskip(SKIP_2) | instid1(VALU_DEP_2)
	v_lshrrev_b64 v[0:1], v33, v[0:1]
	v_mov_b32_e32 v49, v2
	s_wait_alu 0xfffe
	v_and_b32_e32 v1, s26, v0
	s_delay_alu instid0(VALU_DEP_1)
	v_and_b32_e32 v0, 1, v1
	v_lshlrev_b32_e32 v37, 30, v1
	v_lshlrev_b32_e32 v38, 29, v1
	;; [unrolled: 1-line block ×4, first 2 shown]
	v_add_co_u32 v0, s10, v0, -1
	s_wait_alu 0xf1ff
	v_cndmask_b32_e64 v40, 0, 1, s10
	v_not_b32_e32 v44, v37
	v_cmp_gt_i32_e64 s10, 0, v37
	v_not_b32_e32 v37, v38
	v_lshlrev_b32_e32 v42, 26, v1
	v_cmp_ne_u32_e32 vcc_lo, 0, v40
	v_ashrrev_i32_e32 v44, 31, v44
	v_lshlrev_b32_e32 v43, 25, v1
	v_ashrrev_i32_e32 v37, 31, v37
	v_lshlrev_b32_e32 v40, 24, v1
	s_wait_alu 0xfffd
	v_xor_b32_e32 v0, vcc_lo, v0
	v_cmp_gt_i32_e32 vcc_lo, 0, v38
	v_not_b32_e32 v38, v39
	s_wait_alu 0xf1ff
	v_xor_b32_e32 v44, s10, v44
	v_cmp_gt_i32_e64 s10, 0, v39
	v_and_b32_e32 v0, exec_lo, v0
	v_not_b32_e32 v39, v41
	v_ashrrev_i32_e32 v38, 31, v38
	s_wait_alu 0xfffd
	v_xor_b32_e32 v37, vcc_lo, v37
	v_cmp_gt_i32_e32 vcc_lo, 0, v41
	v_and_b32_e32 v0, v0, v44
	v_not_b32_e32 v41, v42
	v_ashrrev_i32_e32 v39, 31, v39
	s_wait_alu 0xf1ff
	v_xor_b32_e32 v38, s10, v38
	v_cmp_gt_i32_e64 s10, 0, v42
	v_and_b32_e32 v0, v0, v37
	v_not_b32_e32 v37, v43
	v_ashrrev_i32_e32 v41, 31, v41
	s_wait_alu 0xfffd
	v_xor_b32_e32 v39, vcc_lo, v39
	v_cmp_gt_i32_e32 vcc_lo, 0, v43
	v_and_b32_e32 v0, v0, v38
	v_not_b32_e32 v38, v40
	v_ashrrev_i32_e32 v37, 31, v37
	s_wait_alu 0xf1ff
	v_xor_b32_e32 v41, s10, v41
	v_cmp_gt_i32_e64 s10, 0, v40
	v_and_b32_e32 v0, v0, v39
	v_ashrrev_i32_e32 v38, 31, v38
	s_wait_alu 0xfffd
	v_xor_b32_e32 v37, vcc_lo, v37
	v_mov_b32_e32 v44, v25
	v_dual_mov_b32 v40, v29 :: v_dual_mov_b32 v43, v24
	v_and_b32_e32 v0, v0, v41
	s_wait_alu 0xf1ff
	v_xor_b32_e32 v38, s10, v38
	v_dual_mov_b32 v42, v27 :: v_dual_mov_b32 v39, v28
	s_delay_alu instid0(VALU_DEP_3) | instskip(SKIP_1) | instid1(VALU_DEP_2)
	v_dual_mov_b32 v41, v26 :: v_dual_and_b32 v0, v0, v37
	v_lshl_add_u32 v25, v1, 2, v72
	v_and_b32_e32 v0, v0, v38
	v_dual_mov_b32 v38, v31 :: v_dual_mov_b32 v37, v30
	s_delay_alu instid0(VALU_DEP_2) | instskip(SKIP_1) | instid1(VALU_DEP_2)
	v_mbcnt_lo_u32_b32 v24, v0, 0
	v_cmp_ne_u32_e64 s10, 0, v0
	v_cmp_eq_u32_e32 vcc_lo, 0, v24
	s_and_b32 s27, s10, vcc_lo
	s_wait_alu 0xfffe
	s_and_saveexec_b32 s10, s27
; %bb.38:                               ;   in Loop: Header=BB198_37 Depth=1
	v_bcnt_u32_b32 v0, v0, 0
	ds_store_b32 v25, v0 offset:4
; %bb.39:                               ;   in Loop: Header=BB198_37 Depth=1
	s_wait_alu 0xfffe
	s_or_b32 exec_lo, exec_lo, s10
	v_cmp_ne_u64_e32 vcc_lo, s[22:23], v[49:50]
	; wave barrier
	s_wait_alu 0xfffd
	v_cndmask_b32_e32 v1, 0x80000000, v50, vcc_lo
	v_cndmask_b32_e32 v0, 0, v49, vcc_lo
	s_delay_alu instid0(VALU_DEP_1) | instskip(NEXT) | instid1(VALU_DEP_1)
	v_lshrrev_b64 v[0:1], v33, v[0:1]
	v_and_b32_e32 v0, s26, v0
	s_delay_alu instid0(VALU_DEP_1)
	v_and_b32_e32 v1, 1, v0
	v_lshlrev_b32_e32 v2, 30, v0
	v_lshlrev_b32_e32 v3, 29, v0
	;; [unrolled: 1-line block ×4, first 2 shown]
	v_add_co_u32 v1, s10, v1, -1
	s_wait_alu 0xf1ff
	v_cndmask_b32_e64 v5, 0, 1, s10
	v_not_b32_e32 v27, v2
	v_cmp_gt_i32_e64 s10, 0, v2
	v_not_b32_e32 v2, v3
	v_lshlrev_b32_e32 v7, 26, v0
	v_cmp_ne_u32_e32 vcc_lo, 0, v5
	v_ashrrev_i32_e32 v27, 31, v27
	v_lshlrev_b32_e32 v26, 25, v0
	v_ashrrev_i32_e32 v2, 31, v2
	v_lshlrev_b32_e32 v5, 24, v0
	s_wait_alu 0xfffd
	v_xor_b32_e32 v1, vcc_lo, v1
	v_cmp_gt_i32_e32 vcc_lo, 0, v3
	v_not_b32_e32 v3, v4
	s_wait_alu 0xf1ff
	v_xor_b32_e32 v27, s10, v27
	v_cmp_gt_i32_e64 s10, 0, v4
	v_and_b32_e32 v1, exec_lo, v1
	v_not_b32_e32 v4, v6
	v_ashrrev_i32_e32 v3, 31, v3
	s_wait_alu 0xfffd
	v_xor_b32_e32 v2, vcc_lo, v2
	v_cmp_gt_i32_e32 vcc_lo, 0, v6
	v_and_b32_e32 v1, v1, v27
	v_not_b32_e32 v6, v7
	v_ashrrev_i32_e32 v4, 31, v4
	s_wait_alu 0xf1ff
	v_xor_b32_e32 v3, s10, v3
	v_cmp_gt_i32_e64 s10, 0, v7
	v_and_b32_e32 v1, v1, v2
	v_not_b32_e32 v2, v26
	v_ashrrev_i32_e32 v6, 31, v6
	s_wait_alu 0xfffd
	v_xor_b32_e32 v4, vcc_lo, v4
	v_cmp_gt_i32_e32 vcc_lo, 0, v26
	v_and_b32_e32 v1, v1, v3
	v_not_b32_e32 v3, v5
	v_ashrrev_i32_e32 v2, 31, v2
	s_wait_alu 0xf1ff
	v_xor_b32_e32 v6, s10, v6
	v_cmp_gt_i32_e64 s10, 0, v5
	v_and_b32_e32 v1, v1, v4
	v_ashrrev_i32_e32 v3, 31, v3
	s_wait_alu 0xfffd
	v_xor_b32_e32 v2, vcc_lo, v2
	v_lshl_add_u32 v27, v0, 2, v72
	v_and_b32_e32 v1, v1, v6
	s_wait_alu 0xf1ff
	v_xor_b32_e32 v0, s10, v3
	ds_load_b32 v26, v27 offset:4
	v_and_b32_e32 v1, v1, v2
	; wave barrier
	s_delay_alu instid0(VALU_DEP_1) | instskip(NEXT) | instid1(VALU_DEP_1)
	v_and_b32_e32 v0, v1, v0
	v_mbcnt_lo_u32_b32 v28, v0, 0
	v_cmp_ne_u32_e64 s10, 0, v0
	s_delay_alu instid0(VALU_DEP_2)
	v_cmp_eq_u32_e32 vcc_lo, 0, v28
	s_and_b32 s27, s10, vcc_lo
	s_wait_alu 0xfffe
	s_and_saveexec_b32 s10, s27
	s_cbranch_execz .LBB198_41
; %bb.40:                               ;   in Loop: Header=BB198_37 Depth=1
	s_wait_dscnt 0x0
	v_bcnt_u32_b32 v0, v0, v26
	ds_store_b32 v27, v0 offset:4
.LBB198_41:                             ;   in Loop: Header=BB198_37 Depth=1
	s_wait_alu 0xfffe
	s_or_b32 exec_lo, exec_lo, s10
	v_cmp_ne_u64_e32 vcc_lo, s[22:23], v[47:48]
	; wave barrier
	s_wait_alu 0xfffd
	v_cndmask_b32_e32 v1, 0x80000000, v48, vcc_lo
	v_cndmask_b32_e32 v0, 0, v47, vcc_lo
	s_delay_alu instid0(VALU_DEP_1) | instskip(NEXT) | instid1(VALU_DEP_1)
	v_lshrrev_b64 v[0:1], v33, v[0:1]
	v_and_b32_e32 v0, s26, v0
	s_delay_alu instid0(VALU_DEP_1)
	v_and_b32_e32 v1, 1, v0
	v_lshlrev_b32_e32 v2, 30, v0
	v_lshlrev_b32_e32 v3, 29, v0
	;; [unrolled: 1-line block ×4, first 2 shown]
	v_add_co_u32 v1, s10, v1, -1
	s_wait_alu 0xf1ff
	v_cndmask_b32_e64 v5, 0, 1, s10
	v_not_b32_e32 v30, v2
	v_cmp_gt_i32_e64 s10, 0, v2
	v_not_b32_e32 v2, v3
	v_lshlrev_b32_e32 v7, 26, v0
	v_cmp_ne_u32_e32 vcc_lo, 0, v5
	v_ashrrev_i32_e32 v30, 31, v30
	v_lshlrev_b32_e32 v29, 25, v0
	v_ashrrev_i32_e32 v2, 31, v2
	v_lshlrev_b32_e32 v5, 24, v0
	s_wait_alu 0xfffd
	v_xor_b32_e32 v1, vcc_lo, v1
	v_cmp_gt_i32_e32 vcc_lo, 0, v3
	v_not_b32_e32 v3, v4
	s_wait_alu 0xf1ff
	v_xor_b32_e32 v30, s10, v30
	v_cmp_gt_i32_e64 s10, 0, v4
	v_and_b32_e32 v1, exec_lo, v1
	v_not_b32_e32 v4, v6
	v_ashrrev_i32_e32 v3, 31, v3
	s_wait_alu 0xfffd
	v_xor_b32_e32 v2, vcc_lo, v2
	v_cmp_gt_i32_e32 vcc_lo, 0, v6
	v_and_b32_e32 v1, v1, v30
	v_not_b32_e32 v6, v7
	v_ashrrev_i32_e32 v4, 31, v4
	s_wait_alu 0xf1ff
	v_xor_b32_e32 v3, s10, v3
	v_cmp_gt_i32_e64 s10, 0, v7
	v_and_b32_e32 v1, v1, v2
	v_not_b32_e32 v2, v29
	v_ashrrev_i32_e32 v6, 31, v6
	s_wait_alu 0xfffd
	v_xor_b32_e32 v4, vcc_lo, v4
	v_cmp_gt_i32_e32 vcc_lo, 0, v29
	v_and_b32_e32 v1, v1, v3
	v_not_b32_e32 v3, v5
	v_ashrrev_i32_e32 v2, 31, v2
	s_wait_alu 0xf1ff
	v_xor_b32_e32 v6, s10, v6
	v_cmp_gt_i32_e64 s10, 0, v5
	v_and_b32_e32 v1, v1, v4
	v_ashrrev_i32_e32 v3, 31, v3
	s_wait_alu 0xfffd
	v_xor_b32_e32 v2, vcc_lo, v2
	v_lshl_add_u32 v30, v0, 2, v72
	v_and_b32_e32 v1, v1, v6
	s_wait_alu 0xf1ff
	v_xor_b32_e32 v0, s10, v3
	ds_load_b32 v29, v30 offset:4
	v_and_b32_e32 v1, v1, v2
	; wave barrier
	s_delay_alu instid0(VALU_DEP_1) | instskip(NEXT) | instid1(VALU_DEP_1)
	v_and_b32_e32 v0, v1, v0
	v_mbcnt_lo_u32_b32 v31, v0, 0
	v_cmp_ne_u32_e64 s10, 0, v0
	s_delay_alu instid0(VALU_DEP_2)
	v_cmp_eq_u32_e32 vcc_lo, 0, v31
	s_and_b32 s27, s10, vcc_lo
	s_wait_alu 0xfffe
	s_and_saveexec_b32 s10, s27
	s_cbranch_execz .LBB198_43
; %bb.42:                               ;   in Loop: Header=BB198_37 Depth=1
	s_wait_dscnt 0x0
	v_bcnt_u32_b32 v0, v0, v29
	ds_store_b32 v30, v0 offset:4
.LBB198_43:                             ;   in Loop: Header=BB198_37 Depth=1
	s_wait_alu 0xfffe
	s_or_b32 exec_lo, exec_lo, s10
	v_cmp_ne_u64_e32 vcc_lo, s[22:23], v[45:46]
	; wave barrier
	s_wait_alu 0xfffd
	v_cndmask_b32_e32 v1, 0x80000000, v46, vcc_lo
	v_cndmask_b32_e32 v0, 0, v45, vcc_lo
	s_delay_alu instid0(VALU_DEP_1) | instskip(NEXT) | instid1(VALU_DEP_1)
	v_lshrrev_b64 v[0:1], v33, v[0:1]
	v_and_b32_e32 v0, s26, v0
	s_delay_alu instid0(VALU_DEP_1)
	v_and_b32_e32 v1, 1, v0
	v_lshlrev_b32_e32 v2, 30, v0
	v_lshlrev_b32_e32 v3, 29, v0
	;; [unrolled: 1-line block ×4, first 2 shown]
	v_add_co_u32 v1, s10, v1, -1
	s_wait_alu 0xf1ff
	v_cndmask_b32_e64 v5, 0, 1, s10
	v_not_b32_e32 v75, v2
	v_cmp_gt_i32_e64 s10, 0, v2
	v_not_b32_e32 v2, v3
	v_lshlrev_b32_e32 v7, 26, v0
	v_cmp_ne_u32_e32 vcc_lo, 0, v5
	v_ashrrev_i32_e32 v75, 31, v75
	v_lshlrev_b32_e32 v74, 25, v0
	v_ashrrev_i32_e32 v2, 31, v2
	v_lshlrev_b32_e32 v5, 24, v0
	s_wait_alu 0xfffd
	v_xor_b32_e32 v1, vcc_lo, v1
	v_cmp_gt_i32_e32 vcc_lo, 0, v3
	v_not_b32_e32 v3, v4
	s_wait_alu 0xf1ff
	v_xor_b32_e32 v75, s10, v75
	v_cmp_gt_i32_e64 s10, 0, v4
	v_and_b32_e32 v1, exec_lo, v1
	v_not_b32_e32 v4, v6
	v_ashrrev_i32_e32 v3, 31, v3
	s_wait_alu 0xfffd
	v_xor_b32_e32 v2, vcc_lo, v2
	v_cmp_gt_i32_e32 vcc_lo, 0, v6
	v_and_b32_e32 v1, v1, v75
	v_not_b32_e32 v6, v7
	v_ashrrev_i32_e32 v4, 31, v4
	s_wait_alu 0xf1ff
	v_xor_b32_e32 v3, s10, v3
	v_cmp_gt_i32_e64 s10, 0, v7
	v_and_b32_e32 v1, v1, v2
	v_not_b32_e32 v2, v74
	v_ashrrev_i32_e32 v6, 31, v6
	s_wait_alu 0xfffd
	v_xor_b32_e32 v4, vcc_lo, v4
	v_cmp_gt_i32_e32 vcc_lo, 0, v74
	v_and_b32_e32 v1, v1, v3
	v_not_b32_e32 v3, v5
	v_ashrrev_i32_e32 v2, 31, v2
	s_wait_alu 0xf1ff
	v_xor_b32_e32 v6, s10, v6
	v_cmp_gt_i32_e64 s10, 0, v5
	v_and_b32_e32 v1, v1, v4
	v_ashrrev_i32_e32 v3, 31, v3
	s_wait_alu 0xfffd
	v_xor_b32_e32 v2, vcc_lo, v2
	v_lshl_add_u32 v75, v0, 2, v72
	v_and_b32_e32 v1, v1, v6
	s_wait_alu 0xf1ff
	v_xor_b32_e32 v0, s10, v3
	ds_load_b32 v74, v75 offset:4
	v_and_b32_e32 v1, v1, v2
	; wave barrier
	s_delay_alu instid0(VALU_DEP_1) | instskip(NEXT) | instid1(VALU_DEP_1)
	v_and_b32_e32 v0, v1, v0
	v_mbcnt_lo_u32_b32 v78, v0, 0
	v_cmp_ne_u32_e64 s10, 0, v0
	s_delay_alu instid0(VALU_DEP_2)
	v_cmp_eq_u32_e32 vcc_lo, 0, v78
	s_and_b32 s26, s10, vcc_lo
	s_wait_alu 0xfffe
	s_and_saveexec_b32 s10, s26
	s_cbranch_execz .LBB198_45
; %bb.44:                               ;   in Loop: Header=BB198_37 Depth=1
	s_wait_dscnt 0x0
	v_bcnt_u32_b32 v0, v0, v74
	ds_store_b32 v75, v0 offset:4
.LBB198_45:                             ;   in Loop: Header=BB198_37 Depth=1
	s_wait_alu 0xfffe
	s_or_b32 exec_lo, exec_lo, s10
	; wave barrier
	; wave barrier
	s_wait_loadcnt_dscnt 0x0
	global_inv scope:SCOPE_SE
	ds_load_2addr_b32 v[6:7], v57 offset0:1 offset1:2
	ds_load_2addr_b32 v[4:5], v57 offset0:3 offset1:4
	ds_load_2addr_b32 v[2:3], v57 offset0:5 offset1:6
	ds_load_2addr_b32 v[0:1], v57 offset0:7 offset1:8
	s_wait_dscnt 0x3
	v_add_nc_u32_e32 v76, v7, v6
	s_wait_dscnt 0x2
	s_delay_alu instid0(VALU_DEP_1) | instskip(SKIP_1) | instid1(VALU_DEP_1)
	v_add3_u32 v76, v76, v4, v5
	s_wait_dscnt 0x1
	v_add3_u32 v76, v76, v2, v3
	s_wait_dscnt 0x0
	s_delay_alu instid0(VALU_DEP_1) | instskip(NEXT) | instid1(VALU_DEP_1)
	v_add3_u32 v1, v76, v0, v1
	v_mov_b32_dpp v76, v1 row_shr:1 row_mask:0xf bank_mask:0xf
	s_delay_alu instid0(VALU_DEP_1) | instskip(NEXT) | instid1(VALU_DEP_1)
	v_cndmask_b32_e64 v76, v76, 0, s1
	v_add_nc_u32_e32 v1, v76, v1
	s_delay_alu instid0(VALU_DEP_1) | instskip(NEXT) | instid1(VALU_DEP_1)
	v_mov_b32_dpp v76, v1 row_shr:2 row_mask:0xf bank_mask:0xf
	v_cndmask_b32_e64 v76, 0, v76, s6
	s_delay_alu instid0(VALU_DEP_1) | instskip(NEXT) | instid1(VALU_DEP_1)
	v_add_nc_u32_e32 v1, v1, v76
	v_mov_b32_dpp v76, v1 row_shr:4 row_mask:0xf bank_mask:0xf
	s_delay_alu instid0(VALU_DEP_1) | instskip(NEXT) | instid1(VALU_DEP_1)
	v_cndmask_b32_e64 v76, 0, v76, s7
	v_add_nc_u32_e32 v1, v1, v76
	s_delay_alu instid0(VALU_DEP_1) | instskip(NEXT) | instid1(VALU_DEP_1)
	v_mov_b32_dpp v76, v1 row_shr:8 row_mask:0xf bank_mask:0xf
	v_cndmask_b32_e64 v76, 0, v76, s8
	s_delay_alu instid0(VALU_DEP_1) | instskip(SKIP_3) | instid1(VALU_DEP_1)
	v_add_nc_u32_e32 v1, v1, v76
	ds_swizzle_b32 v76, v1 offset:swizzle(BROADCAST,32,15)
	s_wait_dscnt 0x0
	v_cndmask_b32_e64 v76, v76, 0, s9
	v_add_nc_u32_e32 v1, v1, v76
	s_and_saveexec_b32 s10, s0
; %bb.46:                               ;   in Loop: Header=BB198_37 Depth=1
	ds_store_b32 v73, v1
; %bb.47:                               ;   in Loop: Header=BB198_37 Depth=1
	s_wait_alu 0xfffe
	s_or_b32 exec_lo, exec_lo, s10
	ds_bpermute_b32 v1, v70, v1
	; wave barrier
	s_wait_loadcnt_dscnt 0x0
	global_inv scope:SCOPE_SE
	v_cmp_lt_u32_e32 vcc_lo, 55, v33
	s_mov_b32 s10, -1
	s_and_b32 vcc_lo, exec_lo, vcc_lo
	v_cndmask_b32_e64 v1, v1, 0, s24
	s_delay_alu instid0(VALU_DEP_1) | instskip(NEXT) | instid1(VALU_DEP_1)
	v_add_nc_u32_e32 v6, v1, v6
	v_add_nc_u32_e32 v7, v6, v7
	s_delay_alu instid0(VALU_DEP_1) | instskip(NEXT) | instid1(VALU_DEP_1)
	v_add_nc_u32_e32 v4, v7, v4
	v_add_nc_u32_e32 v5, v4, v5
	;; [unrolled: 3-line block ×3, first 2 shown]
	s_delay_alu instid0(VALU_DEP_1)
	v_add_nc_u32_e32 v0, v3, v0
	ds_store_2addr_b32 v57, v1, v6 offset0:1 offset1:2
	ds_store_2addr_b32 v57, v7, v4 offset0:3 offset1:4
	;; [unrolled: 1-line block ×4, first 2 shown]
	; wave barrier
	s_wait_loadcnt_dscnt 0x0
	global_inv scope:SCOPE_SE
	ds_load_b32 v0, v25 offset:4
	ds_load_b32 v1, v27 offset:4
	;; [unrolled: 1-line block ×4, first 2 shown]
                                        ; implicit-def: $vgpr6_vgpr7
	s_wait_dscnt 0x3
	v_add_nc_u32_e32 v77, v0, v24
	s_wait_dscnt 0x2
	v_add3_u32 v76, v28, v26, v1
	s_wait_dscnt 0x1
	v_add3_u32 v75, v31, v29, v2
	;; [unrolled: 2-line block ×3, first 2 shown]
                                        ; implicit-def: $vgpr2_vgpr3
                                        ; implicit-def: $vgpr30_vgpr31
                                        ; implicit-def: $vgpr26_vgpr27
	s_wait_alu 0xfffe
	s_cbranch_vccnz .LBB198_36
; %bb.48:                               ;   in Loop: Header=BB198_37 Depth=1
	v_lshlrev_b32_e32 v24, 3, v77
	v_lshlrev_b32_e32 v25, 3, v76
	;; [unrolled: 1-line block ×4, first 2 shown]
	s_wait_loadcnt 0x0
	; wave barrier
	global_inv scope:SCOPE_SE
	ds_store_b64 v24, v[35:36]
	ds_store_b64 v25, v[49:50]
	;; [unrolled: 1-line block ×4, first 2 shown]
	; wave barrier
	s_wait_loadcnt_dscnt 0x0
	global_inv scope:SCOPE_SE
	ds_load_2addr_b64 v[0:3], v71 offset1:32
	ds_load_2addr_b64 v[4:7], v71 offset0:64 offset1:96
	; wave barrier
	s_wait_loadcnt_dscnt 0x0
	global_inv scope:SCOPE_SE
	ds_store_b64 v24, v[43:44]
	ds_store_b64 v25, v[41:42]
	;; [unrolled: 1-line block ×4, first 2 shown]
	; wave barrier
	s_wait_loadcnt_dscnt 0x0
	global_inv scope:SCOPE_SE
	ds_load_2addr_b64 v[24:27], v71 offset1:32
	ds_load_2addr_b64 v[28:31], v71 offset0:64 offset1:96
	v_add_co_u32 v33, vcc_lo, v33, 8
	s_wait_alu 0xfffd
	v_add_co_ci_u32_e64 v34, null, 0, v34, vcc_lo
	s_add_co_i32 s25, s25, -8
	s_mov_b32 s10, 0
	; wave barrier
	s_wait_loadcnt_dscnt 0x0
	global_inv scope:SCOPE_SE
	s_branch .LBB198_36
.LBB198_49:
                                        ; implicit-def: $vgpr33
                                        ; implicit-def: $vgpr0_vgpr1_vgpr2_vgpr3_vgpr4_vgpr5_vgpr6_vgpr7
	s_and_b32 vcc_lo, exec_lo, s9
	s_wait_alu 0xfffe
	s_cbranch_vccnz .LBB198_51
	s_branch .LBB198_66
.LBB198_50:
	v_lshlrev_b32_e32 v24, 3, v77
	v_lshlrev_b32_e32 v26, 3, v75
	;; [unrolled: 1-line block ×5, first 2 shown]
	s_wait_loadcnt 0x0
	; wave barrier
	global_inv scope:SCOPE_SE
	ds_store_b64 v24, v[35:36]
	ds_store_b64 v25, v[49:50]
	;; [unrolled: 1-line block ×4, first 2 shown]
	; wave barrier
	s_wait_loadcnt_dscnt 0x0
	global_inv scope:SCOPE_SE
	ds_load_b128 v[0:3], v33
	ds_load_b128 v[4:7], v33 offset:16
	; wave barrier
	s_wait_loadcnt_dscnt 0x0
	global_inv scope:SCOPE_SE
	ds_store_b64 v24, v[43:44]
	ds_store_b64 v25, v[41:42]
	;; [unrolled: 1-line block ×4, first 2 shown]
	; wave barrier
	s_wait_loadcnt_dscnt 0x0
	global_inv scope:SCOPE_SE
	v_cmp_lt_i64_e32 vcc_lo, -1, v[0:1]
	v_ashrrev_i32_e32 v25, 31, v1
	v_ashrrev_i32_e32 v28, 31, v3
	;; [unrolled: 1-line block ×4, first 2 shown]
	s_wait_alu 0xfffd
	v_cndmask_b32_e64 v24, 0x80000000, -1, vcc_lo
	v_cmp_lt_i64_e32 vcc_lo, -1, v[2:3]
	v_not_b32_e32 v25, v25
	s_delay_alu instid0(VALU_DEP_3)
	v_xor_b32_e32 v1, v24, v1
	v_not_b32_e32 v24, v28
	s_wait_alu 0xfffd
	v_cndmask_b32_e64 v26, 0x80000000, -1, vcc_lo
	v_cmp_lt_i64_e32 vcc_lo, -1, v[4:5]
	v_xor_b32_e32 v0, v25, v0
	v_not_b32_e32 v28, v31
	v_xor_b32_e32 v2, v24, v2
	v_xor_b32_e32 v3, v26, v3
	v_not_b32_e32 v26, v30
	s_wait_alu 0xfffd
	v_cndmask_b32_e64 v29, 0x80000000, -1, vcc_lo
	v_cmp_lt_i64_e32 vcc_lo, -1, v[6:7]
	v_xor_b32_e32 v6, v28, v6
	v_xor_b32_e32 v4, v26, v4
	s_delay_alu instid0(VALU_DEP_4) | instskip(SKIP_2) | instid1(VALU_DEP_1)
	v_xor_b32_e32 v5, v29, v5
	s_wait_alu 0xfffd
	v_cndmask_b32_e64 v25, 0x80000000, -1, vcc_lo
	v_xor_b32_e32 v7, v25, v7
	s_branch .LBB198_66
.LBB198_51:
	v_cmp_gt_i64_e32 vcc_lo, 0, v[20:21]
	v_not_b32_e32 v1, v69
	v_not_b32_e32 v3, v68
	v_cmp_gt_i64_e64 s0, 0, v[18:19]
	v_cmp_eq_u32_e64 s1, 2, v65
	v_cmp_eq_u32_e64 s6, 3, v65
	s_wait_alu 0xfffd
	v_cndmask_b32_e64 v0, 0x7fffffff, 0, vcc_lo
	v_cmp_gt_i64_e32 vcc_lo, 0, v[22:23]
	v_xor_b32_e32 v1, v1, v20
	v_xor_b32_e32 v4, v3, v22
	v_not_b32_e32 v3, v67
	v_xor_b32_e32 v0, v0, v21
	v_cndmask_b32_e64 v22, 0x7fffffff, 0, s0
	s_wait_alu 0xfffd
	v_cndmask_b32_e64 v2, 0x7fffffff, 0, vcc_lo
	v_cmp_gt_i64_e32 vcc_lo, 0, v[16:17]
	ds_bpermute_b32 v5, v64, v1
	ds_bpermute_b32 v6, v64, v0
	v_xor_b32_e32 v16, v3, v16
	v_xor_b32_e32 v2, v2, v23
	ds_bpermute_b32 v20, v64, v4
	s_wait_alu 0xfffd
	v_cndmask_b32_e64 v7, 0x7fffffff, 0, vcc_lo
	v_cmp_eq_u32_e32 vcc_lo, 0, v65
	v_cmp_eq_u32_e64 s0, 1, v65
	ds_bpermute_b32 v3, v64, v2
	v_xor_b32_e32 v19, v22, v19
	v_xor_b32_e32 v7, v7, v17
	v_not_b32_e32 v23, v66
	ds_bpermute_b32 v22, v64, v0 offset:32
	ds_bpermute_b32 v36, v64, v1 offset:96
	ds_bpermute_b32 v17, v64, v16
	ds_bpermute_b32 v21, v64, v7
	v_xor_b32_e32 v18, v23, v18
	ds_bpermute_b32 v23, v64, v0 offset:64
	ds_bpermute_b32 v24, v64, v1 offset:32
	;; [unrolled: 1-line block ×3, first 2 shown]
	s_wait_dscnt 0x9
	s_wait_alu 0xfffd
	v_dual_cndmask_b32 v5, 0, v5 :: v_dual_cndmask_b32 v6, 0, v6
	ds_bpermute_b32 v28, v64, v16 offset:32
	ds_bpermute_b32 v29, v64, v4 offset:64
	ds_bpermute_b32 v25, v64, v18
	s_wait_dscnt 0xb
	s_wait_alu 0xf1ff
	v_cndmask_b32_e64 v5, v5, v20, s0
	ds_bpermute_b32 v20, v64, v2 offset:32
	ds_bpermute_b32 v27, v64, v7 offset:32
	s_wait_dscnt 0xc
	v_cndmask_b32_e64 v3, v6, v3, s0
	ds_bpermute_b32 v6, v64, v19
	ds_bpermute_b32 v30, v64, v7 offset:64
	ds_bpermute_b32 v33, v64, v18 offset:32
	s_wait_dscnt 0xe
	v_cndmask_b32_e32 v22, 0, v22, vcc_lo
	ds_bpermute_b32 v34, v64, v16 offset:64
	s_wait_dscnt 0xd
	v_cndmask_b32_e64 v5, v5, v17, s1
	s_wait_dscnt 0xc
	v_cndmask_b32_e64 v3, v3, v21, s1
	ds_bpermute_b32 v21, v64, v1 offset:64
	ds_bpermute_b32 v17, v64, v4 offset:32
	;; [unrolled: 1-line block ×7, first 2 shown]
	; wave barrier
	s_wait_loadcnt_dscnt 0x0
	global_inv scope:SCOPE_SE
	s_load_b32 s7, s[20:21], 0xc
	v_cmp_eq_u32_e64 s8, 0, v61
	v_cmp_eq_u32_e64 s9, 31, v32
	v_mov_b32_e32 v38, 0
	v_cndmask_b32_e64 v1, v3, v6, s6
	ds_bpermute_b32 v6, v64, v0 offset:96
	v_dual_cndmask_b32 v0, 0, v23 :: v_dual_cndmask_b32 v23, 0, v36
	v_cndmask_b32_e64 v3, v22, v20, s0
	ds_bpermute_b32 v22, v64, v13
	ds_bpermute_b32 v36, v64, v8 offset:32
	v_cndmask_b32_e32 v20, 0, v21, vcc_lo
	ds_bpermute_b32 v21, v64, v2 offset:96
	v_cndmask_b32_e64 v2, v0, v26, s0
	v_cndmask_b32_e64 v3, v3, v27, s1
	v_cndmask_b32_e64 v0, v5, v25, s6
	v_cndmask_b32_e64 v20, v20, v29, s0
	ds_bpermute_b32 v25, v64, v4 offset:96
	v_cndmask_b32_e64 v5, v2, v30, s1
	ds_bpermute_b32 v26, v64, v15
	ds_bpermute_b32 v27, v64, v14
	;; [unrolled: 1-line block ×3, first 2 shown]
	ds_bpermute_b32 v30, v64, v13 offset:32
	v_cndmask_b32_e64 v3, v3, v31, s6
	v_cndmask_b32_e64 v5, v5, v35, s6
	s_wait_dscnt 0x8
	v_cndmask_b32_e32 v6, 0, v6, vcc_lo
	ds_bpermute_b32 v31, v64, v14 offset:32
	ds_bpermute_b32 v35, v64, v15 offset:32
	s_mov_b32 s22, 0
	s_wait_dscnt 0x9
	v_cndmask_b32_e32 v22, 0, v22, vcc_lo
	s_brev_b32 s23, 1
	s_mov_b32 s21, 64
	s_wait_dscnt 0x7
	v_cndmask_b32_e64 v6, v6, v21, s0
	ds_bpermute_b32 v21, v64, v12 offset:32
	v_cndmask_b32_e32 v24, 0, v24, vcc_lo
	v_cndmask_b32_e64 v6, v6, v7, s1
	s_delay_alu instid0(VALU_DEP_2)
	v_cndmask_b32_e64 v17, v24, v17, s0
	ds_bpermute_b32 v24, v64, v12
	v_cndmask_b32_e64 v7, v6, v19, s6
	v_cndmask_b32_e64 v17, v17, v28, s1
	ds_bpermute_b32 v28, v64, v9
	v_cndmask_b32_e64 v2, v17, v33, s6
	v_cndmask_b32_e64 v17, v20, v34, s1
	ds_bpermute_b32 v20, v64, v18 offset:64
	ds_bpermute_b32 v18, v64, v18 offset:96
	ds_bpermute_b32 v34, v64, v10
	ds_bpermute_b32 v33, v64, v11
	s_wait_dscnt 0x5
	v_cndmask_b32_e32 v24, 0, v24, vcc_lo
	s_wait_dscnt 0x3
	v_cndmask_b32_e64 v4, v17, v20, s6
	v_cndmask_b32_e64 v17, v23, v25, s0
	;; [unrolled: 1-line block ×4, first 2 shown]
	ds_bpermute_b32 v23, v64, v13 offset:64
	ds_bpermute_b32 v24, v64, v12 offset:64
	v_cndmask_b32_e64 v16, v17, v16, s1
	v_cndmask_b32_e64 v19, v20, v28, s1
	;; [unrolled: 1-line block ×3, first 2 shown]
	ds_bpermute_b32 v13, v64, v13 offset:96
	ds_bpermute_b32 v12, v64, v12 offset:96
	s_wait_dscnt 0x6
	v_cndmask_b32_e64 v6, v16, v18, s6
	ds_bpermute_b32 v25, v64, v15 offset:64
	s_wait_dscnt 0x6
	v_cndmask_b32_e64 v16, v20, v34, s6
	ds_bpermute_b32 v20, v64, v9 offset:32
	ds_bpermute_b32 v26, v64, v14 offset:64
	;; [unrolled: 1-line block ×4, first 2 shown]
	v_cndmask_b32_e32 v17, 0, v21, vcc_lo
	v_cndmask_b32_e32 v21, 0, v30, vcc_lo
	ds_bpermute_b32 v27, v64, v9 offset:64
	ds_bpermute_b32 v28, v64, v8 offset:64
	;; [unrolled: 1-line block ×4, first 2 shown]
	v_cndmask_b32_e64 v18, v17, v31, s0
	s_wait_dscnt 0xd
	v_cndmask_b32_e64 v17, v19, v33, s6
	v_cndmask_b32_e64 v19, v21, v35, s0
	ds_bpermute_b32 v21, v64, v10 offset:32
	ds_bpermute_b32 v22, v64, v11 offset:32
	ds_bpermute_b32 v29, v64, v10 offset:64
	ds_bpermute_b32 v30, v64, v11 offset:64
	ds_bpermute_b32 v10, v64, v10 offset:96
	ds_bpermute_b32 v11, v64, v11 offset:96
	s_wait_dscnt 0x12
	v_cndmask_b32_e32 v23, 0, v23, vcc_lo
	s_wait_dscnt 0xd
	v_cndmask_b32_e64 v19, v19, v20, s1
	v_dual_cndmask_b32 v20, 0, v24 :: v_dual_cndmask_b32 v13, 0, v13
	v_cndmask_b32_e32 v12, 0, v12, vcc_lo
	v_cndmask_b32_e64 v23, v23, v25, s0
	v_cndmask_b32_e64 v18, v18, v36, s1
	s_wait_dscnt 0xc
	v_cndmask_b32_e64 v20, v20, v26, s0
	s_wait_dscnt 0xb
	;; [unrolled: 2-line block ×4, first 2 shown]
	v_cndmask_b32_e64 v14, v23, v27, s1
	v_lshlrev_b32_e32 v36, 3, v59
	s_wait_dscnt 0x8
	v_cndmask_b32_e64 v15, v20, v28, s1
	s_wait_dscnt 0x7
	v_cndmask_b32_e64 v13, v13, v9, s1
	;; [unrolled: 2-line block ×3, first 2 shown]
	s_getpc_b64 s[0:1]
	s_wait_alu 0xfffe
	s_sext_i32_i16 s1, s1
	s_add_co_u32 s0, s0, _ZN7rocprim17ROCPRIM_400000_NS16block_radix_sortIdLj32ELj4ElLj1ELj1ELj0ELNS0_26block_radix_rank_algorithmE1ELNS0_18block_padding_hintE2ELNS0_4arch9wavefront6targetE0EE19radix_bits_per_passE@rel32@lo+12
	s_wait_alu 0xfffe
	s_add_co_ci_u32 s1, s1, _ZN7rocprim17ROCPRIM_400000_NS16block_radix_sortIdLj32ELj4ElLj1ELj1ELj0ELNS0_26block_radix_rank_algorithmE1ELNS0_18block_padding_hintE2ELNS0_4arch9wavefront6targetE0EE19radix_bits_per_passE@rel32@hi+24
	s_wait_dscnt 0x4
	v_cndmask_b32_e64 v19, v19, v22, s6
	v_cndmask_b32_e64 v18, v18, v21, s6
	s_wait_dscnt 0x2
	v_cndmask_b32_e64 v9, v14, v30, s6
	v_cndmask_b32_e64 v8, v15, v29, s6
	;; [unrolled: 3-line block ×3, first 2 shown]
	s_wait_kmcnt 0x0
	s_lshr_b32 s6, s7, 16
	s_load_b32 s11, s[0:1], 0x0
	v_mad_u32_u24 v12, v63, s6, v62
	s_and_b32 s0, s7, 0xffff
	v_sub_co_u32 v14, s10, v58, 1
	v_cmp_lt_u32_e64 s1, 1, v60
	s_wait_alu 0xfffe
	v_mad_co_u64_u32 v[12:13], null, v12, s0, v[32:33]
	s_delay_alu instid0(VALU_DEP_3)
	v_cmp_gt_i32_e32 vcc_lo, 0, v14
	v_cmp_eq_u32_e64 s0, 0, v60
	v_cmp_lt_u32_e64 s6, 3, v60
	v_cmp_lt_u32_e64 s7, 7, v60
	s_wait_alu 0xfffd
	v_cndmask_b32_e32 v13, v14, v58, vcc_lo
	v_lshrrev_b32_e32 v12, 3, v12
	v_cmp_eq_u32_e32 vcc_lo, 0, v32
	s_delay_alu instid0(VALU_DEP_3) | instskip(NEXT) | instid1(VALU_DEP_3)
	v_lshlrev_b32_e32 v35, 2, v13
	v_dual_mov_b32 v12, 0 :: v_dual_and_b32 v37, 0x1ffffffc, v12
	v_mov_b32_e32 v13, 0
	s_or_b32 s20, vcc_lo, s10
	s_branch .LBB198_53
.LBB198_52:                             ;   in Loop: Header=BB198_53 Depth=1
	s_wait_alu 0xfffe
	s_and_not1_b32 vcc_lo, exec_lo, s10
	s_wait_alu 0xfffe
	s_cbranch_vccz .LBB198_65
.LBB198_53:                             ; =>This Inner Loop Header: Depth=1
	v_dual_mov_b32 v15, v1 :: v_dual_mov_b32 v14, v0
	s_wait_kmcnt 0x0
	s_min_u32 s10, s11, s21
	v_mov_b32_e32 v29, v7
	s_wait_alu 0xfffe
	s_lshl_b32 s10, -1, s10
	ds_store_2addr_b32 v57, v38, v38 offset0:1 offset1:2
	ds_store_2addr_b32 v57, v38, v38 offset0:3 offset1:4
	;; [unrolled: 1-line block ×4, first 2 shown]
	v_cmp_ne_u64_e32 vcc_lo, s[22:23], v[14:15]
	s_wait_alu 0xfffe
	s_not_b32 s24, s10
	; wave barrier
	s_wait_loadcnt_dscnt 0x0
	global_inv scope:SCOPE_SE
	; wave barrier
	s_wait_alu 0xfffd
	v_cndmask_b32_e32 v1, 0x7fffffff, v15, vcc_lo
	v_cndmask_b32_e32 v0, -1, v14, vcc_lo
	v_dual_mov_b32 v28, v6 :: v_dual_mov_b32 v31, v5
	v_mov_b32_e32 v30, v4
	v_mov_b32_e32 v34, v3
	s_delay_alu instid0(VALU_DEP_4) | instskip(SKIP_2) | instid1(VALU_DEP_2)
	v_lshrrev_b64 v[0:1], v12, v[0:1]
	v_mov_b32_e32 v33, v2
	s_wait_alu 0xfffe
	v_and_b32_e32 v1, s24, v0
	s_delay_alu instid0(VALU_DEP_1)
	v_and_b32_e32 v0, 1, v1
	v_lshlrev_b32_e32 v20, 30, v1
	v_lshlrev_b32_e32 v21, 29, v1
	;; [unrolled: 1-line block ×4, first 2 shown]
	v_add_co_u32 v0, s10, v0, -1
	s_wait_alu 0xf1ff
	v_cndmask_b32_e64 v23, 0, 1, s10
	v_not_b32_e32 v27, v20
	v_cmp_gt_i32_e64 s10, 0, v20
	v_not_b32_e32 v20, v21
	v_lshlrev_b32_e32 v25, 26, v1
	v_cmp_ne_u32_e32 vcc_lo, 0, v23
	v_lshlrev_b32_e32 v23, 24, v1
	v_lshlrev_b32_e32 v26, 25, v1
	v_ashrrev_i32_e32 v27, 31, v27
	v_ashrrev_i32_e32 v20, 31, v20
	s_wait_alu 0xfffd
	v_xor_b32_e32 v0, vcc_lo, v0
	v_cmp_gt_i32_e32 vcc_lo, 0, v21
	v_not_b32_e32 v21, v22
	s_wait_alu 0xf1ff
	v_xor_b32_e32 v27, s10, v27
	v_cmp_gt_i32_e64 s10, 0, v22
	v_and_b32_e32 v0, exec_lo, v0
	v_not_b32_e32 v22, v24
	v_ashrrev_i32_e32 v21, 31, v21
	s_wait_alu 0xfffd
	v_xor_b32_e32 v20, vcc_lo, v20
	v_cmp_gt_i32_e32 vcc_lo, 0, v24
	v_and_b32_e32 v0, v0, v27
	v_not_b32_e32 v24, v25
	v_ashrrev_i32_e32 v22, 31, v22
	s_wait_alu 0xf1ff
	v_xor_b32_e32 v21, s10, v21
	v_cmp_gt_i32_e64 s10, 0, v25
	v_and_b32_e32 v0, v0, v20
	v_ashrrev_i32_e32 v24, 31, v24
	s_wait_alu 0xfffd
	v_xor_b32_e32 v22, vcc_lo, v22
	s_delay_alu instid0(VALU_DEP_3)
	v_and_b32_e32 v0, v0, v21
	s_wait_alu 0xf1ff
	v_xor_b32_e32 v24, s10, v24
	v_not_b32_e32 v21, v23
	v_cmp_gt_i32_e64 s10, 0, v23
	v_dual_mov_b32 v23, v9 :: v_dual_and_b32 v0, v0, v22
	s_delay_alu instid0(VALU_DEP_3) | instskip(SKIP_2) | instid1(VALU_DEP_4)
	v_ashrrev_i32_e32 v21, 31, v21
	v_mov_b32_e32 v22, v8
	v_lshl_add_u32 v9, v1, 2, v37
	v_dual_mov_b32 v25, v19 :: v_dual_and_b32 v0, v0, v24
	v_not_b32_e32 v20, v26
	v_cmp_gt_i32_e32 vcc_lo, 0, v26
	s_wait_alu 0xf1ff
	v_xor_b32_e32 v21, s10, v21
	v_dual_mov_b32 v27, v17 :: v_dual_mov_b32 v24, v18
	v_ashrrev_i32_e32 v20, 31, v20
	v_mov_b32_e32 v26, v16
	s_wait_alu 0xfffd
	s_delay_alu instid0(VALU_DEP_2) | instskip(NEXT) | instid1(VALU_DEP_1)
	v_xor_b32_e32 v20, vcc_lo, v20
	v_and_b32_e32 v0, v0, v20
	s_delay_alu instid0(VALU_DEP_1) | instskip(SKIP_1) | instid1(VALU_DEP_2)
	v_dual_mov_b32 v21, v11 :: v_dual_and_b32 v0, v0, v21
	v_mov_b32_e32 v20, v10
	v_mbcnt_lo_u32_b32 v8, v0, 0
	v_cmp_ne_u32_e64 s10, 0, v0
	s_delay_alu instid0(VALU_DEP_2)
	v_cmp_eq_u32_e32 vcc_lo, 0, v8
	s_and_b32 s25, s10, vcc_lo
	s_wait_alu 0xfffe
	s_and_saveexec_b32 s10, s25
; %bb.54:                               ;   in Loop: Header=BB198_53 Depth=1
	v_bcnt_u32_b32 v0, v0, 0
	ds_store_b32 v9, v0 offset:4
; %bb.55:                               ;   in Loop: Header=BB198_53 Depth=1
	s_wait_alu 0xfffe
	s_or_b32 exec_lo, exec_lo, s10
	v_cmp_ne_u64_e32 vcc_lo, s[22:23], v[33:34]
	; wave barrier
	s_wait_alu 0xfffd
	v_cndmask_b32_e32 v1, 0x7fffffff, v34, vcc_lo
	v_cndmask_b32_e32 v0, -1, v33, vcc_lo
	s_delay_alu instid0(VALU_DEP_1) | instskip(NEXT) | instid1(VALU_DEP_1)
	v_lshrrev_b64 v[0:1], v12, v[0:1]
	v_and_b32_e32 v0, s24, v0
	s_delay_alu instid0(VALU_DEP_1)
	v_and_b32_e32 v1, 1, v0
	v_lshlrev_b32_e32 v2, 30, v0
	v_lshlrev_b32_e32 v3, 29, v0
	;; [unrolled: 1-line block ×4, first 2 shown]
	v_add_co_u32 v1, s10, v1, -1
	s_wait_alu 0xf1ff
	v_cndmask_b32_e64 v5, 0, 1, s10
	v_not_b32_e32 v11, v2
	v_cmp_gt_i32_e64 s10, 0, v2
	v_not_b32_e32 v2, v3
	v_lshlrev_b32_e32 v7, 26, v0
	v_cmp_ne_u32_e32 vcc_lo, 0, v5
	v_ashrrev_i32_e32 v11, 31, v11
	v_lshlrev_b32_e32 v10, 25, v0
	v_ashrrev_i32_e32 v2, 31, v2
	v_lshlrev_b32_e32 v5, 24, v0
	s_wait_alu 0xfffd
	v_xor_b32_e32 v1, vcc_lo, v1
	v_cmp_gt_i32_e32 vcc_lo, 0, v3
	v_not_b32_e32 v3, v4
	s_wait_alu 0xf1ff
	v_xor_b32_e32 v11, s10, v11
	v_cmp_gt_i32_e64 s10, 0, v4
	v_and_b32_e32 v1, exec_lo, v1
	v_not_b32_e32 v4, v6
	v_ashrrev_i32_e32 v3, 31, v3
	s_wait_alu 0xfffd
	v_xor_b32_e32 v2, vcc_lo, v2
	v_cmp_gt_i32_e32 vcc_lo, 0, v6
	v_and_b32_e32 v1, v1, v11
	v_not_b32_e32 v6, v7
	v_ashrrev_i32_e32 v4, 31, v4
	s_wait_alu 0xf1ff
	v_xor_b32_e32 v3, s10, v3
	v_cmp_gt_i32_e64 s10, 0, v7
	v_and_b32_e32 v1, v1, v2
	v_not_b32_e32 v2, v10
	v_ashrrev_i32_e32 v6, 31, v6
	s_wait_alu 0xfffd
	v_xor_b32_e32 v4, vcc_lo, v4
	v_cmp_gt_i32_e32 vcc_lo, 0, v10
	v_and_b32_e32 v1, v1, v3
	v_not_b32_e32 v3, v5
	v_ashrrev_i32_e32 v2, 31, v2
	s_wait_alu 0xf1ff
	v_xor_b32_e32 v6, s10, v6
	v_cmp_gt_i32_e64 s10, 0, v5
	v_and_b32_e32 v1, v1, v4
	v_ashrrev_i32_e32 v3, 31, v3
	s_wait_alu 0xfffd
	v_xor_b32_e32 v2, vcc_lo, v2
	v_lshl_add_u32 v11, v0, 2, v37
	v_and_b32_e32 v1, v1, v6
	s_wait_alu 0xf1ff
	v_xor_b32_e32 v0, s10, v3
	ds_load_b32 v10, v11 offset:4
	v_and_b32_e32 v1, v1, v2
	; wave barrier
	s_delay_alu instid0(VALU_DEP_1) | instskip(NEXT) | instid1(VALU_DEP_1)
	v_and_b32_e32 v0, v1, v0
	v_mbcnt_lo_u32_b32 v16, v0, 0
	v_cmp_ne_u32_e64 s10, 0, v0
	s_delay_alu instid0(VALU_DEP_2)
	v_cmp_eq_u32_e32 vcc_lo, 0, v16
	s_and_b32 s25, s10, vcc_lo
	s_wait_alu 0xfffe
	s_and_saveexec_b32 s10, s25
	s_cbranch_execz .LBB198_57
; %bb.56:                               ;   in Loop: Header=BB198_53 Depth=1
	s_wait_dscnt 0x0
	v_bcnt_u32_b32 v0, v0, v10
	ds_store_b32 v11, v0 offset:4
.LBB198_57:                             ;   in Loop: Header=BB198_53 Depth=1
	s_wait_alu 0xfffe
	s_or_b32 exec_lo, exec_lo, s10
	v_cmp_ne_u64_e32 vcc_lo, s[22:23], v[30:31]
	; wave barrier
	s_wait_alu 0xfffd
	v_cndmask_b32_e32 v1, 0x7fffffff, v31, vcc_lo
	v_cndmask_b32_e32 v0, -1, v30, vcc_lo
	s_delay_alu instid0(VALU_DEP_1) | instskip(NEXT) | instid1(VALU_DEP_1)
	v_lshrrev_b64 v[0:1], v12, v[0:1]
	v_and_b32_e32 v0, s24, v0
	s_delay_alu instid0(VALU_DEP_1)
	v_and_b32_e32 v1, 1, v0
	v_lshlrev_b32_e32 v2, 30, v0
	v_lshlrev_b32_e32 v3, 29, v0
	;; [unrolled: 1-line block ×4, first 2 shown]
	v_add_co_u32 v1, s10, v1, -1
	s_wait_alu 0xf1ff
	v_cndmask_b32_e64 v5, 0, 1, s10
	v_not_b32_e32 v18, v2
	v_cmp_gt_i32_e64 s10, 0, v2
	v_not_b32_e32 v2, v3
	v_lshlrev_b32_e32 v7, 26, v0
	v_cmp_ne_u32_e32 vcc_lo, 0, v5
	v_ashrrev_i32_e32 v18, 31, v18
	v_lshlrev_b32_e32 v17, 25, v0
	v_ashrrev_i32_e32 v2, 31, v2
	v_lshlrev_b32_e32 v5, 24, v0
	s_wait_alu 0xfffd
	v_xor_b32_e32 v1, vcc_lo, v1
	v_cmp_gt_i32_e32 vcc_lo, 0, v3
	v_not_b32_e32 v3, v4
	s_wait_alu 0xf1ff
	v_xor_b32_e32 v18, s10, v18
	v_cmp_gt_i32_e64 s10, 0, v4
	v_and_b32_e32 v1, exec_lo, v1
	v_not_b32_e32 v4, v6
	v_ashrrev_i32_e32 v3, 31, v3
	s_wait_alu 0xfffd
	v_xor_b32_e32 v2, vcc_lo, v2
	v_cmp_gt_i32_e32 vcc_lo, 0, v6
	v_and_b32_e32 v1, v1, v18
	v_not_b32_e32 v6, v7
	v_ashrrev_i32_e32 v4, 31, v4
	s_wait_alu 0xf1ff
	v_xor_b32_e32 v3, s10, v3
	v_cmp_gt_i32_e64 s10, 0, v7
	v_and_b32_e32 v1, v1, v2
	v_not_b32_e32 v2, v17
	v_ashrrev_i32_e32 v6, 31, v6
	s_wait_alu 0xfffd
	v_xor_b32_e32 v4, vcc_lo, v4
	v_cmp_gt_i32_e32 vcc_lo, 0, v17
	v_and_b32_e32 v1, v1, v3
	v_not_b32_e32 v3, v5
	v_ashrrev_i32_e32 v2, 31, v2
	s_wait_alu 0xf1ff
	v_xor_b32_e32 v6, s10, v6
	v_cmp_gt_i32_e64 s10, 0, v5
	v_and_b32_e32 v1, v1, v4
	v_ashrrev_i32_e32 v3, 31, v3
	s_wait_alu 0xfffd
	v_xor_b32_e32 v2, vcc_lo, v2
	v_lshl_add_u32 v18, v0, 2, v37
	v_and_b32_e32 v1, v1, v6
	s_wait_alu 0xf1ff
	v_xor_b32_e32 v0, s10, v3
	ds_load_b32 v17, v18 offset:4
	v_and_b32_e32 v1, v1, v2
	; wave barrier
	s_delay_alu instid0(VALU_DEP_1) | instskip(NEXT) | instid1(VALU_DEP_1)
	v_and_b32_e32 v0, v1, v0
	v_mbcnt_lo_u32_b32 v19, v0, 0
	v_cmp_ne_u32_e64 s10, 0, v0
	s_delay_alu instid0(VALU_DEP_2)
	v_cmp_eq_u32_e32 vcc_lo, 0, v19
	s_and_b32 s25, s10, vcc_lo
	s_wait_alu 0xfffe
	s_and_saveexec_b32 s10, s25
	s_cbranch_execz .LBB198_59
; %bb.58:                               ;   in Loop: Header=BB198_53 Depth=1
	s_wait_dscnt 0x0
	v_bcnt_u32_b32 v0, v0, v17
	ds_store_b32 v18, v0 offset:4
.LBB198_59:                             ;   in Loop: Header=BB198_53 Depth=1
	s_wait_alu 0xfffe
	s_or_b32 exec_lo, exec_lo, s10
	v_cmp_ne_u64_e32 vcc_lo, s[22:23], v[28:29]
	; wave barrier
	s_wait_alu 0xfffd
	v_cndmask_b32_e32 v1, 0x7fffffff, v29, vcc_lo
	v_cndmask_b32_e32 v0, -1, v28, vcc_lo
	s_delay_alu instid0(VALU_DEP_1) | instskip(NEXT) | instid1(VALU_DEP_1)
	v_lshrrev_b64 v[0:1], v12, v[0:1]
	v_and_b32_e32 v0, s24, v0
	s_delay_alu instid0(VALU_DEP_1)
	v_and_b32_e32 v1, 1, v0
	v_lshlrev_b32_e32 v2, 30, v0
	v_lshlrev_b32_e32 v3, 29, v0
	;; [unrolled: 1-line block ×4, first 2 shown]
	v_add_co_u32 v1, s10, v1, -1
	s_wait_alu 0xf1ff
	v_cndmask_b32_e64 v5, 0, 1, s10
	v_not_b32_e32 v40, v2
	v_cmp_gt_i32_e64 s10, 0, v2
	v_not_b32_e32 v2, v3
	v_lshlrev_b32_e32 v7, 26, v0
	v_cmp_ne_u32_e32 vcc_lo, 0, v5
	v_ashrrev_i32_e32 v40, 31, v40
	v_lshlrev_b32_e32 v39, 25, v0
	v_ashrrev_i32_e32 v2, 31, v2
	v_lshlrev_b32_e32 v5, 24, v0
	s_wait_alu 0xfffd
	v_xor_b32_e32 v1, vcc_lo, v1
	v_cmp_gt_i32_e32 vcc_lo, 0, v3
	v_not_b32_e32 v3, v4
	s_wait_alu 0xf1ff
	v_xor_b32_e32 v40, s10, v40
	v_cmp_gt_i32_e64 s10, 0, v4
	v_and_b32_e32 v1, exec_lo, v1
	v_not_b32_e32 v4, v6
	v_ashrrev_i32_e32 v3, 31, v3
	s_wait_alu 0xfffd
	v_xor_b32_e32 v2, vcc_lo, v2
	v_cmp_gt_i32_e32 vcc_lo, 0, v6
	v_and_b32_e32 v1, v1, v40
	v_not_b32_e32 v6, v7
	v_ashrrev_i32_e32 v4, 31, v4
	s_wait_alu 0xf1ff
	v_xor_b32_e32 v3, s10, v3
	v_cmp_gt_i32_e64 s10, 0, v7
	v_and_b32_e32 v1, v1, v2
	v_not_b32_e32 v2, v39
	v_ashrrev_i32_e32 v6, 31, v6
	s_wait_alu 0xfffd
	v_xor_b32_e32 v4, vcc_lo, v4
	v_cmp_gt_i32_e32 vcc_lo, 0, v39
	v_and_b32_e32 v1, v1, v3
	v_not_b32_e32 v3, v5
	v_ashrrev_i32_e32 v2, 31, v2
	s_wait_alu 0xf1ff
	v_xor_b32_e32 v6, s10, v6
	v_cmp_gt_i32_e64 s10, 0, v5
	v_and_b32_e32 v1, v1, v4
	v_ashrrev_i32_e32 v3, 31, v3
	s_wait_alu 0xfffd
	v_xor_b32_e32 v2, vcc_lo, v2
	v_lshl_add_u32 v40, v0, 2, v37
	v_and_b32_e32 v1, v1, v6
	s_wait_alu 0xf1ff
	v_xor_b32_e32 v0, s10, v3
	ds_load_b32 v39, v40 offset:4
	v_and_b32_e32 v1, v1, v2
	; wave barrier
	s_delay_alu instid0(VALU_DEP_1) | instskip(NEXT) | instid1(VALU_DEP_1)
	v_and_b32_e32 v0, v1, v0
	v_mbcnt_lo_u32_b32 v43, v0, 0
	v_cmp_ne_u32_e64 s10, 0, v0
	s_delay_alu instid0(VALU_DEP_2)
	v_cmp_eq_u32_e32 vcc_lo, 0, v43
	s_and_b32 s24, s10, vcc_lo
	s_wait_alu 0xfffe
	s_and_saveexec_b32 s10, s24
	s_cbranch_execz .LBB198_61
; %bb.60:                               ;   in Loop: Header=BB198_53 Depth=1
	s_wait_dscnt 0x0
	v_bcnt_u32_b32 v0, v0, v39
	ds_store_b32 v40, v0 offset:4
.LBB198_61:                             ;   in Loop: Header=BB198_53 Depth=1
	s_wait_alu 0xfffe
	s_or_b32 exec_lo, exec_lo, s10
	; wave barrier
	; wave barrier
	s_wait_loadcnt_dscnt 0x0
	global_inv scope:SCOPE_SE
	ds_load_2addr_b32 v[6:7], v57 offset0:1 offset1:2
	ds_load_2addr_b32 v[4:5], v57 offset0:3 offset1:4
	;; [unrolled: 1-line block ×4, first 2 shown]
	s_wait_dscnt 0x3
	v_add_nc_u32_e32 v41, v7, v6
	s_wait_dscnt 0x2
	s_delay_alu instid0(VALU_DEP_1) | instskip(SKIP_1) | instid1(VALU_DEP_1)
	v_add3_u32 v41, v41, v4, v5
	s_wait_dscnt 0x1
	v_add3_u32 v41, v41, v2, v3
	s_wait_dscnt 0x0
	s_delay_alu instid0(VALU_DEP_1) | instskip(NEXT) | instid1(VALU_DEP_1)
	v_add3_u32 v1, v41, v0, v1
	v_mov_b32_dpp v41, v1 row_shr:1 row_mask:0xf bank_mask:0xf
	s_delay_alu instid0(VALU_DEP_1) | instskip(NEXT) | instid1(VALU_DEP_1)
	v_cndmask_b32_e64 v41, v41, 0, s0
	v_add_nc_u32_e32 v1, v41, v1
	s_delay_alu instid0(VALU_DEP_1) | instskip(NEXT) | instid1(VALU_DEP_1)
	v_mov_b32_dpp v41, v1 row_shr:2 row_mask:0xf bank_mask:0xf
	v_cndmask_b32_e64 v41, 0, v41, s1
	s_delay_alu instid0(VALU_DEP_1) | instskip(NEXT) | instid1(VALU_DEP_1)
	v_add_nc_u32_e32 v1, v1, v41
	v_mov_b32_dpp v41, v1 row_shr:4 row_mask:0xf bank_mask:0xf
	s_delay_alu instid0(VALU_DEP_1) | instskip(NEXT) | instid1(VALU_DEP_1)
	v_cndmask_b32_e64 v41, 0, v41, s6
	v_add_nc_u32_e32 v1, v1, v41
	s_delay_alu instid0(VALU_DEP_1) | instskip(NEXT) | instid1(VALU_DEP_1)
	v_mov_b32_dpp v41, v1 row_shr:8 row_mask:0xf bank_mask:0xf
	v_cndmask_b32_e64 v41, 0, v41, s7
	s_delay_alu instid0(VALU_DEP_1) | instskip(SKIP_3) | instid1(VALU_DEP_1)
	v_add_nc_u32_e32 v1, v1, v41
	ds_swizzle_b32 v41, v1 offset:swizzle(BROADCAST,32,15)
	s_wait_dscnt 0x0
	v_cndmask_b32_e64 v41, v41, 0, s8
	v_add_nc_u32_e32 v1, v1, v41
	s_and_saveexec_b32 s10, s9
; %bb.62:                               ;   in Loop: Header=BB198_53 Depth=1
	ds_store_b32 v38, v1
; %bb.63:                               ;   in Loop: Header=BB198_53 Depth=1
	s_wait_alu 0xfffe
	s_or_b32 exec_lo, exec_lo, s10
	ds_bpermute_b32 v1, v35, v1
	; wave barrier
	s_wait_loadcnt_dscnt 0x0
	global_inv scope:SCOPE_SE
	v_cmp_lt_u32_e32 vcc_lo, 55, v12
	s_mov_b32 s10, -1
	s_and_b32 vcc_lo, exec_lo, vcc_lo
	v_cndmask_b32_e64 v1, v1, 0, s20
	s_delay_alu instid0(VALU_DEP_1) | instskip(NEXT) | instid1(VALU_DEP_1)
	v_add_nc_u32_e32 v6, v1, v6
	v_add_nc_u32_e32 v7, v6, v7
	s_delay_alu instid0(VALU_DEP_1) | instskip(NEXT) | instid1(VALU_DEP_1)
	v_add_nc_u32_e32 v4, v7, v4
	v_add_nc_u32_e32 v5, v4, v5
	;; [unrolled: 3-line block ×3, first 2 shown]
	s_delay_alu instid0(VALU_DEP_1)
	v_add_nc_u32_e32 v0, v3, v0
	ds_store_2addr_b32 v57, v1, v6 offset0:1 offset1:2
	ds_store_2addr_b32 v57, v7, v4 offset0:3 offset1:4
	;; [unrolled: 1-line block ×4, first 2 shown]
	; wave barrier
	s_wait_loadcnt_dscnt 0x0
	global_inv scope:SCOPE_SE
	ds_load_b32 v0, v9 offset:4
	ds_load_b32 v1, v11 offset:4
	;; [unrolled: 1-line block ×4, first 2 shown]
                                        ; implicit-def: $vgpr6_vgpr7
	s_wait_dscnt 0x3
	v_add_nc_u32_e32 v42, v0, v8
	s_wait_dscnt 0x2
	v_add3_u32 v41, v16, v10, v1
	s_wait_dscnt 0x1
	v_add3_u32 v40, v19, v17, v2
	s_wait_dscnt 0x0
	v_add3_u32 v39, v43, v39, v3
                                        ; implicit-def: $vgpr2_vgpr3
                                        ; implicit-def: $vgpr10_vgpr11
                                        ; implicit-def: $vgpr18_vgpr19
	s_wait_alu 0xfffe
	s_cbranch_vccnz .LBB198_52
; %bb.64:                               ;   in Loop: Header=BB198_53 Depth=1
	v_lshlrev_b32_e32 v8, 3, v42
	v_lshlrev_b32_e32 v9, 3, v41
	;; [unrolled: 1-line block ×4, first 2 shown]
	s_wait_loadcnt 0x0
	; wave barrier
	global_inv scope:SCOPE_SE
	ds_store_b64 v8, v[14:15]
	ds_store_b64 v9, v[33:34]
	;; [unrolled: 1-line block ×4, first 2 shown]
	; wave barrier
	s_wait_loadcnt_dscnt 0x0
	global_inv scope:SCOPE_SE
	ds_load_2addr_b64 v[0:3], v36 offset1:32
	ds_load_2addr_b64 v[4:7], v36 offset0:64 offset1:96
	; wave barrier
	s_wait_loadcnt_dscnt 0x0
	global_inv scope:SCOPE_SE
	ds_store_b64 v8, v[26:27]
	ds_store_b64 v9, v[24:25]
	;; [unrolled: 1-line block ×4, first 2 shown]
	; wave barrier
	s_wait_loadcnt_dscnt 0x0
	global_inv scope:SCOPE_SE
	ds_load_2addr_b64 v[16:19], v36 offset1:32
	ds_load_2addr_b64 v[8:11], v36 offset0:64 offset1:96
	v_add_co_u32 v12, vcc_lo, v12, 8
	s_wait_alu 0xfffd
	v_add_co_ci_u32_e64 v13, null, 0, v13, vcc_lo
	s_add_co_i32 s21, s21, -8
	s_mov_b32 s10, 0
	; wave barrier
	s_wait_loadcnt_dscnt 0x0
	global_inv scope:SCOPE_SE
	s_branch .LBB198_52
.LBB198_65:
	v_lshlrev_b32_e32 v8, 3, v42
	v_lshlrev_b32_e32 v9, 3, v41
	s_wait_loadcnt 0x0
	; wave barrier
	global_inv scope:SCOPE_SE
	v_lshlrev_b32_e32 v10, 3, v40
	ds_store_b64 v8, v[14:15]
	ds_store_b64 v9, v[33:34]
	v_lshlrev_b32_e32 v33, 3, v56
	v_lshlrev_b32_e32 v11, 3, v39
	ds_store_b64 v10, v[30:31]
	ds_store_b64 v11, v[28:29]
	; wave barrier
	s_wait_loadcnt_dscnt 0x0
	global_inv scope:SCOPE_SE
	ds_load_b128 v[0:3], v33
	ds_load_b128 v[4:7], v33 offset:16
	; wave barrier
	s_wait_loadcnt_dscnt 0x0
	global_inv scope:SCOPE_SE
	ds_store_b64 v8, v[26:27]
	ds_store_b64 v9, v[24:25]
	;; [unrolled: 1-line block ×4, first 2 shown]
	; wave barrier
	s_wait_loadcnt_dscnt 0x0
	global_inv scope:SCOPE_SE
	v_cmp_gt_i64_e32 vcc_lo, 0, v[0:1]
	v_ashrrev_i32_e32 v9, 31, v1
	v_ashrrev_i32_e32 v13, 31, v3
	;; [unrolled: 1-line block ×4, first 2 shown]
	s_wait_alu 0xfffd
	v_cndmask_b32_e64 v8, 0x7fffffff, 0, vcc_lo
	v_cmp_gt_i64_e32 vcc_lo, 0, v[2:3]
	v_not_b32_e32 v9, v9
	s_delay_alu instid0(VALU_DEP_3)
	v_xor_b32_e32 v1, v8, v1
	v_not_b32_e32 v8, v13
	s_wait_alu 0xfffd
	v_cndmask_b32_e64 v12, 0x7fffffff, 0, vcc_lo
	v_cmp_gt_i64_e32 vcc_lo, 0, v[4:5]
	v_xor_b32_e32 v0, v9, v0
	v_not_b32_e32 v13, v16
	v_xor_b32_e32 v2, v8, v2
	v_xor_b32_e32 v3, v12, v3
	v_not_b32_e32 v12, v15
	s_wait_alu 0xfffd
	v_cndmask_b32_e64 v14, 0x7fffffff, 0, vcc_lo
	v_cmp_gt_i64_e32 vcc_lo, 0, v[6:7]
	v_xor_b32_e32 v6, v13, v6
	v_xor_b32_e32 v4, v12, v4
	s_delay_alu instid0(VALU_DEP_4) | instskip(SKIP_2) | instid1(VALU_DEP_1)
	v_xor_b32_e32 v5, v14, v5
	s_wait_alu 0xfffd
	v_cndmask_b32_e64 v9, 0x7fffffff, 0, vcc_lo
	v_xor_b32_e32 v7, v9, v7
.LBB198_66:
	v_mad_co_u64_u32 v[16:17], null, s12, v32, 0
	ds_load_2addr_b64 v[8:11], v33 offset0:2 offset1:3
	ds_load_2addr_b64 v[12:15], v33 offset1:1
	; wave barrier
	s_wait_loadcnt_dscnt 0x0
	global_inv scope:SCOPE_SE
	ds_store_2addr_b64 v55, v[0:1], v[2:3] offset1:1
	ds_store_2addr_b64 v55, v[4:5], v[6:7] offset0:2 offset1:3
	; wave barrier
	s_wait_loadcnt_dscnt 0x0
	global_inv scope:SCOPE_SE
	v_mad_co_u64_u32 v[17:18], null, s13, v32, v[17:18]
	ds_load_b64 v[6:7], v52 offset:256
	ds_load_b64 v[4:5], v53 offset:512
	;; [unrolled: 1-line block ×3, first 2 shown]
	v_lshlrev_b64_e32 v[2:3], 3, v[16:17]
	s_delay_alu instid0(VALU_DEP_1) | instskip(SKIP_1) | instid1(VALU_DEP_2)
	v_add_co_u32 v2, vcc_lo, s16, v2
	s_wait_alu 0xfffd
	v_add_co_ci_u32_e64 v3, null, s17, v3, vcc_lo
	s_and_saveexec_b32 s0, s2
	s_cbranch_execnz .LBB198_77
; %bb.67:
	s_wait_alu 0xfffe
	s_or_b32 exec_lo, exec_lo, s0
	s_and_saveexec_b32 s0, s3
	s_cbranch_execnz .LBB198_78
.LBB198_68:
	s_wait_alu 0xfffe
	s_or_b32 exec_lo, exec_lo, s0
	s_and_saveexec_b32 s0, s4
	s_cbranch_execnz .LBB198_79
.LBB198_69:
	s_wait_alu 0xfffe
	s_or_b32 exec_lo, exec_lo, s0
	s_and_saveexec_b32 s0, s5
	s_cbranch_execz .LBB198_71
.LBB198_70:
	v_mad_co_u64_u32 v[2:3], null, 0x300, s12, v[2:3]
	s_wait_dscnt 0x1
	s_delay_alu instid0(VALU_DEP_1)
	v_mad_co_u64_u32 v[3:4], null, 0x300, s13, v[3:4]
	s_wait_dscnt 0x0
	global_store_b64 v[2:3], v[0:1], off
.LBB198_71:
	s_wait_alu 0xfffe
	s_or_b32 exec_lo, exec_lo, s0
	v_mad_co_u64_u32 v[2:3], null, s14, v32, 0
	s_wait_storecnt 0x0
	; wave barrier
	s_wait_loadcnt_dscnt 0x0
	global_inv scope:SCOPE_SE
	ds_store_2addr_b64 v55, v[12:13], v[14:15] offset1:1
	ds_store_2addr_b64 v55, v[8:9], v[10:11] offset0:2 offset1:3
	; wave barrier
	s_wait_loadcnt_dscnt 0x0
	global_inv scope:SCOPE_SE
	v_mov_b32_e32 v0, v3
	s_delay_alu instid0(VALU_DEP_1) | instskip(SKIP_4) | instid1(VALU_DEP_1)
	v_mad_co_u64_u32 v[3:4], null, s15, v32, v[0:1]
	ds_load_b64 v[6:7], v52 offset:256
	ds_load_b64 v[4:5], v53 offset:512
	;; [unrolled: 1-line block ×3, first 2 shown]
	v_lshlrev_b64_e32 v[2:3], 3, v[2:3]
	v_add_co_u32 v2, vcc_lo, s18, v2
	s_wait_alu 0xfffd
	s_delay_alu instid0(VALU_DEP_2)
	v_add_co_ci_u32_e64 v3, null, s19, v3, vcc_lo
	s_and_saveexec_b32 s0, s2
	s_cbranch_execnz .LBB198_80
; %bb.72:
	s_wait_alu 0xfffe
	s_or_b32 exec_lo, exec_lo, s0
	s_and_saveexec_b32 s0, s3
	s_cbranch_execnz .LBB198_81
.LBB198_73:
	s_wait_alu 0xfffe
	s_or_b32 exec_lo, exec_lo, s0
	s_and_saveexec_b32 s0, s4
	s_cbranch_execnz .LBB198_82
.LBB198_74:
	s_wait_alu 0xfffe
	s_or_b32 exec_lo, exec_lo, s0
	s_and_saveexec_b32 s0, s5
	s_cbranch_execz .LBB198_76
.LBB198_75:
	v_mad_co_u64_u32 v[2:3], null, 0x300, s14, v[2:3]
	s_wait_dscnt 0x1
	s_delay_alu instid0(VALU_DEP_1)
	v_mad_co_u64_u32 v[3:4], null, 0x300, s15, v[3:4]
	s_wait_dscnt 0x0
	global_store_b64 v[2:3], v[0:1], off
.LBB198_76:
	s_endpgm
.LBB198_77:
	ds_load_b64 v[16:17], v51
	s_wait_dscnt 0x0
	global_store_b64 v[2:3], v[16:17], off
	s_wait_alu 0xfffe
	s_or_b32 exec_lo, exec_lo, s0
	s_and_saveexec_b32 s0, s3
	s_cbranch_execz .LBB198_68
.LBB198_78:
	s_lshl_b64 s[6:7], s[12:13], 8
	s_wait_alu 0xfffe
	v_add_co_u32 v16, vcc_lo, v2, s6
	s_wait_alu 0xfffd
	v_add_co_ci_u32_e64 v17, null, s7, v3, vcc_lo
	s_wait_dscnt 0x2
	global_store_b64 v[16:17], v[6:7], off
	s_or_b32 exec_lo, exec_lo, s0
	s_and_saveexec_b32 s0, s4
	s_cbranch_execz .LBB198_69
.LBB198_79:
	s_lshl_b64 s[6:7], s[12:13], 9
	s_wait_dscnt 0x2
	s_wait_alu 0xfffe
	v_add_co_u32 v6, vcc_lo, v2, s6
	s_wait_alu 0xfffd
	v_add_co_ci_u32_e64 v7, null, s7, v3, vcc_lo
	s_wait_dscnt 0x1
	global_store_b64 v[6:7], v[4:5], off
	s_or_b32 exec_lo, exec_lo, s0
	s_and_saveexec_b32 s0, s5
	s_cbranch_execnz .LBB198_70
	s_branch .LBB198_71
.LBB198_80:
	ds_load_b64 v[8:9], v51
	s_wait_dscnt 0x0
	global_store_b64 v[2:3], v[8:9], off
	s_wait_alu 0xfffe
	s_or_b32 exec_lo, exec_lo, s0
	s_and_saveexec_b32 s0, s3
	s_cbranch_execz .LBB198_73
.LBB198_81:
	s_lshl_b64 s[2:3], s[14:15], 8
	s_delay_alu instid0(SALU_CYCLE_1)
	v_add_co_u32 v8, vcc_lo, v2, s2
	s_wait_alu 0xfffd
	v_add_co_ci_u32_e64 v9, null, s3, v3, vcc_lo
	s_wait_dscnt 0x2
	global_store_b64 v[8:9], v[6:7], off
	s_wait_alu 0xfffe
	s_or_b32 exec_lo, exec_lo, s0
	s_and_saveexec_b32 s0, s4
	s_cbranch_execz .LBB198_74
.LBB198_82:
	s_lshl_b64 s[2:3], s[14:15], 9
	s_wait_dscnt 0x2
	s_wait_alu 0xfffe
	v_add_co_u32 v6, vcc_lo, v2, s2
	s_wait_alu 0xfffd
	v_add_co_ci_u32_e64 v7, null, s3, v3, vcc_lo
	s_wait_dscnt 0x1
	global_store_b64 v[6:7], v[4:5], off
	s_or_b32 exec_lo, exec_lo, s0
	s_and_saveexec_b32 s0, s5
	s_cbranch_execnz .LBB198_75
	s_branch .LBB198_76
	.section	.rodata,"a",@progbits
	.p2align	6, 0x0
	.amdhsa_kernel _ZN2at6native18radixSortKVInPlaceILin1ELin1ELi32ELi4EdlmEEvNS_4cuda6detail10TensorInfoIT3_T5_EES6_S6_S6_NS4_IT4_S6_EES6_b
		.amdhsa_group_segment_fixed_size 1056
		.amdhsa_private_segment_fixed_size 0
		.amdhsa_kernarg_size 1128
		.amdhsa_user_sgpr_count 2
		.amdhsa_user_sgpr_dispatch_ptr 0
		.amdhsa_user_sgpr_queue_ptr 0
		.amdhsa_user_sgpr_kernarg_segment_ptr 1
		.amdhsa_user_sgpr_dispatch_id 0
		.amdhsa_user_sgpr_private_segment_size 0
		.amdhsa_wavefront_size32 1
		.amdhsa_uses_dynamic_stack 0
		.amdhsa_enable_private_segment 0
		.amdhsa_system_sgpr_workgroup_id_x 1
		.amdhsa_system_sgpr_workgroup_id_y 1
		.amdhsa_system_sgpr_workgroup_id_z 1
		.amdhsa_system_sgpr_workgroup_info 0
		.amdhsa_system_vgpr_workitem_id 2
		.amdhsa_next_free_vgpr 79
		.amdhsa_next_free_sgpr 36
		.amdhsa_reserve_vcc 1
		.amdhsa_float_round_mode_32 0
		.amdhsa_float_round_mode_16_64 0
		.amdhsa_float_denorm_mode_32 3
		.amdhsa_float_denorm_mode_16_64 3
		.amdhsa_fp16_overflow 0
		.amdhsa_workgroup_processor_mode 1
		.amdhsa_memory_ordered 1
		.amdhsa_forward_progress 1
		.amdhsa_inst_pref_size 96
		.amdhsa_round_robin_scheduling 0
		.amdhsa_exception_fp_ieee_invalid_op 0
		.amdhsa_exception_fp_denorm_src 0
		.amdhsa_exception_fp_ieee_div_zero 0
		.amdhsa_exception_fp_ieee_overflow 0
		.amdhsa_exception_fp_ieee_underflow 0
		.amdhsa_exception_fp_ieee_inexact 0
		.amdhsa_exception_int_div_zero 0
	.end_amdhsa_kernel
	.section	.text._ZN2at6native18radixSortKVInPlaceILin1ELin1ELi32ELi4EdlmEEvNS_4cuda6detail10TensorInfoIT3_T5_EES6_S6_S6_NS4_IT4_S6_EES6_b,"axG",@progbits,_ZN2at6native18radixSortKVInPlaceILin1ELin1ELi32ELi4EdlmEEvNS_4cuda6detail10TensorInfoIT3_T5_EES6_S6_S6_NS4_IT4_S6_EES6_b,comdat
.Lfunc_end198:
	.size	_ZN2at6native18radixSortKVInPlaceILin1ELin1ELi32ELi4EdlmEEvNS_4cuda6detail10TensorInfoIT3_T5_EES6_S6_S6_NS4_IT4_S6_EES6_b, .Lfunc_end198-_ZN2at6native18radixSortKVInPlaceILin1ELin1ELi32ELi4EdlmEEvNS_4cuda6detail10TensorInfoIT3_T5_EES6_S6_S6_NS4_IT4_S6_EES6_b
                                        ; -- End function
	.set _ZN2at6native18radixSortKVInPlaceILin1ELin1ELi32ELi4EdlmEEvNS_4cuda6detail10TensorInfoIT3_T5_EES6_S6_S6_NS4_IT4_S6_EES6_b.num_vgpr, 79
	.set _ZN2at6native18radixSortKVInPlaceILin1ELin1ELi32ELi4EdlmEEvNS_4cuda6detail10TensorInfoIT3_T5_EES6_S6_S6_NS4_IT4_S6_EES6_b.num_agpr, 0
	.set _ZN2at6native18radixSortKVInPlaceILin1ELin1ELi32ELi4EdlmEEvNS_4cuda6detail10TensorInfoIT3_T5_EES6_S6_S6_NS4_IT4_S6_EES6_b.numbered_sgpr, 36
	.set _ZN2at6native18radixSortKVInPlaceILin1ELin1ELi32ELi4EdlmEEvNS_4cuda6detail10TensorInfoIT3_T5_EES6_S6_S6_NS4_IT4_S6_EES6_b.num_named_barrier, 0
	.set _ZN2at6native18radixSortKVInPlaceILin1ELin1ELi32ELi4EdlmEEvNS_4cuda6detail10TensorInfoIT3_T5_EES6_S6_S6_NS4_IT4_S6_EES6_b.private_seg_size, 0
	.set _ZN2at6native18radixSortKVInPlaceILin1ELin1ELi32ELi4EdlmEEvNS_4cuda6detail10TensorInfoIT3_T5_EES6_S6_S6_NS4_IT4_S6_EES6_b.uses_vcc, 1
	.set _ZN2at6native18radixSortKVInPlaceILin1ELin1ELi32ELi4EdlmEEvNS_4cuda6detail10TensorInfoIT3_T5_EES6_S6_S6_NS4_IT4_S6_EES6_b.uses_flat_scratch, 0
	.set _ZN2at6native18radixSortKVInPlaceILin1ELin1ELi32ELi4EdlmEEvNS_4cuda6detail10TensorInfoIT3_T5_EES6_S6_S6_NS4_IT4_S6_EES6_b.has_dyn_sized_stack, 0
	.set _ZN2at6native18radixSortKVInPlaceILin1ELin1ELi32ELi4EdlmEEvNS_4cuda6detail10TensorInfoIT3_T5_EES6_S6_S6_NS4_IT4_S6_EES6_b.has_recursion, 0
	.set _ZN2at6native18radixSortKVInPlaceILin1ELin1ELi32ELi4EdlmEEvNS_4cuda6detail10TensorInfoIT3_T5_EES6_S6_S6_NS4_IT4_S6_EES6_b.has_indirect_call, 0
	.section	.AMDGPU.csdata,"",@progbits
; Kernel info:
; codeLenInByte = 12180
; TotalNumSgprs: 38
; NumVgprs: 79
; ScratchSize: 0
; MemoryBound: 0
; FloatMode: 240
; IeeeMode: 1
; LDSByteSize: 1056 bytes/workgroup (compile time only)
; SGPRBlocks: 0
; VGPRBlocks: 9
; NumSGPRsForWavesPerEU: 38
; NumVGPRsForWavesPerEU: 79
; Occupancy: 16
; WaveLimiterHint : 1
; COMPUTE_PGM_RSRC2:SCRATCH_EN: 0
; COMPUTE_PGM_RSRC2:USER_SGPR: 2
; COMPUTE_PGM_RSRC2:TRAP_HANDLER: 0
; COMPUTE_PGM_RSRC2:TGID_X_EN: 1
; COMPUTE_PGM_RSRC2:TGID_Y_EN: 1
; COMPUTE_PGM_RSRC2:TGID_Z_EN: 1
; COMPUTE_PGM_RSRC2:TIDIG_COMP_CNT: 2
	.section	.text._ZN2at6native18radixSortKVInPlaceILin1ELin1ELi16ELi2EdlmEEvNS_4cuda6detail10TensorInfoIT3_T5_EES6_S6_S6_NS4_IT4_S6_EES6_b,"axG",@progbits,_ZN2at6native18radixSortKVInPlaceILin1ELin1ELi16ELi2EdlmEEvNS_4cuda6detail10TensorInfoIT3_T5_EES6_S6_S6_NS4_IT4_S6_EES6_b,comdat
	.protected	_ZN2at6native18radixSortKVInPlaceILin1ELin1ELi16ELi2EdlmEEvNS_4cuda6detail10TensorInfoIT3_T5_EES6_S6_S6_NS4_IT4_S6_EES6_b ; -- Begin function _ZN2at6native18radixSortKVInPlaceILin1ELin1ELi16ELi2EdlmEEvNS_4cuda6detail10TensorInfoIT3_T5_EES6_S6_S6_NS4_IT4_S6_EES6_b
	.globl	_ZN2at6native18radixSortKVInPlaceILin1ELin1ELi16ELi2EdlmEEvNS_4cuda6detail10TensorInfoIT3_T5_EES6_S6_S6_NS4_IT4_S6_EES6_b
	.p2align	8
	.type	_ZN2at6native18radixSortKVInPlaceILin1ELin1ELi16ELi2EdlmEEvNS_4cuda6detail10TensorInfoIT3_T5_EES6_S6_S6_NS4_IT4_S6_EES6_b,@function
_ZN2at6native18radixSortKVInPlaceILin1ELin1ELi16ELi2EdlmEEvNS_4cuda6detail10TensorInfoIT3_T5_EES6_S6_S6_NS4_IT4_S6_EES6_b: ; @_ZN2at6native18radixSortKVInPlaceILin1ELin1ELi16ELi2EdlmEEvNS_4cuda6detail10TensorInfoIT3_T5_EES6_S6_S6_NS4_IT4_S6_EES6_b
; %bb.0:
	s_clause 0x1
	s_load_b64 s[2:3], s[0:1], 0x368
	s_load_b128 s[4:7], s[0:1], 0x1a0
	s_wait_kmcnt 0x0
	s_lshr_b32 s7, ttmp7, 16
	s_and_b32 s8, ttmp7, 0xffff
	s_mov_b32 s9, 0
	s_mul_i32 s3, s3, s7
	s_delay_alu instid0(SALU_CYCLE_1) | instskip(NEXT) | instid1(SALU_CYCLE_1)
	s_add_co_i32 s3, s3, s8
	s_mul_i32 s2, s3, s2
	s_delay_alu instid0(SALU_CYCLE_1) | instskip(NEXT) | instid1(SALU_CYCLE_1)
	s_add_co_i32 s8, s2, ttmp9
	v_cmp_le_u64_e64 s2, s[4:5], s[8:9]
	s_and_b32 vcc_lo, exec_lo, s2
	s_cbranch_vccnz .LBB199_68
; %bb.1:
	s_clause 0x1
	s_load_b32 s5, s[0:1], 0x198
	s_load_b64 s[16:17], s[0:1], 0x1b0
	s_mov_b64 s[2:3], 0
	s_mov_b64 s[10:11], s[8:9]
	s_wait_kmcnt 0x0
	s_cmp_lt_i32 s5, 2
	s_cbranch_scc1 .LBB199_9
; %bb.2:
	s_mov_b32 s4, 0
	s_add_co_i32 s2, s5, -1
	s_wait_alu 0xfffe
	s_mov_b32 s3, s4
	s_add_co_i32 s7, s5, 1
	s_lshl_b64 s[2:3], s[2:3], 3
	s_mov_b64 s[14:15], s[8:9]
	s_add_nc_u64 s[10:11], s[0:1], s[2:3]
	s_mov_b64 s[2:3], 0
	s_add_nc_u64 s[12:13], s[10:11], 8
.LBB199_3:                              ; =>This Inner Loop Header: Depth=1
	s_load_b64 s[18:19], s[12:13], 0x0
	s_wait_kmcnt 0x0
	s_or_b64 s[10:11], s[14:15], s[18:19]
	s_delay_alu instid0(SALU_CYCLE_1)
	s_mov_b32 s5, s11
                                        ; implicit-def: $sgpr10_sgpr11
	s_wait_alu 0xfffe
	s_cmp_lg_u64 s[4:5], 0
	s_mov_b32 s5, -1
	s_cbranch_scc0 .LBB199_5
; %bb.4:                                ;   in Loop: Header=BB199_3 Depth=1
	s_cvt_f32_u32 s5, s18
	s_cvt_f32_u32 s10, s19
	s_sub_nc_u64 s[20:21], 0, s[18:19]
	s_mov_b32 s23, s4
	s_mov_b32 s27, s4
	s_wait_alu 0xfffe
	s_fmamk_f32 s5, s10, 0x4f800000, s5
	s_wait_alu 0xfffe
	s_delay_alu instid0(SALU_CYCLE_2) | instskip(NEXT) | instid1(TRANS32_DEP_1)
	v_s_rcp_f32 s5, s5
	s_mul_f32 s5, s5, 0x5f7ffffc
	s_wait_alu 0xfffe
	s_delay_alu instid0(SALU_CYCLE_2) | instskip(NEXT) | instid1(SALU_CYCLE_3)
	s_mul_f32 s10, s5, 0x2f800000
	s_trunc_f32 s10, s10
	s_delay_alu instid0(SALU_CYCLE_3) | instskip(SKIP_2) | instid1(SALU_CYCLE_1)
	s_fmamk_f32 s5, s10, 0xcf800000, s5
	s_cvt_u32_f32 s11, s10
	s_wait_alu 0xfffe
	s_cvt_u32_f32 s10, s5
	s_delay_alu instid0(SALU_CYCLE_3) | instskip(NEXT) | instid1(SALU_CYCLE_1)
	s_mul_u64 s[24:25], s[20:21], s[10:11]
	s_mul_hi_u32 s29, s10, s25
	s_mul_i32 s28, s10, s25
	s_mul_hi_u32 s22, s10, s24
	s_mul_i32 s26, s11, s24
	s_add_nc_u64 s[22:23], s[22:23], s[28:29]
	s_mul_hi_u32 s5, s11, s24
	s_mul_hi_u32 s30, s11, s25
	s_add_co_u32 s22, s22, s26
	s_wait_alu 0xfffe
	s_add_co_ci_u32 s26, s23, s5
	s_mul_i32 s24, s11, s25
	s_add_co_ci_u32 s25, s30, 0
	s_delay_alu instid0(SALU_CYCLE_1)
	s_add_nc_u64 s[22:23], s[26:27], s[24:25]
	s_mov_b32 s25, s4
	s_add_co_u32 s10, s10, s22
	s_cselect_b32 s5, -1, 0
	s_wait_alu 0xfffe
	s_cmp_lg_u32 s5, 0
	s_add_co_ci_u32 s11, s11, s23
	s_mov_b32 s23, s4
	s_mul_u64 s[20:21], s[20:21], s[10:11]
	s_delay_alu instid0(SALU_CYCLE_1)
	s_mul_hi_u32 s27, s10, s21
	s_mul_i32 s26, s10, s21
	s_mul_hi_u32 s22, s10, s20
	s_mul_i32 s24, s11, s20
	s_add_nc_u64 s[22:23], s[22:23], s[26:27]
	s_mul_hi_u32 s5, s11, s20
	s_mul_hi_u32 s28, s11, s21
	s_mul_i32 s20, s11, s21
	s_add_co_u32 s21, s22, s24
	s_wait_alu 0xfffe
	s_add_co_ci_u32 s24, s23, s5
	s_add_co_ci_u32 s21, s28, 0
	s_mov_b32 s23, s4
	s_add_nc_u64 s[20:21], s[24:25], s[20:21]
	s_delay_alu instid0(SALU_CYCLE_1)
	s_add_co_u32 s5, s10, s20
	s_cselect_b32 s10, -1, 0
	s_wait_alu 0xfffe
	s_mul_hi_u32 s22, s14, s5
	s_cmp_lg_u32 s10, 0
	s_mul_hi_u32 s24, s15, s5
	s_add_co_ci_u32 s20, s11, s21
	s_mul_i32 s5, s15, s5
	s_mul_hi_u32 s11, s14, s20
	s_mul_i32 s10, s14, s20
	s_mul_hi_u32 s21, s15, s20
	s_add_nc_u64 s[10:11], s[22:23], s[10:11]
	s_mul_i32 s20, s15, s20
	s_wait_alu 0xfffe
	s_add_co_u32 s5, s10, s5
	s_add_co_ci_u32 s24, s11, s24
	s_add_co_ci_u32 s21, s21, 0
	s_delay_alu instid0(SALU_CYCLE_1) | instskip(NEXT) | instid1(SALU_CYCLE_1)
	s_add_nc_u64 s[10:11], s[24:25], s[20:21]
	s_mul_u64 s[20:21], s[18:19], s[10:11]
	s_delay_alu instid0(SALU_CYCLE_1)
	s_sub_co_u32 s5, s14, s20
	s_cselect_b32 s20, -1, 0
	s_sub_co_i32 s22, s15, s21
	s_cmp_lg_u32 s20, 0
	s_sub_co_ci_u32 s22, s22, s19
	s_wait_alu 0xfffe
	s_sub_co_u32 s23, s5, s18
	s_cselect_b32 s24, -1, 0
	s_delay_alu instid0(SALU_CYCLE_1) | instskip(SKIP_1) | instid1(SALU_CYCLE_1)
	s_cmp_lg_u32 s24, 0
	s_sub_co_ci_u32 s22, s22, 0
	s_cmp_ge_u32 s22, s19
	s_cselect_b32 s24, -1, 0
	s_cmp_ge_u32 s23, s18
	s_cselect_b32 s25, -1, 0
	s_cmp_eq_u32 s22, s19
	s_add_nc_u64 s[22:23], s[10:11], 1
	s_cselect_b32 s26, s25, s24
	s_add_nc_u64 s[24:25], s[10:11], 2
	s_cmp_lg_u32 s26, 0
	s_cselect_b32 s22, s24, s22
	s_cselect_b32 s23, s25, s23
	s_cmp_lg_u32 s20, 0
	s_sub_co_ci_u32 s20, s15, s21
	s_delay_alu instid0(SALU_CYCLE_1)
	s_cmp_ge_u32 s20, s19
	s_cselect_b32 s21, -1, 0
	s_cmp_ge_u32 s5, s18
	s_cselect_b32 s5, -1, 0
	s_cmp_eq_u32 s20, s19
	s_wait_alu 0xfffe
	s_cselect_b32 s5, s5, s21
	s_wait_alu 0xfffe
	s_cmp_lg_u32 s5, 0
	s_mov_b32 s5, 0
	s_cselect_b32 s11, s23, s11
	s_cselect_b32 s10, s22, s10
.LBB199_5:                              ;   in Loop: Header=BB199_3 Depth=1
	s_wait_alu 0xfffe
	s_and_not1_b32 vcc_lo, exec_lo, s5
	s_cbranch_vccnz .LBB199_7
; %bb.6:                                ;   in Loop: Header=BB199_3 Depth=1
	v_cvt_f32_u32_e32 v1, s18
	s_sub_co_i32 s10, 0, s18
	s_delay_alu instid0(VALU_DEP_1) | instskip(NEXT) | instid1(TRANS32_DEP_1)
	v_rcp_iflag_f32_e32 v1, v1
	v_mul_f32_e32 v1, 0x4f7ffffe, v1
	s_delay_alu instid0(VALU_DEP_1) | instskip(NEXT) | instid1(VALU_DEP_1)
	v_cvt_u32_f32_e32 v1, v1
	v_readfirstlane_b32 s5, v1
	s_mul_i32 s10, s10, s5
	s_delay_alu instid0(SALU_CYCLE_1) | instskip(NEXT) | instid1(SALU_CYCLE_1)
	s_mul_hi_u32 s10, s5, s10
	s_add_co_i32 s5, s5, s10
	s_wait_alu 0xfffe
	s_mul_hi_u32 s5, s14, s5
	s_wait_alu 0xfffe
	s_mul_i32 s10, s5, s18
	s_add_co_i32 s11, s5, 1
	s_sub_co_i32 s10, s14, s10
	s_delay_alu instid0(SALU_CYCLE_1)
	s_sub_co_i32 s20, s10, s18
	s_cmp_ge_u32 s10, s18
	s_cselect_b32 s5, s11, s5
	s_cselect_b32 s10, s20, s10
	s_wait_alu 0xfffe
	s_add_co_i32 s11, s5, 1
	s_cmp_ge_u32 s10, s18
	s_cselect_b32 s10, s11, s5
	s_mov_b32 s11, s4
.LBB199_7:                              ;   in Loop: Header=BB199_3 Depth=1
	s_load_b64 s[20:21], s[12:13], 0xc8
	s_mul_u64 s[18:19], s[10:11], s[18:19]
	s_add_co_i32 s7, s7, -1
	s_wait_alu 0xfffe
	s_sub_nc_u64 s[14:15], s[14:15], s[18:19]
	s_cmp_gt_u32 s7, 2
	s_add_nc_u64 s[12:13], s[12:13], -8
	s_wait_kmcnt 0x0
	s_mul_u64 s[14:15], s[20:21], s[14:15]
	s_delay_alu instid0(SALU_CYCLE_1)
	s_add_nc_u64 s[2:3], s[14:15], s[2:3]
	s_cbranch_scc0 .LBB199_9
; %bb.8:                                ;   in Loop: Header=BB199_3 Depth=1
	s_mov_b64 s[14:15], s[10:11]
	s_branch .LBB199_3
.LBB199_9:
	s_load_b32 s7, s[0:1], 0x350
	s_mov_b64 s[4:5], 0
	s_wait_kmcnt 0x0
	s_cmp_lt_i32 s7, 2
	s_cbranch_scc1 .LBB199_17
; %bb.10:
	s_mov_b32 s12, 0
	s_add_co_i32 s4, s7, -1
	s_mov_b32 s5, s12
	s_add_co_i32 s7, s7, 1
	s_wait_alu 0xfffe
	s_lshl_b64 s[4:5], s[4:5], 3
	s_wait_alu 0xfffe
	s_add_nc_u64 s[4:5], s[0:1], s[4:5]
	s_wait_alu 0xfffe
	s_add_nc_u64 s[14:15], s[4:5], 0x1c0
	s_mov_b64 s[4:5], 0
.LBB199_11:                             ; =>This Inner Loop Header: Depth=1
	s_load_b64 s[18:19], s[14:15], 0x0
                                        ; implicit-def: $sgpr22_sgpr23
	s_wait_kmcnt 0x0
	s_or_b64 s[20:21], s[8:9], s[18:19]
	s_delay_alu instid0(SALU_CYCLE_1)
	s_mov_b32 s13, s21
	s_wait_alu 0xfffe
	s_cmp_lg_u64 s[12:13], 0
	s_mov_b32 s13, -1
	s_cbranch_scc0 .LBB199_13
; %bb.12:                               ;   in Loop: Header=BB199_11 Depth=1
	s_cvt_f32_u32 s13, s18
	s_cvt_f32_u32 s20, s19
	s_sub_nc_u64 s[22:23], 0, s[18:19]
	s_mov_b32 s25, s12
	s_mov_b32 s29, s12
	s_wait_alu 0xfffe
	s_fmamk_f32 s13, s20, 0x4f800000, s13
	s_wait_alu 0xfffe
	s_delay_alu instid0(SALU_CYCLE_2) | instskip(NEXT) | instid1(TRANS32_DEP_1)
	v_s_rcp_f32 s13, s13
	s_mul_f32 s13, s13, 0x5f7ffffc
	s_wait_alu 0xfffe
	s_delay_alu instid0(SALU_CYCLE_2) | instskip(NEXT) | instid1(SALU_CYCLE_3)
	s_mul_f32 s20, s13, 0x2f800000
	s_trunc_f32 s20, s20
	s_delay_alu instid0(SALU_CYCLE_3) | instskip(SKIP_2) | instid1(SALU_CYCLE_1)
	s_fmamk_f32 s13, s20, 0xcf800000, s13
	s_cvt_u32_f32 s21, s20
	s_wait_alu 0xfffe
	s_cvt_u32_f32 s20, s13
	s_delay_alu instid0(SALU_CYCLE_3) | instskip(NEXT) | instid1(SALU_CYCLE_1)
	s_mul_u64 s[26:27], s[22:23], s[20:21]
	s_mul_hi_u32 s31, s20, s27
	s_mul_i32 s30, s20, s27
	s_mul_hi_u32 s24, s20, s26
	s_mul_i32 s28, s21, s26
	s_add_nc_u64 s[24:25], s[24:25], s[30:31]
	s_mul_hi_u32 s13, s21, s26
	s_mul_hi_u32 s33, s21, s27
	s_add_co_u32 s24, s24, s28
	s_wait_alu 0xfffe
	s_add_co_ci_u32 s28, s25, s13
	s_mul_i32 s26, s21, s27
	s_add_co_ci_u32 s27, s33, 0
	s_delay_alu instid0(SALU_CYCLE_1)
	s_add_nc_u64 s[24:25], s[28:29], s[26:27]
	s_mov_b32 s27, s12
	s_add_co_u32 s20, s20, s24
	s_cselect_b32 s13, -1, 0
	s_wait_alu 0xfffe
	s_cmp_lg_u32 s13, 0
	s_add_co_ci_u32 s21, s21, s25
	s_mov_b32 s25, s12
	s_mul_u64 s[22:23], s[22:23], s[20:21]
	s_delay_alu instid0(SALU_CYCLE_1)
	s_mul_hi_u32 s29, s20, s23
	s_mul_i32 s28, s20, s23
	s_mul_hi_u32 s24, s20, s22
	s_mul_i32 s26, s21, s22
	s_add_nc_u64 s[24:25], s[24:25], s[28:29]
	s_mul_hi_u32 s13, s21, s22
	s_mul_hi_u32 s30, s21, s23
	s_mul_i32 s22, s21, s23
	s_add_co_u32 s23, s24, s26
	s_wait_alu 0xfffe
	s_add_co_ci_u32 s26, s25, s13
	s_add_co_ci_u32 s23, s30, 0
	s_mov_b32 s25, s12
	s_add_nc_u64 s[22:23], s[26:27], s[22:23]
	s_delay_alu instid0(SALU_CYCLE_1)
	s_add_co_u32 s13, s20, s22
	s_cselect_b32 s20, -1, 0
	s_wait_alu 0xfffe
	s_mul_hi_u32 s24, s8, s13
	s_cmp_lg_u32 s20, 0
	s_mul_hi_u32 s26, s9, s13
	s_add_co_ci_u32 s22, s21, s23
	s_mul_i32 s13, s9, s13
	s_mul_hi_u32 s21, s8, s22
	s_mul_i32 s20, s8, s22
	s_mul_hi_u32 s23, s9, s22
	s_add_nc_u64 s[20:21], s[24:25], s[20:21]
	s_mul_i32 s22, s9, s22
	s_wait_alu 0xfffe
	s_add_co_u32 s13, s20, s13
	s_add_co_ci_u32 s26, s21, s26
	s_add_co_ci_u32 s23, s23, 0
	s_delay_alu instid0(SALU_CYCLE_1) | instskip(NEXT) | instid1(SALU_CYCLE_1)
	s_add_nc_u64 s[20:21], s[26:27], s[22:23]
	s_mul_u64 s[22:23], s[18:19], s[20:21]
	s_delay_alu instid0(SALU_CYCLE_1)
	s_sub_co_u32 s13, s8, s22
	s_cselect_b32 s22, -1, 0
	s_sub_co_i32 s24, s9, s23
	s_cmp_lg_u32 s22, 0
	s_sub_co_ci_u32 s24, s24, s19
	s_wait_alu 0xfffe
	s_sub_co_u32 s25, s13, s18
	s_cselect_b32 s26, -1, 0
	s_delay_alu instid0(SALU_CYCLE_1) | instskip(SKIP_1) | instid1(SALU_CYCLE_1)
	s_cmp_lg_u32 s26, 0
	s_sub_co_ci_u32 s24, s24, 0
	s_cmp_ge_u32 s24, s19
	s_cselect_b32 s26, -1, 0
	s_cmp_ge_u32 s25, s18
	s_cselect_b32 s27, -1, 0
	s_cmp_eq_u32 s24, s19
	s_add_nc_u64 s[24:25], s[20:21], 1
	s_cselect_b32 s28, s27, s26
	s_add_nc_u64 s[26:27], s[20:21], 2
	s_cmp_lg_u32 s28, 0
	s_cselect_b32 s24, s26, s24
	s_cselect_b32 s25, s27, s25
	s_cmp_lg_u32 s22, 0
	s_sub_co_ci_u32 s22, s9, s23
	s_delay_alu instid0(SALU_CYCLE_1)
	s_cmp_ge_u32 s22, s19
	s_cselect_b32 s23, -1, 0
	s_cmp_ge_u32 s13, s18
	s_cselect_b32 s13, -1, 0
	s_cmp_eq_u32 s22, s19
	s_wait_alu 0xfffe
	s_cselect_b32 s13, s13, s23
	s_wait_alu 0xfffe
	s_cmp_lg_u32 s13, 0
	s_mov_b32 s13, 0
	s_cselect_b32 s23, s25, s21
	s_cselect_b32 s22, s24, s20
.LBB199_13:                             ;   in Loop: Header=BB199_11 Depth=1
	s_wait_alu 0xfffe
	s_and_not1_b32 vcc_lo, exec_lo, s13
	s_cbranch_vccnz .LBB199_15
; %bb.14:                               ;   in Loop: Header=BB199_11 Depth=1
	v_cvt_f32_u32_e32 v1, s18
	s_sub_co_i32 s20, 0, s18
	s_mov_b32 s23, s12
	s_delay_alu instid0(VALU_DEP_1) | instskip(NEXT) | instid1(TRANS32_DEP_1)
	v_rcp_iflag_f32_e32 v1, v1
	v_mul_f32_e32 v1, 0x4f7ffffe, v1
	s_delay_alu instid0(VALU_DEP_1) | instskip(NEXT) | instid1(VALU_DEP_1)
	v_cvt_u32_f32_e32 v1, v1
	v_readfirstlane_b32 s13, v1
	s_mul_i32 s20, s20, s13
	s_delay_alu instid0(SALU_CYCLE_1) | instskip(NEXT) | instid1(SALU_CYCLE_1)
	s_mul_hi_u32 s20, s13, s20
	s_add_co_i32 s13, s13, s20
	s_wait_alu 0xfffe
	s_mul_hi_u32 s13, s8, s13
	s_wait_alu 0xfffe
	s_mul_i32 s20, s13, s18
	s_add_co_i32 s21, s13, 1
	s_sub_co_i32 s20, s8, s20
	s_delay_alu instid0(SALU_CYCLE_1)
	s_sub_co_i32 s22, s20, s18
	s_cmp_ge_u32 s20, s18
	s_cselect_b32 s13, s21, s13
	s_cselect_b32 s20, s22, s20
	s_wait_alu 0xfffe
	s_add_co_i32 s21, s13, 1
	s_cmp_ge_u32 s20, s18
	s_cselect_b32 s22, s21, s13
.LBB199_15:                             ;   in Loop: Header=BB199_11 Depth=1
	s_load_b64 s[20:21], s[14:15], 0xc8
	s_mul_u64 s[18:19], s[22:23], s[18:19]
	s_add_co_i32 s7, s7, -1
	s_wait_alu 0xfffe
	s_sub_nc_u64 s[8:9], s[8:9], s[18:19]
	s_cmp_gt_u32 s7, 2
	s_add_nc_u64 s[14:15], s[14:15], -8
	s_wait_kmcnt 0x0
	s_wait_alu 0xfffe
	s_mul_u64 s[8:9], s[20:21], s[8:9]
	s_wait_alu 0xfffe
	s_add_nc_u64 s[4:5], s[8:9], s[4:5]
	s_cbranch_scc0 .LBB199_18
; %bb.16:                               ;   in Loop: Header=BB199_11 Depth=1
	s_mov_b64 s[8:9], s[22:23]
	s_branch .LBB199_11
.LBB199_17:
	s_mov_b64 s[22:23], s[8:9]
.LBB199_18:
	s_clause 0x2
	s_load_b64 s[8:9], s[0:1], 0xd0
	s_load_b32 s7, s[0:1], 0x360
	s_load_b64 s[12:13], s[0:1], 0x0
	s_wait_kmcnt 0x0
	s_mul_u64 s[10:11], s[8:9], s[10:11]
	s_bitcmp1_b32 s7, 0
	s_mov_b32 s8, -1
	s_cselect_b32 s7, -1, 0
	s_lshl_b64 s[14:15], s[10:11], 3
	s_lshl_b64 s[18:19], s[2:3], 3
	s_and_b32 s2, s7, exec_lo
	s_cselect_b32 s9, -1, 0x7fffffff
	s_wait_alu 0xfffe
	s_mov_b32 s10, s8
	s_mov_b32 s11, s9
	v_dual_mov_b32 v1, s8 :: v_dual_mov_b32 v2, s9
	v_cmp_gt_u32_e64 s2, s6, v0
	v_dual_mov_b32 v3, s10 :: v_dual_mov_b32 v4, s11
	v_dual_mov_b32 v5, s8 :: v_dual_mov_b32 v6, s9
	s_add_nc_u64 s[12:13], s[12:13], s[14:15]
	s_wait_alu 0xfffe
	s_add_nc_u64 s[18:19], s[12:13], s[18:19]
	s_and_saveexec_b32 s3, s2
	s_cbranch_execz .LBB199_20
; %bb.19:
	v_mad_co_u64_u32 v[1:2], null, s16, v0, 0
	s_delay_alu instid0(VALU_DEP_1) | instskip(NEXT) | instid1(VALU_DEP_1)
	v_mad_co_u64_u32 v[2:3], null, s17, v0, v[2:3]
	v_lshlrev_b64_e32 v[1:2], 3, v[1:2]
	s_wait_alu 0xfffe
	s_delay_alu instid0(VALU_DEP_1) | instskip(NEXT) | instid1(VALU_DEP_1)
	v_add_co_u32 v1, vcc_lo, s18, v1
	v_add_co_ci_u32_e64 v2, null, s19, v2, vcc_lo
	global_load_b64 v[5:6], v[1:2], off
	v_dual_mov_b32 v1, s8 :: v_dual_mov_b32 v2, s9
	v_dual_mov_b32 v3, s10 :: v_dual_mov_b32 v4, s11
.LBB199_20:
	s_or_b32 exec_lo, exec_lo, s3
	s_clause 0x1
	s_load_b64 s[10:11], s[0:1], 0x288
	s_load_b64 s[8:9], s[0:1], 0x1b8
	v_or_b32_e32 v9, 16, v0
	s_delay_alu instid0(VALU_DEP_1)
	v_cmp_gt_u32_e64 s3, s6, v9
	s_and_saveexec_b32 s6, s3
	s_cbranch_execz .LBB199_22
; %bb.21:
	v_mad_co_u64_u32 v[1:2], null, s16, v9, 0
	s_delay_alu instid0(VALU_DEP_1) | instskip(NEXT) | instid1(VALU_DEP_1)
	v_mad_co_u64_u32 v[2:3], null, s17, v9, v[2:3]
	v_lshlrev_b64_e32 v[1:2], 3, v[1:2]
	s_delay_alu instid0(VALU_DEP_1) | instskip(SKIP_1) | instid1(VALU_DEP_2)
	v_add_co_u32 v1, vcc_lo, s18, v1
	s_wait_alu 0xfffd
	v_add_co_ci_u32_e64 v2, null, s19, v2, vcc_lo
	global_load_b64 v[3:4], v[1:2], off
.LBB199_22:
	s_wait_alu 0xfffe
	s_or_b32 exec_lo, exec_lo, s6
	v_lshlrev_b32_e32 v27, 3, v0
	v_dual_mov_b32 v7, 0 :: v_dual_lshlrev_b32 v28, 4, v0
	s_load_b64 s[20:21], s[0:1], 0x358
	v_mov_b32_e32 v8, 0
	s_wait_loadcnt 0x0
	ds_store_2addr_b64 v27, v[5:6], v[3:4] offset1:16
	s_wait_dscnt 0x0
	; wave barrier
	global_inv scope:SCOPE_SE
	v_mov_b32_e32 v5, 0
	ds_load_2addr_b64 v[1:4], v28 offset1:1
	s_wait_kmcnt 0x0
	s_mul_u64 s[0:1], s[10:11], s[22:23]
	s_lshl_b64 s[4:5], s[4:5], 3
	s_lshl_b64 s[0:1], s[0:1], 3
	v_mov_b32_e32 v6, v5
	s_add_nc_u64 s[0:1], s[8:9], s[0:1]
	s_wait_loadcnt_dscnt 0x0
	s_wait_alu 0xfffe
	s_add_nc_u64 s[22:23], s[0:1], s[4:5]
	; wave barrier
	global_inv scope:SCOPE_SE
	s_and_saveexec_b32 s0, s2
	s_cbranch_execz .LBB199_24
; %bb.23:
	v_mad_co_u64_u32 v[6:7], null, s20, v0, 0
	s_delay_alu instid0(VALU_DEP_1) | instskip(NEXT) | instid1(VALU_DEP_1)
	v_mad_co_u64_u32 v[7:8], null, s21, v0, v[7:8]
	v_lshlrev_b64_e32 v[6:7], 3, v[6:7]
	s_delay_alu instid0(VALU_DEP_1) | instskip(SKIP_1) | instid1(VALU_DEP_2)
	v_add_co_u32 v6, vcc_lo, s22, v6
	s_wait_alu 0xfffd
	v_add_co_ci_u32_e64 v7, null, s23, v7, vcc_lo
	global_load_b64 v[7:8], v[6:7], off
	v_mov_b32_e32 v6, v5
.LBB199_24:
	s_or_b32 exec_lo, exec_lo, s0
	s_xor_b32 s8, s7, -1
	s_and_saveexec_b32 s0, s3
	s_cbranch_execz .LBB199_26
; %bb.25:
	v_mad_co_u64_u32 v[5:6], null, s20, v9, 0
	s_wait_loadcnt 0x0
	s_delay_alu instid0(VALU_DEP_1) | instskip(NEXT) | instid1(VALU_DEP_1)
	v_mad_co_u64_u32 v[9:10], null, s21, v9, v[6:7]
	v_mov_b32_e32 v6, v9
	s_delay_alu instid0(VALU_DEP_1) | instskip(NEXT) | instid1(VALU_DEP_1)
	v_lshlrev_b64_e32 v[5:6], 3, v[5:6]
	v_add_co_u32 v5, vcc_lo, s22, v5
	s_wait_alu 0xfffd
	s_delay_alu instid0(VALU_DEP_2)
	v_add_co_ci_u32_e64 v6, null, s23, v6, vcc_lo
	global_load_b64 v[5:6], v[5:6], off
.LBB199_26:
	s_or_b32 exec_lo, exec_lo, s0
	v_mbcnt_lo_u32_b32 v9, -1, 0
	s_getpc_b64 s[0:1]
	s_sext_i32_i16 s1, s1
	s_add_co_u32 s0, s0, _ZN7rocprim17ROCPRIM_400000_NS16block_radix_sortIdLj16ELj2ElLj1ELj1ELj0ELNS0_26block_radix_rank_algorithmE1ELNS0_18block_padding_hintE2ELNS0_4arch9wavefront6targetE0EE19radix_bits_per_passE@rel32@lo+8
	s_add_co_ci_u32 s1, s1, _ZN7rocprim17ROCPRIM_400000_NS16block_radix_sortIdLj16ELj2ElLj1ELj1ELj0ELNS0_26block_radix_rank_algorithmE1ELNS0_18block_padding_hintE2ELNS0_4arch9wavefront6targetE0EE19radix_bits_per_passE@rel32@hi+16
	s_wait_loadcnt 0x0
	ds_store_2addr_b64 v27, v[7:8], v[5:6] offset1:16
	s_wait_dscnt 0x0
	; wave barrier
	global_inv scope:SCOPE_SE
	ds_load_2addr_b64 v[5:8], v28 offset1:1
	v_sub_co_u32 v11, s15, v9, 1
	v_and_b32_e32 v12, 16, v9
	s_load_b32 s26, s[0:1], 0x0
	v_and_b32_e32 v10, 15, v9
	v_cmp_gt_u32_e64 s0, 0x80, v0
	v_cmp_eq_u32_e64 s7, 15, v0
	v_cmp_lt_i32_e32 vcc_lo, v11, v12
	v_lshlrev_b32_e32 v30, 5, v0
	v_cmp_eq_u32_e64 s1, 0, v10
	v_cmp_lt_u32_e64 s4, 1, v10
	v_cmp_lt_u32_e64 s5, 3, v10
	s_wait_alu 0xfffd
	v_cndmask_b32_e32 v9, v11, v9, vcc_lo
	v_cmp_lt_u32_e64 s6, 7, v10
	v_sub_nc_u32_e32 v29, v30, v28
	s_and_b32 vcc_lo, exec_lo, s8
	v_ashrrev_i32_e32 v33, 31, v2
	v_lshlrev_b32_e32 v31, 2, v9
	v_ashrrev_i32_e32 v32, 31, v4
	v_cmp_gt_u32_e64 s8, 0x70, v0
	v_cmp_gt_u32_e64 s9, 0x60, v0
	;; [unrolled: 1-line block ×7, first 2 shown]
	s_mov_b32 s24, -1
	; wave barrier
	s_wait_loadcnt_dscnt 0x0
	global_inv scope:SCOPE_SE
	s_wait_alu 0xfffe
	s_cbranch_vccz .LBB199_42
; %bb.27:
	v_cmp_lt_i64_e32 vcc_lo, -1, v[1:2]
	v_dual_mov_b32 v21, 0 :: v_dual_lshlrev_b32 v34, 2, v0
	v_xor_b32_e32 v9, v33, v1
	v_dual_mov_b32 v22, 0 :: v_dual_mov_b32 v35, 0
	s_wait_alu 0xfffd
	v_cndmask_b32_e64 v10, -1, 0x80000000, vcc_lo
	v_cmp_lt_i64_e32 vcc_lo, -1, v[3:4]
	v_dual_mov_b32 v14, v6 :: v_dual_mov_b32 v13, v5
	v_dual_mov_b32 v16, v8 :: v_dual_mov_b32 v15, v7
	s_delay_alu instid0(VALU_DEP_4)
	v_xor_b32_e32 v10, v10, v2
	s_wait_alu 0xfffd
	v_cndmask_b32_e64 v11, -1, 0x80000000, vcc_lo
	s_mov_b32 s24, -1
	s_brev_b32 s25, -2
	s_mov_b32 s27, 64
	s_delay_alu instid0(VALU_DEP_1)
	v_xor_b32_e32 v12, v11, v4
	v_xor_b32_e32 v11, v32, v3
	s_branch .LBB199_29
.LBB199_28:                             ;   in Loop: Header=BB199_29 Depth=1
	s_wait_alu 0xfffe
	s_and_not1_b32 vcc_lo, exec_lo, s28
	s_wait_alu 0xfffe
	s_cbranch_vccz .LBB199_43
.LBB199_29:                             ; =>This Inner Loop Header: Depth=1
	s_delay_alu instid0(VALU_DEP_1)
	v_dual_mov_b32 v24, v12 :: v_dual_mov_b32 v23, v11
	v_dual_mov_b32 v26, v10 :: v_dual_mov_b32 v25, v9
	;; [unrolled: 1-line block ×4, first 2 shown]
	s_and_saveexec_b32 s28, s0
	s_cbranch_execz .LBB199_38
; %bb.30:                               ;   in Loop: Header=BB199_29 Depth=1
	ds_store_b32 v34, v35
	s_and_b32 exec_lo, exec_lo, s8
	s_cbranch_execz .LBB199_38
; %bb.31:                               ;   in Loop: Header=BB199_29 Depth=1
	ds_store_b32 v34, v35 offset:64
	s_and_b32 exec_lo, exec_lo, s9
	s_cbranch_execz .LBB199_38
; %bb.32:                               ;   in Loop: Header=BB199_29 Depth=1
	ds_store_b32 v34, v35 offset:128
	;; [unrolled: 4-line block ×6, first 2 shown]
	s_and_b32 exec_lo, exec_lo, s14
; %bb.37:                               ;   in Loop: Header=BB199_29 Depth=1
	ds_store_b32 v34, v35 offset:448
.LBB199_38:                             ;   in Loop: Header=BB199_29 Depth=1
	s_wait_alu 0xfffe
	s_or_b32 exec_lo, exec_lo, s28
	v_cmp_ne_u64_e32 vcc_lo, s[24:25], v[25:26]
	s_wait_kmcnt 0x0
	s_min_u32 s28, s26, s27
	s_wait_alu 0xfffe
	s_lshl_b32 s28, -1, s28
	s_wait_alu 0xfffe
	s_not_b32 s28, s28
	s_wait_alu 0xfffd
	v_cndmask_b32_e32 v10, 0x80000000, v26, vcc_lo
	v_cndmask_b32_e32 v9, 0, v25, vcc_lo
	v_cmp_ne_u64_e32 vcc_lo, s[24:25], v[23:24]
	s_delay_alu instid0(VALU_DEP_2) | instskip(SKIP_1) | instid1(VALU_DEP_1)
	v_lshrrev_b64 v[9:10], v21, v[9:10]
	s_wait_alu 0xfffe
	v_and_b32_e32 v9, s28, v9
	s_delay_alu instid0(VALU_DEP_1) | instskip(SKIP_2) | instid1(VALU_DEP_1)
	v_lshlrev_b32_e32 v10, 4, v9
	v_lshrrev_b32_e32 v9, 2, v9
	s_wait_alu 0xfffd
	v_dual_cndmask_b32 v9, 0, v23 :: v_dual_and_b32 v12, 0x1ffffffe, v9
	s_delay_alu instid0(VALU_DEP_3) | instskip(SKIP_1) | instid1(VALU_DEP_2)
	v_and_or_b32 v11, 0x70, v10, v0
	v_cndmask_b32_e32 v10, 0x80000000, v24, vcc_lo
	v_lshl_add_u32 v36, v11, 2, v12
	s_delay_alu instid0(VALU_DEP_2) | instskip(SKIP_2) | instid1(VALU_DEP_1)
	v_lshrrev_b64 v[9:10], v21, v[9:10]
	ds_load_u16 v37, v36
	v_and_b32_e32 v9, s28, v9
	v_lshlrev_b32_e32 v10, 4, v9
	v_lshrrev_b32_e32 v9, 2, v9
	s_delay_alu instid0(VALU_DEP_2) | instskip(NEXT) | instid1(VALU_DEP_2)
	v_and_or_b32 v10, 0x70, v10, v0
	v_and_b32_e32 v9, 0x1ffffffe, v9
	s_delay_alu instid0(VALU_DEP_1)
	v_lshl_add_u32 v38, v10, 2, v9
	s_wait_dscnt 0x0
	v_add_nc_u16 v11, v37, 1
	ds_store_b16 v36, v11
	ds_load_u16 v39, v38
	s_wait_dscnt 0x0
	v_add_nc_u16 v9, v39, 1
	ds_store_b16 v38, v9
	; wave barrier
	s_wait_loadcnt_dscnt 0x0
	global_inv scope:SCOPE_SE
	ds_load_b128 v[13:16], v30
	ds_load_b128 v[9:12], v30 offset:16
	s_wait_dscnt 0x1
	v_add_nc_u32_e32 v40, v14, v13
	s_delay_alu instid0(VALU_DEP_1) | instskip(SKIP_1) | instid1(VALU_DEP_1)
	v_add3_u32 v40, v40, v15, v16
	s_wait_dscnt 0x0
	v_add3_u32 v40, v40, v9, v10
	s_delay_alu instid0(VALU_DEP_1) | instskip(NEXT) | instid1(VALU_DEP_1)
	v_add3_u32 v12, v40, v11, v12
	v_mov_b32_dpp v40, v12 row_shr:1 row_mask:0xf bank_mask:0xf
	s_delay_alu instid0(VALU_DEP_1) | instskip(NEXT) | instid1(VALU_DEP_1)
	v_cndmask_b32_e64 v40, v40, 0, s1
	v_add_nc_u32_e32 v12, v40, v12
	s_delay_alu instid0(VALU_DEP_1) | instskip(NEXT) | instid1(VALU_DEP_1)
	v_mov_b32_dpp v40, v12 row_shr:2 row_mask:0xf bank_mask:0xf
	v_cndmask_b32_e64 v40, 0, v40, s4
	s_delay_alu instid0(VALU_DEP_1) | instskip(NEXT) | instid1(VALU_DEP_1)
	v_add_nc_u32_e32 v12, v12, v40
	v_mov_b32_dpp v40, v12 row_shr:4 row_mask:0xf bank_mask:0xf
	s_delay_alu instid0(VALU_DEP_1) | instskip(NEXT) | instid1(VALU_DEP_1)
	v_cndmask_b32_e64 v40, 0, v40, s5
	v_add_nc_u32_e32 v12, v12, v40
	s_delay_alu instid0(VALU_DEP_1) | instskip(NEXT) | instid1(VALU_DEP_1)
	v_mov_b32_dpp v40, v12 row_shr:8 row_mask:0xf bank_mask:0xf
	v_cndmask_b32_e64 v40, 0, v40, s6
	s_delay_alu instid0(VALU_DEP_1)
	v_add_nc_u32_e32 v12, v12, v40
	s_and_saveexec_b32 s28, s7
; %bb.39:                               ;   in Loop: Header=BB199_29 Depth=1
	ds_store_b32 v35, v12 offset:512
; %bb.40:                               ;   in Loop: Header=BB199_29 Depth=1
	s_wait_alu 0xfffe
	s_or_b32 exec_lo, exec_lo, s28
	ds_bpermute_b32 v12, v31, v12
	; wave barrier
	s_wait_loadcnt_dscnt 0x0
	global_inv scope:SCOPE_SE
	ds_load_b32 v40, v35 offset:512
	v_cmp_lt_u32_e32 vcc_lo, 59, v21
	s_mov_b32 s28, -1
	s_and_b32 vcc_lo, exec_lo, vcc_lo
	v_cndmask_b32_e64 v12, v12, 0, s15
	s_wait_dscnt 0x0
	s_delay_alu instid0(VALU_DEP_1) | instskip(NEXT) | instid1(VALU_DEP_1)
	v_lshl_add_u32 v12, v40, 16, v12
	v_add_nc_u32_e32 v13, v12, v13
	s_delay_alu instid0(VALU_DEP_1) | instskip(NEXT) | instid1(VALU_DEP_1)
	v_add_nc_u32_e32 v14, v13, v14
	v_add_nc_u32_e32 v15, v14, v15
	s_delay_alu instid0(VALU_DEP_1) | instskip(NEXT) | instid1(VALU_DEP_1)
	v_add_nc_u32_e32 v40, v15, v16
	;; [unrolled: 3-line block ×3, first 2 shown]
	v_add_nc_u32_e32 v43, v42, v11
	v_and_b32_e32 v11, 0xffff, v37
	ds_store_b128 v30, v[12:15]
	ds_store_b128 v30, v[40:43] offset:16
	; wave barrier
	s_wait_loadcnt_dscnt 0x0
	global_inv scope:SCOPE_SE
	ds_load_u16 v9, v36
	ds_load_u16 v10, v38
	v_and_b32_e32 v12, 0xffff, v39
                                        ; implicit-def: $vgpr15_vgpr16
	s_wait_dscnt 0x1
	v_add_nc_u32_e32 v37, v9, v11
	s_wait_dscnt 0x0
	s_delay_alu instid0(VALU_DEP_2)
	v_add_nc_u32_e32 v36, v10, v12
                                        ; implicit-def: $vgpr11_vgpr12
	s_wait_alu 0xfffe
	s_cbranch_vccnz .LBB199_28
; %bb.41:                               ;   in Loop: Header=BB199_29 Depth=1
	v_lshlrev_b32_e32 v13, 3, v37
	s_delay_alu instid0(VALU_DEP_2)
	v_lshlrev_b32_e32 v14, 3, v36
	s_wait_loadcnt 0x0
	; wave barrier
	global_inv scope:SCOPE_SE
	v_add_co_u32 v21, vcc_lo, v21, 4
	ds_store_b64 v13, v[25:26]
	ds_store_b64 v14, v[23:24]
	; wave barrier
	s_wait_loadcnt_dscnt 0x0
	global_inv scope:SCOPE_SE
	ds_load_b128 v[9:12], v29
	; wave barrier
	s_wait_loadcnt_dscnt 0x0
	global_inv scope:SCOPE_SE
	ds_store_b64 v13, v[19:20]
	ds_store_b64 v14, v[17:18]
	; wave barrier
	s_wait_loadcnt_dscnt 0x0
	global_inv scope:SCOPE_SE
	ds_load_b128 v[13:16], v29
	s_wait_alu 0xfffd
	v_add_co_ci_u32_e64 v22, null, 0, v22, vcc_lo
	s_add_co_i32 s27, s27, -4
	s_mov_b32 s28, 0
	; wave barrier
	s_wait_loadcnt_dscnt 0x0
	global_inv scope:SCOPE_SE
	s_branch .LBB199_28
.LBB199_42:
                                        ; implicit-def: $vgpr11_vgpr12
                                        ; implicit-def: $vgpr13_vgpr14_vgpr15_vgpr16
	s_and_b32 vcc_lo, exec_lo, s24
	s_wait_alu 0xfffe
	s_cbranch_vccnz .LBB199_44
	s_branch .LBB199_60
.LBB199_43:
	v_lshlrev_b32_e32 v9, 3, v37
	v_lshlrev_b32_e32 v10, 3, v36
	s_wait_loadcnt 0x0
	; wave barrier
	global_inv scope:SCOPE_SE
	ds_store_b64 v9, v[25:26]
	ds_store_b64 v10, v[23:24]
	; wave barrier
	s_wait_loadcnt_dscnt 0x0
	global_inv scope:SCOPE_SE
	ds_load_b128 v[13:16], v29
	; wave barrier
	s_wait_loadcnt_dscnt 0x0
	global_inv scope:SCOPE_SE
	ds_store_b64 v9, v[19:20]
	ds_store_b64 v10, v[17:18]
	; wave barrier
	s_wait_loadcnt_dscnt 0x0
	global_inv scope:SCOPE_SE
	ds_load_b128 v[9:12], v29
	v_cmp_lt_i64_e32 vcc_lo, -1, v[13:14]
	v_ashrrev_i32_e32 v17, 31, v14
	v_ashrrev_i32_e32 v18, 31, v16
	s_wait_alu 0xfffd
	v_cndmask_b32_e64 v19, 0x80000000, -1, vcc_lo
	v_cmp_lt_i64_e32 vcc_lo, -1, v[15:16]
	v_not_b32_e32 v17, v17
	v_not_b32_e32 v18, v18
	s_delay_alu instid0(VALU_DEP_4) | instskip(SKIP_4) | instid1(VALU_DEP_3)
	v_xor_b32_e32 v14, v19, v14
	s_wait_alu 0xfffd
	v_cndmask_b32_e64 v20, 0x80000000, -1, vcc_lo
	v_xor_b32_e32 v13, v17, v13
	v_xor_b32_e32 v15, v18, v15
	;; [unrolled: 1-line block ×3, first 2 shown]
	s_branch .LBB199_60
.LBB199_44:
	v_cmp_gt_i64_e32 vcc_lo, 0, v[1:2]
	s_wait_dscnt 0x0
	v_not_b32_e32 v10, v33
	v_not_b32_e32 v12, v32
	v_dual_mov_b32 v13, 0 :: v_dual_mov_b32 v20, 0
	v_cmp_gt_u32_e64 s8, 0x70, v0
	s_wait_alu 0xfffd
	v_cndmask_b32_e64 v9, 0x7fffffff, 0, vcc_lo
	v_cmp_gt_i64_e32 vcc_lo, 0, v[3:4]
	v_xor_b32_e32 v1, v10, v1
	v_xor_b32_e32 v3, v12, v3
	v_cmp_gt_u32_e64 s9, 0x60, v0
	v_xor_b32_e32 v2, v9, v2
	v_mul_i32_i24_e32 v9, -12, v0
	s_wait_alu 0xfffd
	v_cndmask_b32_e64 v11, 0x7fffffff, 0, vcc_lo
	v_cmp_gt_u32_e64 s10, 0x50, v0
	v_cmp_gt_u32_e64 s11, 64, v0
	;; [unrolled: 1-line block ×4, first 2 shown]
	v_xor_b32_e32 v4, v11, v4
	v_cmp_gt_u32_e64 s14, 16, v0
	v_dual_mov_b32 v14, 0 :: v_dual_add_nc_u32 v19, v29, v9
	s_mov_b32 s24, 0
	s_brev_b32 s25, 1
	s_mov_b32 s27, 64
	s_branch .LBB199_46
.LBB199_45:                             ;   in Loop: Header=BB199_46 Depth=1
	s_wait_alu 0xfffe
	s_and_not1_b32 vcc_lo, exec_lo, s28
	s_wait_alu 0xfffe
	s_cbranch_vccz .LBB199_59
.LBB199_46:                             ; =>This Inner Loop Header: Depth=1
	v_dual_mov_b32 v16, v4 :: v_dual_mov_b32 v15, v3
	v_dual_mov_b32 v18, v2 :: v_dual_mov_b32 v17, v1
	;; [unrolled: 1-line block ×4, first 2 shown]
	s_and_saveexec_b32 s28, s0
	s_cbranch_execz .LBB199_55
; %bb.47:                               ;   in Loop: Header=BB199_46 Depth=1
	ds_store_b32 v19, v20
	s_and_b32 exec_lo, exec_lo, s8
	s_cbranch_execz .LBB199_55
; %bb.48:                               ;   in Loop: Header=BB199_46 Depth=1
	ds_store_b32 v19, v20 offset:64
	s_and_b32 exec_lo, exec_lo, s9
	s_cbranch_execz .LBB199_55
; %bb.49:                               ;   in Loop: Header=BB199_46 Depth=1
	ds_store_b32 v19, v20 offset:128
	s_and_b32 exec_lo, exec_lo, s10
	s_cbranch_execz .LBB199_55
; %bb.50:                               ;   in Loop: Header=BB199_46 Depth=1
	ds_store_b32 v19, v20 offset:192
	s_and_b32 exec_lo, exec_lo, s11
	s_cbranch_execz .LBB199_55
; %bb.51:                               ;   in Loop: Header=BB199_46 Depth=1
	ds_store_b32 v19, v20 offset:256
	s_and_b32 exec_lo, exec_lo, s12
	s_cbranch_execz .LBB199_55
; %bb.52:                               ;   in Loop: Header=BB199_46 Depth=1
	ds_store_b32 v19, v20 offset:320
	s_and_b32 exec_lo, exec_lo, s13
	s_cbranch_execz .LBB199_55
; %bb.53:                               ;   in Loop: Header=BB199_46 Depth=1
	ds_store_b32 v19, v20 offset:384
	s_and_b32 exec_lo, exec_lo, s14
; %bb.54:                               ;   in Loop: Header=BB199_46 Depth=1
	ds_store_b32 v19, v20 offset:448
.LBB199_55:                             ;   in Loop: Header=BB199_46 Depth=1
	s_wait_alu 0xfffe
	s_or_b32 exec_lo, exec_lo, s28
	v_cmp_ne_u64_e32 vcc_lo, s[24:25], v[17:18]
	s_wait_kmcnt 0x0
	s_min_u32 s28, s26, s27
	s_wait_alu 0xfffe
	s_lshl_b32 s28, -1, s28
	s_wait_alu 0xfffe
	s_not_b32 s28, s28
	s_wait_alu 0xfffd
	v_cndmask_b32_e32 v2, 0x7fffffff, v18, vcc_lo
	v_cndmask_b32_e32 v1, -1, v17, vcc_lo
	v_cmp_ne_u64_e32 vcc_lo, s[24:25], v[15:16]
	s_delay_alu instid0(VALU_DEP_2) | instskip(SKIP_1) | instid1(VALU_DEP_1)
	v_lshrrev_b64 v[1:2], v13, v[1:2]
	s_wait_alu 0xfffe
	v_and_b32_e32 v1, s28, v1
	s_delay_alu instid0(VALU_DEP_1) | instskip(SKIP_2) | instid1(VALU_DEP_1)
	v_lshlrev_b32_e32 v2, 4, v1
	v_lshrrev_b32_e32 v1, 2, v1
	s_wait_alu 0xfffd
	v_dual_cndmask_b32 v1, -1, v15 :: v_dual_and_b32 v4, 0x1ffffffe, v1
	s_delay_alu instid0(VALU_DEP_3) | instskip(SKIP_1) | instid1(VALU_DEP_2)
	v_and_or_b32 v3, 0x70, v2, v0
	v_cndmask_b32_e32 v2, 0x7fffffff, v16, vcc_lo
	v_lshl_add_u32 v21, v3, 2, v4
	s_delay_alu instid0(VALU_DEP_2) | instskip(SKIP_2) | instid1(VALU_DEP_1)
	v_lshrrev_b64 v[1:2], v13, v[1:2]
	ds_load_u16 v22, v21
	v_and_b32_e32 v1, s28, v1
	v_lshlrev_b32_e32 v2, 4, v1
	v_lshrrev_b32_e32 v1, 2, v1
	s_delay_alu instid0(VALU_DEP_2) | instskip(NEXT) | instid1(VALU_DEP_2)
	v_and_or_b32 v2, 0x70, v2, v0
	v_and_b32_e32 v1, 0x1ffffffe, v1
	s_delay_alu instid0(VALU_DEP_1)
	v_lshl_add_u32 v23, v2, 2, v1
	s_wait_dscnt 0x0
	v_add_nc_u16 v3, v22, 1
	ds_store_b16 v21, v3
	ds_load_u16 v24, v23
	s_wait_dscnt 0x0
	v_add_nc_u16 v1, v24, 1
	ds_store_b16 v23, v1
	; wave barrier
	s_wait_loadcnt_dscnt 0x0
	global_inv scope:SCOPE_SE
	ds_load_b128 v[5:8], v30
	ds_load_b128 v[1:4], v30 offset:16
	s_wait_dscnt 0x1
	v_add_nc_u32_e32 v25, v6, v5
	s_delay_alu instid0(VALU_DEP_1) | instskip(SKIP_1) | instid1(VALU_DEP_1)
	v_add3_u32 v25, v25, v7, v8
	s_wait_dscnt 0x0
	v_add3_u32 v25, v25, v1, v2
	s_delay_alu instid0(VALU_DEP_1) | instskip(NEXT) | instid1(VALU_DEP_1)
	v_add3_u32 v4, v25, v3, v4
	v_mov_b32_dpp v25, v4 row_shr:1 row_mask:0xf bank_mask:0xf
	s_delay_alu instid0(VALU_DEP_1) | instskip(NEXT) | instid1(VALU_DEP_1)
	v_cndmask_b32_e64 v25, v25, 0, s1
	v_add_nc_u32_e32 v4, v25, v4
	s_delay_alu instid0(VALU_DEP_1) | instskip(NEXT) | instid1(VALU_DEP_1)
	v_mov_b32_dpp v25, v4 row_shr:2 row_mask:0xf bank_mask:0xf
	v_cndmask_b32_e64 v25, 0, v25, s4
	s_delay_alu instid0(VALU_DEP_1) | instskip(NEXT) | instid1(VALU_DEP_1)
	v_add_nc_u32_e32 v4, v4, v25
	v_mov_b32_dpp v25, v4 row_shr:4 row_mask:0xf bank_mask:0xf
	s_delay_alu instid0(VALU_DEP_1) | instskip(NEXT) | instid1(VALU_DEP_1)
	v_cndmask_b32_e64 v25, 0, v25, s5
	v_add_nc_u32_e32 v4, v4, v25
	s_delay_alu instid0(VALU_DEP_1) | instskip(NEXT) | instid1(VALU_DEP_1)
	v_mov_b32_dpp v25, v4 row_shr:8 row_mask:0xf bank_mask:0xf
	v_cndmask_b32_e64 v25, 0, v25, s6
	s_delay_alu instid0(VALU_DEP_1)
	v_add_nc_u32_e32 v4, v4, v25
	s_and_saveexec_b32 s28, s7
; %bb.56:                               ;   in Loop: Header=BB199_46 Depth=1
	ds_store_b32 v20, v4 offset:512
; %bb.57:                               ;   in Loop: Header=BB199_46 Depth=1
	s_wait_alu 0xfffe
	s_or_b32 exec_lo, exec_lo, s28
	ds_bpermute_b32 v4, v31, v4
	; wave barrier
	s_wait_loadcnt_dscnt 0x0
	global_inv scope:SCOPE_SE
	ds_load_b32 v25, v20 offset:512
	v_cmp_lt_u32_e32 vcc_lo, 59, v13
	s_mov_b32 s28, -1
	s_and_b32 vcc_lo, exec_lo, vcc_lo
	v_cndmask_b32_e64 v4, v4, 0, s15
	s_wait_dscnt 0x0
	s_delay_alu instid0(VALU_DEP_1) | instskip(NEXT) | instid1(VALU_DEP_1)
	v_lshl_add_u32 v4, v25, 16, v4
	v_add_nc_u32_e32 v5, v4, v5
	s_delay_alu instid0(VALU_DEP_1) | instskip(NEXT) | instid1(VALU_DEP_1)
	v_add_nc_u32_e32 v6, v5, v6
	v_add_nc_u32_e32 v7, v6, v7
	s_delay_alu instid0(VALU_DEP_1) | instskip(NEXT) | instid1(VALU_DEP_1)
	v_add_nc_u32_e32 v32, v7, v8
	;; [unrolled: 3-line block ×3, first 2 shown]
	v_add_nc_u32_e32 v35, v34, v3
	v_and_b32_e32 v3, 0xffff, v22
	ds_store_b128 v30, v[4:7]
	ds_store_b128 v30, v[32:35] offset:16
	; wave barrier
	s_wait_loadcnt_dscnt 0x0
	global_inv scope:SCOPE_SE
	ds_load_u16 v1, v21
	ds_load_u16 v2, v23
	v_and_b32_e32 v4, 0xffff, v24
                                        ; implicit-def: $vgpr7_vgpr8
	s_wait_dscnt 0x1
	v_add_nc_u32_e32 v22, v1, v3
	s_wait_dscnt 0x0
	s_delay_alu instid0(VALU_DEP_2)
	v_add_nc_u32_e32 v21, v2, v4
                                        ; implicit-def: $vgpr3_vgpr4
	s_wait_alu 0xfffe
	s_cbranch_vccnz .LBB199_45
; %bb.58:                               ;   in Loop: Header=BB199_46 Depth=1
	v_lshlrev_b32_e32 v5, 3, v22
	s_delay_alu instid0(VALU_DEP_2)
	v_lshlrev_b32_e32 v6, 3, v21
	s_wait_loadcnt 0x0
	; wave barrier
	global_inv scope:SCOPE_SE
	v_add_co_u32 v13, vcc_lo, v13, 4
	ds_store_b64 v5, v[17:18]
	ds_store_b64 v6, v[15:16]
	; wave barrier
	s_wait_loadcnt_dscnt 0x0
	global_inv scope:SCOPE_SE
	ds_load_b128 v[1:4], v29
	; wave barrier
	s_wait_loadcnt_dscnt 0x0
	global_inv scope:SCOPE_SE
	ds_store_b64 v5, v[11:12]
	ds_store_b64 v6, v[9:10]
	; wave barrier
	s_wait_loadcnt_dscnt 0x0
	global_inv scope:SCOPE_SE
	ds_load_b128 v[5:8], v29
	s_wait_alu 0xfffd
	v_add_co_ci_u32_e64 v14, null, 0, v14, vcc_lo
	s_add_co_i32 s27, s27, -4
	s_mov_b32 s28, 0
	; wave barrier
	s_wait_loadcnt_dscnt 0x0
	global_inv scope:SCOPE_SE
	s_branch .LBB199_45
.LBB199_59:
	v_lshlrev_b32_e32 v5, 3, v22
	v_lshlrev_b32_e32 v6, 3, v21
	s_wait_loadcnt 0x0
	; wave barrier
	global_inv scope:SCOPE_SE
	ds_store_b64 v5, v[17:18]
	ds_store_b64 v6, v[15:16]
	; wave barrier
	s_wait_loadcnt_dscnt 0x0
	global_inv scope:SCOPE_SE
	ds_load_b128 v[1:4], v29
	; wave barrier
	s_wait_loadcnt_dscnt 0x0
	global_inv scope:SCOPE_SE
	ds_store_b64 v5, v[11:12]
	ds_store_b64 v6, v[9:10]
	; wave barrier
	s_wait_loadcnt_dscnt 0x0
	global_inv scope:SCOPE_SE
	ds_load_b128 v[9:12], v29
	v_cmp_gt_i64_e32 vcc_lo, 0, v[1:2]
	v_ashrrev_i32_e32 v5, 31, v2
	v_ashrrev_i32_e32 v6, 31, v4
	s_wait_alu 0xfffd
	v_cndmask_b32_e64 v7, 0x7fffffff, 0, vcc_lo
	v_cmp_gt_i64_e32 vcc_lo, 0, v[3:4]
	v_not_b32_e32 v5, v5
	v_not_b32_e32 v6, v6
	s_delay_alu instid0(VALU_DEP_4) | instskip(SKIP_4) | instid1(VALU_DEP_3)
	v_xor_b32_e32 v14, v7, v2
	s_wait_alu 0xfffd
	v_cndmask_b32_e64 v8, 0x7fffffff, 0, vcc_lo
	v_xor_b32_e32 v13, v5, v1
	v_xor_b32_e32 v15, v6, v3
	;; [unrolled: 1-line block ×3, first 2 shown]
.LBB199_60:
	v_mad_co_u64_u32 v[3:4], null, s16, v0, 0
	; wave barrier
	s_wait_loadcnt_dscnt 0x0
	global_inv scope:SCOPE_SE
	ds_store_2addr_b64 v28, v[13:14], v[15:16] offset1:1
	; wave barrier
	s_wait_loadcnt_dscnt 0x0
	global_inv scope:SCOPE_SE
	v_mov_b32_e32 v1, v4
	s_delay_alu instid0(VALU_DEP_1) | instskip(SKIP_2) | instid1(VALU_DEP_1)
	v_mad_co_u64_u32 v[4:5], null, s17, v0, v[1:2]
	ds_load_b64 v[1:2], v27 offset:128
	v_lshlrev_b64_e32 v[3:4], 3, v[3:4]
	v_add_co_u32 v3, vcc_lo, s18, v3
	s_wait_alu 0xfffd
	s_delay_alu instid0(VALU_DEP_2)
	v_add_co_ci_u32_e64 v4, null, s19, v4, vcc_lo
	s_and_saveexec_b32 s0, s2
	s_cbranch_execz .LBB199_62
; %bb.61:
	ds_load_b64 v[5:6], v27
	s_wait_dscnt 0x0
	global_store_b64 v[3:4], v[5:6], off
.LBB199_62:
	s_wait_alu 0xfffe
	s_or_b32 exec_lo, exec_lo, s0
	s_and_saveexec_b32 s0, s3
	s_cbranch_execz .LBB199_64
; %bb.63:
	s_lshl_b64 s[4:5], s[16:17], 7
	s_wait_alu 0xfffe
	v_add_co_u32 v3, vcc_lo, v3, s4
	s_wait_alu 0xfffd
	v_add_co_ci_u32_e64 v4, null, s5, v4, vcc_lo
	s_wait_dscnt 0x0
	global_store_b64 v[3:4], v[1:2], off
.LBB199_64:
	s_wait_alu 0xfffe
	s_or_b32 exec_lo, exec_lo, s0
	s_wait_dscnt 0x0
	v_mad_co_u64_u32 v[2:3], null, s20, v0, 0
	s_wait_loadcnt 0x0
	s_wait_storecnt 0x0
	; wave barrier
	global_inv scope:SCOPE_SE
	ds_store_2addr_b64 v28, v[9:10], v[11:12] offset1:1
	; wave barrier
	s_wait_loadcnt_dscnt 0x0
	global_inv scope:SCOPE_SE
	v_mov_b32_e32 v1, v3
	s_delay_alu instid0(VALU_DEP_1) | instskip(SKIP_2) | instid1(VALU_DEP_1)
	v_mad_co_u64_u32 v[3:4], null, s21, v0, v[1:2]
	ds_load_b64 v[0:1], v27 offset:128
	v_lshlrev_b64_e32 v[2:3], 3, v[2:3]
	v_add_co_u32 v2, vcc_lo, s22, v2
	s_wait_alu 0xfffd
	s_delay_alu instid0(VALU_DEP_2)
	v_add_co_ci_u32_e64 v3, null, s23, v3, vcc_lo
	s_and_saveexec_b32 s0, s2
	s_cbranch_execz .LBB199_66
; %bb.65:
	ds_load_b64 v[4:5], v27
	s_wait_dscnt 0x0
	global_store_b64 v[2:3], v[4:5], off
.LBB199_66:
	s_wait_alu 0xfffe
	s_or_b32 exec_lo, exec_lo, s0
	s_and_saveexec_b32 s0, s3
	s_cbranch_execz .LBB199_68
; %bb.67:
	s_lshl_b64 s[0:1], s[20:21], 7
	s_wait_alu 0xfffe
	v_add_co_u32 v2, vcc_lo, v2, s0
	s_wait_alu 0xfffd
	v_add_co_ci_u32_e64 v3, null, s1, v3, vcc_lo
	s_wait_dscnt 0x0
	global_store_b64 v[2:3], v[0:1], off
.LBB199_68:
	s_endpgm
	.section	.rodata,"a",@progbits
	.p2align	6, 0x0
	.amdhsa_kernel _ZN2at6native18radixSortKVInPlaceILin1ELin1ELi16ELi2EdlmEEvNS_4cuda6detail10TensorInfoIT3_T5_EES6_S6_S6_NS4_IT4_S6_EES6_b
		.amdhsa_group_segment_fixed_size 528
		.amdhsa_private_segment_fixed_size 0
		.amdhsa_kernarg_size 1128
		.amdhsa_user_sgpr_count 2
		.amdhsa_user_sgpr_dispatch_ptr 0
		.amdhsa_user_sgpr_queue_ptr 0
		.amdhsa_user_sgpr_kernarg_segment_ptr 1
		.amdhsa_user_sgpr_dispatch_id 0
		.amdhsa_user_sgpr_private_segment_size 0
		.amdhsa_wavefront_size32 1
		.amdhsa_uses_dynamic_stack 0
		.amdhsa_enable_private_segment 0
		.amdhsa_system_sgpr_workgroup_id_x 1
		.amdhsa_system_sgpr_workgroup_id_y 1
		.amdhsa_system_sgpr_workgroup_id_z 1
		.amdhsa_system_sgpr_workgroup_info 0
		.amdhsa_system_vgpr_workitem_id 0
		.amdhsa_next_free_vgpr 44
		.amdhsa_next_free_sgpr 34
		.amdhsa_reserve_vcc 1
		.amdhsa_float_round_mode_32 0
		.amdhsa_float_round_mode_16_64 0
		.amdhsa_float_denorm_mode_32 3
		.amdhsa_float_denorm_mode_16_64 3
		.amdhsa_fp16_overflow 0
		.amdhsa_workgroup_processor_mode 1
		.amdhsa_memory_ordered 1
		.amdhsa_forward_progress 1
		.amdhsa_inst_pref_size 45
		.amdhsa_round_robin_scheduling 0
		.amdhsa_exception_fp_ieee_invalid_op 0
		.amdhsa_exception_fp_denorm_src 0
		.amdhsa_exception_fp_ieee_div_zero 0
		.amdhsa_exception_fp_ieee_overflow 0
		.amdhsa_exception_fp_ieee_underflow 0
		.amdhsa_exception_fp_ieee_inexact 0
		.amdhsa_exception_int_div_zero 0
	.end_amdhsa_kernel
	.section	.text._ZN2at6native18radixSortKVInPlaceILin1ELin1ELi16ELi2EdlmEEvNS_4cuda6detail10TensorInfoIT3_T5_EES6_S6_S6_NS4_IT4_S6_EES6_b,"axG",@progbits,_ZN2at6native18radixSortKVInPlaceILin1ELin1ELi16ELi2EdlmEEvNS_4cuda6detail10TensorInfoIT3_T5_EES6_S6_S6_NS4_IT4_S6_EES6_b,comdat
.Lfunc_end199:
	.size	_ZN2at6native18radixSortKVInPlaceILin1ELin1ELi16ELi2EdlmEEvNS_4cuda6detail10TensorInfoIT3_T5_EES6_S6_S6_NS4_IT4_S6_EES6_b, .Lfunc_end199-_ZN2at6native18radixSortKVInPlaceILin1ELin1ELi16ELi2EdlmEEvNS_4cuda6detail10TensorInfoIT3_T5_EES6_S6_S6_NS4_IT4_S6_EES6_b
                                        ; -- End function
	.set _ZN2at6native18radixSortKVInPlaceILin1ELin1ELi16ELi2EdlmEEvNS_4cuda6detail10TensorInfoIT3_T5_EES6_S6_S6_NS4_IT4_S6_EES6_b.num_vgpr, 44
	.set _ZN2at6native18radixSortKVInPlaceILin1ELin1ELi16ELi2EdlmEEvNS_4cuda6detail10TensorInfoIT3_T5_EES6_S6_S6_NS4_IT4_S6_EES6_b.num_agpr, 0
	.set _ZN2at6native18radixSortKVInPlaceILin1ELin1ELi16ELi2EdlmEEvNS_4cuda6detail10TensorInfoIT3_T5_EES6_S6_S6_NS4_IT4_S6_EES6_b.numbered_sgpr, 34
	.set _ZN2at6native18radixSortKVInPlaceILin1ELin1ELi16ELi2EdlmEEvNS_4cuda6detail10TensorInfoIT3_T5_EES6_S6_S6_NS4_IT4_S6_EES6_b.num_named_barrier, 0
	.set _ZN2at6native18radixSortKVInPlaceILin1ELin1ELi16ELi2EdlmEEvNS_4cuda6detail10TensorInfoIT3_T5_EES6_S6_S6_NS4_IT4_S6_EES6_b.private_seg_size, 0
	.set _ZN2at6native18radixSortKVInPlaceILin1ELin1ELi16ELi2EdlmEEvNS_4cuda6detail10TensorInfoIT3_T5_EES6_S6_S6_NS4_IT4_S6_EES6_b.uses_vcc, 1
	.set _ZN2at6native18radixSortKVInPlaceILin1ELin1ELi16ELi2EdlmEEvNS_4cuda6detail10TensorInfoIT3_T5_EES6_S6_S6_NS4_IT4_S6_EES6_b.uses_flat_scratch, 0
	.set _ZN2at6native18radixSortKVInPlaceILin1ELin1ELi16ELi2EdlmEEvNS_4cuda6detail10TensorInfoIT3_T5_EES6_S6_S6_NS4_IT4_S6_EES6_b.has_dyn_sized_stack, 0
	.set _ZN2at6native18radixSortKVInPlaceILin1ELin1ELi16ELi2EdlmEEvNS_4cuda6detail10TensorInfoIT3_T5_EES6_S6_S6_NS4_IT4_S6_EES6_b.has_recursion, 0
	.set _ZN2at6native18radixSortKVInPlaceILin1ELin1ELi16ELi2EdlmEEvNS_4cuda6detail10TensorInfoIT3_T5_EES6_S6_S6_NS4_IT4_S6_EES6_b.has_indirect_call, 0
	.section	.AMDGPU.csdata,"",@progbits
; Kernel info:
; codeLenInByte = 5652
; TotalNumSgprs: 36
; NumVgprs: 44
; ScratchSize: 0
; MemoryBound: 0
; FloatMode: 240
; IeeeMode: 1
; LDSByteSize: 528 bytes/workgroup (compile time only)
; SGPRBlocks: 0
; VGPRBlocks: 5
; NumSGPRsForWavesPerEU: 36
; NumVGPRsForWavesPerEU: 44
; Occupancy: 16
; WaveLimiterHint : 1
; COMPUTE_PGM_RSRC2:SCRATCH_EN: 0
; COMPUTE_PGM_RSRC2:USER_SGPR: 2
; COMPUTE_PGM_RSRC2:TRAP_HANDLER: 0
; COMPUTE_PGM_RSRC2:TGID_X_EN: 1
; COMPUTE_PGM_RSRC2:TGID_Y_EN: 1
; COMPUTE_PGM_RSRC2:TGID_Z_EN: 1
; COMPUTE_PGM_RSRC2:TIDIG_COMP_CNT: 0
	.section	.text._ZN2at6native18radixSortKVInPlaceILin2ELin1ELi512ELi8EfljEEvNS_4cuda6detail10TensorInfoIT3_T5_EES6_S6_S6_NS4_IT4_S6_EES6_b,"axG",@progbits,_ZN2at6native18radixSortKVInPlaceILin2ELin1ELi512ELi8EfljEEvNS_4cuda6detail10TensorInfoIT3_T5_EES6_S6_S6_NS4_IT4_S6_EES6_b,comdat
	.protected	_ZN2at6native18radixSortKVInPlaceILin2ELin1ELi512ELi8EfljEEvNS_4cuda6detail10TensorInfoIT3_T5_EES6_S6_S6_NS4_IT4_S6_EES6_b ; -- Begin function _ZN2at6native18radixSortKVInPlaceILin2ELin1ELi512ELi8EfljEEvNS_4cuda6detail10TensorInfoIT3_T5_EES6_S6_S6_NS4_IT4_S6_EES6_b
	.globl	_ZN2at6native18radixSortKVInPlaceILin2ELin1ELi512ELi8EfljEEvNS_4cuda6detail10TensorInfoIT3_T5_EES6_S6_S6_NS4_IT4_S6_EES6_b
	.p2align	8
	.type	_ZN2at6native18radixSortKVInPlaceILin2ELin1ELi512ELi8EfljEEvNS_4cuda6detail10TensorInfoIT3_T5_EES6_S6_S6_NS4_IT4_S6_EES6_b,@function
_ZN2at6native18radixSortKVInPlaceILin2ELin1ELi512ELi8EfljEEvNS_4cuda6detail10TensorInfoIT3_T5_EES6_S6_S6_NS4_IT4_S6_EES6_b: ; @_ZN2at6native18radixSortKVInPlaceILin2ELin1ELi512ELi8EfljEEvNS_4cuda6detail10TensorInfoIT3_T5_EES6_S6_S6_NS4_IT4_S6_EES6_b
; %bb.0:
	s_clause 0x1
	s_load_b64 s[2:3], s[0:1], 0x1c8
	s_load_b96 s[24:26], s[0:1], 0xd8
	s_lshr_b32 s4, ttmp7, 16
	s_wait_kmcnt 0x0
	s_mul_i32 s3, s3, s4
	s_and_b32 s4, ttmp7, 0xffff
	s_delay_alu instid0(SALU_CYCLE_1) | instskip(NEXT) | instid1(SALU_CYCLE_1)
	s_add_co_i32 s3, s3, s4
	s_mul_i32 s4, s3, s2
	s_delay_alu instid0(SALU_CYCLE_1) | instskip(NEXT) | instid1(SALU_CYCLE_1)
	s_add_co_i32 s4, s4, ttmp9
	s_cmp_ge_u32 s4, s24
	s_cbranch_scc1 .LBB200_110
; %bb.1:
	s_load_b32 s2, s[0:1], 0x1b8
	s_add_nc_u64 s[14:15], s[0:1], 0xe8
	s_mov_b32 s13, 0
	s_mov_b32 s16, s4
	s_wait_kmcnt 0x0
	s_cmp_lt_i32 s2, 2
	s_cbranch_scc1 .LBB200_4
; %bb.2:
	s_add_co_i32 s12, s2, -1
	s_add_co_i32 s5, s2, 1
	s_lshl_b64 s[6:7], s[12:13], 2
	s_mov_b32 s16, s4
	s_add_nc_u64 s[6:7], s[14:15], s[6:7]
	s_delay_alu instid0(SALU_CYCLE_1)
	s_add_nc_u64 s[2:3], s[6:7], 8
.LBB200_3:                              ; =>This Inner Loop Header: Depth=1
	s_clause 0x1
	s_load_b32 s6, s[2:3], 0x0
	s_load_b32 s7, s[2:3], 0x64
	s_mov_b32 s10, s16
	s_add_nc_u64 s[2:3], s[2:3], -4
	s_wait_kmcnt 0x0
	s_cvt_f32_u32 s8, s6
	s_sub_co_i32 s9, 0, s6
	s_wait_alu 0xfffe
	s_delay_alu instid0(SALU_CYCLE_1) | instskip(NEXT) | instid1(TRANS32_DEP_1)
	v_rcp_iflag_f32_e32 v1, s8
	v_readfirstlane_b32 s8, v1
	s_mul_f32 s8, s8, 0x4f7ffffe
	s_wait_alu 0xfffe
	s_delay_alu instid0(SALU_CYCLE_2) | instskip(SKIP_1) | instid1(SALU_CYCLE_2)
	s_cvt_u32_f32 s8, s8
	s_wait_alu 0xfffe
	s_mul_i32 s9, s9, s8
	s_wait_alu 0xfffe
	s_mul_hi_u32 s9, s8, s9
	s_wait_alu 0xfffe
	s_add_co_i32 s8, s8, s9
	s_wait_alu 0xfffe
	s_mul_hi_u32 s8, s16, s8
	s_wait_alu 0xfffe
	s_mul_i32 s9, s8, s6
	s_add_co_i32 s11, s8, 1
	s_wait_alu 0xfffe
	s_sub_co_i32 s9, s16, s9
	s_wait_alu 0xfffe
	s_sub_co_i32 s12, s9, s6
	s_cmp_ge_u32 s9, s6
	s_cselect_b32 s8, s11, s8
	s_cselect_b32 s9, s12, s9
	s_wait_alu 0xfffe
	s_add_co_i32 s11, s8, 1
	s_cmp_ge_u32 s9, s6
	s_cselect_b32 s16, s11, s8
	s_add_co_i32 s5, s5, -1
	s_mul_i32 s6, s16, s6
	s_delay_alu instid0(SALU_CYCLE_1) | instskip(NEXT) | instid1(SALU_CYCLE_1)
	s_sub_co_i32 s6, s10, s6
	s_mul_i32 s6, s7, s6
	s_delay_alu instid0(SALU_CYCLE_1)
	s_add_co_i32 s13, s6, s13
	s_cmp_gt_u32 s5, 2
	s_cbranch_scc1 .LBB200_3
.LBB200_4:
	s_clause 0x2
	s_load_b64 s[28:29], s[0:1], 0x1c0
	s_load_b64 s[2:3], s[0:1], 0x0
	s_load_b32 s5, s[0:1], 0x6c
	s_add_nc_u64 s[34:35], s[0:1], 0x1c8
	s_mov_b32 s19, 0
	s_wait_kmcnt 0x0
	s_bitcmp1_b32 s29, 0
	s_mul_i32 s18, s5, s4
	s_cselect_b32 s12, -1, 0
	s_delay_alu instid0(SALU_CYCLE_1)
	s_and_b32 s0, s12, exec_lo
	s_cselect_b32 s4, -1, 0x7fffffff
	s_lshl_b64 s[18:19], s[18:19], 2
	s_mov_b32 s5, s4
	s_mov_b32 s6, s4
	s_mov_b32 s7, s4
	s_mov_b32 s8, s4
	s_mov_b32 s9, s4
	s_mov_b32 s10, s4
	s_mov_b32 s11, s4
	v_and_b32_e32 v45, 0x3ff, v0
	v_dual_mov_b32 v1, s4 :: v_dual_mov_b32 v4, s7
	v_dual_mov_b32 v2, s5 :: v_dual_mov_b32 v3, s6
	s_wait_alu 0xfffe
	v_mov_b32_e32 v6, s9
	v_mul_lo_u32 v43, s26, v45
	v_cmp_gt_u32_e64 s0, s25, v45
	v_dual_mov_b32 v5, s8 :: v_dual_mov_b32 v8, s11
	v_mov_b32_e32 v7, s10
	v_mov_b32_e32 v9, s4
	s_add_nc_u64 s[30:31], s[2:3], s[18:19]
	s_and_saveexec_b32 s1, s0
	s_cbranch_execz .LBB200_6
; %bb.5:
	v_mov_b32_e32 v44, 0
	s_delay_alu instid0(VALU_DEP_1) | instskip(NEXT) | instid1(VALU_DEP_1)
	v_lshlrev_b64_e32 v[1:2], 2, v[43:44]
	v_add_co_u32 v1, vcc_lo, s30, v1
	s_delay_alu instid0(VALU_DEP_1)
	v_add_co_ci_u32_e64 v2, null, s31, v2, vcc_lo
	global_load_b32 v9, v[1:2], off
	v_dual_mov_b32 v1, s4 :: v_dual_mov_b32 v2, s5
	v_dual_mov_b32 v3, s6 :: v_dual_mov_b32 v4, s7
	;; [unrolled: 1-line block ×4, first 2 shown]
.LBB200_6:
	s_or_b32 exec_lo, exec_lo, s1
	v_add_nc_u32_e32 v15, 0x200, v45
	s_delay_alu instid0(VALU_DEP_1)
	v_cmp_gt_u32_e64 s1, s25, v15
	s_and_saveexec_b32 s2, s1
	s_cbranch_execz .LBB200_8
; %bb.7:
	v_mul_lo_u32 v1, s26, v15
	v_mov_b32_e32 v2, 0
	s_delay_alu instid0(VALU_DEP_1) | instskip(NEXT) | instid1(VALU_DEP_1)
	v_lshlrev_b64_e32 v[1:2], 2, v[1:2]
	v_add_co_u32 v1, vcc_lo, s30, v1
	s_wait_alu 0xfffd
	s_delay_alu instid0(VALU_DEP_2)
	v_add_co_ci_u32_e64 v2, null, s31, v2, vcc_lo
	global_load_b32 v2, v[1:2], off
.LBB200_8:
	s_or_b32 exec_lo, exec_lo, s2
	v_or_b32_e32 v16, 0x400, v45
	s_delay_alu instid0(VALU_DEP_1)
	v_cmp_gt_u32_e64 s2, s25, v16
	s_and_saveexec_b32 s3, s2
	s_cbranch_execz .LBB200_10
; %bb.9:
	v_mul_lo_u32 v10, s26, v16
	v_mov_b32_e32 v11, 0
	s_delay_alu instid0(VALU_DEP_1) | instskip(NEXT) | instid1(VALU_DEP_1)
	v_lshlrev_b64_e32 v[10:11], 2, v[10:11]
	v_add_co_u32 v10, vcc_lo, s30, v10
	s_wait_alu 0xfffd
	s_delay_alu instid0(VALU_DEP_2)
	v_add_co_ci_u32_e64 v11, null, s31, v11, vcc_lo
	global_load_b32 v3, v[10:11], off
.LBB200_10:
	s_or_b32 exec_lo, exec_lo, s3
	v_add_nc_u32_e32 v17, 0x600, v45
	s_delay_alu instid0(VALU_DEP_1)
	v_cmp_gt_u32_e64 s3, s25, v17
	s_and_saveexec_b32 s4, s3
	s_cbranch_execz .LBB200_12
; %bb.11:
	v_mul_lo_u32 v10, s26, v17
	v_mov_b32_e32 v11, 0
	s_delay_alu instid0(VALU_DEP_1) | instskip(NEXT) | instid1(VALU_DEP_1)
	v_lshlrev_b64_e32 v[10:11], 2, v[10:11]
	v_add_co_u32 v10, vcc_lo, s30, v10
	s_wait_alu 0xfffd
	s_delay_alu instid0(VALU_DEP_2)
	v_add_co_ci_u32_e64 v11, null, s31, v11, vcc_lo
	global_load_b32 v4, v[10:11], off
.LBB200_12:
	s_wait_alu 0xfffe
	s_or_b32 exec_lo, exec_lo, s4
	v_or_b32_e32 v18, 0x800, v45
	s_delay_alu instid0(VALU_DEP_1)
	v_cmp_gt_u32_e64 s4, s25, v18
	s_and_saveexec_b32 s5, s4
	s_cbranch_execz .LBB200_14
; %bb.13:
	v_mul_lo_u32 v10, s26, v18
	v_mov_b32_e32 v11, 0
	s_delay_alu instid0(VALU_DEP_1) | instskip(NEXT) | instid1(VALU_DEP_1)
	v_lshlrev_b64_e32 v[10:11], 2, v[10:11]
	v_add_co_u32 v10, vcc_lo, s30, v10
	s_wait_alu 0xfffd
	s_delay_alu instid0(VALU_DEP_2)
	v_add_co_ci_u32_e64 v11, null, s31, v11, vcc_lo
	global_load_b32 v5, v[10:11], off
.LBB200_14:
	s_wait_alu 0xfffe
	s_or_b32 exec_lo, exec_lo, s5
	v_add_nc_u32_e32 v19, 0xa00, v45
	s_delay_alu instid0(VALU_DEP_1)
	v_cmp_gt_u32_e64 s5, s25, v19
	s_and_saveexec_b32 s6, s5
	s_cbranch_execz .LBB200_16
; %bb.15:
	v_mul_lo_u32 v10, s26, v19
	v_mov_b32_e32 v11, 0
	s_delay_alu instid0(VALU_DEP_1) | instskip(NEXT) | instid1(VALU_DEP_1)
	v_lshlrev_b64_e32 v[10:11], 2, v[10:11]
	v_add_co_u32 v10, vcc_lo, s30, v10
	s_wait_alu 0xfffd
	s_delay_alu instid0(VALU_DEP_2)
	v_add_co_ci_u32_e64 v11, null, s31, v11, vcc_lo
	global_load_b32 v6, v[10:11], off
.LBB200_16:
	s_wait_alu 0xfffe
	s_or_b32 exec_lo, exec_lo, s6
	v_or_b32_e32 v20, 0xc00, v45
	s_delay_alu instid0(VALU_DEP_1)
	v_cmp_gt_u32_e64 s6, s25, v20
	s_and_saveexec_b32 s7, s6
	s_cbranch_execz .LBB200_18
; %bb.17:
	v_mul_lo_u32 v10, s26, v20
	v_mov_b32_e32 v11, 0
	s_delay_alu instid0(VALU_DEP_1) | instskip(NEXT) | instid1(VALU_DEP_1)
	v_lshlrev_b64_e32 v[10:11], 2, v[10:11]
	v_add_co_u32 v10, vcc_lo, s30, v10
	s_wait_alu 0xfffd
	s_delay_alu instid0(VALU_DEP_2)
	v_add_co_ci_u32_e64 v11, null, s31, v11, vcc_lo
	global_load_b32 v7, v[10:11], off
.LBB200_18:
	s_wait_alu 0xfffe
	s_or_b32 exec_lo, exec_lo, s7
	s_clause 0x1
	s_load_b32 s10, s[14:15], 0x6c
	s_load_b64 s[8:9], s[14:15], 0x0
	v_add_nc_u32_e32 v21, 0xe00, v45
	s_delay_alu instid0(VALU_DEP_1)
	v_cmp_gt_u32_e64 s7, s25, v21
	s_and_saveexec_b32 s11, s7
	s_cbranch_execz .LBB200_20
; %bb.19:
	v_mul_lo_u32 v10, s26, v21
	v_mov_b32_e32 v11, 0
	s_delay_alu instid0(VALU_DEP_1) | instskip(NEXT) | instid1(VALU_DEP_1)
	v_lshlrev_b64_e32 v[10:11], 2, v[10:11]
	v_add_co_u32 v10, vcc_lo, s30, v10
	s_wait_alu 0xfffd
	s_delay_alu instid0(VALU_DEP_2)
	v_add_co_ci_u32_e64 v11, null, s31, v11, vcc_lo
	global_load_b32 v8, v[10:11], off
.LBB200_20:
	s_wait_alu 0xfffe
	s_or_b32 exec_lo, exec_lo, s11
	v_lshrrev_b32_e32 v1, 5, v15
	v_lshrrev_b32_e32 v24, 5, v45
	;; [unrolled: 1-line block ×3, first 2 shown]
	s_wait_kmcnt 0x0
	s_mul_i32 s10, s10, s16
	v_mul_lo_u32 v40, s28, v45
	v_add_nc_u32_e32 v25, v1, v45
	v_lshrrev_b32_e32 v1, 5, v17
	v_dual_mov_b32 v41, 0 :: v_dual_add_nc_u32 v26, v24, v45
	v_lshlrev_b32_e32 v91, 3, v45
	v_add_nc_u32_e32 v22, v10, v45
	s_delay_alu instid0(VALU_DEP_4) | instskip(SKIP_2) | instid1(VALU_DEP_4)
	v_add_nc_u32_e32 v23, v1, v45
	v_lshrrev_b32_e32 v1, 5, v18
	v_lshlrev_b32_e32 v72, 2, v26
	v_dual_mov_b32 v42, v41 :: v_dual_lshlrev_b32 v73, 2, v22
	s_delay_alu instid0(VALU_DEP_4) | instskip(NEXT) | instid1(VALU_DEP_4)
	v_lshlrev_b32_e32 v74, 2, v23
	v_add_nc_u32_e32 v27, v1, v45
	v_lshrrev_b32_e32 v1, 5, v19
	s_mov_b32 s11, 0
	v_mov_b32_e32 v10, v41
	s_wait_alu 0xfffe
	s_add_co_i32 s10, s10, s13
	v_lshlrev_b32_e32 v75, 2, v27
	v_add_nc_u32_e32 v31, v1, v45
	v_lshrrev_b32_e32 v1, 2, v45
	v_mov_b32_e32 v13, 0
	v_mov_b32_e32 v14, 0
	v_lshlrev_b32_e32 v44, 2, v25
	v_dual_mov_b32 v11, v41 :: v_dual_lshlrev_b32 v76, 2, v31
	v_add_nc_u32_e32 v30, v1, v91
	v_mov_b32_e32 v1, v41
	s_wait_loadcnt 0x0
	ds_store_b32 v72, v9
	ds_store_b32 v44, v2 offset:2048
	ds_store_b32 v73, v3 offset:4096
	v_lshrrev_b32_e32 v2, 5, v20
	v_lshrrev_b32_e32 v3, 5, v21
	v_lshlrev_b32_e32 v79, 2, v30
	ds_store_b32 v74, v4 offset:6144
	ds_store_b32 v75, v5 offset:8192
	v_dual_mov_b32 v2, v41 :: v_dual_add_nc_u32 v29, v2, v45
	v_dual_mov_b32 v9, v41 :: v_dual_add_nc_u32 v28, v3, v45
	v_mov_b32_e32 v3, v41
	s_delay_alu instid0(VALU_DEP_3) | instskip(NEXT) | instid1(VALU_DEP_3)
	v_dual_mov_b32 v4, v41 :: v_dual_lshlrev_b32 v77, 2, v29
	v_lshlrev_b32_e32 v78, 2, v28
	ds_store_b32 v76, v6 offset:10240
	ds_store_b32 v77, v7 offset:12288
	ds_store_b32 v78, v8 offset:14336
	s_wait_dscnt 0x0
	s_barrier_signal -1
	s_barrier_wait -1
	global_inv scope:SCOPE_SE
	v_mov_b32_e32 v8, v41
	ds_load_2addr_b32 v[52:53], v79 offset1:1
	ds_load_2addr_b32 v[50:51], v79 offset0:2 offset1:3
	ds_load_2addr_b32 v[48:49], v79 offset0:4 offset1:5
	;; [unrolled: 1-line block ×3, first 2 shown]
	v_dual_mov_b32 v5, v41 :: v_dual_mov_b32 v6, v41
	v_dual_mov_b32 v7, v41 :: v_dual_mov_b32 v12, v41
	s_wait_alu 0xfffe
	s_lshl_b64 s[10:11], s[10:11], 3
	s_wait_loadcnt_dscnt 0x0
	s_wait_alu 0xfffe
	s_add_nc_u64 s[24:25], s[8:9], s[10:11]
	s_barrier_signal -1
	s_barrier_wait -1
	global_inv scope:SCOPE_SE
	s_and_saveexec_b32 s8, s0
	s_cbranch_execnz .LBB200_56
; %bb.21:
	s_wait_alu 0xfffe
	s_or_b32 exec_lo, exec_lo, s8
	s_and_saveexec_b32 s8, s1
	s_cbranch_execnz .LBB200_57
.LBB200_22:
	s_wait_alu 0xfffe
	s_or_b32 exec_lo, exec_lo, s8
	s_and_saveexec_b32 s8, s2
	s_cbranch_execnz .LBB200_58
.LBB200_23:
	s_wait_alu 0xfffe
	s_or_b32 exec_lo, exec_lo, s8
	s_and_saveexec_b32 s8, s3
	s_cbranch_execnz .LBB200_59
.LBB200_24:
	s_wait_alu 0xfffe
	s_or_b32 exec_lo, exec_lo, s8
	s_and_saveexec_b32 s8, s4
	s_cbranch_execnz .LBB200_60
.LBB200_25:
	s_wait_alu 0xfffe
	s_or_b32 exec_lo, exec_lo, s8
	s_and_saveexec_b32 s8, s5
	s_cbranch_execnz .LBB200_61
.LBB200_26:
	s_wait_alu 0xfffe
	s_or_b32 exec_lo, exec_lo, s8
	s_and_saveexec_b32 s8, s6
	s_cbranch_execnz .LBB200_62
.LBB200_27:
	s_wait_alu 0xfffe
	s_or_b32 exec_lo, exec_lo, s8
	s_xor_b32 s8, s12, -1
	s_and_saveexec_b32 s9, s7
	s_cbranch_execz .LBB200_29
.LBB200_28:
	v_mul_lo_u32 v11, s28, v21
	v_mov_b32_e32 v12, 0
	s_delay_alu instid0(VALU_DEP_1) | instskip(NEXT) | instid1(VALU_DEP_1)
	v_lshlrev_b64_e32 v[11:12], 3, v[11:12]
	v_add_co_u32 v11, vcc_lo, s24, v11
	s_wait_alu 0xfffd
	s_delay_alu instid0(VALU_DEP_2)
	v_add_co_ci_u32_e64 v12, null, s25, v12, vcc_lo
	global_load_b64 v[11:12], v[11:12], off
.LBB200_29:
	s_wait_alu 0xfffe
	s_or_b32 exec_lo, exec_lo, s9
	v_lshlrev_b32_e32 v80, 3, v26
	v_lshlrev_b32_e32 v83, 3, v23
	;; [unrolled: 1-line block ×9, first 2 shown]
	s_wait_loadcnt 0x0
	ds_store_b64 v80, v[13:14]
	ds_store_b64 v81, v[41:42] offset:4096
	ds_store_b64 v82, v[9:10] offset:8192
	;; [unrolled: 1-line block ×7, first 2 shown]
	s_wait_dscnt 0x0
	s_barrier_signal -1
	s_barrier_wait -1
	global_inv scope:SCOPE_SE
	ds_load_2addr_b64 v[20:23], v88 offset1:1
	ds_load_2addr_b64 v[16:19], v88 offset0:2 offset1:3
	ds_load_2addr_b64 v[12:15], v88 offset0:4 offset1:5
	;; [unrolled: 1-line block ×3, first 2 shown]
	s_and_b32 vcc_lo, exec_lo, s8
	v_bfe_u32 v95, v0, 10, 10
	v_bfe_u32 v96, v0, 20, 10
	v_mbcnt_lo_u32_b32 v93, -1, 0
	v_and_b32_e32 v94, 0x3e0, v45
	v_lshlrev_b32_e32 v89, 2, v91
	v_cmp_gt_u32_e64 s8, 16, v45
	v_cmp_lt_u32_e64 s9, 31, v45
	v_cmp_eq_u32_e64 s10, 0, v45
	v_lshlrev_b32_e32 v90, 2, v24
	v_mul_i32_i24_e32 v92, 0xffffffe4, v45
	s_wait_loadcnt_dscnt 0x0
	s_barrier_signal -1
	s_barrier_wait -1
	global_inv scope:SCOPE_SE
	s_wait_alu 0xfffe
	s_cbranch_vccz .LBB200_63
; %bb.30:
	v_cmp_lt_i32_e32 vcc_lo, -1, v52
	v_or_b32_e32 v7, v93, v94
	v_and_or_b32 v25, 0x1f00, v91, v93
	s_mov_b32 s20, 0
	s_getpc_b64 s[12:13]
	s_sext_i32_i16 s13, s13
	s_add_co_u32 s12, s12, _ZN7rocprim17ROCPRIM_400000_NS16block_radix_sortIfLj512ELj8ElLj1ELj1ELj0ELNS0_26block_radix_rank_algorithmE1ELNS0_18block_padding_hintE2ELNS0_4arch9wavefront6targetE0EE19radix_bits_per_passE@rel32@lo+8
	s_add_co_ci_u32 s13, s13, _ZN7rocprim17ROCPRIM_400000_NS16block_radix_sortIfLj512ELj8ElLj1ELj1ELj0ELNS0_26block_radix_rank_algorithmE1ELNS0_18block_padding_hintE2ELNS0_4arch9wavefront6targetE0EE19radix_bits_per_passE@rel32@hi+16
	s_wait_alu 0xfffd
	v_cndmask_b32_e64 v0, -1, 0x80000000, vcc_lo
	v_cmp_lt_i32_e32 vcc_lo, -1, v53
	v_lshlrev_b32_e32 v26, 5, v7
	s_mov_b32 s21, s20
	s_mov_b32 s22, s20
	v_xor_b32_e32 v0, v0, v52
	s_wait_alu 0xfffd
	v_cndmask_b32_e64 v1, -1, 0x80000000, vcc_lo
	v_cmp_lt_i32_e32 vcc_lo, -1, v50
	s_mov_b32 s23, s20
	v_lshlrev_b32_e32 v97, 2, v25
	s_load_b32 s19, s[12:13], 0x0
	v_xor_b32_e32 v1, v1, v53
	v_cndmask_b32_e64 v2, -1, 0x80000000, vcc_lo
	v_cmp_lt_i32_e32 vcc_lo, -1, v51
	v_add_nc_u32_e32 v98, v97, v97
	v_and_b32_e32 v36, 16, v93
	v_add_nc_u32_e32 v101, v89, v92
	v_xor_b32_e32 v2, v2, v50
	s_wait_alu 0xfffd
	v_cndmask_b32_e64 v3, -1, 0x80000000, vcc_lo
	v_cmp_lt_i32_e32 vcc_lo, -1, v48
	v_cmp_eq_u32_e64 s16, 0, v36
	s_delay_alu instid0(VALU_DEP_3) | instskip(SKIP_3) | instid1(VALU_DEP_2)
	v_xor_b32_e32 v3, v3, v51
	s_wait_alu 0xfffd
	v_cndmask_b32_e64 v4, -1, 0x80000000, vcc_lo
	v_cmp_lt_i32_e32 vcc_lo, -1, v49
	v_xor_b32_e32 v4, v4, v48
	s_wait_alu 0xfffd
	v_cndmask_b32_e64 v5, -1, 0x80000000, vcc_lo
	v_cmp_lt_i32_e32 vcc_lo, -1, v46
	s_delay_alu instid0(VALU_DEP_2) | instskip(SKIP_3) | instid1(VALU_DEP_2)
	v_xor_b32_e32 v5, v5, v49
	s_wait_alu 0xfffd
	v_cndmask_b32_e64 v6, -1, 0x80000000, vcc_lo
	v_cmp_lt_i32_e32 vcc_lo, -1, v47
	v_xor_b32_e32 v6, v6, v46
	s_wait_alu 0xfffd
	v_cndmask_b32_e64 v24, -1, 0x80000000, vcc_lo
	s_delay_alu instid0(VALU_DEP_1)
	v_xor_b32_e32 v7, v24, v47
	ds_store_b128 v26, v[0:3]
	ds_store_b128 v26, v[4:7] offset:16
	v_add_nc_u32_e32 v0, v26, v26
	; wave barrier
	ds_load_2addr_b32 v[64:65], v97 offset1:32
	ds_load_2addr_b32 v[66:67], v97 offset0:64 offset1:96
	ds_load_2addr_b32 v[68:69], v97 offset0:128 offset1:160
	;; [unrolled: 1-line block ×3, first 2 shown]
	s_wait_loadcnt_dscnt 0x0
	s_barrier_signal -1
	s_barrier_wait -1
	global_inv scope:SCOPE_SE
	ds_store_b128 v0, v[20:23]
	ds_store_b128 v0, v[16:19] offset:16
	ds_store_b128 v0, v[12:15] offset:32
	;; [unrolled: 1-line block ×3, first 2 shown]
	; wave barrier
	ds_load_2addr_b64 v[4:7], v98 offset1:32
	ds_load_2addr_b64 v[24:27], v98 offset0:64 offset1:96
	ds_load_2addr_b64 v[28:31], v98 offset0:128 offset1:160
	;; [unrolled: 1-line block ×3, first 2 shown]
	s_wait_loadcnt_dscnt 0x0
	s_barrier_signal -1
	s_barrier_wait -1
	global_inv scope:SCOPE_SE
	s_load_b32 s11, s[34:35], 0xc
	v_and_b32_e32 v2, 15, v93
	s_delay_alu instid0(VALU_DEP_1)
	v_cmp_eq_u32_e64 s12, 0, v2
	v_cmp_lt_u32_e64 s13, 1, v2
	v_cmp_lt_u32_e64 s15, 7, v2
	s_wait_kmcnt 0x0
	s_lshr_b32 s14, s11, 16
	s_and_b32 s11, s11, 0xffff
	v_mad_u32_u24 v0, v96, s14, v95
	v_cmp_lt_u32_e64 s14, 3, v2
	s_wait_alu 0xfffe
	s_delay_alu instid0(VALU_DEP_2) | instskip(SKIP_2) | instid1(VALU_DEP_2)
	v_mad_co_u64_u32 v[0:1], null, v0, s11, v[45:46]
	v_sub_co_u32 v3, s11, v93, 1
	v_min_u32_e32 v1, 0x1e0, v94
	v_cmp_gt_i32_e32 vcc_lo, 0, v3
	s_delay_alu instid0(VALU_DEP_4) | instskip(NEXT) | instid1(VALU_DEP_3)
	v_lshrrev_b32_e32 v0, 3, v0
	v_or_b32_e32 v1, 31, v1
	s_wait_alu 0xfffd
	s_delay_alu instid0(VALU_DEP_2) | instskip(NEXT) | instid1(VALU_DEP_2)
	v_dual_cndmask_b32 v3, v3, v93 :: v_dual_and_b32 v100, 0x1ffffffc, v0
	v_cmp_eq_u32_e64 s17, v45, v1
	s_delay_alu instid0(VALU_DEP_2)
	v_dual_mov_b32 v0, s20 :: v_dual_lshlrev_b32 v99, 2, v3
	v_dual_mov_b32 v1, s21 :: v_dual_mov_b32 v2, s22
	v_mov_b32_e32 v3, s23
	s_mov_b32 s21, 32
	s_branch .LBB200_32
.LBB200_31:                             ;   in Loop: Header=BB200_32 Depth=1
	s_wait_alu 0xfffe
	s_and_not1_b32 vcc_lo, exec_lo, s18
	s_wait_alu 0xfffe
	s_cbranch_vccz .LBB200_64
.LBB200_32:                             ; =>This Inner Loop Header: Depth=1
	v_dual_mov_b32 v102, v64 :: v_dual_mov_b32 v103, v71
	s_wait_alu 0xfffe
	s_min_u32 s18, s19, s21
	ds_store_b128 v89, v[0:3] offset:64
	ds_store_b128 v89, v[0:3] offset:80
	s_wait_alu 0xfffe
	s_lshl_b32 s18, -1, s18
	v_cmp_ne_u32_e32 vcc_lo, 0x7fffffff, v102
	s_wait_alu 0xfffe
	s_not_b32 s22, s18
	s_wait_loadcnt_dscnt 0x0
	s_barrier_signal -1
	s_barrier_wait -1
	s_wait_alu 0xfffd
	v_dual_cndmask_b32 v36, 0x80000000, v102 :: v_dual_mov_b32 v105, v69
	global_inv scope:SCOPE_SE
	; wave barrier
	v_lshrrev_b32_e32 v36, s20, v36
	v_mov_b32_e32 v107, v67
	v_dual_mov_b32 v109, v65 :: v_dual_mov_b32 v106, v68
	v_mov_b32_e32 v108, v66
	s_wait_alu 0xfffe
	v_and_b32_e32 v64, s22, v36
	v_dual_mov_b32 v104, v70 :: v_dual_mov_b32 v59, v25
	v_dual_mov_b32 v58, v24 :: v_dual_mov_b32 v61, v7
	s_delay_alu instid0(VALU_DEP_3)
	v_and_b32_e32 v36, 1, v64
	v_lshlrev_b32_e32 v37, 30, v64
	v_lshlrev_b32_e32 v38, 29, v64
	;; [unrolled: 1-line block ×4, first 2 shown]
	v_add_co_u32 v36, s18, v36, -1
	s_wait_alu 0xf1ff
	v_cndmask_b32_e64 v41, 0, 1, s18
	v_not_b32_e32 v56, v37
	v_cmp_gt_i32_e64 s18, 0, v37
	v_not_b32_e32 v37, v38
	v_lshlrev_b32_e32 v54, 26, v64
	v_cmp_ne_u32_e32 vcc_lo, 0, v41
	v_ashrrev_i32_e32 v56, 31, v56
	v_lshlrev_b32_e32 v55, 25, v64
	v_ashrrev_i32_e32 v37, 31, v37
	v_lshlrev_b32_e32 v41, 24, v64
	s_wait_alu 0xfffd
	v_xor_b32_e32 v36, vcc_lo, v36
	v_cmp_gt_i32_e32 vcc_lo, 0, v38
	v_not_b32_e32 v38, v39
	s_wait_alu 0xf1ff
	v_xor_b32_e32 v56, s18, v56
	v_cmp_gt_i32_e64 s18, 0, v39
	v_and_b32_e32 v36, exec_lo, v36
	v_not_b32_e32 v39, v42
	v_ashrrev_i32_e32 v38, 31, v38
	s_wait_alu 0xfffd
	v_xor_b32_e32 v37, vcc_lo, v37
	v_cmp_gt_i32_e32 vcc_lo, 0, v42
	v_and_b32_e32 v36, v36, v56
	v_not_b32_e32 v42, v54
	v_ashrrev_i32_e32 v39, 31, v39
	s_wait_alu 0xf1ff
	v_xor_b32_e32 v38, s18, v38
	v_cmp_gt_i32_e64 s18, 0, v54
	v_and_b32_e32 v36, v36, v37
	v_not_b32_e32 v37, v55
	v_ashrrev_i32_e32 v42, 31, v42
	s_wait_alu 0xfffd
	v_xor_b32_e32 v39, vcc_lo, v39
	v_cmp_gt_i32_e32 vcc_lo, 0, v55
	v_and_b32_e32 v36, v36, v38
	v_ashrrev_i32_e32 v37, 31, v37
	s_wait_alu 0xf1ff
	v_xor_b32_e32 v42, s18, v42
	v_dual_mov_b32 v55, v29 :: v_dual_mov_b32 v54, v28
	v_dual_mov_b32 v63, v5 :: v_dual_and_b32 v36, v36, v39
	s_wait_alu 0xfffd
	v_xor_b32_e32 v37, vcc_lo, v37
	v_mov_b32_e32 v62, v4
	v_lshlrev_b32_e32 v4, 6, v64
	v_and_b32_e32 v36, v36, v42
	s_delay_alu instid0(VALU_DEP_2) | instskip(NEXT) | instid1(VALU_DEP_2)
	v_dual_mov_b32 v60, v6 :: v_dual_add_nc_u32 v29, v100, v4
	v_and_b32_e32 v57, v36, v37
	v_dual_mov_b32 v37, v35 :: v_dual_mov_b32 v36, v34
	v_not_b32_e32 v38, v41
	v_cmp_gt_i32_e64 s18, 0, v41
	v_dual_mov_b32 v42, v31 :: v_dual_mov_b32 v41, v30
	s_delay_alu instid0(VALU_DEP_3) | instskip(SKIP_1) | instid1(VALU_DEP_1)
	v_ashrrev_i32_e32 v38, 31, v38
	s_wait_alu 0xf1ff
	v_xor_b32_e32 v56, s18, v38
	v_dual_mov_b32 v39, v33 :: v_dual_mov_b32 v38, v32
	s_delay_alu instid0(VALU_DEP_2) | instskip(SKIP_1) | instid1(VALU_DEP_2)
	v_dual_mov_b32 v57, v27 :: v_dual_and_b32 v30, v57, v56
	v_mov_b32_e32 v56, v26
	v_mbcnt_lo_u32_b32 v28, v30, 0
	v_cmp_ne_u32_e64 s18, 0, v30
	s_delay_alu instid0(VALU_DEP_2)
	v_cmp_eq_u32_e32 vcc_lo, 0, v28
	s_and_b32 s23, s18, vcc_lo
	s_wait_alu 0xfffe
	s_and_saveexec_b32 s18, s23
; %bb.33:                               ;   in Loop: Header=BB200_32 Depth=1
	v_bcnt_u32_b32 v4, v30, 0
	ds_store_b32 v29, v4 offset:64
; %bb.34:                               ;   in Loop: Header=BB200_32 Depth=1
	s_wait_alu 0xfffe
	s_or_b32 exec_lo, exec_lo, s18
	v_cmp_ne_u32_e32 vcc_lo, 0x7fffffff, v109
	; wave barrier
	s_wait_alu 0xfffd
	v_cndmask_b32_e32 v4, 0x80000000, v109, vcc_lo
	s_delay_alu instid0(VALU_DEP_1) | instskip(NEXT) | instid1(VALU_DEP_1)
	v_lshrrev_b32_e32 v4, s20, v4
	v_and_b32_e32 v4, s22, v4
	s_delay_alu instid0(VALU_DEP_1)
	v_and_b32_e32 v5, 1, v4
	v_lshlrev_b32_e32 v6, 30, v4
	v_lshlrev_b32_e32 v7, 29, v4
	;; [unrolled: 1-line block ×4, first 2 shown]
	v_add_co_u32 v5, s18, v5, -1
	s_wait_alu 0xf1ff
	v_cndmask_b32_e64 v25, 0, 1, s18
	v_not_b32_e32 v31, v6
	v_cmp_gt_i32_e64 s18, 0, v6
	v_not_b32_e32 v6, v7
	v_lshlrev_b32_e32 v27, 26, v4
	v_cmp_ne_u32_e32 vcc_lo, 0, v25
	v_ashrrev_i32_e32 v31, 31, v31
	v_lshlrev_b32_e32 v30, 25, v4
	v_ashrrev_i32_e32 v6, 31, v6
	v_lshlrev_b32_e32 v25, 24, v4
	s_wait_alu 0xfffd
	v_xor_b32_e32 v5, vcc_lo, v5
	v_cmp_gt_i32_e32 vcc_lo, 0, v7
	v_not_b32_e32 v7, v24
	s_wait_alu 0xf1ff
	v_xor_b32_e32 v31, s18, v31
	v_cmp_gt_i32_e64 s18, 0, v24
	v_and_b32_e32 v5, exec_lo, v5
	v_not_b32_e32 v24, v26
	v_ashrrev_i32_e32 v7, 31, v7
	s_wait_alu 0xfffd
	v_xor_b32_e32 v6, vcc_lo, v6
	v_cmp_gt_i32_e32 vcc_lo, 0, v26
	v_and_b32_e32 v5, v5, v31
	v_not_b32_e32 v26, v27
	v_ashrrev_i32_e32 v24, 31, v24
	s_wait_alu 0xf1ff
	v_xor_b32_e32 v7, s18, v7
	v_cmp_gt_i32_e64 s18, 0, v27
	v_and_b32_e32 v5, v5, v6
	v_not_b32_e32 v6, v30
	v_ashrrev_i32_e32 v26, 31, v26
	s_wait_alu 0xfffd
	v_xor_b32_e32 v24, vcc_lo, v24
	v_cmp_gt_i32_e32 vcc_lo, 0, v30
	v_and_b32_e32 v5, v5, v7
	v_not_b32_e32 v7, v25
	v_ashrrev_i32_e32 v6, 31, v6
	s_wait_alu 0xf1ff
	v_xor_b32_e32 v26, s18, v26
	v_lshlrev_b32_e32 v4, 6, v4
	v_and_b32_e32 v5, v5, v24
	v_cmp_gt_i32_e64 s18, 0, v25
	v_ashrrev_i32_e32 v7, 31, v7
	s_wait_alu 0xfffd
	v_xor_b32_e32 v6, vcc_lo, v6
	v_add_nc_u32_e32 v32, v100, v4
	v_and_b32_e32 v5, v5, v26
	s_wait_alu 0xf1ff
	v_xor_b32_e32 v4, s18, v7
	ds_load_b32 v30, v32 offset:64
	v_and_b32_e32 v5, v5, v6
	; wave barrier
	s_delay_alu instid0(VALU_DEP_1) | instskip(NEXT) | instid1(VALU_DEP_1)
	v_and_b32_e32 v4, v5, v4
	v_mbcnt_lo_u32_b32 v31, v4, 0
	v_cmp_ne_u32_e64 s18, 0, v4
	s_delay_alu instid0(VALU_DEP_2)
	v_cmp_eq_u32_e32 vcc_lo, 0, v31
	s_and_b32 s23, s18, vcc_lo
	s_wait_alu 0xfffe
	s_and_saveexec_b32 s18, s23
	s_cbranch_execz .LBB200_36
; %bb.35:                               ;   in Loop: Header=BB200_32 Depth=1
	s_wait_dscnt 0x0
	v_bcnt_u32_b32 v4, v4, v30
	ds_store_b32 v32, v4 offset:64
.LBB200_36:                             ;   in Loop: Header=BB200_32 Depth=1
	s_wait_alu 0xfffe
	s_or_b32 exec_lo, exec_lo, s18
	v_cmp_ne_u32_e32 vcc_lo, 0x7fffffff, v108
	; wave barrier
	s_wait_alu 0xfffd
	v_cndmask_b32_e32 v4, 0x80000000, v108, vcc_lo
	s_delay_alu instid0(VALU_DEP_1) | instskip(NEXT) | instid1(VALU_DEP_1)
	v_lshrrev_b32_e32 v4, s20, v4
	v_and_b32_e32 v4, s22, v4
	s_delay_alu instid0(VALU_DEP_1)
	v_and_b32_e32 v5, 1, v4
	v_lshlrev_b32_e32 v6, 30, v4
	v_lshlrev_b32_e32 v7, 29, v4
	;; [unrolled: 1-line block ×4, first 2 shown]
	v_add_co_u32 v5, s18, v5, -1
	s_wait_alu 0xf1ff
	v_cndmask_b32_e64 v25, 0, 1, s18
	v_not_b32_e32 v34, v6
	v_cmp_gt_i32_e64 s18, 0, v6
	v_not_b32_e32 v6, v7
	v_lshlrev_b32_e32 v27, 26, v4
	v_cmp_ne_u32_e32 vcc_lo, 0, v25
	v_ashrrev_i32_e32 v34, 31, v34
	v_lshlrev_b32_e32 v33, 25, v4
	v_ashrrev_i32_e32 v6, 31, v6
	v_lshlrev_b32_e32 v25, 24, v4
	s_wait_alu 0xfffd
	v_xor_b32_e32 v5, vcc_lo, v5
	v_cmp_gt_i32_e32 vcc_lo, 0, v7
	v_not_b32_e32 v7, v24
	s_wait_alu 0xf1ff
	v_xor_b32_e32 v34, s18, v34
	v_cmp_gt_i32_e64 s18, 0, v24
	v_and_b32_e32 v5, exec_lo, v5
	v_not_b32_e32 v24, v26
	v_ashrrev_i32_e32 v7, 31, v7
	s_wait_alu 0xfffd
	v_xor_b32_e32 v6, vcc_lo, v6
	v_cmp_gt_i32_e32 vcc_lo, 0, v26
	v_and_b32_e32 v5, v5, v34
	v_not_b32_e32 v26, v27
	v_ashrrev_i32_e32 v24, 31, v24
	s_wait_alu 0xf1ff
	v_xor_b32_e32 v7, s18, v7
	v_cmp_gt_i32_e64 s18, 0, v27
	v_and_b32_e32 v5, v5, v6
	v_not_b32_e32 v6, v33
	v_ashrrev_i32_e32 v26, 31, v26
	s_wait_alu 0xfffd
	v_xor_b32_e32 v24, vcc_lo, v24
	v_cmp_gt_i32_e32 vcc_lo, 0, v33
	v_and_b32_e32 v5, v5, v7
	v_not_b32_e32 v7, v25
	v_ashrrev_i32_e32 v6, 31, v6
	s_wait_alu 0xf1ff
	v_xor_b32_e32 v26, s18, v26
	v_lshlrev_b32_e32 v4, 6, v4
	v_and_b32_e32 v5, v5, v24
	v_cmp_gt_i32_e64 s18, 0, v25
	v_ashrrev_i32_e32 v7, 31, v7
	s_wait_alu 0xfffd
	v_xor_b32_e32 v6, vcc_lo, v6
	v_add_nc_u32_e32 v35, v100, v4
	v_and_b32_e32 v5, v5, v26
	s_wait_alu 0xf1ff
	v_xor_b32_e32 v4, s18, v7
	ds_load_b32 v33, v35 offset:64
	v_and_b32_e32 v5, v5, v6
	; wave barrier
	s_delay_alu instid0(VALU_DEP_1) | instskip(NEXT) | instid1(VALU_DEP_1)
	v_and_b32_e32 v4, v5, v4
	v_mbcnt_lo_u32_b32 v34, v4, 0
	v_cmp_ne_u32_e64 s18, 0, v4
	s_delay_alu instid0(VALU_DEP_2)
	v_cmp_eq_u32_e32 vcc_lo, 0, v34
	s_and_b32 s23, s18, vcc_lo
	s_wait_alu 0xfffe
	s_and_saveexec_b32 s18, s23
	s_cbranch_execz .LBB200_38
; %bb.37:                               ;   in Loop: Header=BB200_32 Depth=1
	s_wait_dscnt 0x0
	v_bcnt_u32_b32 v4, v4, v33
	ds_store_b32 v35, v4 offset:64
.LBB200_38:                             ;   in Loop: Header=BB200_32 Depth=1
	s_wait_alu 0xfffe
	s_or_b32 exec_lo, exec_lo, s18
	v_cmp_ne_u32_e32 vcc_lo, 0x7fffffff, v107
	; wave barrier
	s_wait_alu 0xfffd
	v_cndmask_b32_e32 v4, 0x80000000, v107, vcc_lo
	s_delay_alu instid0(VALU_DEP_1) | instskip(NEXT) | instid1(VALU_DEP_1)
	v_lshrrev_b32_e32 v4, s20, v4
	v_and_b32_e32 v4, s22, v4
	s_delay_alu instid0(VALU_DEP_1)
	v_and_b32_e32 v5, 1, v4
	v_lshlrev_b32_e32 v6, 30, v4
	v_lshlrev_b32_e32 v7, 29, v4
	;; [unrolled: 1-line block ×4, first 2 shown]
	v_add_co_u32 v5, s18, v5, -1
	s_wait_alu 0xf1ff
	v_cndmask_b32_e64 v25, 0, 1, s18
	v_not_b32_e32 v65, v6
	v_cmp_gt_i32_e64 s18, 0, v6
	v_not_b32_e32 v6, v7
	v_lshlrev_b32_e32 v27, 26, v4
	v_cmp_ne_u32_e32 vcc_lo, 0, v25
	v_ashrrev_i32_e32 v65, 31, v65
	v_lshlrev_b32_e32 v64, 25, v4
	v_ashrrev_i32_e32 v6, 31, v6
	v_lshlrev_b32_e32 v25, 24, v4
	s_wait_alu 0xfffd
	v_xor_b32_e32 v5, vcc_lo, v5
	v_cmp_gt_i32_e32 vcc_lo, 0, v7
	v_not_b32_e32 v7, v24
	s_wait_alu 0xf1ff
	v_xor_b32_e32 v65, s18, v65
	v_cmp_gt_i32_e64 s18, 0, v24
	v_and_b32_e32 v5, exec_lo, v5
	v_not_b32_e32 v24, v26
	v_ashrrev_i32_e32 v7, 31, v7
	s_wait_alu 0xfffd
	v_xor_b32_e32 v6, vcc_lo, v6
	v_cmp_gt_i32_e32 vcc_lo, 0, v26
	v_and_b32_e32 v5, v5, v65
	v_not_b32_e32 v26, v27
	v_ashrrev_i32_e32 v24, 31, v24
	s_wait_alu 0xf1ff
	v_xor_b32_e32 v7, s18, v7
	v_cmp_gt_i32_e64 s18, 0, v27
	v_and_b32_e32 v5, v5, v6
	v_not_b32_e32 v6, v64
	v_ashrrev_i32_e32 v26, 31, v26
	s_wait_alu 0xfffd
	v_xor_b32_e32 v24, vcc_lo, v24
	v_cmp_gt_i32_e32 vcc_lo, 0, v64
	v_and_b32_e32 v5, v5, v7
	v_not_b32_e32 v7, v25
	v_ashrrev_i32_e32 v6, 31, v6
	s_wait_alu 0xf1ff
	v_xor_b32_e32 v26, s18, v26
	v_lshlrev_b32_e32 v4, 6, v4
	v_and_b32_e32 v5, v5, v24
	v_cmp_gt_i32_e64 s18, 0, v25
	v_ashrrev_i32_e32 v7, 31, v7
	s_wait_alu 0xfffd
	v_xor_b32_e32 v6, vcc_lo, v6
	v_add_nc_u32_e32 v66, v100, v4
	v_and_b32_e32 v5, v5, v26
	s_wait_alu 0xf1ff
	v_xor_b32_e32 v4, s18, v7
	ds_load_b32 v64, v66 offset:64
	v_and_b32_e32 v5, v5, v6
	; wave barrier
	s_delay_alu instid0(VALU_DEP_1) | instskip(NEXT) | instid1(VALU_DEP_1)
	v_and_b32_e32 v4, v5, v4
	v_mbcnt_lo_u32_b32 v65, v4, 0
	v_cmp_ne_u32_e64 s18, 0, v4
	s_delay_alu instid0(VALU_DEP_2)
	v_cmp_eq_u32_e32 vcc_lo, 0, v65
	s_and_b32 s23, s18, vcc_lo
	s_wait_alu 0xfffe
	s_and_saveexec_b32 s18, s23
	s_cbranch_execz .LBB200_40
; %bb.39:                               ;   in Loop: Header=BB200_32 Depth=1
	s_wait_dscnt 0x0
	v_bcnt_u32_b32 v4, v4, v64
	ds_store_b32 v66, v4 offset:64
.LBB200_40:                             ;   in Loop: Header=BB200_32 Depth=1
	s_wait_alu 0xfffe
	s_or_b32 exec_lo, exec_lo, s18
	v_cmp_ne_u32_e32 vcc_lo, 0x7fffffff, v106
	; wave barrier
	s_wait_alu 0xfffd
	v_cndmask_b32_e32 v4, 0x80000000, v106, vcc_lo
	s_delay_alu instid0(VALU_DEP_1) | instskip(NEXT) | instid1(VALU_DEP_1)
	v_lshrrev_b32_e32 v4, s20, v4
	v_and_b32_e32 v4, s22, v4
	s_delay_alu instid0(VALU_DEP_1)
	v_and_b32_e32 v5, 1, v4
	v_lshlrev_b32_e32 v6, 30, v4
	v_lshlrev_b32_e32 v7, 29, v4
	;; [unrolled: 1-line block ×4, first 2 shown]
	v_add_co_u32 v5, s18, v5, -1
	s_wait_alu 0xf1ff
	v_cndmask_b32_e64 v25, 0, 1, s18
	v_not_b32_e32 v68, v6
	v_cmp_gt_i32_e64 s18, 0, v6
	v_not_b32_e32 v6, v7
	v_lshlrev_b32_e32 v27, 26, v4
	v_cmp_ne_u32_e32 vcc_lo, 0, v25
	v_ashrrev_i32_e32 v68, 31, v68
	v_lshlrev_b32_e32 v67, 25, v4
	v_ashrrev_i32_e32 v6, 31, v6
	v_lshlrev_b32_e32 v25, 24, v4
	s_wait_alu 0xfffd
	v_xor_b32_e32 v5, vcc_lo, v5
	v_cmp_gt_i32_e32 vcc_lo, 0, v7
	v_not_b32_e32 v7, v24
	s_wait_alu 0xf1ff
	v_xor_b32_e32 v68, s18, v68
	v_cmp_gt_i32_e64 s18, 0, v24
	v_and_b32_e32 v5, exec_lo, v5
	v_not_b32_e32 v24, v26
	v_ashrrev_i32_e32 v7, 31, v7
	s_wait_alu 0xfffd
	v_xor_b32_e32 v6, vcc_lo, v6
	v_cmp_gt_i32_e32 vcc_lo, 0, v26
	v_and_b32_e32 v5, v5, v68
	v_not_b32_e32 v26, v27
	v_ashrrev_i32_e32 v24, 31, v24
	s_wait_alu 0xf1ff
	v_xor_b32_e32 v7, s18, v7
	v_cmp_gt_i32_e64 s18, 0, v27
	v_and_b32_e32 v5, v5, v6
	v_not_b32_e32 v6, v67
	v_ashrrev_i32_e32 v26, 31, v26
	s_wait_alu 0xfffd
	v_xor_b32_e32 v24, vcc_lo, v24
	v_cmp_gt_i32_e32 vcc_lo, 0, v67
	v_and_b32_e32 v5, v5, v7
	v_not_b32_e32 v7, v25
	v_ashrrev_i32_e32 v6, 31, v6
	s_wait_alu 0xf1ff
	v_xor_b32_e32 v26, s18, v26
	v_lshlrev_b32_e32 v4, 6, v4
	v_and_b32_e32 v5, v5, v24
	v_cmp_gt_i32_e64 s18, 0, v25
	v_ashrrev_i32_e32 v7, 31, v7
	s_wait_alu 0xfffd
	v_xor_b32_e32 v6, vcc_lo, v6
	v_add_nc_u32_e32 v69, v100, v4
	v_and_b32_e32 v5, v5, v26
	s_wait_alu 0xf1ff
	v_xor_b32_e32 v4, s18, v7
	ds_load_b32 v67, v69 offset:64
	v_and_b32_e32 v5, v5, v6
	; wave barrier
	s_delay_alu instid0(VALU_DEP_1) | instskip(NEXT) | instid1(VALU_DEP_1)
	v_and_b32_e32 v4, v5, v4
	v_mbcnt_lo_u32_b32 v68, v4, 0
	v_cmp_ne_u32_e64 s18, 0, v4
	s_delay_alu instid0(VALU_DEP_2)
	v_cmp_eq_u32_e32 vcc_lo, 0, v68
	s_and_b32 s23, s18, vcc_lo
	s_wait_alu 0xfffe
	s_and_saveexec_b32 s18, s23
	s_cbranch_execz .LBB200_42
; %bb.41:                               ;   in Loop: Header=BB200_32 Depth=1
	s_wait_dscnt 0x0
	v_bcnt_u32_b32 v4, v4, v67
	ds_store_b32 v69, v4 offset:64
.LBB200_42:                             ;   in Loop: Header=BB200_32 Depth=1
	s_wait_alu 0xfffe
	s_or_b32 exec_lo, exec_lo, s18
	v_cmp_ne_u32_e32 vcc_lo, 0x7fffffff, v105
	; wave barrier
	s_wait_alu 0xfffd
	v_cndmask_b32_e32 v4, 0x80000000, v105, vcc_lo
	s_delay_alu instid0(VALU_DEP_1) | instskip(NEXT) | instid1(VALU_DEP_1)
	v_lshrrev_b32_e32 v4, s20, v4
	v_and_b32_e32 v4, s22, v4
	s_delay_alu instid0(VALU_DEP_1)
	v_and_b32_e32 v5, 1, v4
	v_lshlrev_b32_e32 v6, 30, v4
	v_lshlrev_b32_e32 v7, 29, v4
	v_lshlrev_b32_e32 v24, 28, v4
	v_lshlrev_b32_e32 v26, 27, v4
	v_add_co_u32 v5, s18, v5, -1
	s_wait_alu 0xf1ff
	v_cndmask_b32_e64 v25, 0, 1, s18
	v_not_b32_e32 v71, v6
	v_cmp_gt_i32_e64 s18, 0, v6
	v_not_b32_e32 v6, v7
	v_lshlrev_b32_e32 v27, 26, v4
	v_cmp_ne_u32_e32 vcc_lo, 0, v25
	v_ashrrev_i32_e32 v71, 31, v71
	v_lshlrev_b32_e32 v70, 25, v4
	v_ashrrev_i32_e32 v6, 31, v6
	v_lshlrev_b32_e32 v25, 24, v4
	s_wait_alu 0xfffd
	v_xor_b32_e32 v5, vcc_lo, v5
	v_cmp_gt_i32_e32 vcc_lo, 0, v7
	v_not_b32_e32 v7, v24
	s_wait_alu 0xf1ff
	v_xor_b32_e32 v71, s18, v71
	v_cmp_gt_i32_e64 s18, 0, v24
	v_and_b32_e32 v5, exec_lo, v5
	v_not_b32_e32 v24, v26
	v_ashrrev_i32_e32 v7, 31, v7
	s_wait_alu 0xfffd
	v_xor_b32_e32 v6, vcc_lo, v6
	v_cmp_gt_i32_e32 vcc_lo, 0, v26
	v_and_b32_e32 v5, v5, v71
	v_not_b32_e32 v26, v27
	v_ashrrev_i32_e32 v24, 31, v24
	s_wait_alu 0xf1ff
	v_xor_b32_e32 v7, s18, v7
	v_cmp_gt_i32_e64 s18, 0, v27
	v_and_b32_e32 v5, v5, v6
	v_not_b32_e32 v6, v70
	v_ashrrev_i32_e32 v26, 31, v26
	s_wait_alu 0xfffd
	v_xor_b32_e32 v24, vcc_lo, v24
	v_cmp_gt_i32_e32 vcc_lo, 0, v70
	v_and_b32_e32 v5, v5, v7
	v_not_b32_e32 v7, v25
	v_ashrrev_i32_e32 v6, 31, v6
	s_wait_alu 0xf1ff
	v_xor_b32_e32 v26, s18, v26
	v_lshlrev_b32_e32 v4, 6, v4
	v_and_b32_e32 v5, v5, v24
	v_cmp_gt_i32_e64 s18, 0, v25
	v_ashrrev_i32_e32 v7, 31, v7
	s_wait_alu 0xfffd
	v_xor_b32_e32 v6, vcc_lo, v6
	v_add_nc_u32_e32 v71, v100, v4
	v_and_b32_e32 v5, v5, v26
	s_wait_alu 0xf1ff
	v_xor_b32_e32 v4, s18, v7
	ds_load_b32 v70, v71 offset:64
	v_and_b32_e32 v5, v5, v6
	; wave barrier
	s_delay_alu instid0(VALU_DEP_1) | instskip(NEXT) | instid1(VALU_DEP_1)
	v_and_b32_e32 v4, v5, v4
	v_mbcnt_lo_u32_b32 v110, v4, 0
	v_cmp_ne_u32_e64 s18, 0, v4
	s_delay_alu instid0(VALU_DEP_2)
	v_cmp_eq_u32_e32 vcc_lo, 0, v110
	s_and_b32 s23, s18, vcc_lo
	s_wait_alu 0xfffe
	s_and_saveexec_b32 s18, s23
	s_cbranch_execz .LBB200_44
; %bb.43:                               ;   in Loop: Header=BB200_32 Depth=1
	s_wait_dscnt 0x0
	v_bcnt_u32_b32 v4, v4, v70
	ds_store_b32 v71, v4 offset:64
.LBB200_44:                             ;   in Loop: Header=BB200_32 Depth=1
	s_wait_alu 0xfffe
	s_or_b32 exec_lo, exec_lo, s18
	v_cmp_ne_u32_e32 vcc_lo, 0x7fffffff, v104
	; wave barrier
	s_wait_alu 0xfffd
	v_cndmask_b32_e32 v4, 0x80000000, v104, vcc_lo
	s_delay_alu instid0(VALU_DEP_1) | instskip(NEXT) | instid1(VALU_DEP_1)
	v_lshrrev_b32_e32 v4, s20, v4
	v_and_b32_e32 v4, s22, v4
	s_delay_alu instid0(VALU_DEP_1)
	v_and_b32_e32 v5, 1, v4
	v_lshlrev_b32_e32 v6, 30, v4
	v_lshlrev_b32_e32 v7, 29, v4
	;; [unrolled: 1-line block ×4, first 2 shown]
	v_add_co_u32 v5, s18, v5, -1
	s_wait_alu 0xf1ff
	v_cndmask_b32_e64 v25, 0, 1, s18
	v_not_b32_e32 v112, v6
	v_cmp_gt_i32_e64 s18, 0, v6
	v_not_b32_e32 v6, v7
	v_lshlrev_b32_e32 v27, 26, v4
	v_cmp_ne_u32_e32 vcc_lo, 0, v25
	v_ashrrev_i32_e32 v112, 31, v112
	v_lshlrev_b32_e32 v111, 25, v4
	v_ashrrev_i32_e32 v6, 31, v6
	v_lshlrev_b32_e32 v25, 24, v4
	s_wait_alu 0xfffd
	v_xor_b32_e32 v5, vcc_lo, v5
	v_cmp_gt_i32_e32 vcc_lo, 0, v7
	v_not_b32_e32 v7, v24
	s_wait_alu 0xf1ff
	v_xor_b32_e32 v112, s18, v112
	v_cmp_gt_i32_e64 s18, 0, v24
	v_and_b32_e32 v5, exec_lo, v5
	v_not_b32_e32 v24, v26
	v_ashrrev_i32_e32 v7, 31, v7
	s_wait_alu 0xfffd
	v_xor_b32_e32 v6, vcc_lo, v6
	v_cmp_gt_i32_e32 vcc_lo, 0, v26
	v_and_b32_e32 v5, v5, v112
	v_not_b32_e32 v26, v27
	v_ashrrev_i32_e32 v24, 31, v24
	s_wait_alu 0xf1ff
	v_xor_b32_e32 v7, s18, v7
	v_cmp_gt_i32_e64 s18, 0, v27
	v_and_b32_e32 v5, v5, v6
	v_not_b32_e32 v6, v111
	v_ashrrev_i32_e32 v26, 31, v26
	s_wait_alu 0xfffd
	v_xor_b32_e32 v24, vcc_lo, v24
	v_cmp_gt_i32_e32 vcc_lo, 0, v111
	v_and_b32_e32 v5, v5, v7
	v_not_b32_e32 v7, v25
	v_ashrrev_i32_e32 v6, 31, v6
	s_wait_alu 0xf1ff
	v_xor_b32_e32 v26, s18, v26
	v_lshlrev_b32_e32 v4, 6, v4
	v_and_b32_e32 v5, v5, v24
	v_cmp_gt_i32_e64 s18, 0, v25
	v_ashrrev_i32_e32 v7, 31, v7
	s_wait_alu 0xfffd
	v_xor_b32_e32 v6, vcc_lo, v6
	v_add_nc_u32_e32 v112, v100, v4
	v_and_b32_e32 v5, v5, v26
	s_wait_alu 0xf1ff
	v_xor_b32_e32 v4, s18, v7
	ds_load_b32 v111, v112 offset:64
	v_and_b32_e32 v5, v5, v6
	; wave barrier
	s_delay_alu instid0(VALU_DEP_1) | instskip(NEXT) | instid1(VALU_DEP_1)
	v_and_b32_e32 v4, v5, v4
	v_mbcnt_lo_u32_b32 v113, v4, 0
	v_cmp_ne_u32_e64 s18, 0, v4
	s_delay_alu instid0(VALU_DEP_2)
	v_cmp_eq_u32_e32 vcc_lo, 0, v113
	s_and_b32 s23, s18, vcc_lo
	s_wait_alu 0xfffe
	s_and_saveexec_b32 s18, s23
	s_cbranch_execz .LBB200_46
; %bb.45:                               ;   in Loop: Header=BB200_32 Depth=1
	s_wait_dscnt 0x0
	v_bcnt_u32_b32 v4, v4, v111
	ds_store_b32 v112, v4 offset:64
.LBB200_46:                             ;   in Loop: Header=BB200_32 Depth=1
	s_wait_alu 0xfffe
	s_or_b32 exec_lo, exec_lo, s18
	v_cmp_ne_u32_e32 vcc_lo, 0x7fffffff, v103
	; wave barrier
	s_wait_alu 0xfffd
	v_cndmask_b32_e32 v4, 0x80000000, v103, vcc_lo
	s_delay_alu instid0(VALU_DEP_1) | instskip(NEXT) | instid1(VALU_DEP_1)
	v_lshrrev_b32_e32 v4, s20, v4
	v_and_b32_e32 v4, s22, v4
	s_delay_alu instid0(VALU_DEP_1)
	v_and_b32_e32 v5, 1, v4
	v_lshlrev_b32_e32 v6, 30, v4
	v_lshlrev_b32_e32 v7, 29, v4
	;; [unrolled: 1-line block ×4, first 2 shown]
	v_add_co_u32 v5, s18, v5, -1
	s_wait_alu 0xf1ff
	v_cndmask_b32_e64 v25, 0, 1, s18
	v_not_b32_e32 v115, v6
	v_cmp_gt_i32_e64 s18, 0, v6
	v_not_b32_e32 v6, v7
	v_lshlrev_b32_e32 v27, 26, v4
	v_cmp_ne_u32_e32 vcc_lo, 0, v25
	v_ashrrev_i32_e32 v115, 31, v115
	v_lshlrev_b32_e32 v114, 25, v4
	v_ashrrev_i32_e32 v6, 31, v6
	v_lshlrev_b32_e32 v25, 24, v4
	s_wait_alu 0xfffd
	v_xor_b32_e32 v5, vcc_lo, v5
	v_cmp_gt_i32_e32 vcc_lo, 0, v7
	v_not_b32_e32 v7, v24
	s_wait_alu 0xf1ff
	v_xor_b32_e32 v115, s18, v115
	v_cmp_gt_i32_e64 s18, 0, v24
	v_and_b32_e32 v5, exec_lo, v5
	v_not_b32_e32 v24, v26
	v_ashrrev_i32_e32 v7, 31, v7
	s_wait_alu 0xfffd
	v_xor_b32_e32 v6, vcc_lo, v6
	v_cmp_gt_i32_e32 vcc_lo, 0, v26
	v_and_b32_e32 v5, v5, v115
	v_not_b32_e32 v26, v27
	v_ashrrev_i32_e32 v24, 31, v24
	s_wait_alu 0xf1ff
	v_xor_b32_e32 v7, s18, v7
	v_cmp_gt_i32_e64 s18, 0, v27
	v_and_b32_e32 v5, v5, v6
	v_not_b32_e32 v6, v114
	v_ashrrev_i32_e32 v26, 31, v26
	s_wait_alu 0xfffd
	v_xor_b32_e32 v24, vcc_lo, v24
	v_cmp_gt_i32_e32 vcc_lo, 0, v114
	v_and_b32_e32 v5, v5, v7
	v_not_b32_e32 v7, v25
	v_ashrrev_i32_e32 v6, 31, v6
	s_wait_alu 0xf1ff
	v_xor_b32_e32 v26, s18, v26
	v_lshlrev_b32_e32 v4, 6, v4
	v_and_b32_e32 v5, v5, v24
	v_cmp_gt_i32_e64 s18, 0, v25
	v_ashrrev_i32_e32 v7, 31, v7
	s_wait_alu 0xfffd
	v_xor_b32_e32 v6, vcc_lo, v6
	v_add_nc_u32_e32 v114, v100, v4
	v_and_b32_e32 v5, v5, v26
	s_wait_alu 0xf1ff
	v_xor_b32_e32 v4, s18, v7
	ds_load_b32 v119, v114 offset:64
	v_and_b32_e32 v5, v5, v6
	; wave barrier
	s_delay_alu instid0(VALU_DEP_1) | instskip(NEXT) | instid1(VALU_DEP_1)
	v_and_b32_e32 v4, v5, v4
	v_mbcnt_lo_u32_b32 v120, v4, 0
	v_cmp_ne_u32_e64 s18, 0, v4
	s_delay_alu instid0(VALU_DEP_2)
	v_cmp_eq_u32_e32 vcc_lo, 0, v120
	s_and_b32 s22, s18, vcc_lo
	s_wait_alu 0xfffe
	s_and_saveexec_b32 s18, s22
	s_cbranch_execz .LBB200_48
; %bb.47:                               ;   in Loop: Header=BB200_32 Depth=1
	s_wait_dscnt 0x0
	v_bcnt_u32_b32 v4, v4, v119
	ds_store_b32 v114, v4 offset:64
.LBB200_48:                             ;   in Loop: Header=BB200_32 Depth=1
	s_wait_alu 0xfffe
	s_or_b32 exec_lo, exec_lo, s18
	; wave barrier
	s_wait_loadcnt_dscnt 0x0
	s_barrier_signal -1
	s_barrier_wait -1
	global_inv scope:SCOPE_SE
	ds_load_b128 v[24:27], v89 offset:64
	ds_load_b128 v[4:7], v89 offset:80
	s_wait_dscnt 0x1
	v_add_nc_u32_e32 v115, v25, v24
	s_delay_alu instid0(VALU_DEP_1) | instskip(SKIP_1) | instid1(VALU_DEP_1)
	v_add3_u32 v115, v115, v26, v27
	s_wait_dscnt 0x0
	v_add3_u32 v115, v115, v4, v5
	s_delay_alu instid0(VALU_DEP_1) | instskip(NEXT) | instid1(VALU_DEP_1)
	v_add3_u32 v7, v115, v6, v7
	v_mov_b32_dpp v115, v7 row_shr:1 row_mask:0xf bank_mask:0xf
	s_delay_alu instid0(VALU_DEP_1) | instskip(NEXT) | instid1(VALU_DEP_1)
	v_cndmask_b32_e64 v115, v115, 0, s12
	v_add_nc_u32_e32 v7, v115, v7
	s_delay_alu instid0(VALU_DEP_1) | instskip(NEXT) | instid1(VALU_DEP_1)
	v_mov_b32_dpp v115, v7 row_shr:2 row_mask:0xf bank_mask:0xf
	v_cndmask_b32_e64 v115, 0, v115, s13
	s_delay_alu instid0(VALU_DEP_1) | instskip(NEXT) | instid1(VALU_DEP_1)
	v_add_nc_u32_e32 v7, v7, v115
	v_mov_b32_dpp v115, v7 row_shr:4 row_mask:0xf bank_mask:0xf
	s_delay_alu instid0(VALU_DEP_1) | instskip(NEXT) | instid1(VALU_DEP_1)
	v_cndmask_b32_e64 v115, 0, v115, s14
	v_add_nc_u32_e32 v7, v7, v115
	s_delay_alu instid0(VALU_DEP_1) | instskip(NEXT) | instid1(VALU_DEP_1)
	v_mov_b32_dpp v115, v7 row_shr:8 row_mask:0xf bank_mask:0xf
	v_cndmask_b32_e64 v115, 0, v115, s15
	s_delay_alu instid0(VALU_DEP_1) | instskip(SKIP_3) | instid1(VALU_DEP_1)
	v_add_nc_u32_e32 v7, v7, v115
	ds_swizzle_b32 v115, v7 offset:swizzle(BROADCAST,32,15)
	s_wait_dscnt 0x0
	v_cndmask_b32_e64 v115, v115, 0, s16
	v_add_nc_u32_e32 v7, v7, v115
	s_and_saveexec_b32 s18, s17
; %bb.49:                               ;   in Loop: Header=BB200_32 Depth=1
	ds_store_b32 v90, v7
; %bb.50:                               ;   in Loop: Header=BB200_32 Depth=1
	s_wait_alu 0xfffe
	s_or_b32 exec_lo, exec_lo, s18
	s_wait_loadcnt_dscnt 0x0
	s_barrier_signal -1
	s_barrier_wait -1
	global_inv scope:SCOPE_SE
	s_and_saveexec_b32 s18, s8
	s_cbranch_execz .LBB200_52
; %bb.51:                               ;   in Loop: Header=BB200_32 Depth=1
	ds_load_b32 v115, v101
	s_wait_dscnt 0x0
	v_mov_b32_dpp v116, v115 row_shr:1 row_mask:0xf bank_mask:0xf
	s_delay_alu instid0(VALU_DEP_1) | instskip(NEXT) | instid1(VALU_DEP_1)
	v_cndmask_b32_e64 v116, v116, 0, s12
	v_add_nc_u32_e32 v115, v116, v115
	s_delay_alu instid0(VALU_DEP_1) | instskip(NEXT) | instid1(VALU_DEP_1)
	v_mov_b32_dpp v116, v115 row_shr:2 row_mask:0xf bank_mask:0xf
	v_cndmask_b32_e64 v116, 0, v116, s13
	s_delay_alu instid0(VALU_DEP_1) | instskip(NEXT) | instid1(VALU_DEP_1)
	v_add_nc_u32_e32 v115, v115, v116
	v_mov_b32_dpp v116, v115 row_shr:4 row_mask:0xf bank_mask:0xf
	s_delay_alu instid0(VALU_DEP_1) | instskip(NEXT) | instid1(VALU_DEP_1)
	v_cndmask_b32_e64 v116, 0, v116, s14
	v_add_nc_u32_e32 v115, v115, v116
	s_delay_alu instid0(VALU_DEP_1) | instskip(NEXT) | instid1(VALU_DEP_1)
	v_mov_b32_dpp v116, v115 row_shr:8 row_mask:0xf bank_mask:0xf
	v_cndmask_b32_e64 v116, 0, v116, s15
	s_delay_alu instid0(VALU_DEP_1)
	v_add_nc_u32_e32 v115, v115, v116
	ds_store_b32 v101, v115
.LBB200_52:                             ;   in Loop: Header=BB200_32 Depth=1
	s_wait_alu 0xfffe
	s_or_b32 exec_lo, exec_lo, s18
	v_mov_b32_e32 v115, 0
	s_wait_loadcnt_dscnt 0x0
	s_barrier_signal -1
	s_barrier_wait -1
	global_inv scope:SCOPE_SE
	s_and_saveexec_b32 s18, s9
; %bb.53:                               ;   in Loop: Header=BB200_32 Depth=1
	v_add_nc_u32_e32 v115, -4, v90
	ds_load_b32 v115, v115
; %bb.54:                               ;   in Loop: Header=BB200_32 Depth=1
	s_wait_alu 0xfffe
	s_or_b32 exec_lo, exec_lo, s18
	s_wait_dscnt 0x0
	v_add_nc_u32_e32 v7, v115, v7
	s_cmp_gt_u32 s20, 23
	s_mov_b32 s18, -1
	ds_bpermute_b32 v7, v99, v7
	s_wait_dscnt 0x0
	v_cndmask_b32_e64 v7, v7, v115, s11
	s_delay_alu instid0(VALU_DEP_1) | instskip(NEXT) | instid1(VALU_DEP_1)
	v_cndmask_b32_e64 v115, v7, 0, s10
	v_add_nc_u32_e32 v116, v115, v24
	s_delay_alu instid0(VALU_DEP_1) | instskip(NEXT) | instid1(VALU_DEP_1)
	v_add_nc_u32_e32 v117, v116, v25
	v_add_nc_u32_e32 v118, v117, v26
	s_delay_alu instid0(VALU_DEP_1) | instskip(NEXT) | instid1(VALU_DEP_1)
	v_add_nc_u32_e32 v24, v118, v27
	;; [unrolled: 3-line block ×3, first 2 shown]
	v_add_nc_u32_e32 v27, v26, v6
	ds_store_b128 v89, v[115:118] offset:64
	ds_store_b128 v89, v[24:27] offset:80
	s_wait_loadcnt_dscnt 0x0
	s_barrier_signal -1
	s_barrier_wait -1
	global_inv scope:SCOPE_SE
	ds_load_b32 v4, v29 offset:64
	ds_load_b32 v5, v32 offset:64
	ds_load_b32 v6, v35 offset:64
	ds_load_b32 v7, v66 offset:64
	ds_load_b32 v24, v69 offset:64
	ds_load_b32 v25, v71 offset:64
	ds_load_b32 v26, v112 offset:64
	ds_load_b32 v27, v114 offset:64
	s_wait_dscnt 0x7
	v_add_nc_u32_e32 v118, v4, v28
	s_wait_dscnt 0x6
	v_add3_u32 v117, v31, v30, v5
	s_wait_dscnt 0x5
	v_add3_u32 v116, v34, v33, v6
	;; [unrolled: 2-line block ×7, first 2 shown]
                                        ; implicit-def: $vgpr71
                                        ; implicit-def: $vgpr69
                                        ; implicit-def: $vgpr67
                                        ; implicit-def: $vgpr65
                                        ; implicit-def: $vgpr34_vgpr35
                                        ; implicit-def: $vgpr30_vgpr31
                                        ; implicit-def: $vgpr26_vgpr27
                                        ; implicit-def: $vgpr6_vgpr7
	s_cbranch_scc1 .LBB200_31
; %bb.55:                               ;   in Loop: Header=BB200_32 Depth=1
	v_lshlrev_b32_e32 v4, 2, v118
	v_lshlrev_b32_e32 v5, 2, v117
	;; [unrolled: 1-line block ×3, first 2 shown]
	s_wait_loadcnt 0x0
	s_barrier_signal -1
	s_barrier_wait -1
	global_inv scope:SCOPE_SE
	ds_store_b32 v4, v102
	ds_store_b32 v5, v109
	;; [unrolled: 1-line block ×3, first 2 shown]
	v_lshlrev_b32_e32 v7, 2, v115
	v_add_nc_u32_e32 v4, v4, v4
	v_lshlrev_b32_e32 v24, 2, v114
	v_add_nc_u32_e32 v5, v5, v5
	;; [unrolled: 2-line block ×3, first 2 shown]
	v_lshlrev_b32_e32 v26, 2, v111
	v_lshlrev_b32_e32 v27, 2, v110
	ds_store_b32 v7, v107
	ds_store_b32 v24, v106
	ds_store_b32 v25, v105
	ds_store_b32 v26, v104
	ds_store_b32 v27, v103
	s_wait_loadcnt_dscnt 0x0
	s_barrier_signal -1
	s_barrier_wait -1
	global_inv scope:SCOPE_SE
	ds_load_2addr_b32 v[64:65], v97 offset1:32
	ds_load_2addr_b32 v[66:67], v97 offset0:64 offset1:96
	ds_load_2addr_b32 v[68:69], v97 offset0:128 offset1:160
	;; [unrolled: 1-line block ×3, first 2 shown]
	s_wait_loadcnt_dscnt 0x0
	s_barrier_signal -1
	s_barrier_wait -1
	global_inv scope:SCOPE_SE
	ds_store_b64 v4, v[62:63]
	ds_store_b64 v5, v[60:61]
	;; [unrolled: 1-line block ×3, first 2 shown]
	v_add_nc_u32_e32 v4, v7, v7
	v_add_nc_u32_e32 v5, v24, v24
	;; [unrolled: 1-line block ×5, first 2 shown]
	ds_store_b64 v4, v[56:57]
	ds_store_b64 v5, v[54:55]
	ds_store_b64 v6, v[41:42]
	ds_store_b64 v7, v[38:39]
	ds_store_b64 v24, v[36:37]
	s_wait_loadcnt_dscnt 0x0
	s_barrier_signal -1
	s_barrier_wait -1
	global_inv scope:SCOPE_SE
	ds_load_2addr_b64 v[4:7], v98 offset1:32
	ds_load_2addr_b64 v[24:27], v98 offset0:64 offset1:96
	ds_load_2addr_b64 v[28:31], v98 offset0:128 offset1:160
	;; [unrolled: 1-line block ×3, first 2 shown]
	s_add_co_i32 s20, s20, 8
	s_add_co_i32 s21, s21, -8
	s_mov_b32 s18, 0
	s_wait_loadcnt_dscnt 0x0
	s_barrier_signal -1
	s_barrier_wait -1
	global_inv scope:SCOPE_SE
	s_branch .LBB200_31
.LBB200_56:
	v_lshlrev_b64_e32 v[1:2], 3, v[40:41]
	v_dual_mov_b32 v42, v41 :: v_dual_mov_b32 v9, v41
	v_mov_b32_e32 v10, v41
	v_dual_mov_b32 v4, v41 :: v_dual_mov_b32 v5, v41
	s_wait_alu 0xfffe
	s_delay_alu instid0(VALU_DEP_4)
	v_add_co_u32 v1, vcc_lo, s24, v1
	s_wait_alu 0xfffd
	v_add_co_ci_u32_e64 v2, null, s25, v2, vcc_lo
	v_dual_mov_b32 v6, v41 :: v_dual_mov_b32 v7, v41
	v_dual_mov_b32 v8, v41 :: v_dual_mov_b32 v11, v41
	global_load_b64 v[13:14], v[1:2], off
	v_dual_mov_b32 v1, v41 :: v_dual_mov_b32 v2, v41
	v_dual_mov_b32 v3, v41 :: v_dual_mov_b32 v12, v41
	s_or_b32 exec_lo, exec_lo, s8
	s_and_saveexec_b32 s8, s1
	s_cbranch_execz .LBB200_22
.LBB200_57:
	v_mul_lo_u32 v32, s28, v15
	v_mov_b32_e32 v33, 0
	s_delay_alu instid0(VALU_DEP_1) | instskip(NEXT) | instid1(VALU_DEP_1)
	v_lshlrev_b64_e32 v[32:33], 3, v[32:33]
	v_add_co_u32 v32, vcc_lo, s24, v32
	s_wait_alu 0xfffd
	s_delay_alu instid0(VALU_DEP_2)
	v_add_co_ci_u32_e64 v33, null, s25, v33, vcc_lo
	global_load_b64 v[41:42], v[32:33], off
	s_wait_alu 0xfffe
	s_or_b32 exec_lo, exec_lo, s8
	s_and_saveexec_b32 s8, s2
	s_cbranch_execz .LBB200_23
.LBB200_58:
	v_mul_lo_u32 v9, s28, v16
	v_mov_b32_e32 v10, 0
	s_delay_alu instid0(VALU_DEP_1) | instskip(NEXT) | instid1(VALU_DEP_1)
	v_lshlrev_b64_e32 v[9:10], 3, v[9:10]
	v_add_co_u32 v9, vcc_lo, s24, v9
	s_wait_alu 0xfffd
	s_delay_alu instid0(VALU_DEP_2)
	v_add_co_ci_u32_e64 v10, null, s25, v10, vcc_lo
	global_load_b64 v[9:10], v[9:10], off
	s_wait_alu 0xfffe
	s_or_b32 exec_lo, exec_lo, s8
	s_and_saveexec_b32 s8, s3
	s_cbranch_execz .LBB200_24
.LBB200_59:
	v_mul_lo_u32 v1, s28, v17
	v_mov_b32_e32 v2, 0
	s_delay_alu instid0(VALU_DEP_1) | instskip(NEXT) | instid1(VALU_DEP_1)
	v_lshlrev_b64_e32 v[1:2], 3, v[1:2]
	v_add_co_u32 v1, vcc_lo, s24, v1
	s_wait_alu 0xfffd
	s_delay_alu instid0(VALU_DEP_2)
	v_add_co_ci_u32_e64 v2, null, s25, v2, vcc_lo
	global_load_b64 v[1:2], v[1:2], off
	s_wait_alu 0xfffe
	s_or_b32 exec_lo, exec_lo, s8
	s_and_saveexec_b32 s8, s4
	s_cbranch_execz .LBB200_25
.LBB200_60:
	v_mul_lo_u32 v3, s28, v18
	v_mov_b32_e32 v4, 0
	s_delay_alu instid0(VALU_DEP_1) | instskip(NEXT) | instid1(VALU_DEP_1)
	v_lshlrev_b64_e32 v[3:4], 3, v[3:4]
	v_add_co_u32 v3, vcc_lo, s24, v3
	s_wait_alu 0xfffd
	s_delay_alu instid0(VALU_DEP_2)
	v_add_co_ci_u32_e64 v4, null, s25, v4, vcc_lo
	global_load_b64 v[3:4], v[3:4], off
	s_wait_alu 0xfffe
	s_or_b32 exec_lo, exec_lo, s8
	s_and_saveexec_b32 s8, s5
	s_cbranch_execz .LBB200_26
.LBB200_61:
	v_mul_lo_u32 v5, s28, v19
	v_mov_b32_e32 v6, 0
	s_delay_alu instid0(VALU_DEP_1) | instskip(NEXT) | instid1(VALU_DEP_1)
	v_lshlrev_b64_e32 v[5:6], 3, v[5:6]
	v_add_co_u32 v5, vcc_lo, s24, v5
	s_wait_alu 0xfffd
	s_delay_alu instid0(VALU_DEP_2)
	v_add_co_ci_u32_e64 v6, null, s25, v6, vcc_lo
	global_load_b64 v[5:6], v[5:6], off
	s_wait_alu 0xfffe
	s_or_b32 exec_lo, exec_lo, s8
	s_and_saveexec_b32 s8, s6
	s_cbranch_execz .LBB200_27
.LBB200_62:
	v_mul_lo_u32 v7, s28, v20
	v_mov_b32_e32 v8, 0
	s_delay_alu instid0(VALU_DEP_1) | instskip(NEXT) | instid1(VALU_DEP_1)
	v_lshlrev_b64_e32 v[7:8], 3, v[7:8]
	v_add_co_u32 v7, vcc_lo, s24, v7
	s_wait_alu 0xfffd
	s_delay_alu instid0(VALU_DEP_2)
	v_add_co_ci_u32_e64 v8, null, s25, v8, vcc_lo
	global_load_b64 v[7:8], v[7:8], off
	s_wait_alu 0xfffe
	s_or_b32 exec_lo, exec_lo, s8
	s_xor_b32 s8, s12, -1
	s_and_saveexec_b32 s9, s7
	s_cbranch_execnz .LBB200_28
	s_branch .LBB200_29
.LBB200_63:
                                        ; implicit-def: $vgpr34_vgpr35
                                        ; implicit-def: $vgpr38_vgpr39
                                        ; implicit-def: $vgpr26_vgpr27
                                        ; implicit-def: $vgpr30_vgpr31
                                        ; implicit-def: $vgpr0_vgpr1_vgpr2_vgpr3_vgpr4_vgpr5_vgpr6_vgpr7
	s_cbranch_execnz .LBB200_65
	s_branch .LBB200_92
.LBB200_64:
	v_lshlrev_b32_e32 v24, 2, v118
	v_lshlrev_b32_e32 v27, 2, v115
	;; [unrolled: 1-line block ×8, first 2 shown]
	s_wait_loadcnt 0x0
	s_barrier_signal -1
	s_barrier_wait -1
	global_inv scope:SCOPE_SE
	ds_store_b32 v24, v102
	ds_store_b32 v25, v109
	;; [unrolled: 1-line block ×8, first 2 shown]
	s_wait_loadcnt_dscnt 0x0
	s_barrier_signal -1
	s_barrier_wait -1
	global_inv scope:SCOPE_SE
	ds_load_b128 v[0:3], v89
	ds_load_b128 v[4:7], v89 offset:16
	v_add_nc_u32_e32 v24, v24, v24
	v_add_nc_u32_e32 v25, v25, v25
	;; [unrolled: 1-line block ×3, first 2 shown]
	s_wait_loadcnt_dscnt 0x0
	s_barrier_signal -1
	s_barrier_wait -1
	global_inv scope:SCOPE_SE
	ds_store_b64 v24, v[62:63]
	ds_store_b64 v25, v[60:61]
	;; [unrolled: 1-line block ×3, first 2 shown]
	v_add_nc_u32_e32 v24, v27, v27
	v_add_nc_u32_e32 v25, v28, v28
	;; [unrolled: 1-line block ×5, first 2 shown]
	ds_store_b64 v24, v[56:57]
	ds_store_b64 v25, v[54:55]
	;; [unrolled: 1-line block ×5, first 2 shown]
	v_lshl_add_u32 v32, v45, 5, v89
	s_wait_loadcnt_dscnt 0x0
	s_barrier_signal -1
	s_barrier_wait -1
	v_cmp_lt_i32_e32 vcc_lo, -1, v0
	global_inv scope:SCOPE_SE
	ds_load_b128 v[28:31], v32
	ds_load_b128 v[24:27], v32 offset:16
	ds_load_b128 v[36:39], v32 offset:32
	;; [unrolled: 1-line block ×3, first 2 shown]
	s_wait_alu 0xfffd
	v_cndmask_b32_e64 v41, 0x80000000, -1, vcc_lo
	v_cmp_lt_i32_e32 vcc_lo, -1, v1
	s_delay_alu instid0(VALU_DEP_2) | instskip(SKIP_3) | instid1(VALU_DEP_2)
	v_xor_b32_e32 v0, v41, v0
	s_wait_alu 0xfffd
	v_cndmask_b32_e64 v42, 0x80000000, -1, vcc_lo
	v_cmp_lt_i32_e32 vcc_lo, -1, v2
	v_xor_b32_e32 v1, v42, v1
	s_wait_alu 0xfffd
	v_cndmask_b32_e64 v54, 0x80000000, -1, vcc_lo
	v_cmp_lt_i32_e32 vcc_lo, -1, v3
	s_delay_alu instid0(VALU_DEP_2) | instskip(SKIP_3) | instid1(VALU_DEP_2)
	v_xor_b32_e32 v2, v54, v2
	s_wait_alu 0xfffd
	v_cndmask_b32_e64 v41, 0x80000000, -1, vcc_lo
	v_cmp_lt_i32_e32 vcc_lo, -1, v4
	v_xor_b32_e32 v3, v41, v3
	;; [unrolled: 9-line block ×3, first 2 shown]
	s_wait_alu 0xfffd
	v_cndmask_b32_e64 v55, 0x80000000, -1, vcc_lo
	v_cmp_lt_i32_e32 vcc_lo, -1, v7
	s_delay_alu instid0(VALU_DEP_2) | instskip(SKIP_2) | instid1(VALU_DEP_1)
	v_xor_b32_e32 v6, v55, v6
	s_wait_alu 0xfffd
	v_cndmask_b32_e64 v56, 0x80000000, -1, vcc_lo
	v_xor_b32_e32 v7, v56, v7
	s_branch .LBB200_92
.LBB200_65:
	v_cmp_gt_i32_e32 vcc_lo, 0, v52
	v_or_b32_e32 v7, v93, v94
	s_wait_dscnt 0x2
	v_and_or_b32 v25, 0x1f00, v91, v93
	s_mov_b32 s20, 0
	s_getpc_b64 s[8:9]
	s_wait_alu 0xfffe
	s_sext_i32_i16 s9, s9
	s_add_co_u32 s8, s8, _ZN7rocprim17ROCPRIM_400000_NS16block_radix_sortIfLj512ELj8ElLj1ELj1ELj0ELNS0_26block_radix_rank_algorithmE1ELNS0_18block_padding_hintE2ELNS0_4arch9wavefront6targetE0EE19radix_bits_per_passE@rel32@lo+12
	s_wait_alu 0xfffe
	s_add_co_ci_u32 s9, s9, _ZN7rocprim17ROCPRIM_400000_NS16block_radix_sortIfLj512ELj8ElLj1ELj1ELj0ELNS0_26block_radix_rank_algorithmE1ELNS0_18block_padding_hintE2ELNS0_4arch9wavefront6targetE0EE19radix_bits_per_passE@rel32@hi+24
	s_wait_alu 0xfffd
	v_cndmask_b32_e64 v0, 0x7fffffff, 0, vcc_lo
	v_cmp_gt_i32_e32 vcc_lo, 0, v53
	s_mov_b32 s21, s20
	s_mov_b32 s22, s20
	;; [unrolled: 1-line block ×3, first 2 shown]
	v_xor_b32_e32 v0, v0, v52
	s_wait_alu 0xfffd
	v_cndmask_b32_e64 v1, 0x7fffffff, 0, vcc_lo
	v_cmp_gt_i32_e32 vcc_lo, 0, v50
	v_lshlrev_b32_e32 v26, 5, v7
	s_load_b32 s19, s[8:9], 0x0
	v_cmp_gt_u32_e64 s15, 16, v45
	v_xor_b32_e32 v1, v1, v53
	v_cndmask_b32_e64 v2, 0x7fffffff, 0, vcc_lo
	v_cmp_gt_i32_e32 vcc_lo, 0, v51
	v_cmp_lt_u32_e64 s16, 31, v45
	v_cmp_eq_u32_e64 s17, 0, v45
	v_add_nc_u32_e32 v53, v89, v92
	v_xor_b32_e32 v2, v2, v50
	s_wait_alu 0xfffd
	v_cndmask_b32_e64 v3, 0x7fffffff, 0, vcc_lo
	v_cmp_gt_i32_e32 vcc_lo, 0, v48
	s_delay_alu instid0(VALU_DEP_2) | instskip(SKIP_4) | instid1(VALU_DEP_3)
	v_xor_b32_e32 v3, v3, v51
	s_wait_alu 0xfffd
	v_cndmask_b32_e64 v4, 0x7fffffff, 0, vcc_lo
	v_cmp_gt_i32_e32 vcc_lo, 0, v49
	v_add_nc_u32_e32 v51, -4, v90
	v_xor_b32_e32 v4, v4, v48
	s_wait_alu 0xfffd
	v_cndmask_b32_e64 v5, 0x7fffffff, 0, vcc_lo
	v_cmp_gt_i32_e32 vcc_lo, 0, v46
	v_lshlrev_b32_e32 v48, 2, v25
	s_delay_alu instid0(VALU_DEP_3) | instskip(SKIP_4) | instid1(VALU_DEP_3)
	v_xor_b32_e32 v5, v5, v49
	s_wait_alu 0xfffd
	v_cndmask_b32_e64 v6, 0x7fffffff, 0, vcc_lo
	v_cmp_gt_i32_e32 vcc_lo, 0, v47
	v_add_nc_u32_e32 v49, v48, v48
	v_xor_b32_e32 v6, v6, v46
	s_wait_alu 0xfffd
	v_cndmask_b32_e64 v24, 0x7fffffff, 0, vcc_lo
	s_delay_alu instid0(VALU_DEP_1)
	v_xor_b32_e32 v7, v24, v47
	ds_store_b128 v26, v[0:3]
	ds_store_b128 v26, v[4:7] offset:16
	v_add_nc_u32_e32 v0, v26, v26
	; wave barrier
	s_wait_dscnt 0x3
	ds_load_2addr_b32 v[36:37], v48 offset1:32
	ds_load_2addr_b32 v[38:39], v48 offset0:64 offset1:96
	ds_load_2addr_b32 v[41:42], v48 offset0:128 offset1:160
	ds_load_2addr_b32 v[46:47], v48 offset0:192 offset1:224
	s_wait_loadcnt_dscnt 0x0
	s_barrier_signal -1
	s_barrier_wait -1
	global_inv scope:SCOPE_SE
	ds_store_b128 v0, v[20:23]
	ds_store_b128 v0, v[16:19] offset:16
	ds_store_b128 v0, v[12:15] offset:32
	;; [unrolled: 1-line block ×3, first 2 shown]
	; wave barrier
	ds_load_2addr_b64 v[4:7], v49 offset1:32
	ds_load_2addr_b64 v[8:11], v49 offset0:64 offset1:96
	ds_load_2addr_b64 v[12:15], v49 offset0:128 offset1:160
	;; [unrolled: 1-line block ×3, first 2 shown]
	s_wait_loadcnt_dscnt 0x0
	s_barrier_signal -1
	s_barrier_wait -1
	global_inv scope:SCOPE_SE
	s_load_b32 s10, s[34:35], 0xc
	v_and_b32_e32 v2, 15, v93
	v_and_b32_e32 v20, 16, v93
	s_delay_alu instid0(VALU_DEP_2) | instskip(SKIP_1) | instid1(VALU_DEP_3)
	v_cmp_lt_u32_e64 s9, 1, v2
	v_cmp_lt_u32_e64 s12, 7, v2
	v_cmp_eq_u32_e64 s13, 0, v20
	s_wait_kmcnt 0x0
	s_lshr_b32 s11, s10, 16
	s_and_b32 s8, s10, 0xffff
	s_wait_alu 0xfffe
	v_mad_u32_u24 v0, v96, s11, v95
	v_sub_co_u32 v3, s10, v93, 1
	v_cmp_lt_u32_e64 s11, 3, v2
	s_delay_alu instid0(VALU_DEP_3) | instskip(SKIP_1) | instid1(VALU_DEP_4)
	v_mad_co_u64_u32 v[0:1], null, v0, s8, v[45:46]
	v_min_u32_e32 v1, 0x1e0, v94
	v_cmp_gt_i32_e32 vcc_lo, 0, v3
	v_cmp_eq_u32_e64 s8, 0, v2
	s_delay_alu instid0(VALU_DEP_3) | instskip(SKIP_3) | instid1(VALU_DEP_3)
	v_or_b32_e32 v1, 31, v1
	s_wait_alu 0xfffd
	v_cndmask_b32_e32 v2, v3, v93, vcc_lo
	v_lshrrev_b32_e32 v0, 3, v0
	v_cmp_eq_u32_e64 s14, v45, v1
	s_delay_alu instid0(VALU_DEP_3) | instskip(NEXT) | instid1(VALU_DEP_3)
	v_lshlrev_b32_e32 v50, 2, v2
	v_and_b32_e32 v52, 0x1ffffffc, v0
	v_dual_mov_b32 v0, s20 :: v_dual_mov_b32 v1, s21
	v_dual_mov_b32 v2, s22 :: v_dual_mov_b32 v3, s23
	s_mov_b32 s21, 32
	s_branch .LBB200_67
.LBB200_66:                             ;   in Loop: Header=BB200_67 Depth=1
	s_wait_alu 0xfffe
	s_and_not1_b32 vcc_lo, exec_lo, s18
	s_wait_alu 0xfffe
	s_cbranch_vccz .LBB200_91
.LBB200_67:                             ; =>This Inner Loop Header: Depth=1
	v_dual_mov_b32 v54, v36 :: v_dual_mov_b32 v55, v47
	s_wait_alu 0xfffe
	s_min_u32 s18, s19, s21
	ds_store_b128 v89, v[0:3] offset:64
	ds_store_b128 v89, v[0:3] offset:80
	s_wait_alu 0xfffe
	s_lshl_b32 s18, -1, s18
	v_cmp_ne_u32_e32 vcc_lo, 0x80000000, v54
	s_wait_alu 0xfffe
	s_not_b32 s22, s18
	s_wait_loadcnt_dscnt 0x0
	s_barrier_signal -1
	s_barrier_wait -1
	s_wait_alu 0xfffd
	v_dual_cndmask_b32 v20, 0x7fffffff, v54 :: v_dual_mov_b32 v57, v42
	global_inv scope:SCOPE_SE
	; wave barrier
	v_lshrrev_b32_e32 v20, s20, v20
	v_mov_b32_e32 v59, v39
	v_dual_mov_b32 v61, v37 :: v_dual_mov_b32 v58, v41
	v_mov_b32_e32 v60, v38
	s_wait_alu 0xfffe
	v_and_b32_e32 v36, s22, v20
	v_dual_mov_b32 v56, v46 :: v_dual_mov_b32 v31, v9
	v_dual_mov_b32 v30, v8 :: v_dual_mov_b32 v33, v7
	s_delay_alu instid0(VALU_DEP_3)
	v_and_b32_e32 v20, 1, v36
	v_lshlrev_b32_e32 v21, 30, v36
	v_lshlrev_b32_e32 v22, 29, v36
	;; [unrolled: 1-line block ×4, first 2 shown]
	v_add_co_u32 v20, s18, v20, -1
	s_wait_alu 0xf1ff
	v_cndmask_b32_e64 v24, 0, 1, s18
	v_not_b32_e32 v28, v21
	v_cmp_gt_i32_e64 s18, 0, v21
	v_not_b32_e32 v21, v22
	v_lshlrev_b32_e32 v26, 26, v36
	v_cmp_ne_u32_e32 vcc_lo, 0, v24
	v_ashrrev_i32_e32 v28, 31, v28
	v_lshlrev_b32_e32 v27, 25, v36
	v_ashrrev_i32_e32 v21, 31, v21
	v_lshlrev_b32_e32 v24, 24, v36
	s_wait_alu 0xfffd
	v_xor_b32_e32 v20, vcc_lo, v20
	v_cmp_gt_i32_e32 vcc_lo, 0, v22
	v_not_b32_e32 v22, v23
	s_wait_alu 0xf1ff
	v_xor_b32_e32 v28, s18, v28
	v_cmp_gt_i32_e64 s18, 0, v23
	v_and_b32_e32 v20, exec_lo, v20
	v_not_b32_e32 v23, v25
	v_ashrrev_i32_e32 v22, 31, v22
	s_wait_alu 0xfffd
	v_xor_b32_e32 v21, vcc_lo, v21
	v_cmp_gt_i32_e32 vcc_lo, 0, v25
	v_and_b32_e32 v20, v20, v28
	v_not_b32_e32 v25, v26
	v_ashrrev_i32_e32 v23, 31, v23
	s_wait_alu 0xf1ff
	v_xor_b32_e32 v22, s18, v22
	v_cmp_gt_i32_e64 s18, 0, v26
	v_and_b32_e32 v20, v20, v21
	v_not_b32_e32 v21, v27
	v_ashrrev_i32_e32 v25, 31, v25
	s_wait_alu 0xfffd
	v_xor_b32_e32 v23, vcc_lo, v23
	v_cmp_gt_i32_e32 vcc_lo, 0, v27
	v_and_b32_e32 v20, v20, v22
	v_ashrrev_i32_e32 v21, 31, v21
	s_wait_alu 0xf1ff
	v_xor_b32_e32 v25, s18, v25
	v_mov_b32_e32 v27, v13
	v_not_b32_e32 v22, v24
	v_dual_mov_b32 v35, v5 :: v_dual_and_b32 v20, v20, v23
	v_cmp_gt_i32_e64 s18, 0, v24
	s_wait_alu 0xfffd
	v_xor_b32_e32 v21, vcc_lo, v21
	v_ashrrev_i32_e32 v22, 31, v22
	v_dual_mov_b32 v25, v15 :: v_dual_and_b32 v20, v20, v25
	v_mov_b32_e32 v26, v12
	v_mov_b32_e32 v34, v4
	s_wait_alu 0xf1ff
	v_xor_b32_e32 v28, s18, v22
	v_dual_mov_b32 v24, v14 :: v_dual_and_b32 v29, v20, v21
	v_dual_mov_b32 v21, v19 :: v_dual_lshlrev_b32 v4, 6, v36
	v_mov_b32_e32 v23, v17
	s_delay_alu instid0(VALU_DEP_3) | instskip(SKIP_3) | instid1(VALU_DEP_4)
	v_dual_mov_b32 v29, v11 :: v_dual_and_b32 v14, v29, v28
	v_mov_b32_e32 v20, v18
	v_mov_b32_e32 v22, v16
	v_dual_mov_b32 v28, v10 :: v_dual_add_nc_u32 v13, v52, v4
	v_mbcnt_lo_u32_b32 v12, v14, 0
	v_cmp_ne_u32_e64 s18, 0, v14
	v_mov_b32_e32 v32, v6
	s_delay_alu instid0(VALU_DEP_3)
	v_cmp_eq_u32_e32 vcc_lo, 0, v12
	s_and_b32 s23, s18, vcc_lo
	s_wait_alu 0xfffe
	s_and_saveexec_b32 s18, s23
; %bb.68:                               ;   in Loop: Header=BB200_67 Depth=1
	v_bcnt_u32_b32 v4, v14, 0
	ds_store_b32 v13, v4 offset:64
; %bb.69:                               ;   in Loop: Header=BB200_67 Depth=1
	s_wait_alu 0xfffe
	s_or_b32 exec_lo, exec_lo, s18
	v_cmp_ne_u32_e32 vcc_lo, 0x80000000, v61
	; wave barrier
	s_wait_alu 0xfffd
	v_cndmask_b32_e32 v4, 0x7fffffff, v61, vcc_lo
	s_delay_alu instid0(VALU_DEP_1) | instskip(NEXT) | instid1(VALU_DEP_1)
	v_lshrrev_b32_e32 v4, s20, v4
	v_and_b32_e32 v4, s22, v4
	s_delay_alu instid0(VALU_DEP_1)
	v_and_b32_e32 v5, 1, v4
	v_lshlrev_b32_e32 v6, 30, v4
	v_lshlrev_b32_e32 v7, 29, v4
	;; [unrolled: 1-line block ×4, first 2 shown]
	v_add_co_u32 v5, s18, v5, -1
	s_wait_alu 0xf1ff
	v_cndmask_b32_e64 v9, 0, 1, s18
	v_not_b32_e32 v15, v6
	v_cmp_gt_i32_e64 s18, 0, v6
	v_not_b32_e32 v6, v7
	v_lshlrev_b32_e32 v11, 26, v4
	v_cmp_ne_u32_e32 vcc_lo, 0, v9
	v_ashrrev_i32_e32 v15, 31, v15
	v_lshlrev_b32_e32 v14, 25, v4
	v_ashrrev_i32_e32 v6, 31, v6
	v_lshlrev_b32_e32 v9, 24, v4
	s_wait_alu 0xfffd
	v_xor_b32_e32 v5, vcc_lo, v5
	v_cmp_gt_i32_e32 vcc_lo, 0, v7
	v_not_b32_e32 v7, v8
	s_wait_alu 0xf1ff
	v_xor_b32_e32 v15, s18, v15
	v_cmp_gt_i32_e64 s18, 0, v8
	v_and_b32_e32 v5, exec_lo, v5
	v_not_b32_e32 v8, v10
	v_ashrrev_i32_e32 v7, 31, v7
	s_wait_alu 0xfffd
	v_xor_b32_e32 v6, vcc_lo, v6
	v_cmp_gt_i32_e32 vcc_lo, 0, v10
	v_and_b32_e32 v5, v5, v15
	v_not_b32_e32 v10, v11
	v_ashrrev_i32_e32 v8, 31, v8
	s_wait_alu 0xf1ff
	v_xor_b32_e32 v7, s18, v7
	v_cmp_gt_i32_e64 s18, 0, v11
	v_and_b32_e32 v5, v5, v6
	v_not_b32_e32 v6, v14
	v_ashrrev_i32_e32 v10, 31, v10
	s_wait_alu 0xfffd
	v_xor_b32_e32 v8, vcc_lo, v8
	v_cmp_gt_i32_e32 vcc_lo, 0, v14
	v_and_b32_e32 v5, v5, v7
	v_not_b32_e32 v7, v9
	v_ashrrev_i32_e32 v6, 31, v6
	s_wait_alu 0xf1ff
	v_xor_b32_e32 v10, s18, v10
	v_lshlrev_b32_e32 v4, 6, v4
	v_and_b32_e32 v5, v5, v8
	v_cmp_gt_i32_e64 s18, 0, v9
	v_ashrrev_i32_e32 v7, 31, v7
	s_wait_alu 0xfffd
	v_xor_b32_e32 v6, vcc_lo, v6
	v_add_nc_u32_e32 v16, v52, v4
	v_and_b32_e32 v5, v5, v10
	s_wait_alu 0xf1ff
	v_xor_b32_e32 v4, s18, v7
	ds_load_b32 v14, v16 offset:64
	v_and_b32_e32 v5, v5, v6
	; wave barrier
	s_delay_alu instid0(VALU_DEP_1) | instskip(NEXT) | instid1(VALU_DEP_1)
	v_and_b32_e32 v4, v5, v4
	v_mbcnt_lo_u32_b32 v15, v4, 0
	v_cmp_ne_u32_e64 s18, 0, v4
	s_delay_alu instid0(VALU_DEP_2)
	v_cmp_eq_u32_e32 vcc_lo, 0, v15
	s_and_b32 s23, s18, vcc_lo
	s_wait_alu 0xfffe
	s_and_saveexec_b32 s18, s23
	s_cbranch_execz .LBB200_71
; %bb.70:                               ;   in Loop: Header=BB200_67 Depth=1
	s_wait_dscnt 0x0
	v_bcnt_u32_b32 v4, v4, v14
	ds_store_b32 v16, v4 offset:64
.LBB200_71:                             ;   in Loop: Header=BB200_67 Depth=1
	s_wait_alu 0xfffe
	s_or_b32 exec_lo, exec_lo, s18
	v_cmp_ne_u32_e32 vcc_lo, 0x80000000, v60
	; wave barrier
	s_wait_alu 0xfffd
	v_cndmask_b32_e32 v4, 0x7fffffff, v60, vcc_lo
	s_delay_alu instid0(VALU_DEP_1) | instskip(NEXT) | instid1(VALU_DEP_1)
	v_lshrrev_b32_e32 v4, s20, v4
	v_and_b32_e32 v4, s22, v4
	s_delay_alu instid0(VALU_DEP_1)
	v_and_b32_e32 v5, 1, v4
	v_lshlrev_b32_e32 v6, 30, v4
	v_lshlrev_b32_e32 v7, 29, v4
	;; [unrolled: 1-line block ×4, first 2 shown]
	v_add_co_u32 v5, s18, v5, -1
	s_wait_alu 0xf1ff
	v_cndmask_b32_e64 v9, 0, 1, s18
	v_not_b32_e32 v18, v6
	v_cmp_gt_i32_e64 s18, 0, v6
	v_not_b32_e32 v6, v7
	v_lshlrev_b32_e32 v11, 26, v4
	v_cmp_ne_u32_e32 vcc_lo, 0, v9
	v_ashrrev_i32_e32 v18, 31, v18
	v_lshlrev_b32_e32 v17, 25, v4
	v_ashrrev_i32_e32 v6, 31, v6
	v_lshlrev_b32_e32 v9, 24, v4
	s_wait_alu 0xfffd
	v_xor_b32_e32 v5, vcc_lo, v5
	v_cmp_gt_i32_e32 vcc_lo, 0, v7
	v_not_b32_e32 v7, v8
	s_wait_alu 0xf1ff
	v_xor_b32_e32 v18, s18, v18
	v_cmp_gt_i32_e64 s18, 0, v8
	v_and_b32_e32 v5, exec_lo, v5
	v_not_b32_e32 v8, v10
	v_ashrrev_i32_e32 v7, 31, v7
	s_wait_alu 0xfffd
	v_xor_b32_e32 v6, vcc_lo, v6
	v_cmp_gt_i32_e32 vcc_lo, 0, v10
	v_and_b32_e32 v5, v5, v18
	v_not_b32_e32 v10, v11
	v_ashrrev_i32_e32 v8, 31, v8
	s_wait_alu 0xf1ff
	v_xor_b32_e32 v7, s18, v7
	v_cmp_gt_i32_e64 s18, 0, v11
	v_and_b32_e32 v5, v5, v6
	v_not_b32_e32 v6, v17
	v_ashrrev_i32_e32 v10, 31, v10
	s_wait_alu 0xfffd
	v_xor_b32_e32 v8, vcc_lo, v8
	v_cmp_gt_i32_e32 vcc_lo, 0, v17
	v_and_b32_e32 v5, v5, v7
	v_not_b32_e32 v7, v9
	v_ashrrev_i32_e32 v6, 31, v6
	s_wait_alu 0xf1ff
	v_xor_b32_e32 v10, s18, v10
	v_lshlrev_b32_e32 v4, 6, v4
	v_and_b32_e32 v5, v5, v8
	v_cmp_gt_i32_e64 s18, 0, v9
	v_ashrrev_i32_e32 v7, 31, v7
	s_wait_alu 0xfffd
	v_xor_b32_e32 v6, vcc_lo, v6
	v_add_nc_u32_e32 v19, v52, v4
	v_and_b32_e32 v5, v5, v10
	s_wait_alu 0xf1ff
	v_xor_b32_e32 v4, s18, v7
	ds_load_b32 v17, v19 offset:64
	v_and_b32_e32 v5, v5, v6
	; wave barrier
	s_delay_alu instid0(VALU_DEP_1) | instskip(NEXT) | instid1(VALU_DEP_1)
	v_and_b32_e32 v4, v5, v4
	v_mbcnt_lo_u32_b32 v18, v4, 0
	v_cmp_ne_u32_e64 s18, 0, v4
	s_delay_alu instid0(VALU_DEP_2)
	v_cmp_eq_u32_e32 vcc_lo, 0, v18
	s_and_b32 s23, s18, vcc_lo
	s_wait_alu 0xfffe
	s_and_saveexec_b32 s18, s23
	s_cbranch_execz .LBB200_73
; %bb.72:                               ;   in Loop: Header=BB200_67 Depth=1
	s_wait_dscnt 0x0
	v_bcnt_u32_b32 v4, v4, v17
	ds_store_b32 v19, v4 offset:64
.LBB200_73:                             ;   in Loop: Header=BB200_67 Depth=1
	s_wait_alu 0xfffe
	s_or_b32 exec_lo, exec_lo, s18
	v_cmp_ne_u32_e32 vcc_lo, 0x80000000, v59
	; wave barrier
	s_wait_alu 0xfffd
	v_cndmask_b32_e32 v4, 0x7fffffff, v59, vcc_lo
	s_delay_alu instid0(VALU_DEP_1) | instskip(NEXT) | instid1(VALU_DEP_1)
	v_lshrrev_b32_e32 v4, s20, v4
	v_and_b32_e32 v4, s22, v4
	s_delay_alu instid0(VALU_DEP_1)
	v_and_b32_e32 v5, 1, v4
	v_lshlrev_b32_e32 v6, 30, v4
	v_lshlrev_b32_e32 v7, 29, v4
	;; [unrolled: 1-line block ×4, first 2 shown]
	v_add_co_u32 v5, s18, v5, -1
	s_wait_alu 0xf1ff
	v_cndmask_b32_e64 v9, 0, 1, s18
	v_not_b32_e32 v37, v6
	v_cmp_gt_i32_e64 s18, 0, v6
	v_not_b32_e32 v6, v7
	v_lshlrev_b32_e32 v11, 26, v4
	v_cmp_ne_u32_e32 vcc_lo, 0, v9
	v_ashrrev_i32_e32 v37, 31, v37
	v_lshlrev_b32_e32 v36, 25, v4
	v_ashrrev_i32_e32 v6, 31, v6
	v_lshlrev_b32_e32 v9, 24, v4
	s_wait_alu 0xfffd
	v_xor_b32_e32 v5, vcc_lo, v5
	v_cmp_gt_i32_e32 vcc_lo, 0, v7
	v_not_b32_e32 v7, v8
	s_wait_alu 0xf1ff
	v_xor_b32_e32 v37, s18, v37
	v_cmp_gt_i32_e64 s18, 0, v8
	v_and_b32_e32 v5, exec_lo, v5
	v_not_b32_e32 v8, v10
	v_ashrrev_i32_e32 v7, 31, v7
	s_wait_alu 0xfffd
	v_xor_b32_e32 v6, vcc_lo, v6
	v_cmp_gt_i32_e32 vcc_lo, 0, v10
	v_and_b32_e32 v5, v5, v37
	v_not_b32_e32 v10, v11
	v_ashrrev_i32_e32 v8, 31, v8
	s_wait_alu 0xf1ff
	v_xor_b32_e32 v7, s18, v7
	v_cmp_gt_i32_e64 s18, 0, v11
	v_and_b32_e32 v5, v5, v6
	v_not_b32_e32 v6, v36
	v_ashrrev_i32_e32 v10, 31, v10
	s_wait_alu 0xfffd
	v_xor_b32_e32 v8, vcc_lo, v8
	v_cmp_gt_i32_e32 vcc_lo, 0, v36
	v_and_b32_e32 v5, v5, v7
	v_not_b32_e32 v7, v9
	v_ashrrev_i32_e32 v6, 31, v6
	s_wait_alu 0xf1ff
	v_xor_b32_e32 v10, s18, v10
	v_lshlrev_b32_e32 v4, 6, v4
	v_and_b32_e32 v5, v5, v8
	v_cmp_gt_i32_e64 s18, 0, v9
	v_ashrrev_i32_e32 v7, 31, v7
	s_wait_alu 0xfffd
	v_xor_b32_e32 v6, vcc_lo, v6
	v_add_nc_u32_e32 v38, v52, v4
	v_and_b32_e32 v5, v5, v10
	s_wait_alu 0xf1ff
	v_xor_b32_e32 v4, s18, v7
	ds_load_b32 v36, v38 offset:64
	v_and_b32_e32 v5, v5, v6
	; wave barrier
	s_delay_alu instid0(VALU_DEP_1) | instskip(NEXT) | instid1(VALU_DEP_1)
	v_and_b32_e32 v4, v5, v4
	v_mbcnt_lo_u32_b32 v37, v4, 0
	v_cmp_ne_u32_e64 s18, 0, v4
	s_delay_alu instid0(VALU_DEP_2)
	v_cmp_eq_u32_e32 vcc_lo, 0, v37
	s_and_b32 s23, s18, vcc_lo
	s_wait_alu 0xfffe
	s_and_saveexec_b32 s18, s23
	s_cbranch_execz .LBB200_75
; %bb.74:                               ;   in Loop: Header=BB200_67 Depth=1
	s_wait_dscnt 0x0
	v_bcnt_u32_b32 v4, v4, v36
	ds_store_b32 v38, v4 offset:64
.LBB200_75:                             ;   in Loop: Header=BB200_67 Depth=1
	s_wait_alu 0xfffe
	s_or_b32 exec_lo, exec_lo, s18
	v_cmp_ne_u32_e32 vcc_lo, 0x80000000, v58
	; wave barrier
	s_wait_alu 0xfffd
	v_cndmask_b32_e32 v4, 0x7fffffff, v58, vcc_lo
	s_delay_alu instid0(VALU_DEP_1) | instskip(NEXT) | instid1(VALU_DEP_1)
	v_lshrrev_b32_e32 v4, s20, v4
	v_and_b32_e32 v4, s22, v4
	s_delay_alu instid0(VALU_DEP_1)
	v_and_b32_e32 v5, 1, v4
	v_lshlrev_b32_e32 v6, 30, v4
	v_lshlrev_b32_e32 v7, 29, v4
	v_lshlrev_b32_e32 v8, 28, v4
	v_lshlrev_b32_e32 v10, 27, v4
	v_add_co_u32 v5, s18, v5, -1
	s_wait_alu 0xf1ff
	v_cndmask_b32_e64 v9, 0, 1, s18
	v_not_b32_e32 v41, v6
	v_cmp_gt_i32_e64 s18, 0, v6
	v_not_b32_e32 v6, v7
	v_lshlrev_b32_e32 v11, 26, v4
	v_cmp_ne_u32_e32 vcc_lo, 0, v9
	v_ashrrev_i32_e32 v41, 31, v41
	v_lshlrev_b32_e32 v39, 25, v4
	v_ashrrev_i32_e32 v6, 31, v6
	v_lshlrev_b32_e32 v9, 24, v4
	s_wait_alu 0xfffd
	v_xor_b32_e32 v5, vcc_lo, v5
	v_cmp_gt_i32_e32 vcc_lo, 0, v7
	v_not_b32_e32 v7, v8
	s_wait_alu 0xf1ff
	v_xor_b32_e32 v41, s18, v41
	v_cmp_gt_i32_e64 s18, 0, v8
	v_and_b32_e32 v5, exec_lo, v5
	v_not_b32_e32 v8, v10
	v_ashrrev_i32_e32 v7, 31, v7
	s_wait_alu 0xfffd
	v_xor_b32_e32 v6, vcc_lo, v6
	v_cmp_gt_i32_e32 vcc_lo, 0, v10
	v_and_b32_e32 v5, v5, v41
	v_not_b32_e32 v10, v11
	v_ashrrev_i32_e32 v8, 31, v8
	s_wait_alu 0xf1ff
	v_xor_b32_e32 v7, s18, v7
	v_cmp_gt_i32_e64 s18, 0, v11
	v_and_b32_e32 v5, v5, v6
	v_not_b32_e32 v6, v39
	v_ashrrev_i32_e32 v10, 31, v10
	s_wait_alu 0xfffd
	v_xor_b32_e32 v8, vcc_lo, v8
	v_cmp_gt_i32_e32 vcc_lo, 0, v39
	v_and_b32_e32 v5, v5, v7
	v_not_b32_e32 v7, v9
	v_ashrrev_i32_e32 v6, 31, v6
	s_wait_alu 0xf1ff
	v_xor_b32_e32 v10, s18, v10
	v_lshlrev_b32_e32 v4, 6, v4
	v_and_b32_e32 v5, v5, v8
	v_cmp_gt_i32_e64 s18, 0, v9
	v_ashrrev_i32_e32 v7, 31, v7
	s_wait_alu 0xfffd
	v_xor_b32_e32 v6, vcc_lo, v6
	v_add_nc_u32_e32 v42, v52, v4
	v_and_b32_e32 v5, v5, v10
	s_wait_alu 0xf1ff
	v_xor_b32_e32 v4, s18, v7
	ds_load_b32 v39, v42 offset:64
	v_and_b32_e32 v5, v5, v6
	; wave barrier
	s_delay_alu instid0(VALU_DEP_1) | instskip(NEXT) | instid1(VALU_DEP_1)
	v_and_b32_e32 v4, v5, v4
	v_mbcnt_lo_u32_b32 v41, v4, 0
	v_cmp_ne_u32_e64 s18, 0, v4
	s_delay_alu instid0(VALU_DEP_2)
	v_cmp_eq_u32_e32 vcc_lo, 0, v41
	s_and_b32 s23, s18, vcc_lo
	s_wait_alu 0xfffe
	s_and_saveexec_b32 s18, s23
	s_cbranch_execz .LBB200_77
; %bb.76:                               ;   in Loop: Header=BB200_67 Depth=1
	s_wait_dscnt 0x0
	v_bcnt_u32_b32 v4, v4, v39
	ds_store_b32 v42, v4 offset:64
.LBB200_77:                             ;   in Loop: Header=BB200_67 Depth=1
	s_wait_alu 0xfffe
	s_or_b32 exec_lo, exec_lo, s18
	v_cmp_ne_u32_e32 vcc_lo, 0x80000000, v57
	; wave barrier
	s_wait_alu 0xfffd
	v_cndmask_b32_e32 v4, 0x7fffffff, v57, vcc_lo
	s_delay_alu instid0(VALU_DEP_1) | instskip(NEXT) | instid1(VALU_DEP_1)
	v_lshrrev_b32_e32 v4, s20, v4
	v_and_b32_e32 v4, s22, v4
	s_delay_alu instid0(VALU_DEP_1)
	v_and_b32_e32 v5, 1, v4
	v_lshlrev_b32_e32 v6, 30, v4
	v_lshlrev_b32_e32 v7, 29, v4
	;; [unrolled: 1-line block ×4, first 2 shown]
	v_add_co_u32 v5, s18, v5, -1
	s_wait_alu 0xf1ff
	v_cndmask_b32_e64 v9, 0, 1, s18
	v_not_b32_e32 v47, v6
	v_cmp_gt_i32_e64 s18, 0, v6
	v_not_b32_e32 v6, v7
	v_lshlrev_b32_e32 v11, 26, v4
	v_cmp_ne_u32_e32 vcc_lo, 0, v9
	v_ashrrev_i32_e32 v47, 31, v47
	v_lshlrev_b32_e32 v46, 25, v4
	v_ashrrev_i32_e32 v6, 31, v6
	v_lshlrev_b32_e32 v9, 24, v4
	s_wait_alu 0xfffd
	v_xor_b32_e32 v5, vcc_lo, v5
	v_cmp_gt_i32_e32 vcc_lo, 0, v7
	v_not_b32_e32 v7, v8
	s_wait_alu 0xf1ff
	v_xor_b32_e32 v47, s18, v47
	v_cmp_gt_i32_e64 s18, 0, v8
	v_and_b32_e32 v5, exec_lo, v5
	v_not_b32_e32 v8, v10
	v_ashrrev_i32_e32 v7, 31, v7
	s_wait_alu 0xfffd
	v_xor_b32_e32 v6, vcc_lo, v6
	v_cmp_gt_i32_e32 vcc_lo, 0, v10
	v_and_b32_e32 v5, v5, v47
	v_not_b32_e32 v10, v11
	v_ashrrev_i32_e32 v8, 31, v8
	s_wait_alu 0xf1ff
	v_xor_b32_e32 v7, s18, v7
	v_cmp_gt_i32_e64 s18, 0, v11
	v_and_b32_e32 v5, v5, v6
	v_not_b32_e32 v6, v46
	v_ashrrev_i32_e32 v10, 31, v10
	s_wait_alu 0xfffd
	v_xor_b32_e32 v8, vcc_lo, v8
	v_cmp_gt_i32_e32 vcc_lo, 0, v46
	v_and_b32_e32 v5, v5, v7
	v_not_b32_e32 v7, v9
	v_ashrrev_i32_e32 v6, 31, v6
	s_wait_alu 0xf1ff
	v_xor_b32_e32 v10, s18, v10
	v_lshlrev_b32_e32 v4, 6, v4
	v_and_b32_e32 v5, v5, v8
	v_cmp_gt_i32_e64 s18, 0, v9
	v_ashrrev_i32_e32 v7, 31, v7
	s_wait_alu 0xfffd
	v_xor_b32_e32 v6, vcc_lo, v6
	v_add_nc_u32_e32 v47, v52, v4
	v_and_b32_e32 v5, v5, v10
	s_wait_alu 0xf1ff
	v_xor_b32_e32 v4, s18, v7
	ds_load_b32 v46, v47 offset:64
	v_and_b32_e32 v5, v5, v6
	; wave barrier
	s_delay_alu instid0(VALU_DEP_1) | instskip(NEXT) | instid1(VALU_DEP_1)
	v_and_b32_e32 v4, v5, v4
	v_mbcnt_lo_u32_b32 v62, v4, 0
	v_cmp_ne_u32_e64 s18, 0, v4
	s_delay_alu instid0(VALU_DEP_2)
	v_cmp_eq_u32_e32 vcc_lo, 0, v62
	s_and_b32 s23, s18, vcc_lo
	s_wait_alu 0xfffe
	s_and_saveexec_b32 s18, s23
	s_cbranch_execz .LBB200_79
; %bb.78:                               ;   in Loop: Header=BB200_67 Depth=1
	s_wait_dscnt 0x0
	v_bcnt_u32_b32 v4, v4, v46
	ds_store_b32 v47, v4 offset:64
.LBB200_79:                             ;   in Loop: Header=BB200_67 Depth=1
	s_wait_alu 0xfffe
	s_or_b32 exec_lo, exec_lo, s18
	v_cmp_ne_u32_e32 vcc_lo, 0x80000000, v56
	; wave barrier
	s_wait_alu 0xfffd
	v_cndmask_b32_e32 v4, 0x7fffffff, v56, vcc_lo
	s_delay_alu instid0(VALU_DEP_1) | instskip(NEXT) | instid1(VALU_DEP_1)
	v_lshrrev_b32_e32 v4, s20, v4
	v_and_b32_e32 v4, s22, v4
	s_delay_alu instid0(VALU_DEP_1)
	v_and_b32_e32 v5, 1, v4
	v_lshlrev_b32_e32 v6, 30, v4
	v_lshlrev_b32_e32 v7, 29, v4
	v_lshlrev_b32_e32 v8, 28, v4
	v_lshlrev_b32_e32 v10, 27, v4
	v_add_co_u32 v5, s18, v5, -1
	s_wait_alu 0xf1ff
	v_cndmask_b32_e64 v9, 0, 1, s18
	v_not_b32_e32 v64, v6
	v_cmp_gt_i32_e64 s18, 0, v6
	v_not_b32_e32 v6, v7
	v_lshlrev_b32_e32 v11, 26, v4
	v_cmp_ne_u32_e32 vcc_lo, 0, v9
	v_ashrrev_i32_e32 v64, 31, v64
	v_lshlrev_b32_e32 v63, 25, v4
	v_ashrrev_i32_e32 v6, 31, v6
	v_lshlrev_b32_e32 v9, 24, v4
	s_wait_alu 0xfffd
	v_xor_b32_e32 v5, vcc_lo, v5
	v_cmp_gt_i32_e32 vcc_lo, 0, v7
	v_not_b32_e32 v7, v8
	s_wait_alu 0xf1ff
	v_xor_b32_e32 v64, s18, v64
	v_cmp_gt_i32_e64 s18, 0, v8
	v_and_b32_e32 v5, exec_lo, v5
	v_not_b32_e32 v8, v10
	v_ashrrev_i32_e32 v7, 31, v7
	s_wait_alu 0xfffd
	v_xor_b32_e32 v6, vcc_lo, v6
	v_cmp_gt_i32_e32 vcc_lo, 0, v10
	v_and_b32_e32 v5, v5, v64
	v_not_b32_e32 v10, v11
	v_ashrrev_i32_e32 v8, 31, v8
	s_wait_alu 0xf1ff
	v_xor_b32_e32 v7, s18, v7
	v_cmp_gt_i32_e64 s18, 0, v11
	v_and_b32_e32 v5, v5, v6
	v_not_b32_e32 v6, v63
	v_ashrrev_i32_e32 v10, 31, v10
	s_wait_alu 0xfffd
	v_xor_b32_e32 v8, vcc_lo, v8
	v_cmp_gt_i32_e32 vcc_lo, 0, v63
	v_and_b32_e32 v5, v5, v7
	v_not_b32_e32 v7, v9
	v_ashrrev_i32_e32 v6, 31, v6
	s_wait_alu 0xf1ff
	v_xor_b32_e32 v10, s18, v10
	v_lshlrev_b32_e32 v4, 6, v4
	v_and_b32_e32 v5, v5, v8
	v_cmp_gt_i32_e64 s18, 0, v9
	v_ashrrev_i32_e32 v7, 31, v7
	s_wait_alu 0xfffd
	v_xor_b32_e32 v6, vcc_lo, v6
	v_add_nc_u32_e32 v64, v52, v4
	v_and_b32_e32 v5, v5, v10
	s_wait_alu 0xf1ff
	v_xor_b32_e32 v4, s18, v7
	ds_load_b32 v63, v64 offset:64
	v_and_b32_e32 v5, v5, v6
	; wave barrier
	s_delay_alu instid0(VALU_DEP_1) | instskip(NEXT) | instid1(VALU_DEP_1)
	v_and_b32_e32 v4, v5, v4
	v_mbcnt_lo_u32_b32 v65, v4, 0
	v_cmp_ne_u32_e64 s18, 0, v4
	s_delay_alu instid0(VALU_DEP_2)
	v_cmp_eq_u32_e32 vcc_lo, 0, v65
	s_and_b32 s23, s18, vcc_lo
	s_wait_alu 0xfffe
	s_and_saveexec_b32 s18, s23
	s_cbranch_execz .LBB200_81
; %bb.80:                               ;   in Loop: Header=BB200_67 Depth=1
	s_wait_dscnt 0x0
	v_bcnt_u32_b32 v4, v4, v63
	ds_store_b32 v64, v4 offset:64
.LBB200_81:                             ;   in Loop: Header=BB200_67 Depth=1
	s_wait_alu 0xfffe
	s_or_b32 exec_lo, exec_lo, s18
	v_cmp_ne_u32_e32 vcc_lo, 0x80000000, v55
	; wave barrier
	s_wait_alu 0xfffd
	v_cndmask_b32_e32 v4, 0x7fffffff, v55, vcc_lo
	s_delay_alu instid0(VALU_DEP_1) | instskip(NEXT) | instid1(VALU_DEP_1)
	v_lshrrev_b32_e32 v4, s20, v4
	v_and_b32_e32 v4, s22, v4
	s_delay_alu instid0(VALU_DEP_1)
	v_and_b32_e32 v5, 1, v4
	v_lshlrev_b32_e32 v6, 30, v4
	v_lshlrev_b32_e32 v7, 29, v4
	;; [unrolled: 1-line block ×4, first 2 shown]
	v_add_co_u32 v5, s18, v5, -1
	s_wait_alu 0xf1ff
	v_cndmask_b32_e64 v9, 0, 1, s18
	v_not_b32_e32 v67, v6
	v_cmp_gt_i32_e64 s18, 0, v6
	v_not_b32_e32 v6, v7
	v_lshlrev_b32_e32 v11, 26, v4
	v_cmp_ne_u32_e32 vcc_lo, 0, v9
	v_ashrrev_i32_e32 v67, 31, v67
	v_lshlrev_b32_e32 v66, 25, v4
	v_ashrrev_i32_e32 v6, 31, v6
	v_lshlrev_b32_e32 v9, 24, v4
	s_wait_alu 0xfffd
	v_xor_b32_e32 v5, vcc_lo, v5
	v_cmp_gt_i32_e32 vcc_lo, 0, v7
	v_not_b32_e32 v7, v8
	s_wait_alu 0xf1ff
	v_xor_b32_e32 v67, s18, v67
	v_cmp_gt_i32_e64 s18, 0, v8
	v_and_b32_e32 v5, exec_lo, v5
	v_not_b32_e32 v8, v10
	v_ashrrev_i32_e32 v7, 31, v7
	s_wait_alu 0xfffd
	v_xor_b32_e32 v6, vcc_lo, v6
	v_cmp_gt_i32_e32 vcc_lo, 0, v10
	v_and_b32_e32 v5, v5, v67
	v_not_b32_e32 v10, v11
	v_ashrrev_i32_e32 v8, 31, v8
	s_wait_alu 0xf1ff
	v_xor_b32_e32 v7, s18, v7
	v_cmp_gt_i32_e64 s18, 0, v11
	v_and_b32_e32 v5, v5, v6
	v_not_b32_e32 v6, v66
	v_ashrrev_i32_e32 v10, 31, v10
	s_wait_alu 0xfffd
	v_xor_b32_e32 v8, vcc_lo, v8
	v_cmp_gt_i32_e32 vcc_lo, 0, v66
	v_and_b32_e32 v5, v5, v7
	v_not_b32_e32 v7, v9
	v_ashrrev_i32_e32 v6, 31, v6
	s_wait_alu 0xf1ff
	v_xor_b32_e32 v10, s18, v10
	v_lshlrev_b32_e32 v4, 6, v4
	v_and_b32_e32 v5, v5, v8
	v_cmp_gt_i32_e64 s18, 0, v9
	v_ashrrev_i32_e32 v7, 31, v7
	s_wait_alu 0xfffd
	v_xor_b32_e32 v6, vcc_lo, v6
	v_add_nc_u32_e32 v66, v52, v4
	v_and_b32_e32 v5, v5, v10
	s_wait_alu 0xf1ff
	v_xor_b32_e32 v4, s18, v7
	ds_load_b32 v71, v66 offset:64
	v_and_b32_e32 v5, v5, v6
	; wave barrier
	s_delay_alu instid0(VALU_DEP_1) | instskip(NEXT) | instid1(VALU_DEP_1)
	v_and_b32_e32 v4, v5, v4
	v_mbcnt_lo_u32_b32 v91, v4, 0
	v_cmp_ne_u32_e64 s18, 0, v4
	s_delay_alu instid0(VALU_DEP_2)
	v_cmp_eq_u32_e32 vcc_lo, 0, v91
	s_and_b32 s22, s18, vcc_lo
	s_wait_alu 0xfffe
	s_and_saveexec_b32 s18, s22
	s_cbranch_execz .LBB200_83
; %bb.82:                               ;   in Loop: Header=BB200_67 Depth=1
	s_wait_dscnt 0x0
	v_bcnt_u32_b32 v4, v4, v71
	ds_store_b32 v66, v4 offset:64
.LBB200_83:                             ;   in Loop: Header=BB200_67 Depth=1
	s_wait_alu 0xfffe
	s_or_b32 exec_lo, exec_lo, s18
	; wave barrier
	s_wait_loadcnt_dscnt 0x0
	s_barrier_signal -1
	s_barrier_wait -1
	global_inv scope:SCOPE_SE
	ds_load_b128 v[8:11], v89 offset:64
	ds_load_b128 v[4:7], v89 offset:80
	s_wait_dscnt 0x1
	v_add_nc_u32_e32 v67, v9, v8
	s_delay_alu instid0(VALU_DEP_1) | instskip(SKIP_1) | instid1(VALU_DEP_1)
	v_add3_u32 v67, v67, v10, v11
	s_wait_dscnt 0x0
	v_add3_u32 v67, v67, v4, v5
	s_delay_alu instid0(VALU_DEP_1) | instskip(NEXT) | instid1(VALU_DEP_1)
	v_add3_u32 v7, v67, v6, v7
	v_mov_b32_dpp v67, v7 row_shr:1 row_mask:0xf bank_mask:0xf
	s_delay_alu instid0(VALU_DEP_1) | instskip(NEXT) | instid1(VALU_DEP_1)
	v_cndmask_b32_e64 v67, v67, 0, s8
	v_add_nc_u32_e32 v7, v67, v7
	s_delay_alu instid0(VALU_DEP_1) | instskip(NEXT) | instid1(VALU_DEP_1)
	v_mov_b32_dpp v67, v7 row_shr:2 row_mask:0xf bank_mask:0xf
	v_cndmask_b32_e64 v67, 0, v67, s9
	s_delay_alu instid0(VALU_DEP_1) | instskip(NEXT) | instid1(VALU_DEP_1)
	v_add_nc_u32_e32 v7, v7, v67
	v_mov_b32_dpp v67, v7 row_shr:4 row_mask:0xf bank_mask:0xf
	s_delay_alu instid0(VALU_DEP_1) | instskip(NEXT) | instid1(VALU_DEP_1)
	v_cndmask_b32_e64 v67, 0, v67, s11
	v_add_nc_u32_e32 v7, v7, v67
	s_delay_alu instid0(VALU_DEP_1) | instskip(NEXT) | instid1(VALU_DEP_1)
	v_mov_b32_dpp v67, v7 row_shr:8 row_mask:0xf bank_mask:0xf
	v_cndmask_b32_e64 v67, 0, v67, s12
	s_delay_alu instid0(VALU_DEP_1) | instskip(SKIP_3) | instid1(VALU_DEP_1)
	v_add_nc_u32_e32 v7, v7, v67
	ds_swizzle_b32 v67, v7 offset:swizzle(BROADCAST,32,15)
	s_wait_dscnt 0x0
	v_cndmask_b32_e64 v67, v67, 0, s13
	v_add_nc_u32_e32 v7, v7, v67
	s_and_saveexec_b32 s18, s14
; %bb.84:                               ;   in Loop: Header=BB200_67 Depth=1
	ds_store_b32 v90, v7
; %bb.85:                               ;   in Loop: Header=BB200_67 Depth=1
	s_wait_alu 0xfffe
	s_or_b32 exec_lo, exec_lo, s18
	s_wait_loadcnt_dscnt 0x0
	s_barrier_signal -1
	s_barrier_wait -1
	global_inv scope:SCOPE_SE
	s_and_saveexec_b32 s18, s15
	s_cbranch_execz .LBB200_87
; %bb.86:                               ;   in Loop: Header=BB200_67 Depth=1
	ds_load_b32 v67, v53
	s_wait_dscnt 0x0
	v_mov_b32_dpp v68, v67 row_shr:1 row_mask:0xf bank_mask:0xf
	s_delay_alu instid0(VALU_DEP_1) | instskip(NEXT) | instid1(VALU_DEP_1)
	v_cndmask_b32_e64 v68, v68, 0, s8
	v_add_nc_u32_e32 v67, v68, v67
	s_delay_alu instid0(VALU_DEP_1) | instskip(NEXT) | instid1(VALU_DEP_1)
	v_mov_b32_dpp v68, v67 row_shr:2 row_mask:0xf bank_mask:0xf
	v_cndmask_b32_e64 v68, 0, v68, s9
	s_delay_alu instid0(VALU_DEP_1) | instskip(NEXT) | instid1(VALU_DEP_1)
	v_add_nc_u32_e32 v67, v67, v68
	v_mov_b32_dpp v68, v67 row_shr:4 row_mask:0xf bank_mask:0xf
	s_delay_alu instid0(VALU_DEP_1) | instskip(NEXT) | instid1(VALU_DEP_1)
	v_cndmask_b32_e64 v68, 0, v68, s11
	v_add_nc_u32_e32 v67, v67, v68
	s_delay_alu instid0(VALU_DEP_1) | instskip(NEXT) | instid1(VALU_DEP_1)
	v_mov_b32_dpp v68, v67 row_shr:8 row_mask:0xf bank_mask:0xf
	v_cndmask_b32_e64 v68, 0, v68, s12
	s_delay_alu instid0(VALU_DEP_1)
	v_add_nc_u32_e32 v67, v67, v68
	ds_store_b32 v53, v67
.LBB200_87:                             ;   in Loop: Header=BB200_67 Depth=1
	s_wait_alu 0xfffe
	s_or_b32 exec_lo, exec_lo, s18
	v_mov_b32_e32 v67, 0
	s_wait_loadcnt_dscnt 0x0
	s_barrier_signal -1
	s_barrier_wait -1
	global_inv scope:SCOPE_SE
	s_and_saveexec_b32 s18, s16
; %bb.88:                               ;   in Loop: Header=BB200_67 Depth=1
	ds_load_b32 v67, v51
; %bb.89:                               ;   in Loop: Header=BB200_67 Depth=1
	s_wait_alu 0xfffe
	s_or_b32 exec_lo, exec_lo, s18
	s_wait_dscnt 0x0
	v_add_nc_u32_e32 v7, v67, v7
	s_cmp_gt_u32 s20, 23
	s_mov_b32 s18, -1
	ds_bpermute_b32 v7, v50, v7
	s_wait_dscnt 0x0
	v_cndmask_b32_e64 v7, v7, v67, s10
	s_delay_alu instid0(VALU_DEP_1) | instskip(NEXT) | instid1(VALU_DEP_1)
	v_cndmask_b32_e64 v7, v7, 0, s17
	v_add_nc_u32_e32 v8, v7, v8
	s_delay_alu instid0(VALU_DEP_1) | instskip(NEXT) | instid1(VALU_DEP_1)
	v_add_nc_u32_e32 v9, v8, v9
	v_add_nc_u32_e32 v10, v9, v10
	s_delay_alu instid0(VALU_DEP_1) | instskip(NEXT) | instid1(VALU_DEP_1)
	v_add_nc_u32_e32 v67, v10, v11
	;; [unrolled: 3-line block ×3, first 2 shown]
	v_add_nc_u32_e32 v70, v69, v6
	ds_store_b128 v89, v[7:10] offset:64
	ds_store_b128 v89, v[67:70] offset:80
	s_wait_loadcnt_dscnt 0x0
	s_barrier_signal -1
	s_barrier_wait -1
	global_inv scope:SCOPE_SE
	ds_load_b32 v4, v13 offset:64
	ds_load_b32 v5, v16 offset:64
	;; [unrolled: 1-line block ×8, first 2 shown]
	s_wait_dscnt 0x7
	v_add_nc_u32_e32 v70, v4, v12
	s_wait_dscnt 0x6
	v_add3_u32 v69, v15, v14, v5
	s_wait_dscnt 0x5
	v_add3_u32 v68, v18, v17, v6
	;; [unrolled: 2-line block ×7, first 2 shown]
                                        ; implicit-def: $vgpr47
                                        ; implicit-def: $vgpr42
                                        ; implicit-def: $vgpr39
                                        ; implicit-def: $vgpr37
                                        ; implicit-def: $vgpr18_vgpr19
                                        ; implicit-def: $vgpr14_vgpr15
                                        ; implicit-def: $vgpr10_vgpr11
                                        ; implicit-def: $vgpr6_vgpr7
	s_cbranch_scc1 .LBB200_66
; %bb.90:                               ;   in Loop: Header=BB200_67 Depth=1
	v_lshlrev_b32_e32 v4, 2, v70
	v_lshlrev_b32_e32 v5, 2, v69
	;; [unrolled: 1-line block ×3, first 2 shown]
	s_wait_loadcnt 0x0
	s_barrier_signal -1
	s_barrier_wait -1
	global_inv scope:SCOPE_SE
	ds_store_b32 v4, v54
	ds_store_b32 v5, v61
	;; [unrolled: 1-line block ×3, first 2 shown]
	v_lshlrev_b32_e32 v7, 2, v67
	v_add_nc_u32_e32 v4, v4, v4
	v_lshlrev_b32_e32 v8, 2, v66
	v_add_nc_u32_e32 v5, v5, v5
	;; [unrolled: 2-line block ×3, first 2 shown]
	v_lshlrev_b32_e32 v10, 2, v63
	v_lshlrev_b32_e32 v11, 2, v62
	ds_store_b32 v7, v59
	ds_store_b32 v8, v58
	;; [unrolled: 1-line block ×5, first 2 shown]
	s_wait_loadcnt_dscnt 0x0
	s_barrier_signal -1
	s_barrier_wait -1
	global_inv scope:SCOPE_SE
	ds_load_2addr_b32 v[36:37], v48 offset1:32
	ds_load_2addr_b32 v[38:39], v48 offset0:64 offset1:96
	ds_load_2addr_b32 v[41:42], v48 offset0:128 offset1:160
	;; [unrolled: 1-line block ×3, first 2 shown]
	s_wait_loadcnt_dscnt 0x0
	s_barrier_signal -1
	s_barrier_wait -1
	global_inv scope:SCOPE_SE
	ds_store_b64 v4, v[34:35]
	ds_store_b64 v5, v[32:33]
	ds_store_b64 v6, v[30:31]
	v_add_nc_u32_e32 v4, v7, v7
	v_add_nc_u32_e32 v5, v8, v8
	;; [unrolled: 1-line block ×5, first 2 shown]
	ds_store_b64 v4, v[28:29]
	ds_store_b64 v5, v[26:27]
	;; [unrolled: 1-line block ×5, first 2 shown]
	s_wait_loadcnt_dscnt 0x0
	s_barrier_signal -1
	s_barrier_wait -1
	global_inv scope:SCOPE_SE
	ds_load_2addr_b64 v[4:7], v49 offset1:32
	ds_load_2addr_b64 v[8:11], v49 offset0:64 offset1:96
	ds_load_2addr_b64 v[12:15], v49 offset0:128 offset1:160
	;; [unrolled: 1-line block ×3, first 2 shown]
	s_add_co_i32 s20, s20, 8
	s_add_co_i32 s21, s21, -8
	s_mov_b32 s18, 0
	s_wait_loadcnt_dscnt 0x0
	s_barrier_signal -1
	s_barrier_wait -1
	global_inv scope:SCOPE_SE
	s_branch .LBB200_66
.LBB200_91:
	v_lshlrev_b32_e32 v8, 2, v70
	v_lshlrev_b32_e32 v11, 2, v67
	;; [unrolled: 1-line block ×8, first 2 shown]
	s_wait_loadcnt 0x0
	s_barrier_signal -1
	s_barrier_wait -1
	global_inv scope:SCOPE_SE
	ds_store_b32 v8, v54
	ds_store_b32 v9, v61
	;; [unrolled: 1-line block ×8, first 2 shown]
	s_wait_loadcnt_dscnt 0x0
	s_barrier_signal -1
	s_barrier_wait -1
	global_inv scope:SCOPE_SE
	ds_load_b128 v[0:3], v89
	ds_load_b128 v[4:7], v89 offset:16
	v_add_nc_u32_e32 v8, v8, v8
	v_add_nc_u32_e32 v9, v9, v9
	;; [unrolled: 1-line block ×3, first 2 shown]
	s_wait_loadcnt_dscnt 0x0
	s_barrier_signal -1
	s_barrier_wait -1
	global_inv scope:SCOPE_SE
	ds_store_b64 v8, v[34:35]
	ds_store_b64 v9, v[32:33]
	ds_store_b64 v10, v[30:31]
	v_add_nc_u32_e32 v8, v11, v11
	v_add_nc_u32_e32 v9, v12, v12
	;; [unrolled: 1-line block ×5, first 2 shown]
	ds_store_b64 v8, v[28:29]
	ds_store_b64 v9, v[26:27]
	;; [unrolled: 1-line block ×5, first 2 shown]
	v_lshl_add_u32 v8, v45, 5, v89
	s_wait_loadcnt_dscnt 0x0
	s_barrier_signal -1
	s_barrier_wait -1
	v_cmp_gt_i32_e32 vcc_lo, 0, v0
	global_inv scope:SCOPE_SE
	ds_load_b128 v[28:31], v8
	ds_load_b128 v[24:27], v8 offset:16
	ds_load_b128 v[36:39], v8 offset:32
	;; [unrolled: 1-line block ×3, first 2 shown]
	s_wait_alu 0xfffd
	v_cndmask_b32_e64 v9, 0x7fffffff, 0, vcc_lo
	v_cmp_gt_i32_e32 vcc_lo, 0, v1
	s_delay_alu instid0(VALU_DEP_2) | instskip(SKIP_3) | instid1(VALU_DEP_2)
	v_xor_b32_e32 v0, v9, v0
	s_wait_alu 0xfffd
	v_cndmask_b32_e64 v10, 0x7fffffff, 0, vcc_lo
	v_cmp_gt_i32_e32 vcc_lo, 0, v2
	v_xor_b32_e32 v1, v10, v1
	s_wait_alu 0xfffd
	v_cndmask_b32_e64 v11, 0x7fffffff, 0, vcc_lo
	v_cmp_gt_i32_e32 vcc_lo, 0, v3
	s_delay_alu instid0(VALU_DEP_2) | instskip(SKIP_3) | instid1(VALU_DEP_2)
	v_xor_b32_e32 v2, v11, v2
	s_wait_alu 0xfffd
	v_cndmask_b32_e64 v8, 0x7fffffff, 0, vcc_lo
	v_cmp_gt_i32_e32 vcc_lo, 0, v4
	v_xor_b32_e32 v3, v8, v3
	;; [unrolled: 9-line block ×3, first 2 shown]
	s_wait_alu 0xfffd
	v_cndmask_b32_e64 v11, 0x7fffffff, 0, vcc_lo
	v_cmp_gt_i32_e32 vcc_lo, 0, v7
	s_delay_alu instid0(VALU_DEP_2) | instskip(SKIP_2) | instid1(VALU_DEP_1)
	v_xor_b32_e32 v6, v11, v6
	s_wait_alu 0xfffd
	v_cndmask_b32_e64 v12, 0x7fffffff, 0, vcc_lo
	v_xor_b32_e32 v7, v12, v7
.LBB200_92:
	s_wait_loadcnt_dscnt 0x0
	s_barrier_signal -1
	s_barrier_wait -1
	global_inv scope:SCOPE_SE
	ds_store_2addr_b32 v79, v0, v1 offset1:1
	ds_store_2addr_b32 v79, v2, v3 offset0:2 offset1:3
	ds_store_2addr_b32 v79, v4, v5 offset0:4 offset1:5
	;; [unrolled: 1-line block ×3, first 2 shown]
	s_wait_loadcnt_dscnt 0x0
	s_barrier_signal -1
	s_barrier_wait -1
	global_inv scope:SCOPE_SE
	ds_load_b32 v8, v44 offset:2048
	ds_load_b32 v7, v73 offset:4096
	;; [unrolled: 1-line block ×7, first 2 shown]
	v_mov_b32_e32 v44, 0
	s_delay_alu instid0(VALU_DEP_1) | instskip(NEXT) | instid1(VALU_DEP_1)
	v_lshlrev_b64_e32 v[0:1], 2, v[43:44]
	v_add_co_u32 v0, vcc_lo, s30, v0
	s_wait_alu 0xfffd
	s_delay_alu instid0(VALU_DEP_2)
	v_add_co_ci_u32_e64 v1, null, s31, v1, vcc_lo
	s_and_saveexec_b32 s8, s0
	s_cbranch_execnz .LBB200_111
; %bb.93:
	s_wait_alu 0xfffe
	s_or_b32 exec_lo, exec_lo, s8
	s_and_saveexec_b32 s8, s1
	s_cbranch_execnz .LBB200_112
.LBB200_94:
	s_wait_alu 0xfffe
	s_or_b32 exec_lo, exec_lo, s8
	s_and_saveexec_b32 s8, s2
	s_cbranch_execnz .LBB200_113
.LBB200_95:
	s_wait_alu 0xfffe
	s_or_b32 exec_lo, exec_lo, s8
	s_and_saveexec_b32 s8, s3
	s_cbranch_execnz .LBB200_114
.LBB200_96:
	s_wait_alu 0xfffe
	s_or_b32 exec_lo, exec_lo, s8
	s_and_saveexec_b32 s8, s4
	s_cbranch_execnz .LBB200_115
.LBB200_97:
	s_wait_alu 0xfffe
	s_or_b32 exec_lo, exec_lo, s8
	s_and_saveexec_b32 s8, s5
	s_cbranch_execnz .LBB200_116
.LBB200_98:
	s_wait_alu 0xfffe
	s_or_b32 exec_lo, exec_lo, s8
	s_and_saveexec_b32 s8, s6
	s_cbranch_execnz .LBB200_117
.LBB200_99:
	s_wait_alu 0xfffe
	s_or_b32 exec_lo, exec_lo, s8
	s_and_saveexec_b32 s8, s7
	s_cbranch_execz .LBB200_101
.LBB200_100:
	s_mul_i32 s10, s26, 0xe00
	s_mov_b32 s11, 0
	s_wait_alu 0xfffe
	s_lshl_b64 s[10:11], s[10:11], 2
	s_wait_alu 0xfffe
	v_add_co_u32 v0, vcc_lo, v0, s10
	s_wait_alu 0xfffd
	v_add_co_ci_u32_e64 v1, null, s11, v1, vcc_lo
	s_wait_dscnt 0x0
	global_store_b32 v[0:1], v2, off
.LBB200_101:
	s_wait_alu 0xfffe
	s_or_b32 exec_lo, exec_lo, s8
	s_wait_storecnt 0x0
	s_wait_loadcnt_dscnt 0x0
	s_barrier_signal -1
	s_barrier_wait -1
	global_inv scope:SCOPE_SE
	ds_store_2addr_b64 v88, v[28:29], v[30:31] offset1:1
	ds_store_2addr_b64 v88, v[24:25], v[26:27] offset0:2 offset1:3
	ds_store_2addr_b64 v88, v[36:37], v[38:39] offset0:4 offset1:5
	;; [unrolled: 1-line block ×3, first 2 shown]
	s_wait_loadcnt_dscnt 0x0
	s_barrier_signal -1
	s_barrier_wait -1
	global_inv scope:SCOPE_SE
	ds_load_b64 v[14:15], v81 offset:4096
	ds_load_b64 v[12:13], v82 offset:8192
	ds_load_b64 v[10:11], v83 offset:12288
	ds_load_b64 v[8:9], v84 offset:16384
	ds_load_b64 v[6:7], v85 offset:20480
	ds_load_b64 v[4:5], v86 offset:24576
	ds_load_b64 v[0:1], v87 offset:28672
	v_mov_b32_e32 v41, 0
	s_delay_alu instid0(VALU_DEP_1) | instskip(NEXT) | instid1(VALU_DEP_1)
	v_lshlrev_b64_e32 v[2:3], 3, v[40:41]
	v_add_co_u32 v2, vcc_lo, s24, v2
	s_wait_alu 0xfffd
	s_delay_alu instid0(VALU_DEP_2)
	v_add_co_ci_u32_e64 v3, null, s25, v3, vcc_lo
	s_and_saveexec_b32 s8, s0
	s_cbranch_execnz .LBB200_118
; %bb.102:
	s_wait_alu 0xfffe
	s_or_b32 exec_lo, exec_lo, s8
	s_and_saveexec_b32 s0, s1
	s_cbranch_execnz .LBB200_119
.LBB200_103:
	s_or_b32 exec_lo, exec_lo, s0
	s_and_saveexec_b32 s0, s2
	s_cbranch_execnz .LBB200_120
.LBB200_104:
	s_or_b32 exec_lo, exec_lo, s0
	s_and_saveexec_b32 s0, s3
	s_cbranch_execnz .LBB200_121
.LBB200_105:
	s_or_b32 exec_lo, exec_lo, s0
	s_and_saveexec_b32 s0, s4
	s_cbranch_execnz .LBB200_122
.LBB200_106:
	s_or_b32 exec_lo, exec_lo, s0
	s_and_saveexec_b32 s0, s5
	s_cbranch_execnz .LBB200_123
.LBB200_107:
	s_or_b32 exec_lo, exec_lo, s0
	s_and_saveexec_b32 s0, s6
	s_cbranch_execnz .LBB200_124
.LBB200_108:
	s_or_b32 exec_lo, exec_lo, s0
	s_and_saveexec_b32 s0, s7
	s_cbranch_execz .LBB200_110
.LBB200_109:
	s_mul_i32 s0, s28, 0xe00
	s_mov_b32 s1, 0
	s_delay_alu instid0(SALU_CYCLE_1) | instskip(NEXT) | instid1(SALU_CYCLE_1)
	s_lshl_b64 s[0:1], s[0:1], 3
	v_add_co_u32 v2, vcc_lo, v2, s0
	s_wait_alu 0xfffd
	v_add_co_ci_u32_e64 v3, null, s1, v3, vcc_lo
	s_wait_dscnt 0x0
	global_store_b64 v[2:3], v[0:1], off
.LBB200_110:
	s_nop 0
	s_sendmsg sendmsg(MSG_DEALLOC_VGPRS)
	s_endpgm
.LBB200_111:
	ds_load_b32 v9, v72
	s_wait_dscnt 0x0
	global_store_b32 v[0:1], v9, off
	s_wait_alu 0xfffe
	s_or_b32 exec_lo, exec_lo, s8
	s_and_saveexec_b32 s8, s1
	s_cbranch_execz .LBB200_94
.LBB200_112:
	s_lshl_b32 s10, s26, 9
	s_mov_b32 s11, 0
	s_wait_alu 0xfffe
	s_lshl_b64 s[10:11], s[10:11], 2
	s_wait_alu 0xfffe
	v_add_co_u32 v9, vcc_lo, v0, s10
	s_wait_alu 0xfffd
	v_add_co_ci_u32_e64 v10, null, s11, v1, vcc_lo
	s_wait_dscnt 0x6
	global_store_b32 v[9:10], v8, off
	s_or_b32 exec_lo, exec_lo, s8
	s_and_saveexec_b32 s8, s2
	s_cbranch_execz .LBB200_95
.LBB200_113:
	s_lshl_b32 s10, s26, 10
	s_mov_b32 s11, 0
	s_wait_alu 0xfffe
	s_lshl_b64 s[10:11], s[10:11], 2
	s_wait_dscnt 0x6
	s_wait_alu 0xfffe
	v_add_co_u32 v8, vcc_lo, v0, s10
	s_wait_alu 0xfffd
	v_add_co_ci_u32_e64 v9, null, s11, v1, vcc_lo
	s_wait_dscnt 0x5
	global_store_b32 v[8:9], v7, off
	s_or_b32 exec_lo, exec_lo, s8
	s_and_saveexec_b32 s8, s3
	s_cbranch_execz .LBB200_96
.LBB200_114:
	s_mul_i32 s10, s26, 0x600
	s_mov_b32 s11, 0
	s_wait_alu 0xfffe
	s_lshl_b64 s[10:11], s[10:11], 2
	s_wait_dscnt 0x5
	s_wait_alu 0xfffe
	v_add_co_u32 v7, vcc_lo, v0, s10
	s_wait_alu 0xfffd
	v_add_co_ci_u32_e64 v8, null, s11, v1, vcc_lo
	s_wait_dscnt 0x4
	global_store_b32 v[7:8], v6, off
	s_or_b32 exec_lo, exec_lo, s8
	s_and_saveexec_b32 s8, s4
	s_cbranch_execz .LBB200_97
.LBB200_115:
	s_lshl_b32 s10, s26, 11
	s_mov_b32 s11, 0
	s_wait_alu 0xfffe
	s_lshl_b64 s[10:11], s[10:11], 2
	s_wait_dscnt 0x4
	s_wait_alu 0xfffe
	v_add_co_u32 v6, vcc_lo, v0, s10
	s_wait_alu 0xfffd
	v_add_co_ci_u32_e64 v7, null, s11, v1, vcc_lo
	s_wait_dscnt 0x3
	global_store_b32 v[6:7], v5, off
	s_or_b32 exec_lo, exec_lo, s8
	s_and_saveexec_b32 s8, s5
	s_cbranch_execz .LBB200_98
.LBB200_116:
	s_mul_i32 s10, s26, 0xa00
	s_mov_b32 s11, 0
	s_wait_alu 0xfffe
	s_lshl_b64 s[10:11], s[10:11], 2
	s_wait_dscnt 0x3
	s_wait_alu 0xfffe
	v_add_co_u32 v5, vcc_lo, v0, s10
	s_wait_alu 0xfffd
	v_add_co_ci_u32_e64 v6, null, s11, v1, vcc_lo
	s_wait_dscnt 0x2
	global_store_b32 v[5:6], v4, off
	s_or_b32 exec_lo, exec_lo, s8
	s_and_saveexec_b32 s8, s6
	s_cbranch_execz .LBB200_99
.LBB200_117:
	s_mul_i32 s10, s26, 0xc00
	s_mov_b32 s11, 0
	s_wait_alu 0xfffe
	s_lshl_b64 s[10:11], s[10:11], 2
	s_wait_dscnt 0x2
	s_wait_alu 0xfffe
	v_add_co_u32 v4, vcc_lo, v0, s10
	s_wait_alu 0xfffd
	v_add_co_ci_u32_e64 v5, null, s11, v1, vcc_lo
	s_wait_dscnt 0x1
	global_store_b32 v[4:5], v3, off
	s_or_b32 exec_lo, exec_lo, s8
	s_and_saveexec_b32 s8, s7
	s_cbranch_execnz .LBB200_100
	s_branch .LBB200_101
.LBB200_118:
	ds_load_b64 v[16:17], v80
	s_wait_dscnt 0x0
	global_store_b64 v[2:3], v[16:17], off
	s_wait_alu 0xfffe
	s_or_b32 exec_lo, exec_lo, s8
	s_and_saveexec_b32 s0, s1
	s_cbranch_execz .LBB200_103
.LBB200_119:
	s_lshl_b32 s8, s28, 9
	s_mov_b32 s9, 0
	s_wait_alu 0xfffe
	s_lshl_b64 s[8:9], s[8:9], 3
	s_wait_alu 0xfffe
	v_add_co_u32 v16, vcc_lo, v2, s8
	s_wait_alu 0xfffd
	v_add_co_ci_u32_e64 v17, null, s9, v3, vcc_lo
	s_wait_dscnt 0x6
	global_store_b64 v[16:17], v[14:15], off
	s_or_b32 exec_lo, exec_lo, s0
	s_and_saveexec_b32 s0, s2
	s_cbranch_execz .LBB200_104
.LBB200_120:
	s_lshl_b32 s8, s28, 10
	s_mov_b32 s9, 0
	s_wait_alu 0xfffe
	s_lshl_b64 s[8:9], s[8:9], 3
	s_wait_dscnt 0x6
	s_wait_alu 0xfffe
	v_add_co_u32 v14, vcc_lo, v2, s8
	s_wait_alu 0xfffd
	v_add_co_ci_u32_e64 v15, null, s9, v3, vcc_lo
	s_wait_dscnt 0x5
	global_store_b64 v[14:15], v[12:13], off
	s_or_b32 exec_lo, exec_lo, s0
	s_and_saveexec_b32 s0, s3
	s_cbranch_execz .LBB200_105
.LBB200_121:
	s_mul_i32 s2, s28, 0x600
	s_mov_b32 s3, 0
	s_delay_alu instid0(SALU_CYCLE_1)
	s_lshl_b64 s[2:3], s[2:3], 3
	s_wait_dscnt 0x5
	v_add_co_u32 v12, vcc_lo, v2, s2
	s_wait_alu 0xfffd
	v_add_co_ci_u32_e64 v13, null, s3, v3, vcc_lo
	s_wait_dscnt 0x4
	global_store_b64 v[12:13], v[10:11], off
	s_or_b32 exec_lo, exec_lo, s0
	s_and_saveexec_b32 s0, s4
	s_cbranch_execz .LBB200_106
.LBB200_122:
	s_lshl_b32 s2, s28, 11
	s_mov_b32 s3, 0
	s_wait_alu 0xfffe
	s_lshl_b64 s[2:3], s[2:3], 3
	s_wait_dscnt 0x4
	s_wait_alu 0xfffe
	v_add_co_u32 v10, vcc_lo, v2, s2
	s_wait_alu 0xfffd
	v_add_co_ci_u32_e64 v11, null, s3, v3, vcc_lo
	s_wait_dscnt 0x3
	global_store_b64 v[10:11], v[8:9], off
	s_or_b32 exec_lo, exec_lo, s0
	s_and_saveexec_b32 s0, s5
	s_cbranch_execz .LBB200_107
.LBB200_123:
	s_mul_i32 s2, s28, 0xa00
	s_mov_b32 s3, 0
	s_wait_alu 0xfffe
	s_lshl_b64 s[2:3], s[2:3], 3
	s_wait_dscnt 0x3
	s_wait_alu 0xfffe
	v_add_co_u32 v8, vcc_lo, v2, s2
	s_wait_alu 0xfffd
	v_add_co_ci_u32_e64 v9, null, s3, v3, vcc_lo
	s_wait_dscnt 0x2
	global_store_b64 v[8:9], v[6:7], off
	s_or_b32 exec_lo, exec_lo, s0
	s_and_saveexec_b32 s0, s6
	s_cbranch_execz .LBB200_108
.LBB200_124:
	s_mul_i32 s2, s28, 0xc00
	s_mov_b32 s3, 0
	s_wait_alu 0xfffe
	s_lshl_b64 s[2:3], s[2:3], 3
	s_wait_dscnt 0x2
	s_wait_alu 0xfffe
	v_add_co_u32 v6, vcc_lo, v2, s2
	s_wait_alu 0xfffd
	v_add_co_ci_u32_e64 v7, null, s3, v3, vcc_lo
	s_wait_dscnt 0x1
	global_store_b64 v[6:7], v[4:5], off
	s_or_b32 exec_lo, exec_lo, s0
	s_and_saveexec_b32 s0, s7
	s_cbranch_execnz .LBB200_109
	s_branch .LBB200_110
	.section	.rodata,"a",@progbits
	.p2align	6, 0x0
	.amdhsa_kernel _ZN2at6native18radixSortKVInPlaceILin2ELin1ELi512ELi8EfljEEvNS_4cuda6detail10TensorInfoIT3_T5_EES6_S6_S6_NS4_IT4_S6_EES6_b
		.amdhsa_group_segment_fixed_size 33792
		.amdhsa_private_segment_fixed_size 0
		.amdhsa_kernarg_size 712
		.amdhsa_user_sgpr_count 2
		.amdhsa_user_sgpr_dispatch_ptr 0
		.amdhsa_user_sgpr_queue_ptr 0
		.amdhsa_user_sgpr_kernarg_segment_ptr 1
		.amdhsa_user_sgpr_dispatch_id 0
		.amdhsa_user_sgpr_private_segment_size 0
		.amdhsa_wavefront_size32 1
		.amdhsa_uses_dynamic_stack 0
		.amdhsa_enable_private_segment 0
		.amdhsa_system_sgpr_workgroup_id_x 1
		.amdhsa_system_sgpr_workgroup_id_y 1
		.amdhsa_system_sgpr_workgroup_id_z 1
		.amdhsa_system_sgpr_workgroup_info 0
		.amdhsa_system_vgpr_workitem_id 2
		.amdhsa_next_free_vgpr 121
		.amdhsa_next_free_sgpr 36
		.amdhsa_reserve_vcc 1
		.amdhsa_float_round_mode_32 0
		.amdhsa_float_round_mode_16_64 0
		.amdhsa_float_denorm_mode_32 3
		.amdhsa_float_denorm_mode_16_64 3
		.amdhsa_fp16_overflow 0
		.amdhsa_workgroup_processor_mode 1
		.amdhsa_memory_ordered 1
		.amdhsa_forward_progress 1
		.amdhsa_inst_pref_size 120
		.amdhsa_round_robin_scheduling 0
		.amdhsa_exception_fp_ieee_invalid_op 0
		.amdhsa_exception_fp_denorm_src 0
		.amdhsa_exception_fp_ieee_div_zero 0
		.amdhsa_exception_fp_ieee_overflow 0
		.amdhsa_exception_fp_ieee_underflow 0
		.amdhsa_exception_fp_ieee_inexact 0
		.amdhsa_exception_int_div_zero 0
	.end_amdhsa_kernel
	.section	.text._ZN2at6native18radixSortKVInPlaceILin2ELin1ELi512ELi8EfljEEvNS_4cuda6detail10TensorInfoIT3_T5_EES6_S6_S6_NS4_IT4_S6_EES6_b,"axG",@progbits,_ZN2at6native18radixSortKVInPlaceILin2ELin1ELi512ELi8EfljEEvNS_4cuda6detail10TensorInfoIT3_T5_EES6_S6_S6_NS4_IT4_S6_EES6_b,comdat
.Lfunc_end200:
	.size	_ZN2at6native18radixSortKVInPlaceILin2ELin1ELi512ELi8EfljEEvNS_4cuda6detail10TensorInfoIT3_T5_EES6_S6_S6_NS4_IT4_S6_EES6_b, .Lfunc_end200-_ZN2at6native18radixSortKVInPlaceILin2ELin1ELi512ELi8EfljEEvNS_4cuda6detail10TensorInfoIT3_T5_EES6_S6_S6_NS4_IT4_S6_EES6_b
                                        ; -- End function
	.set _ZN2at6native18radixSortKVInPlaceILin2ELin1ELi512ELi8EfljEEvNS_4cuda6detail10TensorInfoIT3_T5_EES6_S6_S6_NS4_IT4_S6_EES6_b.num_vgpr, 121
	.set _ZN2at6native18radixSortKVInPlaceILin2ELin1ELi512ELi8EfljEEvNS_4cuda6detail10TensorInfoIT3_T5_EES6_S6_S6_NS4_IT4_S6_EES6_b.num_agpr, 0
	.set _ZN2at6native18radixSortKVInPlaceILin2ELin1ELi512ELi8EfljEEvNS_4cuda6detail10TensorInfoIT3_T5_EES6_S6_S6_NS4_IT4_S6_EES6_b.numbered_sgpr, 36
	.set _ZN2at6native18radixSortKVInPlaceILin2ELin1ELi512ELi8EfljEEvNS_4cuda6detail10TensorInfoIT3_T5_EES6_S6_S6_NS4_IT4_S6_EES6_b.num_named_barrier, 0
	.set _ZN2at6native18radixSortKVInPlaceILin2ELin1ELi512ELi8EfljEEvNS_4cuda6detail10TensorInfoIT3_T5_EES6_S6_S6_NS4_IT4_S6_EES6_b.private_seg_size, 0
	.set _ZN2at6native18radixSortKVInPlaceILin2ELin1ELi512ELi8EfljEEvNS_4cuda6detail10TensorInfoIT3_T5_EES6_S6_S6_NS4_IT4_S6_EES6_b.uses_vcc, 1
	.set _ZN2at6native18radixSortKVInPlaceILin2ELin1ELi512ELi8EfljEEvNS_4cuda6detail10TensorInfoIT3_T5_EES6_S6_S6_NS4_IT4_S6_EES6_b.uses_flat_scratch, 0
	.set _ZN2at6native18radixSortKVInPlaceILin2ELin1ELi512ELi8EfljEEvNS_4cuda6detail10TensorInfoIT3_T5_EES6_S6_S6_NS4_IT4_S6_EES6_b.has_dyn_sized_stack, 0
	.set _ZN2at6native18radixSortKVInPlaceILin2ELin1ELi512ELi8EfljEEvNS_4cuda6detail10TensorInfoIT3_T5_EES6_S6_S6_NS4_IT4_S6_EES6_b.has_recursion, 0
	.set _ZN2at6native18radixSortKVInPlaceILin2ELin1ELi512ELi8EfljEEvNS_4cuda6detail10TensorInfoIT3_T5_EES6_S6_S6_NS4_IT4_S6_EES6_b.has_indirect_call, 0
	.section	.AMDGPU.csdata,"",@progbits
; Kernel info:
; codeLenInByte = 15320
; TotalNumSgprs: 38
; NumVgprs: 121
; ScratchSize: 0
; MemoryBound: 0
; FloatMode: 240
; IeeeMode: 1
; LDSByteSize: 33792 bytes/workgroup (compile time only)
; SGPRBlocks: 0
; VGPRBlocks: 15
; NumSGPRsForWavesPerEU: 38
; NumVGPRsForWavesPerEU: 121
; Occupancy: 10
; WaveLimiterHint : 1
; COMPUTE_PGM_RSRC2:SCRATCH_EN: 0
; COMPUTE_PGM_RSRC2:USER_SGPR: 2
; COMPUTE_PGM_RSRC2:TRAP_HANDLER: 0
; COMPUTE_PGM_RSRC2:TGID_X_EN: 1
; COMPUTE_PGM_RSRC2:TGID_Y_EN: 1
; COMPUTE_PGM_RSRC2:TGID_Z_EN: 1
; COMPUTE_PGM_RSRC2:TIDIG_COMP_CNT: 2
	.section	.text._ZN2at6native18radixSortKVInPlaceILin2ELin1ELi256ELi8EfljEEvNS_4cuda6detail10TensorInfoIT3_T5_EES6_S6_S6_NS4_IT4_S6_EES6_b,"axG",@progbits,_ZN2at6native18radixSortKVInPlaceILin2ELin1ELi256ELi8EfljEEvNS_4cuda6detail10TensorInfoIT3_T5_EES6_S6_S6_NS4_IT4_S6_EES6_b,comdat
	.protected	_ZN2at6native18radixSortKVInPlaceILin2ELin1ELi256ELi8EfljEEvNS_4cuda6detail10TensorInfoIT3_T5_EES6_S6_S6_NS4_IT4_S6_EES6_b ; -- Begin function _ZN2at6native18radixSortKVInPlaceILin2ELin1ELi256ELi8EfljEEvNS_4cuda6detail10TensorInfoIT3_T5_EES6_S6_S6_NS4_IT4_S6_EES6_b
	.globl	_ZN2at6native18radixSortKVInPlaceILin2ELin1ELi256ELi8EfljEEvNS_4cuda6detail10TensorInfoIT3_T5_EES6_S6_S6_NS4_IT4_S6_EES6_b
	.p2align	8
	.type	_ZN2at6native18radixSortKVInPlaceILin2ELin1ELi256ELi8EfljEEvNS_4cuda6detail10TensorInfoIT3_T5_EES6_S6_S6_NS4_IT4_S6_EES6_b,@function
_ZN2at6native18radixSortKVInPlaceILin2ELin1ELi256ELi8EfljEEvNS_4cuda6detail10TensorInfoIT3_T5_EES6_S6_S6_NS4_IT4_S6_EES6_b: ; @_ZN2at6native18radixSortKVInPlaceILin2ELin1ELi256ELi8EfljEEvNS_4cuda6detail10TensorInfoIT3_T5_EES6_S6_S6_NS4_IT4_S6_EES6_b
; %bb.0:
	s_clause 0x1
	s_load_b64 s[2:3], s[0:1], 0x1c8
	s_load_b96 s[20:22], s[0:1], 0xd8
	s_lshr_b32 s4, ttmp7, 16
	s_wait_kmcnt 0x0
	s_mul_i32 s3, s3, s4
	s_and_b32 s4, ttmp7, 0xffff
	s_delay_alu instid0(SALU_CYCLE_1) | instskip(NEXT) | instid1(SALU_CYCLE_1)
	s_add_co_i32 s3, s3, s4
	s_mul_i32 s4, s3, s2
	s_delay_alu instid0(SALU_CYCLE_1) | instskip(NEXT) | instid1(SALU_CYCLE_1)
	s_add_co_i32 s4, s4, ttmp9
	s_cmp_ge_u32 s4, s20
	s_cbranch_scc1 .LBB201_110
; %bb.1:
	s_load_b32 s2, s[0:1], 0x1b8
	s_add_nc_u64 s[14:15], s[0:1], 0xe8
	s_mov_b32 s13, 0
	s_mov_b32 s16, s4
	s_wait_kmcnt 0x0
	s_cmp_lt_i32 s2, 2
	s_cbranch_scc1 .LBB201_4
; %bb.2:
	s_add_co_i32 s12, s2, -1
	s_add_co_i32 s5, s2, 1
	s_lshl_b64 s[6:7], s[12:13], 2
	s_mov_b32 s16, s4
	s_add_nc_u64 s[6:7], s[14:15], s[6:7]
	s_delay_alu instid0(SALU_CYCLE_1)
	s_add_nc_u64 s[2:3], s[6:7], 8
.LBB201_3:                              ; =>This Inner Loop Header: Depth=1
	s_clause 0x1
	s_load_b32 s6, s[2:3], 0x0
	s_load_b32 s7, s[2:3], 0x64
	s_mov_b32 s10, s16
	s_add_nc_u64 s[2:3], s[2:3], -4
	s_wait_kmcnt 0x0
	s_cvt_f32_u32 s8, s6
	s_sub_co_i32 s9, 0, s6
	s_wait_alu 0xfffe
	s_delay_alu instid0(SALU_CYCLE_1) | instskip(NEXT) | instid1(TRANS32_DEP_1)
	v_rcp_iflag_f32_e32 v1, s8
	v_readfirstlane_b32 s8, v1
	s_mul_f32 s8, s8, 0x4f7ffffe
	s_wait_alu 0xfffe
	s_delay_alu instid0(SALU_CYCLE_2) | instskip(SKIP_1) | instid1(SALU_CYCLE_2)
	s_cvt_u32_f32 s8, s8
	s_wait_alu 0xfffe
	s_mul_i32 s9, s9, s8
	s_wait_alu 0xfffe
	s_mul_hi_u32 s9, s8, s9
	s_wait_alu 0xfffe
	s_add_co_i32 s8, s8, s9
	s_wait_alu 0xfffe
	s_mul_hi_u32 s8, s16, s8
	s_wait_alu 0xfffe
	s_mul_i32 s9, s8, s6
	s_add_co_i32 s11, s8, 1
	s_wait_alu 0xfffe
	s_sub_co_i32 s9, s16, s9
	s_wait_alu 0xfffe
	s_sub_co_i32 s12, s9, s6
	s_cmp_ge_u32 s9, s6
	s_cselect_b32 s8, s11, s8
	s_cselect_b32 s9, s12, s9
	s_wait_alu 0xfffe
	s_add_co_i32 s11, s8, 1
	s_cmp_ge_u32 s9, s6
	s_cselect_b32 s16, s11, s8
	s_add_co_i32 s5, s5, -1
	s_mul_i32 s6, s16, s6
	s_delay_alu instid0(SALU_CYCLE_1) | instskip(NEXT) | instid1(SALU_CYCLE_1)
	s_sub_co_i32 s6, s10, s6
	s_mul_i32 s6, s7, s6
	s_delay_alu instid0(SALU_CYCLE_1)
	s_add_co_i32 s13, s6, s13
	s_cmp_gt_u32 s5, 2
	s_cbranch_scc1 .LBB201_3
.LBB201_4:
	s_clause 0x2
	s_load_b64 s[28:29], s[0:1], 0x1c0
	s_load_b64 s[2:3], s[0:1], 0x0
	s_load_b32 s5, s[0:1], 0x6c
	s_add_nc_u64 s[36:37], s[0:1], 0x1c8
	s_mov_b32 s19, 0
	s_wait_kmcnt 0x0
	s_bitcmp1_b32 s29, 0
	s_mul_i32 s18, s5, s4
	s_cselect_b32 s12, -1, 0
	s_delay_alu instid0(SALU_CYCLE_1)
	s_and_b32 s0, s12, exec_lo
	s_cselect_b32 s4, -1, 0x7fffffff
	s_lshl_b64 s[18:19], s[18:19], 2
	s_mov_b32 s5, s4
	s_mov_b32 s6, s4
	;; [unrolled: 1-line block ×7, first 2 shown]
	v_and_b32_e32 v45, 0x3ff, v0
	v_dual_mov_b32 v1, s4 :: v_dual_mov_b32 v4, s7
	v_dual_mov_b32 v2, s5 :: v_dual_mov_b32 v3, s6
	s_wait_alu 0xfffe
	v_mov_b32_e32 v6, s9
	v_mul_lo_u32 v43, s22, v45
	v_cmp_gt_u32_e64 s0, s21, v45
	v_dual_mov_b32 v5, s8 :: v_dual_mov_b32 v8, s11
	v_mov_b32_e32 v7, s10
	v_mov_b32_e32 v9, s4
	s_add_nc_u64 s[30:31], s[2:3], s[18:19]
	s_and_saveexec_b32 s1, s0
	s_cbranch_execz .LBB201_6
; %bb.5:
	v_mov_b32_e32 v44, 0
	s_delay_alu instid0(VALU_DEP_1) | instskip(NEXT) | instid1(VALU_DEP_1)
	v_lshlrev_b64_e32 v[1:2], 2, v[43:44]
	v_add_co_u32 v1, vcc_lo, s30, v1
	s_delay_alu instid0(VALU_DEP_1)
	v_add_co_ci_u32_e64 v2, null, s31, v2, vcc_lo
	global_load_b32 v9, v[1:2], off
	v_dual_mov_b32 v1, s4 :: v_dual_mov_b32 v2, s5
	v_dual_mov_b32 v3, s6 :: v_dual_mov_b32 v4, s7
	;; [unrolled: 1-line block ×4, first 2 shown]
.LBB201_6:
	s_or_b32 exec_lo, exec_lo, s1
	v_add_nc_u32_e32 v15, 0x100, v45
	s_delay_alu instid0(VALU_DEP_1)
	v_cmp_gt_u32_e64 s1, s21, v15
	s_and_saveexec_b32 s2, s1
	s_cbranch_execz .LBB201_8
; %bb.7:
	v_mul_lo_u32 v1, s22, v15
	v_mov_b32_e32 v2, 0
	s_delay_alu instid0(VALU_DEP_1) | instskip(NEXT) | instid1(VALU_DEP_1)
	v_lshlrev_b64_e32 v[1:2], 2, v[1:2]
	v_add_co_u32 v1, vcc_lo, s30, v1
	s_wait_alu 0xfffd
	s_delay_alu instid0(VALU_DEP_2)
	v_add_co_ci_u32_e64 v2, null, s31, v2, vcc_lo
	global_load_b32 v2, v[1:2], off
.LBB201_8:
	s_or_b32 exec_lo, exec_lo, s2
	v_add_nc_u32_e32 v16, 0x200, v45
	s_delay_alu instid0(VALU_DEP_1)
	v_cmp_gt_u32_e64 s2, s21, v16
	s_and_saveexec_b32 s3, s2
	s_cbranch_execz .LBB201_10
; %bb.9:
	v_mul_lo_u32 v10, s22, v16
	v_mov_b32_e32 v11, 0
	s_delay_alu instid0(VALU_DEP_1) | instskip(NEXT) | instid1(VALU_DEP_1)
	v_lshlrev_b64_e32 v[10:11], 2, v[10:11]
	v_add_co_u32 v10, vcc_lo, s30, v10
	s_wait_alu 0xfffd
	s_delay_alu instid0(VALU_DEP_2)
	v_add_co_ci_u32_e64 v11, null, s31, v11, vcc_lo
	global_load_b32 v3, v[10:11], off
.LBB201_10:
	;; [unrolled: 17-line block ×3, first 2 shown]
	s_wait_alu 0xfffe
	s_or_b32 exec_lo, exec_lo, s4
	v_or_b32_e32 v18, 0x400, v45
	s_delay_alu instid0(VALU_DEP_1)
	v_cmp_gt_u32_e64 s4, s21, v18
	s_and_saveexec_b32 s5, s4
	s_cbranch_execz .LBB201_14
; %bb.13:
	v_mul_lo_u32 v10, s22, v18
	v_mov_b32_e32 v11, 0
	s_delay_alu instid0(VALU_DEP_1) | instskip(NEXT) | instid1(VALU_DEP_1)
	v_lshlrev_b64_e32 v[10:11], 2, v[10:11]
	v_add_co_u32 v10, vcc_lo, s30, v10
	s_wait_alu 0xfffd
	s_delay_alu instid0(VALU_DEP_2)
	v_add_co_ci_u32_e64 v11, null, s31, v11, vcc_lo
	global_load_b32 v5, v[10:11], off
.LBB201_14:
	s_wait_alu 0xfffe
	s_or_b32 exec_lo, exec_lo, s5
	v_add_nc_u32_e32 v19, 0x500, v45
	s_delay_alu instid0(VALU_DEP_1)
	v_cmp_gt_u32_e64 s5, s21, v19
	s_and_saveexec_b32 s6, s5
	s_cbranch_execz .LBB201_16
; %bb.15:
	v_mul_lo_u32 v10, s22, v19
	v_mov_b32_e32 v11, 0
	s_delay_alu instid0(VALU_DEP_1) | instskip(NEXT) | instid1(VALU_DEP_1)
	v_lshlrev_b64_e32 v[10:11], 2, v[10:11]
	v_add_co_u32 v10, vcc_lo, s30, v10
	s_wait_alu 0xfffd
	s_delay_alu instid0(VALU_DEP_2)
	v_add_co_ci_u32_e64 v11, null, s31, v11, vcc_lo
	global_load_b32 v6, v[10:11], off
.LBB201_16:
	s_wait_alu 0xfffe
	s_or_b32 exec_lo, exec_lo, s6
	v_add_nc_u32_e32 v20, 0x600, v45
	s_delay_alu instid0(VALU_DEP_1)
	v_cmp_gt_u32_e64 s6, s21, v20
	s_and_saveexec_b32 s7, s6
	s_cbranch_execz .LBB201_18
; %bb.17:
	v_mul_lo_u32 v10, s22, v20
	v_mov_b32_e32 v11, 0
	s_delay_alu instid0(VALU_DEP_1) | instskip(NEXT) | instid1(VALU_DEP_1)
	v_lshlrev_b64_e32 v[10:11], 2, v[10:11]
	v_add_co_u32 v10, vcc_lo, s30, v10
	s_wait_alu 0xfffd
	s_delay_alu instid0(VALU_DEP_2)
	v_add_co_ci_u32_e64 v11, null, s31, v11, vcc_lo
	global_load_b32 v7, v[10:11], off
.LBB201_18:
	s_wait_alu 0xfffe
	s_or_b32 exec_lo, exec_lo, s7
	s_clause 0x1
	s_load_b32 s10, s[14:15], 0x6c
	s_load_b64 s[8:9], s[14:15], 0x0
	v_add_nc_u32_e32 v21, 0x700, v45
	s_delay_alu instid0(VALU_DEP_1)
	v_cmp_gt_u32_e64 s7, s21, v21
	s_and_saveexec_b32 s11, s7
	s_cbranch_execz .LBB201_20
; %bb.19:
	v_mul_lo_u32 v10, s22, v21
	v_mov_b32_e32 v11, 0
	s_delay_alu instid0(VALU_DEP_1) | instskip(NEXT) | instid1(VALU_DEP_1)
	v_lshlrev_b64_e32 v[10:11], 2, v[10:11]
	v_add_co_u32 v10, vcc_lo, s30, v10
	s_wait_alu 0xfffd
	s_delay_alu instid0(VALU_DEP_2)
	v_add_co_ci_u32_e64 v11, null, s31, v11, vcc_lo
	global_load_b32 v8, v[10:11], off
.LBB201_20:
	s_wait_alu 0xfffe
	s_or_b32 exec_lo, exec_lo, s11
	v_lshrrev_b32_e32 v1, 5, v15
	v_lshrrev_b32_e32 v24, 5, v45
	;; [unrolled: 1-line block ×3, first 2 shown]
	s_wait_kmcnt 0x0
	s_mul_i32 s10, s10, s16
	v_mul_lo_u32 v40, s28, v45
	v_add_nc_u32_e32 v25, v1, v45
	v_lshrrev_b32_e32 v1, 5, v17
	v_dual_mov_b32 v41, 0 :: v_dual_add_nc_u32 v26, v24, v45
	v_lshlrev_b32_e32 v91, 3, v45
	v_add_nc_u32_e32 v22, v10, v45
	s_delay_alu instid0(VALU_DEP_4) | instskip(SKIP_2) | instid1(VALU_DEP_4)
	v_add_nc_u32_e32 v23, v1, v45
	v_lshrrev_b32_e32 v1, 5, v18
	v_lshlrev_b32_e32 v72, 2, v26
	v_dual_mov_b32 v42, v41 :: v_dual_lshlrev_b32 v73, 2, v22
	s_delay_alu instid0(VALU_DEP_4) | instskip(NEXT) | instid1(VALU_DEP_4)
	v_lshlrev_b32_e32 v74, 2, v23
	v_add_nc_u32_e32 v27, v1, v45
	v_lshrrev_b32_e32 v1, 5, v19
	s_mov_b32 s11, 0
	v_mov_b32_e32 v10, v41
	s_wait_alu 0xfffe
	s_add_co_i32 s10, s10, s13
	v_lshlrev_b32_e32 v75, 2, v27
	v_add_nc_u32_e32 v31, v1, v45
	v_lshrrev_b32_e32 v1, 2, v45
	v_mov_b32_e32 v13, 0
	v_mov_b32_e32 v14, 0
	v_lshlrev_b32_e32 v44, 2, v25
	v_dual_mov_b32 v11, v41 :: v_dual_lshlrev_b32 v76, 2, v31
	v_add_nc_u32_e32 v30, v1, v91
	v_mov_b32_e32 v1, v41
	s_wait_loadcnt 0x0
	ds_store_b32 v72, v9
	ds_store_b32 v44, v2 offset:1024
	ds_store_b32 v73, v3 offset:2048
	v_lshrrev_b32_e32 v2, 5, v20
	v_lshrrev_b32_e32 v3, 5, v21
	v_lshlrev_b32_e32 v79, 2, v30
	ds_store_b32 v74, v4 offset:3072
	ds_store_b32 v75, v5 offset:4096
	v_dual_mov_b32 v2, v41 :: v_dual_add_nc_u32 v29, v2, v45
	v_dual_mov_b32 v9, v41 :: v_dual_add_nc_u32 v28, v3, v45
	v_mov_b32_e32 v3, v41
	s_delay_alu instid0(VALU_DEP_3) | instskip(NEXT) | instid1(VALU_DEP_3)
	v_dual_mov_b32 v4, v41 :: v_dual_lshlrev_b32 v77, 2, v29
	v_lshlrev_b32_e32 v78, 2, v28
	ds_store_b32 v76, v6 offset:5120
	ds_store_b32 v77, v7 offset:6144
	;; [unrolled: 1-line block ×3, first 2 shown]
	s_wait_dscnt 0x0
	s_barrier_signal -1
	s_barrier_wait -1
	global_inv scope:SCOPE_SE
	v_mov_b32_e32 v8, v41
	ds_load_2addr_b32 v[52:53], v79 offset1:1
	ds_load_2addr_b32 v[50:51], v79 offset0:2 offset1:3
	ds_load_2addr_b32 v[48:49], v79 offset0:4 offset1:5
	;; [unrolled: 1-line block ×3, first 2 shown]
	v_dual_mov_b32 v5, v41 :: v_dual_mov_b32 v6, v41
	v_dual_mov_b32 v7, v41 :: v_dual_mov_b32 v12, v41
	s_wait_alu 0xfffe
	s_lshl_b64 s[10:11], s[10:11], 3
	s_wait_loadcnt_dscnt 0x0
	s_wait_alu 0xfffe
	s_add_nc_u64 s[34:35], s[8:9], s[10:11]
	s_barrier_signal -1
	s_barrier_wait -1
	global_inv scope:SCOPE_SE
	s_and_saveexec_b32 s8, s0
	s_cbranch_execnz .LBB201_56
; %bb.21:
	s_wait_alu 0xfffe
	s_or_b32 exec_lo, exec_lo, s8
	s_and_saveexec_b32 s8, s1
	s_cbranch_execnz .LBB201_57
.LBB201_22:
	s_wait_alu 0xfffe
	s_or_b32 exec_lo, exec_lo, s8
	s_and_saveexec_b32 s8, s2
	s_cbranch_execnz .LBB201_58
.LBB201_23:
	s_wait_alu 0xfffe
	s_or_b32 exec_lo, exec_lo, s8
	s_and_saveexec_b32 s8, s3
	s_cbranch_execnz .LBB201_59
.LBB201_24:
	s_wait_alu 0xfffe
	s_or_b32 exec_lo, exec_lo, s8
	s_and_saveexec_b32 s8, s4
	s_cbranch_execnz .LBB201_60
.LBB201_25:
	s_wait_alu 0xfffe
	s_or_b32 exec_lo, exec_lo, s8
	s_and_saveexec_b32 s8, s5
	s_cbranch_execnz .LBB201_61
.LBB201_26:
	s_wait_alu 0xfffe
	s_or_b32 exec_lo, exec_lo, s8
	s_and_saveexec_b32 s8, s6
	s_cbranch_execnz .LBB201_62
.LBB201_27:
	s_wait_alu 0xfffe
	s_or_b32 exec_lo, exec_lo, s8
	s_xor_b32 s8, s12, -1
	s_and_saveexec_b32 s9, s7
	s_cbranch_execz .LBB201_29
.LBB201_28:
	v_mul_lo_u32 v11, s28, v21
	v_mov_b32_e32 v12, 0
	s_delay_alu instid0(VALU_DEP_1) | instskip(NEXT) | instid1(VALU_DEP_1)
	v_lshlrev_b64_e32 v[11:12], 3, v[11:12]
	v_add_co_u32 v11, vcc_lo, s34, v11
	s_wait_alu 0xfffd
	s_delay_alu instid0(VALU_DEP_2)
	v_add_co_ci_u32_e64 v12, null, s35, v12, vcc_lo
	global_load_b64 v[11:12], v[11:12], off
.LBB201_29:
	s_wait_alu 0xfffe
	s_or_b32 exec_lo, exec_lo, s9
	v_lshlrev_b32_e32 v80, 3, v26
	v_lshlrev_b32_e32 v83, 3, v23
	;; [unrolled: 1-line block ×9, first 2 shown]
	s_wait_loadcnt 0x0
	ds_store_b64 v80, v[13:14]
	ds_store_b64 v81, v[41:42] offset:2048
	ds_store_b64 v82, v[9:10] offset:4096
	;; [unrolled: 1-line block ×7, first 2 shown]
	s_wait_dscnt 0x0
	s_barrier_signal -1
	s_barrier_wait -1
	global_inv scope:SCOPE_SE
	ds_load_2addr_b64 v[20:23], v88 offset1:1
	ds_load_2addr_b64 v[16:19], v88 offset0:2 offset1:3
	ds_load_2addr_b64 v[12:15], v88 offset0:4 offset1:5
	;; [unrolled: 1-line block ×3, first 2 shown]
	s_and_b32 vcc_lo, exec_lo, s8
	v_bfe_u32 v95, v0, 10, 10
	v_bfe_u32 v96, v0, 20, 10
	v_mbcnt_lo_u32_b32 v93, -1, 0
	v_and_b32_e32 v94, 0x3e0, v45
	v_lshlrev_b32_e32 v89, 2, v91
	v_cmp_gt_u32_e64 s8, 8, v45
	v_cmp_lt_u32_e64 s9, 31, v45
	v_cmp_eq_u32_e64 s10, 0, v45
	v_lshlrev_b32_e32 v90, 2, v24
	v_mul_i32_i24_e32 v92, 0xffffffe4, v45
	s_wait_loadcnt_dscnt 0x0
	s_barrier_signal -1
	s_barrier_wait -1
	global_inv scope:SCOPE_SE
	s_wait_alu 0xfffe
	s_cbranch_vccz .LBB201_63
; %bb.30:
	v_cmp_lt_i32_e32 vcc_lo, -1, v52
	v_or_b32_e32 v7, v93, v94
	s_getpc_b64 s[12:13]
	s_sext_i32_i16 s13, s13
	s_add_co_u32 s12, s12, _ZN7rocprim17ROCPRIM_400000_NS16block_radix_sortIfLj256ELj8ElLj1ELj1ELj0ELNS0_26block_radix_rank_algorithmE1ELNS0_18block_padding_hintE2ELNS0_4arch9wavefront6targetE0EE19radix_bits_per_passE@rel32@lo+8
	s_add_co_ci_u32 s13, s13, _ZN7rocprim17ROCPRIM_400000_NS16block_radix_sortIfLj256ELj8ElLj1ELj1ELj0ELNS0_26block_radix_rank_algorithmE1ELNS0_18block_padding_hintE2ELNS0_4arch9wavefront6targetE0EE19radix_bits_per_passE@rel32@hi+16
	v_and_or_b32 v25, 0x1f00, v91, v93
	s_load_b32 s23, s[12:13], 0x0
	v_cndmask_b32_e64 v0, -1, 0x80000000, vcc_lo
	v_cmp_lt_i32_e32 vcc_lo, -1, v53
	v_lshlrev_b32_e32 v26, 5, v7
	s_mov_b32 s24, 0
	v_and_b32_e32 v36, 16, v93
	v_xor_b32_e32 v0, v0, v52
	s_wait_alu 0xfffd
	v_cndmask_b32_e64 v1, -1, 0x80000000, vcc_lo
	v_cmp_lt_i32_e32 vcc_lo, -1, v50
	s_mov_b32 s25, s24
	s_mov_b32 s26, s24
	;; [unrolled: 1-line block ×3, first 2 shown]
	v_xor_b32_e32 v1, v1, v53
	s_wait_alu 0xfffd
	v_cndmask_b32_e64 v2, -1, 0x80000000, vcc_lo
	v_cmp_lt_i32_e32 vcc_lo, -1, v51
	v_lshlrev_b32_e32 v97, 2, v25
	v_and_b32_e32 v37, 7, v93
	v_cmp_eq_u32_e64 s16, 0, v36
	v_xor_b32_e32 v2, v2, v50
	s_wait_alu 0xfffd
	v_cndmask_b32_e64 v3, -1, 0x80000000, vcc_lo
	v_cmp_lt_i32_e32 vcc_lo, -1, v48
	v_add_nc_u32_e32 v98, v97, v97
	v_add_nc_u32_e32 v101, v89, v92
	s_delay_alu instid0(VALU_DEP_4) | instskip(SKIP_3) | instid1(VALU_DEP_2)
	v_xor_b32_e32 v3, v3, v51
	s_wait_alu 0xfffd
	v_cndmask_b32_e64 v4, -1, 0x80000000, vcc_lo
	v_cmp_lt_i32_e32 vcc_lo, -1, v49
	v_xor_b32_e32 v4, v4, v48
	s_wait_alu 0xfffd
	v_cndmask_b32_e64 v5, -1, 0x80000000, vcc_lo
	v_cmp_lt_i32_e32 vcc_lo, -1, v46
	s_delay_alu instid0(VALU_DEP_2) | instskip(SKIP_3) | instid1(VALU_DEP_2)
	v_xor_b32_e32 v5, v5, v49
	s_wait_alu 0xfffd
	v_cndmask_b32_e64 v6, -1, 0x80000000, vcc_lo
	v_cmp_lt_i32_e32 vcc_lo, -1, v47
	v_xor_b32_e32 v6, v6, v46
	s_wait_alu 0xfffd
	v_cndmask_b32_e64 v24, -1, 0x80000000, vcc_lo
	s_delay_alu instid0(VALU_DEP_1)
	v_xor_b32_e32 v7, v24, v47
	ds_store_b128 v26, v[0:3]
	ds_store_b128 v26, v[4:7] offset:16
	v_sub_co_u32 v3, s12, v93, 1
	; wave barrier
	ds_load_2addr_b32 v[64:65], v97 offset1:32
	ds_load_2addr_b32 v[66:67], v97 offset0:64 offset1:96
	ds_load_2addr_b32 v[68:69], v97 offset0:128 offset1:160
	;; [unrolled: 1-line block ×3, first 2 shown]
	v_cmp_gt_i32_e32 vcc_lo, 0, v3
	s_wait_loadcnt_dscnt 0x0
	s_barrier_signal -1
	s_barrier_wait -1
	global_inv scope:SCOPE_SE
	s_wait_alu 0xfffd
	v_dual_cndmask_b32 v3, v3, v93 :: v_dual_add_nc_u32 v0, v26, v26
	ds_store_b128 v0, v[20:23]
	ds_store_b128 v0, v[16:19] offset:16
	ds_store_b128 v0, v[12:15] offset:32
	;; [unrolled: 1-line block ×3, first 2 shown]
	; wave barrier
	ds_load_2addr_b64 v[4:7], v98 offset1:32
	ds_load_2addr_b64 v[24:27], v98 offset0:64 offset1:96
	ds_load_2addr_b64 v[28:31], v98 offset0:128 offset1:160
	;; [unrolled: 1-line block ×3, first 2 shown]
	s_wait_loadcnt_dscnt 0x0
	s_barrier_signal -1
	s_barrier_wait -1
	global_inv scope:SCOPE_SE
	s_load_b32 s11, s[36:37], 0xc
	v_and_b32_e32 v2, 15, v93
	v_lshlrev_b32_e32 v99, 2, v3
	s_delay_alu instid0(VALU_DEP_2)
	v_cmp_lt_u32_e64 s13, 1, v2
	v_cmp_lt_u32_e64 s15, 7, v2
	s_wait_kmcnt 0x0
	s_lshr_b32 s14, s11, 16
	s_and_b32 s11, s11, 0xffff
	v_mad_u32_u24 v0, v96, s14, v95
	v_cmp_lt_u32_e64 s14, 3, v2
	s_wait_alu 0xfffe
	s_delay_alu instid0(VALU_DEP_2) | instskip(SKIP_2) | instid1(VALU_DEP_2)
	v_mad_co_u64_u32 v[0:1], null, v0, s11, v[45:46]
	v_min_u32_e32 v1, 0xe0, v94
	v_cmp_eq_u32_e64 s11, 0, v2
	v_or_b32_e32 v1, 31, v1
	s_delay_alu instid0(VALU_DEP_4) | instskip(NEXT) | instid1(VALU_DEP_2)
	v_lshrrev_b32_e32 v0, 3, v0
	v_cmp_eq_u32_e64 s17, v45, v1
	s_delay_alu instid0(VALU_DEP_2)
	v_and_b32_e32 v100, 0x1ffffffc, v0
	v_dual_mov_b32 v0, s24 :: v_dual_mov_b32 v1, s25
	v_mov_b32_e32 v2, s26
	v_cmp_eq_u32_e64 s18, 0, v37
	v_cmp_lt_u32_e64 s19, 1, v37
	v_cmp_lt_u32_e64 s20, 3, v37
	v_mov_b32_e32 v3, s27
	s_mov_b32 s25, 32
	s_branch .LBB201_32
.LBB201_31:                             ;   in Loop: Header=BB201_32 Depth=1
	s_wait_alu 0xfffe
	s_and_not1_b32 vcc_lo, exec_lo, s21
	s_wait_alu 0xfffe
	s_cbranch_vccz .LBB201_64
.LBB201_32:                             ; =>This Inner Loop Header: Depth=1
	v_dual_mov_b32 v102, v64 :: v_dual_mov_b32 v103, v71
	s_wait_alu 0xfffe
	s_min_u32 s21, s23, s25
	ds_store_b128 v89, v[0:3] offset:32
	ds_store_b128 v89, v[0:3] offset:48
	s_wait_alu 0xfffe
	s_lshl_b32 s21, -1, s21
	v_cmp_ne_u32_e32 vcc_lo, 0x7fffffff, v102
	s_wait_alu 0xfffe
	s_not_b32 s26, s21
	s_wait_loadcnt_dscnt 0x0
	s_barrier_signal -1
	s_barrier_wait -1
	s_wait_alu 0xfffd
	v_dual_cndmask_b32 v36, 0x80000000, v102 :: v_dual_mov_b32 v105, v69
	global_inv scope:SCOPE_SE
	; wave barrier
	v_lshrrev_b32_e32 v36, s24, v36
	v_mov_b32_e32 v107, v67
	v_dual_mov_b32 v109, v65 :: v_dual_mov_b32 v106, v68
	v_mov_b32_e32 v108, v66
	s_wait_alu 0xfffe
	v_and_b32_e32 v64, s26, v36
	v_dual_mov_b32 v104, v70 :: v_dual_mov_b32 v59, v25
	v_dual_mov_b32 v58, v24 :: v_dual_mov_b32 v61, v7
	s_delay_alu instid0(VALU_DEP_3)
	v_and_b32_e32 v36, 1, v64
	v_lshlrev_b32_e32 v37, 30, v64
	v_lshlrev_b32_e32 v38, 29, v64
	;; [unrolled: 1-line block ×4, first 2 shown]
	v_add_co_u32 v36, s21, v36, -1
	s_wait_alu 0xf1ff
	v_cndmask_b32_e64 v41, 0, 1, s21
	v_not_b32_e32 v56, v37
	v_cmp_gt_i32_e64 s21, 0, v37
	v_not_b32_e32 v37, v38
	v_lshlrev_b32_e32 v54, 26, v64
	v_cmp_ne_u32_e32 vcc_lo, 0, v41
	v_ashrrev_i32_e32 v56, 31, v56
	v_lshlrev_b32_e32 v55, 25, v64
	v_ashrrev_i32_e32 v37, 31, v37
	v_lshlrev_b32_e32 v41, 24, v64
	s_wait_alu 0xfffd
	v_xor_b32_e32 v36, vcc_lo, v36
	v_cmp_gt_i32_e32 vcc_lo, 0, v38
	v_not_b32_e32 v38, v39
	s_wait_alu 0xf1ff
	v_xor_b32_e32 v56, s21, v56
	v_cmp_gt_i32_e64 s21, 0, v39
	v_and_b32_e32 v36, exec_lo, v36
	v_not_b32_e32 v39, v42
	v_ashrrev_i32_e32 v38, 31, v38
	s_wait_alu 0xfffd
	v_xor_b32_e32 v37, vcc_lo, v37
	v_cmp_gt_i32_e32 vcc_lo, 0, v42
	v_and_b32_e32 v36, v36, v56
	v_not_b32_e32 v42, v54
	v_ashrrev_i32_e32 v39, 31, v39
	s_wait_alu 0xf1ff
	v_xor_b32_e32 v38, s21, v38
	v_cmp_gt_i32_e64 s21, 0, v54
	v_and_b32_e32 v36, v36, v37
	v_not_b32_e32 v37, v55
	v_ashrrev_i32_e32 v42, 31, v42
	s_wait_alu 0xfffd
	v_xor_b32_e32 v39, vcc_lo, v39
	v_cmp_gt_i32_e32 vcc_lo, 0, v55
	v_and_b32_e32 v36, v36, v38
	v_ashrrev_i32_e32 v37, 31, v37
	s_wait_alu 0xf1ff
	v_xor_b32_e32 v42, s21, v42
	v_dual_mov_b32 v55, v29 :: v_dual_mov_b32 v54, v28
	v_dual_mov_b32 v63, v5 :: v_dual_and_b32 v36, v36, v39
	s_wait_alu 0xfffd
	v_xor_b32_e32 v37, vcc_lo, v37
	v_mov_b32_e32 v62, v4
	v_lshlrev_b32_e32 v4, 5, v64
	v_and_b32_e32 v36, v36, v42
	s_delay_alu instid0(VALU_DEP_2) | instskip(NEXT) | instid1(VALU_DEP_2)
	v_dual_mov_b32 v60, v6 :: v_dual_add_nc_u32 v29, v100, v4
	v_and_b32_e32 v57, v36, v37
	v_dual_mov_b32 v37, v35 :: v_dual_mov_b32 v36, v34
	v_not_b32_e32 v38, v41
	v_cmp_gt_i32_e64 s21, 0, v41
	v_dual_mov_b32 v42, v31 :: v_dual_mov_b32 v41, v30
	s_delay_alu instid0(VALU_DEP_3) | instskip(SKIP_1) | instid1(VALU_DEP_1)
	v_ashrrev_i32_e32 v38, 31, v38
	s_wait_alu 0xf1ff
	v_xor_b32_e32 v56, s21, v38
	v_dual_mov_b32 v39, v33 :: v_dual_mov_b32 v38, v32
	s_delay_alu instid0(VALU_DEP_2) | instskip(SKIP_1) | instid1(VALU_DEP_2)
	v_dual_mov_b32 v57, v27 :: v_dual_and_b32 v30, v57, v56
	v_mov_b32_e32 v56, v26
	v_mbcnt_lo_u32_b32 v28, v30, 0
	v_cmp_ne_u32_e64 s21, 0, v30
	s_delay_alu instid0(VALU_DEP_2)
	v_cmp_eq_u32_e32 vcc_lo, 0, v28
	s_and_b32 s27, s21, vcc_lo
	s_wait_alu 0xfffe
	s_and_saveexec_b32 s21, s27
; %bb.33:                               ;   in Loop: Header=BB201_32 Depth=1
	v_bcnt_u32_b32 v4, v30, 0
	ds_store_b32 v29, v4 offset:32
; %bb.34:                               ;   in Loop: Header=BB201_32 Depth=1
	s_wait_alu 0xfffe
	s_or_b32 exec_lo, exec_lo, s21
	v_cmp_ne_u32_e32 vcc_lo, 0x7fffffff, v109
	; wave barrier
	s_wait_alu 0xfffd
	v_cndmask_b32_e32 v4, 0x80000000, v109, vcc_lo
	s_delay_alu instid0(VALU_DEP_1) | instskip(NEXT) | instid1(VALU_DEP_1)
	v_lshrrev_b32_e32 v4, s24, v4
	v_and_b32_e32 v4, s26, v4
	s_delay_alu instid0(VALU_DEP_1)
	v_and_b32_e32 v5, 1, v4
	v_lshlrev_b32_e32 v6, 30, v4
	v_lshlrev_b32_e32 v7, 29, v4
	;; [unrolled: 1-line block ×4, first 2 shown]
	v_add_co_u32 v5, s21, v5, -1
	s_wait_alu 0xf1ff
	v_cndmask_b32_e64 v25, 0, 1, s21
	v_not_b32_e32 v31, v6
	v_cmp_gt_i32_e64 s21, 0, v6
	v_not_b32_e32 v6, v7
	v_lshlrev_b32_e32 v27, 26, v4
	v_cmp_ne_u32_e32 vcc_lo, 0, v25
	v_ashrrev_i32_e32 v31, 31, v31
	v_lshlrev_b32_e32 v30, 25, v4
	v_ashrrev_i32_e32 v6, 31, v6
	v_lshlrev_b32_e32 v25, 24, v4
	s_wait_alu 0xfffd
	v_xor_b32_e32 v5, vcc_lo, v5
	v_cmp_gt_i32_e32 vcc_lo, 0, v7
	v_not_b32_e32 v7, v24
	s_wait_alu 0xf1ff
	v_xor_b32_e32 v31, s21, v31
	v_cmp_gt_i32_e64 s21, 0, v24
	v_and_b32_e32 v5, exec_lo, v5
	v_not_b32_e32 v24, v26
	v_ashrrev_i32_e32 v7, 31, v7
	s_wait_alu 0xfffd
	v_xor_b32_e32 v6, vcc_lo, v6
	v_cmp_gt_i32_e32 vcc_lo, 0, v26
	v_and_b32_e32 v5, v5, v31
	v_not_b32_e32 v26, v27
	v_ashrrev_i32_e32 v24, 31, v24
	s_wait_alu 0xf1ff
	v_xor_b32_e32 v7, s21, v7
	v_cmp_gt_i32_e64 s21, 0, v27
	v_and_b32_e32 v5, v5, v6
	v_not_b32_e32 v6, v30
	v_ashrrev_i32_e32 v26, 31, v26
	s_wait_alu 0xfffd
	v_xor_b32_e32 v24, vcc_lo, v24
	v_cmp_gt_i32_e32 vcc_lo, 0, v30
	v_and_b32_e32 v5, v5, v7
	v_not_b32_e32 v7, v25
	v_ashrrev_i32_e32 v6, 31, v6
	s_wait_alu 0xf1ff
	v_xor_b32_e32 v26, s21, v26
	v_lshlrev_b32_e32 v4, 5, v4
	v_and_b32_e32 v5, v5, v24
	v_cmp_gt_i32_e64 s21, 0, v25
	v_ashrrev_i32_e32 v7, 31, v7
	s_wait_alu 0xfffd
	v_xor_b32_e32 v6, vcc_lo, v6
	v_add_nc_u32_e32 v32, v100, v4
	v_and_b32_e32 v5, v5, v26
	s_wait_alu 0xf1ff
	v_xor_b32_e32 v4, s21, v7
	ds_load_b32 v30, v32 offset:32
	v_and_b32_e32 v5, v5, v6
	; wave barrier
	s_delay_alu instid0(VALU_DEP_1) | instskip(NEXT) | instid1(VALU_DEP_1)
	v_and_b32_e32 v4, v5, v4
	v_mbcnt_lo_u32_b32 v31, v4, 0
	v_cmp_ne_u32_e64 s21, 0, v4
	s_delay_alu instid0(VALU_DEP_2)
	v_cmp_eq_u32_e32 vcc_lo, 0, v31
	s_and_b32 s27, s21, vcc_lo
	s_wait_alu 0xfffe
	s_and_saveexec_b32 s21, s27
	s_cbranch_execz .LBB201_36
; %bb.35:                               ;   in Loop: Header=BB201_32 Depth=1
	s_wait_dscnt 0x0
	v_bcnt_u32_b32 v4, v4, v30
	ds_store_b32 v32, v4 offset:32
.LBB201_36:                             ;   in Loop: Header=BB201_32 Depth=1
	s_wait_alu 0xfffe
	s_or_b32 exec_lo, exec_lo, s21
	v_cmp_ne_u32_e32 vcc_lo, 0x7fffffff, v108
	; wave barrier
	s_wait_alu 0xfffd
	v_cndmask_b32_e32 v4, 0x80000000, v108, vcc_lo
	s_delay_alu instid0(VALU_DEP_1) | instskip(NEXT) | instid1(VALU_DEP_1)
	v_lshrrev_b32_e32 v4, s24, v4
	v_and_b32_e32 v4, s26, v4
	s_delay_alu instid0(VALU_DEP_1)
	v_and_b32_e32 v5, 1, v4
	v_lshlrev_b32_e32 v6, 30, v4
	v_lshlrev_b32_e32 v7, 29, v4
	;; [unrolled: 1-line block ×4, first 2 shown]
	v_add_co_u32 v5, s21, v5, -1
	s_wait_alu 0xf1ff
	v_cndmask_b32_e64 v25, 0, 1, s21
	v_not_b32_e32 v34, v6
	v_cmp_gt_i32_e64 s21, 0, v6
	v_not_b32_e32 v6, v7
	v_lshlrev_b32_e32 v27, 26, v4
	v_cmp_ne_u32_e32 vcc_lo, 0, v25
	v_ashrrev_i32_e32 v34, 31, v34
	v_lshlrev_b32_e32 v33, 25, v4
	v_ashrrev_i32_e32 v6, 31, v6
	v_lshlrev_b32_e32 v25, 24, v4
	s_wait_alu 0xfffd
	v_xor_b32_e32 v5, vcc_lo, v5
	v_cmp_gt_i32_e32 vcc_lo, 0, v7
	v_not_b32_e32 v7, v24
	s_wait_alu 0xf1ff
	v_xor_b32_e32 v34, s21, v34
	v_cmp_gt_i32_e64 s21, 0, v24
	v_and_b32_e32 v5, exec_lo, v5
	v_not_b32_e32 v24, v26
	v_ashrrev_i32_e32 v7, 31, v7
	s_wait_alu 0xfffd
	v_xor_b32_e32 v6, vcc_lo, v6
	v_cmp_gt_i32_e32 vcc_lo, 0, v26
	v_and_b32_e32 v5, v5, v34
	v_not_b32_e32 v26, v27
	v_ashrrev_i32_e32 v24, 31, v24
	s_wait_alu 0xf1ff
	v_xor_b32_e32 v7, s21, v7
	v_cmp_gt_i32_e64 s21, 0, v27
	v_and_b32_e32 v5, v5, v6
	v_not_b32_e32 v6, v33
	v_ashrrev_i32_e32 v26, 31, v26
	s_wait_alu 0xfffd
	v_xor_b32_e32 v24, vcc_lo, v24
	v_cmp_gt_i32_e32 vcc_lo, 0, v33
	v_and_b32_e32 v5, v5, v7
	v_not_b32_e32 v7, v25
	v_ashrrev_i32_e32 v6, 31, v6
	s_wait_alu 0xf1ff
	v_xor_b32_e32 v26, s21, v26
	v_lshlrev_b32_e32 v4, 5, v4
	v_and_b32_e32 v5, v5, v24
	v_cmp_gt_i32_e64 s21, 0, v25
	v_ashrrev_i32_e32 v7, 31, v7
	s_wait_alu 0xfffd
	v_xor_b32_e32 v6, vcc_lo, v6
	v_add_nc_u32_e32 v35, v100, v4
	v_and_b32_e32 v5, v5, v26
	s_wait_alu 0xf1ff
	v_xor_b32_e32 v4, s21, v7
	ds_load_b32 v33, v35 offset:32
	v_and_b32_e32 v5, v5, v6
	; wave barrier
	s_delay_alu instid0(VALU_DEP_1) | instskip(NEXT) | instid1(VALU_DEP_1)
	v_and_b32_e32 v4, v5, v4
	v_mbcnt_lo_u32_b32 v34, v4, 0
	v_cmp_ne_u32_e64 s21, 0, v4
	s_delay_alu instid0(VALU_DEP_2)
	v_cmp_eq_u32_e32 vcc_lo, 0, v34
	s_and_b32 s27, s21, vcc_lo
	s_wait_alu 0xfffe
	s_and_saveexec_b32 s21, s27
	s_cbranch_execz .LBB201_38
; %bb.37:                               ;   in Loop: Header=BB201_32 Depth=1
	s_wait_dscnt 0x0
	v_bcnt_u32_b32 v4, v4, v33
	ds_store_b32 v35, v4 offset:32
.LBB201_38:                             ;   in Loop: Header=BB201_32 Depth=1
	s_wait_alu 0xfffe
	s_or_b32 exec_lo, exec_lo, s21
	v_cmp_ne_u32_e32 vcc_lo, 0x7fffffff, v107
	; wave barrier
	s_wait_alu 0xfffd
	v_cndmask_b32_e32 v4, 0x80000000, v107, vcc_lo
	s_delay_alu instid0(VALU_DEP_1) | instskip(NEXT) | instid1(VALU_DEP_1)
	v_lshrrev_b32_e32 v4, s24, v4
	v_and_b32_e32 v4, s26, v4
	s_delay_alu instid0(VALU_DEP_1)
	v_and_b32_e32 v5, 1, v4
	v_lshlrev_b32_e32 v6, 30, v4
	v_lshlrev_b32_e32 v7, 29, v4
	;; [unrolled: 1-line block ×4, first 2 shown]
	v_add_co_u32 v5, s21, v5, -1
	s_wait_alu 0xf1ff
	v_cndmask_b32_e64 v25, 0, 1, s21
	v_not_b32_e32 v65, v6
	v_cmp_gt_i32_e64 s21, 0, v6
	v_not_b32_e32 v6, v7
	v_lshlrev_b32_e32 v27, 26, v4
	v_cmp_ne_u32_e32 vcc_lo, 0, v25
	v_ashrrev_i32_e32 v65, 31, v65
	v_lshlrev_b32_e32 v64, 25, v4
	v_ashrrev_i32_e32 v6, 31, v6
	v_lshlrev_b32_e32 v25, 24, v4
	s_wait_alu 0xfffd
	v_xor_b32_e32 v5, vcc_lo, v5
	v_cmp_gt_i32_e32 vcc_lo, 0, v7
	v_not_b32_e32 v7, v24
	s_wait_alu 0xf1ff
	v_xor_b32_e32 v65, s21, v65
	v_cmp_gt_i32_e64 s21, 0, v24
	v_and_b32_e32 v5, exec_lo, v5
	v_not_b32_e32 v24, v26
	v_ashrrev_i32_e32 v7, 31, v7
	s_wait_alu 0xfffd
	v_xor_b32_e32 v6, vcc_lo, v6
	v_cmp_gt_i32_e32 vcc_lo, 0, v26
	v_and_b32_e32 v5, v5, v65
	v_not_b32_e32 v26, v27
	v_ashrrev_i32_e32 v24, 31, v24
	s_wait_alu 0xf1ff
	v_xor_b32_e32 v7, s21, v7
	v_cmp_gt_i32_e64 s21, 0, v27
	v_and_b32_e32 v5, v5, v6
	v_not_b32_e32 v6, v64
	v_ashrrev_i32_e32 v26, 31, v26
	s_wait_alu 0xfffd
	v_xor_b32_e32 v24, vcc_lo, v24
	v_cmp_gt_i32_e32 vcc_lo, 0, v64
	v_and_b32_e32 v5, v5, v7
	v_not_b32_e32 v7, v25
	v_ashrrev_i32_e32 v6, 31, v6
	s_wait_alu 0xf1ff
	v_xor_b32_e32 v26, s21, v26
	v_lshlrev_b32_e32 v4, 5, v4
	v_and_b32_e32 v5, v5, v24
	v_cmp_gt_i32_e64 s21, 0, v25
	v_ashrrev_i32_e32 v7, 31, v7
	s_wait_alu 0xfffd
	v_xor_b32_e32 v6, vcc_lo, v6
	v_add_nc_u32_e32 v66, v100, v4
	v_and_b32_e32 v5, v5, v26
	s_wait_alu 0xf1ff
	v_xor_b32_e32 v4, s21, v7
	ds_load_b32 v64, v66 offset:32
	v_and_b32_e32 v5, v5, v6
	; wave barrier
	s_delay_alu instid0(VALU_DEP_1) | instskip(NEXT) | instid1(VALU_DEP_1)
	v_and_b32_e32 v4, v5, v4
	v_mbcnt_lo_u32_b32 v65, v4, 0
	v_cmp_ne_u32_e64 s21, 0, v4
	s_delay_alu instid0(VALU_DEP_2)
	v_cmp_eq_u32_e32 vcc_lo, 0, v65
	s_and_b32 s27, s21, vcc_lo
	s_wait_alu 0xfffe
	s_and_saveexec_b32 s21, s27
	s_cbranch_execz .LBB201_40
; %bb.39:                               ;   in Loop: Header=BB201_32 Depth=1
	s_wait_dscnt 0x0
	v_bcnt_u32_b32 v4, v4, v64
	ds_store_b32 v66, v4 offset:32
.LBB201_40:                             ;   in Loop: Header=BB201_32 Depth=1
	s_wait_alu 0xfffe
	s_or_b32 exec_lo, exec_lo, s21
	v_cmp_ne_u32_e32 vcc_lo, 0x7fffffff, v106
	; wave barrier
	s_wait_alu 0xfffd
	v_cndmask_b32_e32 v4, 0x80000000, v106, vcc_lo
	s_delay_alu instid0(VALU_DEP_1) | instskip(NEXT) | instid1(VALU_DEP_1)
	v_lshrrev_b32_e32 v4, s24, v4
	v_and_b32_e32 v4, s26, v4
	s_delay_alu instid0(VALU_DEP_1)
	v_and_b32_e32 v5, 1, v4
	v_lshlrev_b32_e32 v6, 30, v4
	v_lshlrev_b32_e32 v7, 29, v4
	v_lshlrev_b32_e32 v24, 28, v4
	v_lshlrev_b32_e32 v26, 27, v4
	v_add_co_u32 v5, s21, v5, -1
	s_wait_alu 0xf1ff
	v_cndmask_b32_e64 v25, 0, 1, s21
	v_not_b32_e32 v68, v6
	v_cmp_gt_i32_e64 s21, 0, v6
	v_not_b32_e32 v6, v7
	v_lshlrev_b32_e32 v27, 26, v4
	v_cmp_ne_u32_e32 vcc_lo, 0, v25
	v_ashrrev_i32_e32 v68, 31, v68
	v_lshlrev_b32_e32 v67, 25, v4
	v_ashrrev_i32_e32 v6, 31, v6
	v_lshlrev_b32_e32 v25, 24, v4
	s_wait_alu 0xfffd
	v_xor_b32_e32 v5, vcc_lo, v5
	v_cmp_gt_i32_e32 vcc_lo, 0, v7
	v_not_b32_e32 v7, v24
	s_wait_alu 0xf1ff
	v_xor_b32_e32 v68, s21, v68
	v_cmp_gt_i32_e64 s21, 0, v24
	v_and_b32_e32 v5, exec_lo, v5
	v_not_b32_e32 v24, v26
	v_ashrrev_i32_e32 v7, 31, v7
	s_wait_alu 0xfffd
	v_xor_b32_e32 v6, vcc_lo, v6
	v_cmp_gt_i32_e32 vcc_lo, 0, v26
	v_and_b32_e32 v5, v5, v68
	v_not_b32_e32 v26, v27
	v_ashrrev_i32_e32 v24, 31, v24
	s_wait_alu 0xf1ff
	v_xor_b32_e32 v7, s21, v7
	v_cmp_gt_i32_e64 s21, 0, v27
	v_and_b32_e32 v5, v5, v6
	v_not_b32_e32 v6, v67
	v_ashrrev_i32_e32 v26, 31, v26
	s_wait_alu 0xfffd
	v_xor_b32_e32 v24, vcc_lo, v24
	v_cmp_gt_i32_e32 vcc_lo, 0, v67
	v_and_b32_e32 v5, v5, v7
	v_not_b32_e32 v7, v25
	v_ashrrev_i32_e32 v6, 31, v6
	s_wait_alu 0xf1ff
	v_xor_b32_e32 v26, s21, v26
	v_lshlrev_b32_e32 v4, 5, v4
	v_and_b32_e32 v5, v5, v24
	v_cmp_gt_i32_e64 s21, 0, v25
	v_ashrrev_i32_e32 v7, 31, v7
	s_wait_alu 0xfffd
	v_xor_b32_e32 v6, vcc_lo, v6
	v_add_nc_u32_e32 v69, v100, v4
	v_and_b32_e32 v5, v5, v26
	s_wait_alu 0xf1ff
	v_xor_b32_e32 v4, s21, v7
	ds_load_b32 v67, v69 offset:32
	v_and_b32_e32 v5, v5, v6
	; wave barrier
	s_delay_alu instid0(VALU_DEP_1) | instskip(NEXT) | instid1(VALU_DEP_1)
	v_and_b32_e32 v4, v5, v4
	v_mbcnt_lo_u32_b32 v68, v4, 0
	v_cmp_ne_u32_e64 s21, 0, v4
	s_delay_alu instid0(VALU_DEP_2)
	v_cmp_eq_u32_e32 vcc_lo, 0, v68
	s_and_b32 s27, s21, vcc_lo
	s_wait_alu 0xfffe
	s_and_saveexec_b32 s21, s27
	s_cbranch_execz .LBB201_42
; %bb.41:                               ;   in Loop: Header=BB201_32 Depth=1
	s_wait_dscnt 0x0
	v_bcnt_u32_b32 v4, v4, v67
	ds_store_b32 v69, v4 offset:32
.LBB201_42:                             ;   in Loop: Header=BB201_32 Depth=1
	s_wait_alu 0xfffe
	s_or_b32 exec_lo, exec_lo, s21
	v_cmp_ne_u32_e32 vcc_lo, 0x7fffffff, v105
	; wave barrier
	s_wait_alu 0xfffd
	v_cndmask_b32_e32 v4, 0x80000000, v105, vcc_lo
	s_delay_alu instid0(VALU_DEP_1) | instskip(NEXT) | instid1(VALU_DEP_1)
	v_lshrrev_b32_e32 v4, s24, v4
	v_and_b32_e32 v4, s26, v4
	s_delay_alu instid0(VALU_DEP_1)
	v_and_b32_e32 v5, 1, v4
	v_lshlrev_b32_e32 v6, 30, v4
	v_lshlrev_b32_e32 v7, 29, v4
	;; [unrolled: 1-line block ×4, first 2 shown]
	v_add_co_u32 v5, s21, v5, -1
	s_wait_alu 0xf1ff
	v_cndmask_b32_e64 v25, 0, 1, s21
	v_not_b32_e32 v71, v6
	v_cmp_gt_i32_e64 s21, 0, v6
	v_not_b32_e32 v6, v7
	v_lshlrev_b32_e32 v27, 26, v4
	v_cmp_ne_u32_e32 vcc_lo, 0, v25
	v_ashrrev_i32_e32 v71, 31, v71
	v_lshlrev_b32_e32 v70, 25, v4
	v_ashrrev_i32_e32 v6, 31, v6
	v_lshlrev_b32_e32 v25, 24, v4
	s_wait_alu 0xfffd
	v_xor_b32_e32 v5, vcc_lo, v5
	v_cmp_gt_i32_e32 vcc_lo, 0, v7
	v_not_b32_e32 v7, v24
	s_wait_alu 0xf1ff
	v_xor_b32_e32 v71, s21, v71
	v_cmp_gt_i32_e64 s21, 0, v24
	v_and_b32_e32 v5, exec_lo, v5
	v_not_b32_e32 v24, v26
	v_ashrrev_i32_e32 v7, 31, v7
	s_wait_alu 0xfffd
	v_xor_b32_e32 v6, vcc_lo, v6
	v_cmp_gt_i32_e32 vcc_lo, 0, v26
	v_and_b32_e32 v5, v5, v71
	v_not_b32_e32 v26, v27
	v_ashrrev_i32_e32 v24, 31, v24
	s_wait_alu 0xf1ff
	v_xor_b32_e32 v7, s21, v7
	v_cmp_gt_i32_e64 s21, 0, v27
	v_and_b32_e32 v5, v5, v6
	v_not_b32_e32 v6, v70
	v_ashrrev_i32_e32 v26, 31, v26
	s_wait_alu 0xfffd
	v_xor_b32_e32 v24, vcc_lo, v24
	v_cmp_gt_i32_e32 vcc_lo, 0, v70
	v_and_b32_e32 v5, v5, v7
	v_not_b32_e32 v7, v25
	v_ashrrev_i32_e32 v6, 31, v6
	s_wait_alu 0xf1ff
	v_xor_b32_e32 v26, s21, v26
	v_lshlrev_b32_e32 v4, 5, v4
	v_and_b32_e32 v5, v5, v24
	v_cmp_gt_i32_e64 s21, 0, v25
	v_ashrrev_i32_e32 v7, 31, v7
	s_wait_alu 0xfffd
	v_xor_b32_e32 v6, vcc_lo, v6
	v_add_nc_u32_e32 v71, v100, v4
	v_and_b32_e32 v5, v5, v26
	s_wait_alu 0xf1ff
	v_xor_b32_e32 v4, s21, v7
	ds_load_b32 v70, v71 offset:32
	v_and_b32_e32 v5, v5, v6
	; wave barrier
	s_delay_alu instid0(VALU_DEP_1) | instskip(NEXT) | instid1(VALU_DEP_1)
	v_and_b32_e32 v4, v5, v4
	v_mbcnt_lo_u32_b32 v110, v4, 0
	v_cmp_ne_u32_e64 s21, 0, v4
	s_delay_alu instid0(VALU_DEP_2)
	v_cmp_eq_u32_e32 vcc_lo, 0, v110
	s_and_b32 s27, s21, vcc_lo
	s_wait_alu 0xfffe
	s_and_saveexec_b32 s21, s27
	s_cbranch_execz .LBB201_44
; %bb.43:                               ;   in Loop: Header=BB201_32 Depth=1
	s_wait_dscnt 0x0
	v_bcnt_u32_b32 v4, v4, v70
	ds_store_b32 v71, v4 offset:32
.LBB201_44:                             ;   in Loop: Header=BB201_32 Depth=1
	s_wait_alu 0xfffe
	s_or_b32 exec_lo, exec_lo, s21
	v_cmp_ne_u32_e32 vcc_lo, 0x7fffffff, v104
	; wave barrier
	s_wait_alu 0xfffd
	v_cndmask_b32_e32 v4, 0x80000000, v104, vcc_lo
	s_delay_alu instid0(VALU_DEP_1) | instskip(NEXT) | instid1(VALU_DEP_1)
	v_lshrrev_b32_e32 v4, s24, v4
	v_and_b32_e32 v4, s26, v4
	s_delay_alu instid0(VALU_DEP_1)
	v_and_b32_e32 v5, 1, v4
	v_lshlrev_b32_e32 v6, 30, v4
	v_lshlrev_b32_e32 v7, 29, v4
	;; [unrolled: 1-line block ×4, first 2 shown]
	v_add_co_u32 v5, s21, v5, -1
	s_wait_alu 0xf1ff
	v_cndmask_b32_e64 v25, 0, 1, s21
	v_not_b32_e32 v112, v6
	v_cmp_gt_i32_e64 s21, 0, v6
	v_not_b32_e32 v6, v7
	v_lshlrev_b32_e32 v27, 26, v4
	v_cmp_ne_u32_e32 vcc_lo, 0, v25
	v_ashrrev_i32_e32 v112, 31, v112
	v_lshlrev_b32_e32 v111, 25, v4
	v_ashrrev_i32_e32 v6, 31, v6
	v_lshlrev_b32_e32 v25, 24, v4
	s_wait_alu 0xfffd
	v_xor_b32_e32 v5, vcc_lo, v5
	v_cmp_gt_i32_e32 vcc_lo, 0, v7
	v_not_b32_e32 v7, v24
	s_wait_alu 0xf1ff
	v_xor_b32_e32 v112, s21, v112
	v_cmp_gt_i32_e64 s21, 0, v24
	v_and_b32_e32 v5, exec_lo, v5
	v_not_b32_e32 v24, v26
	v_ashrrev_i32_e32 v7, 31, v7
	s_wait_alu 0xfffd
	v_xor_b32_e32 v6, vcc_lo, v6
	v_cmp_gt_i32_e32 vcc_lo, 0, v26
	v_and_b32_e32 v5, v5, v112
	v_not_b32_e32 v26, v27
	v_ashrrev_i32_e32 v24, 31, v24
	s_wait_alu 0xf1ff
	v_xor_b32_e32 v7, s21, v7
	v_cmp_gt_i32_e64 s21, 0, v27
	v_and_b32_e32 v5, v5, v6
	v_not_b32_e32 v6, v111
	v_ashrrev_i32_e32 v26, 31, v26
	s_wait_alu 0xfffd
	v_xor_b32_e32 v24, vcc_lo, v24
	v_cmp_gt_i32_e32 vcc_lo, 0, v111
	v_and_b32_e32 v5, v5, v7
	v_not_b32_e32 v7, v25
	v_ashrrev_i32_e32 v6, 31, v6
	s_wait_alu 0xf1ff
	v_xor_b32_e32 v26, s21, v26
	v_lshlrev_b32_e32 v4, 5, v4
	v_and_b32_e32 v5, v5, v24
	v_cmp_gt_i32_e64 s21, 0, v25
	v_ashrrev_i32_e32 v7, 31, v7
	s_wait_alu 0xfffd
	v_xor_b32_e32 v6, vcc_lo, v6
	v_add_nc_u32_e32 v112, v100, v4
	v_and_b32_e32 v5, v5, v26
	s_wait_alu 0xf1ff
	v_xor_b32_e32 v4, s21, v7
	ds_load_b32 v111, v112 offset:32
	v_and_b32_e32 v5, v5, v6
	; wave barrier
	s_delay_alu instid0(VALU_DEP_1) | instskip(NEXT) | instid1(VALU_DEP_1)
	v_and_b32_e32 v4, v5, v4
	v_mbcnt_lo_u32_b32 v113, v4, 0
	v_cmp_ne_u32_e64 s21, 0, v4
	s_delay_alu instid0(VALU_DEP_2)
	v_cmp_eq_u32_e32 vcc_lo, 0, v113
	s_and_b32 s27, s21, vcc_lo
	s_wait_alu 0xfffe
	s_and_saveexec_b32 s21, s27
	s_cbranch_execz .LBB201_46
; %bb.45:                               ;   in Loop: Header=BB201_32 Depth=1
	s_wait_dscnt 0x0
	v_bcnt_u32_b32 v4, v4, v111
	ds_store_b32 v112, v4 offset:32
.LBB201_46:                             ;   in Loop: Header=BB201_32 Depth=1
	s_wait_alu 0xfffe
	s_or_b32 exec_lo, exec_lo, s21
	v_cmp_ne_u32_e32 vcc_lo, 0x7fffffff, v103
	; wave barrier
	s_wait_alu 0xfffd
	v_cndmask_b32_e32 v4, 0x80000000, v103, vcc_lo
	s_delay_alu instid0(VALU_DEP_1) | instskip(NEXT) | instid1(VALU_DEP_1)
	v_lshrrev_b32_e32 v4, s24, v4
	v_and_b32_e32 v4, s26, v4
	s_delay_alu instid0(VALU_DEP_1)
	v_and_b32_e32 v5, 1, v4
	v_lshlrev_b32_e32 v6, 30, v4
	v_lshlrev_b32_e32 v7, 29, v4
	;; [unrolled: 1-line block ×4, first 2 shown]
	v_add_co_u32 v5, s21, v5, -1
	s_wait_alu 0xf1ff
	v_cndmask_b32_e64 v25, 0, 1, s21
	v_not_b32_e32 v115, v6
	v_cmp_gt_i32_e64 s21, 0, v6
	v_not_b32_e32 v6, v7
	v_lshlrev_b32_e32 v27, 26, v4
	v_cmp_ne_u32_e32 vcc_lo, 0, v25
	v_ashrrev_i32_e32 v115, 31, v115
	v_lshlrev_b32_e32 v114, 25, v4
	v_ashrrev_i32_e32 v6, 31, v6
	v_lshlrev_b32_e32 v25, 24, v4
	s_wait_alu 0xfffd
	v_xor_b32_e32 v5, vcc_lo, v5
	v_cmp_gt_i32_e32 vcc_lo, 0, v7
	v_not_b32_e32 v7, v24
	s_wait_alu 0xf1ff
	v_xor_b32_e32 v115, s21, v115
	v_cmp_gt_i32_e64 s21, 0, v24
	v_and_b32_e32 v5, exec_lo, v5
	v_not_b32_e32 v24, v26
	v_ashrrev_i32_e32 v7, 31, v7
	s_wait_alu 0xfffd
	v_xor_b32_e32 v6, vcc_lo, v6
	v_cmp_gt_i32_e32 vcc_lo, 0, v26
	v_and_b32_e32 v5, v5, v115
	v_not_b32_e32 v26, v27
	v_ashrrev_i32_e32 v24, 31, v24
	s_wait_alu 0xf1ff
	v_xor_b32_e32 v7, s21, v7
	v_cmp_gt_i32_e64 s21, 0, v27
	v_and_b32_e32 v5, v5, v6
	v_not_b32_e32 v6, v114
	v_ashrrev_i32_e32 v26, 31, v26
	s_wait_alu 0xfffd
	v_xor_b32_e32 v24, vcc_lo, v24
	v_cmp_gt_i32_e32 vcc_lo, 0, v114
	v_and_b32_e32 v5, v5, v7
	v_not_b32_e32 v7, v25
	v_ashrrev_i32_e32 v6, 31, v6
	s_wait_alu 0xf1ff
	v_xor_b32_e32 v26, s21, v26
	v_lshlrev_b32_e32 v4, 5, v4
	v_and_b32_e32 v5, v5, v24
	v_cmp_gt_i32_e64 s21, 0, v25
	v_ashrrev_i32_e32 v7, 31, v7
	s_wait_alu 0xfffd
	v_xor_b32_e32 v6, vcc_lo, v6
	v_add_nc_u32_e32 v114, v100, v4
	v_and_b32_e32 v5, v5, v26
	s_wait_alu 0xf1ff
	v_xor_b32_e32 v4, s21, v7
	ds_load_b32 v119, v114 offset:32
	v_and_b32_e32 v5, v5, v6
	; wave barrier
	s_delay_alu instid0(VALU_DEP_1) | instskip(NEXT) | instid1(VALU_DEP_1)
	v_and_b32_e32 v4, v5, v4
	v_mbcnt_lo_u32_b32 v120, v4, 0
	v_cmp_ne_u32_e64 s21, 0, v4
	s_delay_alu instid0(VALU_DEP_2)
	v_cmp_eq_u32_e32 vcc_lo, 0, v120
	s_and_b32 s26, s21, vcc_lo
	s_wait_alu 0xfffe
	s_and_saveexec_b32 s21, s26
	s_cbranch_execz .LBB201_48
; %bb.47:                               ;   in Loop: Header=BB201_32 Depth=1
	s_wait_dscnt 0x0
	v_bcnt_u32_b32 v4, v4, v119
	ds_store_b32 v114, v4 offset:32
.LBB201_48:                             ;   in Loop: Header=BB201_32 Depth=1
	s_wait_alu 0xfffe
	s_or_b32 exec_lo, exec_lo, s21
	; wave barrier
	s_wait_loadcnt_dscnt 0x0
	s_barrier_signal -1
	s_barrier_wait -1
	global_inv scope:SCOPE_SE
	ds_load_b128 v[24:27], v89 offset:32
	ds_load_b128 v[4:7], v89 offset:48
	s_wait_dscnt 0x1
	v_add_nc_u32_e32 v115, v25, v24
	s_delay_alu instid0(VALU_DEP_1) | instskip(SKIP_1) | instid1(VALU_DEP_1)
	v_add3_u32 v115, v115, v26, v27
	s_wait_dscnt 0x0
	v_add3_u32 v115, v115, v4, v5
	s_delay_alu instid0(VALU_DEP_1) | instskip(NEXT) | instid1(VALU_DEP_1)
	v_add3_u32 v7, v115, v6, v7
	v_mov_b32_dpp v115, v7 row_shr:1 row_mask:0xf bank_mask:0xf
	s_delay_alu instid0(VALU_DEP_1) | instskip(NEXT) | instid1(VALU_DEP_1)
	v_cndmask_b32_e64 v115, v115, 0, s11
	v_add_nc_u32_e32 v7, v115, v7
	s_delay_alu instid0(VALU_DEP_1) | instskip(NEXT) | instid1(VALU_DEP_1)
	v_mov_b32_dpp v115, v7 row_shr:2 row_mask:0xf bank_mask:0xf
	v_cndmask_b32_e64 v115, 0, v115, s13
	s_delay_alu instid0(VALU_DEP_1) | instskip(NEXT) | instid1(VALU_DEP_1)
	v_add_nc_u32_e32 v7, v7, v115
	v_mov_b32_dpp v115, v7 row_shr:4 row_mask:0xf bank_mask:0xf
	s_delay_alu instid0(VALU_DEP_1) | instskip(NEXT) | instid1(VALU_DEP_1)
	v_cndmask_b32_e64 v115, 0, v115, s14
	v_add_nc_u32_e32 v7, v7, v115
	s_delay_alu instid0(VALU_DEP_1) | instskip(NEXT) | instid1(VALU_DEP_1)
	v_mov_b32_dpp v115, v7 row_shr:8 row_mask:0xf bank_mask:0xf
	v_cndmask_b32_e64 v115, 0, v115, s15
	s_delay_alu instid0(VALU_DEP_1) | instskip(SKIP_3) | instid1(VALU_DEP_1)
	v_add_nc_u32_e32 v7, v7, v115
	ds_swizzle_b32 v115, v7 offset:swizzle(BROADCAST,32,15)
	s_wait_dscnt 0x0
	v_cndmask_b32_e64 v115, v115, 0, s16
	v_add_nc_u32_e32 v7, v7, v115
	s_and_saveexec_b32 s21, s17
; %bb.49:                               ;   in Loop: Header=BB201_32 Depth=1
	ds_store_b32 v90, v7
; %bb.50:                               ;   in Loop: Header=BB201_32 Depth=1
	s_wait_alu 0xfffe
	s_or_b32 exec_lo, exec_lo, s21
	s_wait_loadcnt_dscnt 0x0
	s_barrier_signal -1
	s_barrier_wait -1
	global_inv scope:SCOPE_SE
	s_and_saveexec_b32 s21, s8
	s_cbranch_execz .LBB201_52
; %bb.51:                               ;   in Loop: Header=BB201_32 Depth=1
	ds_load_b32 v115, v101
	s_wait_dscnt 0x0
	v_mov_b32_dpp v116, v115 row_shr:1 row_mask:0xf bank_mask:0xf
	s_delay_alu instid0(VALU_DEP_1) | instskip(NEXT) | instid1(VALU_DEP_1)
	v_cndmask_b32_e64 v116, v116, 0, s18
	v_add_nc_u32_e32 v115, v116, v115
	s_delay_alu instid0(VALU_DEP_1) | instskip(NEXT) | instid1(VALU_DEP_1)
	v_mov_b32_dpp v116, v115 row_shr:2 row_mask:0xf bank_mask:0xf
	v_cndmask_b32_e64 v116, 0, v116, s19
	s_delay_alu instid0(VALU_DEP_1) | instskip(NEXT) | instid1(VALU_DEP_1)
	v_add_nc_u32_e32 v115, v115, v116
	v_mov_b32_dpp v116, v115 row_shr:4 row_mask:0xf bank_mask:0xf
	s_delay_alu instid0(VALU_DEP_1) | instskip(NEXT) | instid1(VALU_DEP_1)
	v_cndmask_b32_e64 v116, 0, v116, s20
	v_add_nc_u32_e32 v115, v115, v116
	ds_store_b32 v101, v115
.LBB201_52:                             ;   in Loop: Header=BB201_32 Depth=1
	s_wait_alu 0xfffe
	s_or_b32 exec_lo, exec_lo, s21
	v_mov_b32_e32 v115, 0
	s_wait_loadcnt_dscnt 0x0
	s_barrier_signal -1
	s_barrier_wait -1
	global_inv scope:SCOPE_SE
	s_and_saveexec_b32 s21, s9
; %bb.53:                               ;   in Loop: Header=BB201_32 Depth=1
	v_add_nc_u32_e32 v115, -4, v90
	ds_load_b32 v115, v115
; %bb.54:                               ;   in Loop: Header=BB201_32 Depth=1
	s_wait_alu 0xfffe
	s_or_b32 exec_lo, exec_lo, s21
	s_wait_dscnt 0x0
	v_add_nc_u32_e32 v7, v115, v7
	s_cmp_gt_u32 s24, 23
	s_mov_b32 s21, -1
	ds_bpermute_b32 v7, v99, v7
	s_wait_dscnt 0x0
	v_cndmask_b32_e64 v7, v7, v115, s12
	s_delay_alu instid0(VALU_DEP_1) | instskip(NEXT) | instid1(VALU_DEP_1)
	v_cndmask_b32_e64 v115, v7, 0, s10
	v_add_nc_u32_e32 v116, v115, v24
	s_delay_alu instid0(VALU_DEP_1) | instskip(NEXT) | instid1(VALU_DEP_1)
	v_add_nc_u32_e32 v117, v116, v25
	v_add_nc_u32_e32 v118, v117, v26
	s_delay_alu instid0(VALU_DEP_1) | instskip(NEXT) | instid1(VALU_DEP_1)
	v_add_nc_u32_e32 v24, v118, v27
	;; [unrolled: 3-line block ×3, first 2 shown]
	v_add_nc_u32_e32 v27, v26, v6
	ds_store_b128 v89, v[115:118] offset:32
	ds_store_b128 v89, v[24:27] offset:48
	s_wait_loadcnt_dscnt 0x0
	s_barrier_signal -1
	s_barrier_wait -1
	global_inv scope:SCOPE_SE
	ds_load_b32 v4, v29 offset:32
	ds_load_b32 v5, v32 offset:32
	;; [unrolled: 1-line block ×8, first 2 shown]
	s_wait_dscnt 0x7
	v_add_nc_u32_e32 v118, v4, v28
	s_wait_dscnt 0x6
	v_add3_u32 v117, v31, v30, v5
	s_wait_dscnt 0x5
	v_add3_u32 v116, v34, v33, v6
	;; [unrolled: 2-line block ×7, first 2 shown]
                                        ; implicit-def: $vgpr71
                                        ; implicit-def: $vgpr69
                                        ; implicit-def: $vgpr67
                                        ; implicit-def: $vgpr65
                                        ; implicit-def: $vgpr34_vgpr35
                                        ; implicit-def: $vgpr30_vgpr31
                                        ; implicit-def: $vgpr26_vgpr27
                                        ; implicit-def: $vgpr6_vgpr7
	s_cbranch_scc1 .LBB201_31
; %bb.55:                               ;   in Loop: Header=BB201_32 Depth=1
	v_lshlrev_b32_e32 v4, 2, v118
	v_lshlrev_b32_e32 v5, 2, v117
	;; [unrolled: 1-line block ×3, first 2 shown]
	s_wait_loadcnt 0x0
	s_barrier_signal -1
	s_barrier_wait -1
	global_inv scope:SCOPE_SE
	ds_store_b32 v4, v102
	ds_store_b32 v5, v109
	;; [unrolled: 1-line block ×3, first 2 shown]
	v_lshlrev_b32_e32 v7, 2, v115
	v_add_nc_u32_e32 v4, v4, v4
	v_lshlrev_b32_e32 v24, 2, v114
	v_add_nc_u32_e32 v5, v5, v5
	;; [unrolled: 2-line block ×3, first 2 shown]
	v_lshlrev_b32_e32 v26, 2, v111
	v_lshlrev_b32_e32 v27, 2, v110
	ds_store_b32 v7, v107
	ds_store_b32 v24, v106
	;; [unrolled: 1-line block ×5, first 2 shown]
	s_wait_loadcnt_dscnt 0x0
	s_barrier_signal -1
	s_barrier_wait -1
	global_inv scope:SCOPE_SE
	ds_load_2addr_b32 v[64:65], v97 offset1:32
	ds_load_2addr_b32 v[66:67], v97 offset0:64 offset1:96
	ds_load_2addr_b32 v[68:69], v97 offset0:128 offset1:160
	;; [unrolled: 1-line block ×3, first 2 shown]
	s_wait_loadcnt_dscnt 0x0
	s_barrier_signal -1
	s_barrier_wait -1
	global_inv scope:SCOPE_SE
	ds_store_b64 v4, v[62:63]
	ds_store_b64 v5, v[60:61]
	ds_store_b64 v6, v[58:59]
	v_add_nc_u32_e32 v4, v7, v7
	v_add_nc_u32_e32 v5, v24, v24
	;; [unrolled: 1-line block ×5, first 2 shown]
	ds_store_b64 v4, v[56:57]
	ds_store_b64 v5, v[54:55]
	;; [unrolled: 1-line block ×5, first 2 shown]
	s_wait_loadcnt_dscnt 0x0
	s_barrier_signal -1
	s_barrier_wait -1
	global_inv scope:SCOPE_SE
	ds_load_2addr_b64 v[4:7], v98 offset1:32
	ds_load_2addr_b64 v[24:27], v98 offset0:64 offset1:96
	ds_load_2addr_b64 v[28:31], v98 offset0:128 offset1:160
	;; [unrolled: 1-line block ×3, first 2 shown]
	s_add_co_i32 s24, s24, 8
	s_add_co_i32 s25, s25, -8
	s_mov_b32 s21, 0
	s_wait_loadcnt_dscnt 0x0
	s_barrier_signal -1
	s_barrier_wait -1
	global_inv scope:SCOPE_SE
	s_branch .LBB201_31
.LBB201_56:
	v_lshlrev_b64_e32 v[1:2], 3, v[40:41]
	v_dual_mov_b32 v42, v41 :: v_dual_mov_b32 v9, v41
	v_mov_b32_e32 v10, v41
	v_dual_mov_b32 v4, v41 :: v_dual_mov_b32 v5, v41
	s_delay_alu instid0(VALU_DEP_4)
	v_add_co_u32 v1, vcc_lo, s34, v1
	s_wait_alu 0xfffd
	v_add_co_ci_u32_e64 v2, null, s35, v2, vcc_lo
	v_dual_mov_b32 v6, v41 :: v_dual_mov_b32 v7, v41
	v_dual_mov_b32 v8, v41 :: v_dual_mov_b32 v11, v41
	global_load_b64 v[13:14], v[1:2], off
	v_dual_mov_b32 v1, v41 :: v_dual_mov_b32 v2, v41
	v_dual_mov_b32 v3, v41 :: v_dual_mov_b32 v12, v41
	s_wait_alu 0xfffe
	s_or_b32 exec_lo, exec_lo, s8
	s_and_saveexec_b32 s8, s1
	s_cbranch_execz .LBB201_22
.LBB201_57:
	v_mul_lo_u32 v32, s28, v15
	v_mov_b32_e32 v33, 0
	s_delay_alu instid0(VALU_DEP_1) | instskip(NEXT) | instid1(VALU_DEP_1)
	v_lshlrev_b64_e32 v[32:33], 3, v[32:33]
	v_add_co_u32 v32, vcc_lo, s34, v32
	s_wait_alu 0xfffd
	s_delay_alu instid0(VALU_DEP_2)
	v_add_co_ci_u32_e64 v33, null, s35, v33, vcc_lo
	global_load_b64 v[41:42], v[32:33], off
	s_wait_alu 0xfffe
	s_or_b32 exec_lo, exec_lo, s8
	s_and_saveexec_b32 s8, s2
	s_cbranch_execz .LBB201_23
.LBB201_58:
	v_mul_lo_u32 v9, s28, v16
	v_mov_b32_e32 v10, 0
	s_delay_alu instid0(VALU_DEP_1) | instskip(NEXT) | instid1(VALU_DEP_1)
	v_lshlrev_b64_e32 v[9:10], 3, v[9:10]
	v_add_co_u32 v9, vcc_lo, s34, v9
	s_wait_alu 0xfffd
	s_delay_alu instid0(VALU_DEP_2)
	v_add_co_ci_u32_e64 v10, null, s35, v10, vcc_lo
	global_load_b64 v[9:10], v[9:10], off
	s_wait_alu 0xfffe
	s_or_b32 exec_lo, exec_lo, s8
	s_and_saveexec_b32 s8, s3
	s_cbranch_execz .LBB201_24
.LBB201_59:
	v_mul_lo_u32 v1, s28, v17
	v_mov_b32_e32 v2, 0
	s_delay_alu instid0(VALU_DEP_1) | instskip(NEXT) | instid1(VALU_DEP_1)
	v_lshlrev_b64_e32 v[1:2], 3, v[1:2]
	v_add_co_u32 v1, vcc_lo, s34, v1
	s_wait_alu 0xfffd
	s_delay_alu instid0(VALU_DEP_2)
	v_add_co_ci_u32_e64 v2, null, s35, v2, vcc_lo
	global_load_b64 v[1:2], v[1:2], off
	s_wait_alu 0xfffe
	s_or_b32 exec_lo, exec_lo, s8
	s_and_saveexec_b32 s8, s4
	s_cbranch_execz .LBB201_25
.LBB201_60:
	v_mul_lo_u32 v3, s28, v18
	v_mov_b32_e32 v4, 0
	s_delay_alu instid0(VALU_DEP_1) | instskip(NEXT) | instid1(VALU_DEP_1)
	v_lshlrev_b64_e32 v[3:4], 3, v[3:4]
	v_add_co_u32 v3, vcc_lo, s34, v3
	s_wait_alu 0xfffd
	s_delay_alu instid0(VALU_DEP_2)
	v_add_co_ci_u32_e64 v4, null, s35, v4, vcc_lo
	global_load_b64 v[3:4], v[3:4], off
	s_wait_alu 0xfffe
	s_or_b32 exec_lo, exec_lo, s8
	s_and_saveexec_b32 s8, s5
	s_cbranch_execz .LBB201_26
.LBB201_61:
	v_mul_lo_u32 v5, s28, v19
	v_mov_b32_e32 v6, 0
	s_delay_alu instid0(VALU_DEP_1) | instskip(NEXT) | instid1(VALU_DEP_1)
	v_lshlrev_b64_e32 v[5:6], 3, v[5:6]
	v_add_co_u32 v5, vcc_lo, s34, v5
	s_wait_alu 0xfffd
	s_delay_alu instid0(VALU_DEP_2)
	v_add_co_ci_u32_e64 v6, null, s35, v6, vcc_lo
	global_load_b64 v[5:6], v[5:6], off
	s_wait_alu 0xfffe
	s_or_b32 exec_lo, exec_lo, s8
	s_and_saveexec_b32 s8, s6
	s_cbranch_execz .LBB201_27
.LBB201_62:
	v_mul_lo_u32 v7, s28, v20
	v_mov_b32_e32 v8, 0
	s_delay_alu instid0(VALU_DEP_1) | instskip(NEXT) | instid1(VALU_DEP_1)
	v_lshlrev_b64_e32 v[7:8], 3, v[7:8]
	v_add_co_u32 v7, vcc_lo, s34, v7
	s_wait_alu 0xfffd
	s_delay_alu instid0(VALU_DEP_2)
	v_add_co_ci_u32_e64 v8, null, s35, v8, vcc_lo
	global_load_b64 v[7:8], v[7:8], off
	s_wait_alu 0xfffe
	s_or_b32 exec_lo, exec_lo, s8
	s_xor_b32 s8, s12, -1
	s_and_saveexec_b32 s9, s7
	s_cbranch_execnz .LBB201_28
	s_branch .LBB201_29
.LBB201_63:
                                        ; implicit-def: $vgpr34_vgpr35
                                        ; implicit-def: $vgpr38_vgpr39
                                        ; implicit-def: $vgpr26_vgpr27
                                        ; implicit-def: $vgpr30_vgpr31
                                        ; implicit-def: $vgpr0_vgpr1_vgpr2_vgpr3_vgpr4_vgpr5_vgpr6_vgpr7
	s_cbranch_execnz .LBB201_65
	s_branch .LBB201_92
.LBB201_64:
	v_lshlrev_b32_e32 v24, 2, v118
	v_lshlrev_b32_e32 v27, 2, v115
	;; [unrolled: 1-line block ×8, first 2 shown]
	s_wait_loadcnt 0x0
	s_barrier_signal -1
	s_barrier_wait -1
	global_inv scope:SCOPE_SE
	ds_store_b32 v24, v102
	ds_store_b32 v25, v109
	;; [unrolled: 1-line block ×8, first 2 shown]
	s_wait_loadcnt_dscnt 0x0
	s_barrier_signal -1
	s_barrier_wait -1
	global_inv scope:SCOPE_SE
	ds_load_b128 v[0:3], v89
	ds_load_b128 v[4:7], v89 offset:16
	v_add_nc_u32_e32 v24, v24, v24
	v_add_nc_u32_e32 v25, v25, v25
	v_add_nc_u32_e32 v26, v26, v26
	s_wait_loadcnt_dscnt 0x0
	s_barrier_signal -1
	s_barrier_wait -1
	global_inv scope:SCOPE_SE
	ds_store_b64 v24, v[62:63]
	ds_store_b64 v25, v[60:61]
	;; [unrolled: 1-line block ×3, first 2 shown]
	v_add_nc_u32_e32 v24, v27, v27
	v_add_nc_u32_e32 v25, v28, v28
	;; [unrolled: 1-line block ×5, first 2 shown]
	ds_store_b64 v24, v[56:57]
	ds_store_b64 v25, v[54:55]
	;; [unrolled: 1-line block ×5, first 2 shown]
	v_lshl_add_u32 v32, v45, 5, v89
	s_wait_loadcnt_dscnt 0x0
	s_barrier_signal -1
	s_barrier_wait -1
	v_cmp_lt_i32_e32 vcc_lo, -1, v0
	global_inv scope:SCOPE_SE
	ds_load_b128 v[28:31], v32
	ds_load_b128 v[24:27], v32 offset:16
	ds_load_b128 v[36:39], v32 offset:32
	;; [unrolled: 1-line block ×3, first 2 shown]
	s_wait_alu 0xfffd
	v_cndmask_b32_e64 v41, 0x80000000, -1, vcc_lo
	v_cmp_lt_i32_e32 vcc_lo, -1, v1
	s_delay_alu instid0(VALU_DEP_2) | instskip(SKIP_3) | instid1(VALU_DEP_2)
	v_xor_b32_e32 v0, v41, v0
	s_wait_alu 0xfffd
	v_cndmask_b32_e64 v42, 0x80000000, -1, vcc_lo
	v_cmp_lt_i32_e32 vcc_lo, -1, v2
	v_xor_b32_e32 v1, v42, v1
	s_wait_alu 0xfffd
	v_cndmask_b32_e64 v54, 0x80000000, -1, vcc_lo
	v_cmp_lt_i32_e32 vcc_lo, -1, v3
	s_delay_alu instid0(VALU_DEP_2) | instskip(SKIP_3) | instid1(VALU_DEP_2)
	v_xor_b32_e32 v2, v54, v2
	s_wait_alu 0xfffd
	v_cndmask_b32_e64 v41, 0x80000000, -1, vcc_lo
	v_cmp_lt_i32_e32 vcc_lo, -1, v4
	v_xor_b32_e32 v3, v41, v3
	;; [unrolled: 9-line block ×3, first 2 shown]
	s_wait_alu 0xfffd
	v_cndmask_b32_e64 v55, 0x80000000, -1, vcc_lo
	v_cmp_lt_i32_e32 vcc_lo, -1, v7
	s_delay_alu instid0(VALU_DEP_2) | instskip(SKIP_2) | instid1(VALU_DEP_1)
	v_xor_b32_e32 v6, v55, v6
	s_wait_alu 0xfffd
	v_cndmask_b32_e64 v56, 0x80000000, -1, vcc_lo
	v_xor_b32_e32 v7, v56, v7
	s_branch .LBB201_92
.LBB201_65:
	v_cmp_gt_i32_e32 vcc_lo, 0, v52
	v_or_b32_e32 v7, v93, v94
	s_wait_dscnt 0x2
	v_and_or_b32 v25, 0x1f00, v91, v93
	s_mov_b32 s24, 0
	s_getpc_b64 s[8:9]
	s_wait_alu 0xfffe
	s_sext_i32_i16 s9, s9
	s_add_co_u32 s8, s8, _ZN7rocprim17ROCPRIM_400000_NS16block_radix_sortIfLj256ELj8ElLj1ELj1ELj0ELNS0_26block_radix_rank_algorithmE1ELNS0_18block_padding_hintE2ELNS0_4arch9wavefront6targetE0EE19radix_bits_per_passE@rel32@lo+12
	s_wait_alu 0xfffe
	s_add_co_ci_u32 s9, s9, _ZN7rocprim17ROCPRIM_400000_NS16block_radix_sortIfLj256ELj8ElLj1ELj1ELj0ELNS0_26block_radix_rank_algorithmE1ELNS0_18block_padding_hintE2ELNS0_4arch9wavefront6targetE0EE19radix_bits_per_passE@rel32@hi+24
	s_wait_alu 0xfffd
	v_cndmask_b32_e64 v0, 0x7fffffff, 0, vcc_lo
	v_cmp_gt_i32_e32 vcc_lo, 0, v53
	s_mov_b32 s25, s24
	s_mov_b32 s26, s24
	;; [unrolled: 1-line block ×3, first 2 shown]
	v_xor_b32_e32 v0, v0, v52
	s_wait_alu 0xfffd
	v_cndmask_b32_e64 v1, 0x7fffffff, 0, vcc_lo
	v_cmp_gt_i32_e32 vcc_lo, 0, v50
	v_lshlrev_b32_e32 v26, 5, v7
	s_load_b32 s23, s[8:9], 0x0
	v_cmp_gt_u32_e64 s15, 8, v45
	v_xor_b32_e32 v1, v1, v53
	v_cndmask_b32_e64 v2, 0x7fffffff, 0, vcc_lo
	v_cmp_gt_i32_e32 vcc_lo, 0, v51
	v_cmp_lt_u32_e64 s16, 31, v45
	v_cmp_eq_u32_e64 s17, 0, v45
	v_add_nc_u32_e32 v53, v89, v92
	v_xor_b32_e32 v2, v2, v50
	s_wait_alu 0xfffd
	v_cndmask_b32_e64 v3, 0x7fffffff, 0, vcc_lo
	v_cmp_gt_i32_e32 vcc_lo, 0, v48
	s_delay_alu instid0(VALU_DEP_2) | instskip(SKIP_4) | instid1(VALU_DEP_3)
	v_xor_b32_e32 v3, v3, v51
	s_wait_alu 0xfffd
	v_cndmask_b32_e64 v4, 0x7fffffff, 0, vcc_lo
	v_cmp_gt_i32_e32 vcc_lo, 0, v49
	v_add_nc_u32_e32 v51, -4, v90
	v_xor_b32_e32 v4, v4, v48
	s_wait_alu 0xfffd
	v_cndmask_b32_e64 v5, 0x7fffffff, 0, vcc_lo
	v_cmp_gt_i32_e32 vcc_lo, 0, v46
	v_lshlrev_b32_e32 v48, 2, v25
	s_delay_alu instid0(VALU_DEP_3) | instskip(SKIP_4) | instid1(VALU_DEP_3)
	v_xor_b32_e32 v5, v5, v49
	s_wait_alu 0xfffd
	v_cndmask_b32_e64 v6, 0x7fffffff, 0, vcc_lo
	v_cmp_gt_i32_e32 vcc_lo, 0, v47
	v_add_nc_u32_e32 v49, v48, v48
	v_xor_b32_e32 v6, v6, v46
	s_wait_alu 0xfffd
	v_cndmask_b32_e64 v24, 0x7fffffff, 0, vcc_lo
	s_delay_alu instid0(VALU_DEP_1)
	v_xor_b32_e32 v7, v24, v47
	ds_store_b128 v26, v[0:3]
	ds_store_b128 v26, v[4:7] offset:16
	v_add_nc_u32_e32 v0, v26, v26
	; wave barrier
	s_wait_dscnt 0x3
	ds_load_2addr_b32 v[36:37], v48 offset1:32
	ds_load_2addr_b32 v[38:39], v48 offset0:64 offset1:96
	ds_load_2addr_b32 v[41:42], v48 offset0:128 offset1:160
	;; [unrolled: 1-line block ×3, first 2 shown]
	s_wait_loadcnt_dscnt 0x0
	s_barrier_signal -1
	s_barrier_wait -1
	global_inv scope:SCOPE_SE
	ds_store_b128 v0, v[20:23]
	ds_store_b128 v0, v[16:19] offset:16
	ds_store_b128 v0, v[12:15] offset:32
	;; [unrolled: 1-line block ×3, first 2 shown]
	; wave barrier
	ds_load_2addr_b64 v[4:7], v49 offset1:32
	ds_load_2addr_b64 v[8:11], v49 offset0:64 offset1:96
	ds_load_2addr_b64 v[12:15], v49 offset0:128 offset1:160
	;; [unrolled: 1-line block ×3, first 2 shown]
	s_wait_loadcnt_dscnt 0x0
	s_barrier_signal -1
	s_barrier_wait -1
	global_inv scope:SCOPE_SE
	s_load_b32 s10, s[36:37], 0xc
	v_and_b32_e32 v2, 15, v93
	v_and_b32_e32 v3, 16, v93
	s_delay_alu instid0(VALU_DEP_2) | instskip(SKIP_1) | instid1(VALU_DEP_3)
	v_cmp_lt_u32_e64 s9, 1, v2
	v_cmp_lt_u32_e64 s12, 7, v2
	v_cmp_eq_u32_e64 s13, 0, v3
	s_wait_kmcnt 0x0
	s_lshr_b32 s11, s10, 16
	s_and_b32 s8, s10, 0xffff
	s_wait_alu 0xfffe
	v_mad_u32_u24 v0, v96, s11, v95
	v_sub_co_u32 v20, s10, v93, 1
	v_cmp_lt_u32_e64 s11, 3, v2
	s_delay_alu instid0(VALU_DEP_3) | instskip(SKIP_1) | instid1(VALU_DEP_4)
	v_mad_co_u64_u32 v[0:1], null, v0, s8, v[45:46]
	v_min_u32_e32 v1, 0xe0, v94
	v_cmp_gt_i32_e32 vcc_lo, 0, v20
	v_cmp_eq_u32_e64 s8, 0, v2
	s_delay_alu instid0(VALU_DEP_3) | instskip(SKIP_3) | instid1(VALU_DEP_3)
	v_or_b32_e32 v1, 31, v1
	s_wait_alu 0xfffd
	v_cndmask_b32_e32 v2, v20, v93, vcc_lo
	v_lshrrev_b32_e32 v0, 3, v0
	v_cmp_eq_u32_e64 s14, v45, v1
	v_and_b32_e32 v1, 7, v93
	s_delay_alu instid0(VALU_DEP_4) | instskip(NEXT) | instid1(VALU_DEP_4)
	v_lshlrev_b32_e32 v50, 2, v2
	v_and_b32_e32 v52, 0x1ffffffc, v0
	s_delay_alu instid0(VALU_DEP_3)
	v_cmp_eq_u32_e64 s18, 0, v1
	v_cmp_lt_u32_e64 s19, 1, v1
	v_cmp_lt_u32_e64 s20, 3, v1
	v_dual_mov_b32 v0, s24 :: v_dual_mov_b32 v1, s25
	v_dual_mov_b32 v2, s26 :: v_dual_mov_b32 v3, s27
	s_mov_b32 s25, 32
	s_branch .LBB201_67
.LBB201_66:                             ;   in Loop: Header=BB201_67 Depth=1
	s_wait_alu 0xfffe
	s_and_not1_b32 vcc_lo, exec_lo, s21
	s_wait_alu 0xfffe
	s_cbranch_vccz .LBB201_91
.LBB201_67:                             ; =>This Inner Loop Header: Depth=1
	v_dual_mov_b32 v54, v36 :: v_dual_mov_b32 v55, v47
	s_wait_alu 0xfffe
	s_min_u32 s21, s23, s25
	ds_store_b128 v89, v[0:3] offset:32
	ds_store_b128 v89, v[0:3] offset:48
	s_wait_alu 0xfffe
	s_lshl_b32 s21, -1, s21
	v_cmp_ne_u32_e32 vcc_lo, 0x80000000, v54
	s_wait_alu 0xfffe
	s_not_b32 s26, s21
	s_wait_loadcnt_dscnt 0x0
	s_barrier_signal -1
	s_barrier_wait -1
	s_wait_alu 0xfffd
	v_dual_cndmask_b32 v20, 0x7fffffff, v54 :: v_dual_mov_b32 v57, v42
	global_inv scope:SCOPE_SE
	; wave barrier
	v_lshrrev_b32_e32 v20, s24, v20
	v_mov_b32_e32 v59, v39
	v_dual_mov_b32 v61, v37 :: v_dual_mov_b32 v58, v41
	v_mov_b32_e32 v60, v38
	s_wait_alu 0xfffe
	v_and_b32_e32 v36, s26, v20
	v_dual_mov_b32 v56, v46 :: v_dual_mov_b32 v31, v9
	v_dual_mov_b32 v30, v8 :: v_dual_mov_b32 v33, v7
	s_delay_alu instid0(VALU_DEP_3)
	v_and_b32_e32 v20, 1, v36
	v_lshlrev_b32_e32 v21, 30, v36
	v_lshlrev_b32_e32 v22, 29, v36
	;; [unrolled: 1-line block ×4, first 2 shown]
	v_add_co_u32 v20, s21, v20, -1
	s_wait_alu 0xf1ff
	v_cndmask_b32_e64 v24, 0, 1, s21
	v_not_b32_e32 v28, v21
	v_cmp_gt_i32_e64 s21, 0, v21
	v_not_b32_e32 v21, v22
	v_lshlrev_b32_e32 v26, 26, v36
	v_cmp_ne_u32_e32 vcc_lo, 0, v24
	v_ashrrev_i32_e32 v28, 31, v28
	v_lshlrev_b32_e32 v27, 25, v36
	v_ashrrev_i32_e32 v21, 31, v21
	v_lshlrev_b32_e32 v24, 24, v36
	s_wait_alu 0xfffd
	v_xor_b32_e32 v20, vcc_lo, v20
	v_cmp_gt_i32_e32 vcc_lo, 0, v22
	v_not_b32_e32 v22, v23
	s_wait_alu 0xf1ff
	v_xor_b32_e32 v28, s21, v28
	v_cmp_gt_i32_e64 s21, 0, v23
	v_and_b32_e32 v20, exec_lo, v20
	v_not_b32_e32 v23, v25
	v_ashrrev_i32_e32 v22, 31, v22
	s_wait_alu 0xfffd
	v_xor_b32_e32 v21, vcc_lo, v21
	v_cmp_gt_i32_e32 vcc_lo, 0, v25
	v_and_b32_e32 v20, v20, v28
	v_not_b32_e32 v25, v26
	v_ashrrev_i32_e32 v23, 31, v23
	s_wait_alu 0xf1ff
	v_xor_b32_e32 v22, s21, v22
	v_cmp_gt_i32_e64 s21, 0, v26
	v_and_b32_e32 v20, v20, v21
	v_not_b32_e32 v21, v27
	v_ashrrev_i32_e32 v25, 31, v25
	s_wait_alu 0xfffd
	v_xor_b32_e32 v23, vcc_lo, v23
	v_cmp_gt_i32_e32 vcc_lo, 0, v27
	v_and_b32_e32 v20, v20, v22
	v_ashrrev_i32_e32 v21, 31, v21
	s_wait_alu 0xf1ff
	v_xor_b32_e32 v25, s21, v25
	v_mov_b32_e32 v27, v13
	v_not_b32_e32 v22, v24
	v_dual_mov_b32 v35, v5 :: v_dual_and_b32 v20, v20, v23
	v_cmp_gt_i32_e64 s21, 0, v24
	s_wait_alu 0xfffd
	v_xor_b32_e32 v21, vcc_lo, v21
	v_ashrrev_i32_e32 v22, 31, v22
	v_dual_mov_b32 v25, v15 :: v_dual_and_b32 v20, v20, v25
	v_mov_b32_e32 v26, v12
	v_mov_b32_e32 v34, v4
	s_wait_alu 0xf1ff
	v_xor_b32_e32 v28, s21, v22
	v_dual_mov_b32 v24, v14 :: v_dual_and_b32 v29, v20, v21
	v_dual_mov_b32 v21, v19 :: v_dual_lshlrev_b32 v4, 5, v36
	v_mov_b32_e32 v23, v17
	s_delay_alu instid0(VALU_DEP_3) | instskip(SKIP_3) | instid1(VALU_DEP_4)
	v_dual_mov_b32 v29, v11 :: v_dual_and_b32 v14, v29, v28
	v_mov_b32_e32 v20, v18
	v_mov_b32_e32 v22, v16
	v_dual_mov_b32 v28, v10 :: v_dual_add_nc_u32 v13, v52, v4
	v_mbcnt_lo_u32_b32 v12, v14, 0
	v_cmp_ne_u32_e64 s21, 0, v14
	v_mov_b32_e32 v32, v6
	s_delay_alu instid0(VALU_DEP_3)
	v_cmp_eq_u32_e32 vcc_lo, 0, v12
	s_and_b32 s27, s21, vcc_lo
	s_wait_alu 0xfffe
	s_and_saveexec_b32 s21, s27
; %bb.68:                               ;   in Loop: Header=BB201_67 Depth=1
	v_bcnt_u32_b32 v4, v14, 0
	ds_store_b32 v13, v4 offset:32
; %bb.69:                               ;   in Loop: Header=BB201_67 Depth=1
	s_wait_alu 0xfffe
	s_or_b32 exec_lo, exec_lo, s21
	v_cmp_ne_u32_e32 vcc_lo, 0x80000000, v61
	; wave barrier
	s_wait_alu 0xfffd
	v_cndmask_b32_e32 v4, 0x7fffffff, v61, vcc_lo
	s_delay_alu instid0(VALU_DEP_1) | instskip(NEXT) | instid1(VALU_DEP_1)
	v_lshrrev_b32_e32 v4, s24, v4
	v_and_b32_e32 v4, s26, v4
	s_delay_alu instid0(VALU_DEP_1)
	v_and_b32_e32 v5, 1, v4
	v_lshlrev_b32_e32 v6, 30, v4
	v_lshlrev_b32_e32 v7, 29, v4
	;; [unrolled: 1-line block ×4, first 2 shown]
	v_add_co_u32 v5, s21, v5, -1
	s_wait_alu 0xf1ff
	v_cndmask_b32_e64 v9, 0, 1, s21
	v_not_b32_e32 v15, v6
	v_cmp_gt_i32_e64 s21, 0, v6
	v_not_b32_e32 v6, v7
	v_lshlrev_b32_e32 v11, 26, v4
	v_cmp_ne_u32_e32 vcc_lo, 0, v9
	v_ashrrev_i32_e32 v15, 31, v15
	v_lshlrev_b32_e32 v14, 25, v4
	v_ashrrev_i32_e32 v6, 31, v6
	v_lshlrev_b32_e32 v9, 24, v4
	s_wait_alu 0xfffd
	v_xor_b32_e32 v5, vcc_lo, v5
	v_cmp_gt_i32_e32 vcc_lo, 0, v7
	v_not_b32_e32 v7, v8
	s_wait_alu 0xf1ff
	v_xor_b32_e32 v15, s21, v15
	v_cmp_gt_i32_e64 s21, 0, v8
	v_and_b32_e32 v5, exec_lo, v5
	v_not_b32_e32 v8, v10
	v_ashrrev_i32_e32 v7, 31, v7
	s_wait_alu 0xfffd
	v_xor_b32_e32 v6, vcc_lo, v6
	v_cmp_gt_i32_e32 vcc_lo, 0, v10
	v_and_b32_e32 v5, v5, v15
	v_not_b32_e32 v10, v11
	v_ashrrev_i32_e32 v8, 31, v8
	s_wait_alu 0xf1ff
	v_xor_b32_e32 v7, s21, v7
	v_cmp_gt_i32_e64 s21, 0, v11
	v_and_b32_e32 v5, v5, v6
	v_not_b32_e32 v6, v14
	v_ashrrev_i32_e32 v10, 31, v10
	s_wait_alu 0xfffd
	v_xor_b32_e32 v8, vcc_lo, v8
	v_cmp_gt_i32_e32 vcc_lo, 0, v14
	v_and_b32_e32 v5, v5, v7
	v_not_b32_e32 v7, v9
	v_ashrrev_i32_e32 v6, 31, v6
	s_wait_alu 0xf1ff
	v_xor_b32_e32 v10, s21, v10
	v_lshlrev_b32_e32 v4, 5, v4
	v_and_b32_e32 v5, v5, v8
	v_cmp_gt_i32_e64 s21, 0, v9
	v_ashrrev_i32_e32 v7, 31, v7
	s_wait_alu 0xfffd
	v_xor_b32_e32 v6, vcc_lo, v6
	v_add_nc_u32_e32 v16, v52, v4
	v_and_b32_e32 v5, v5, v10
	s_wait_alu 0xf1ff
	v_xor_b32_e32 v4, s21, v7
	ds_load_b32 v14, v16 offset:32
	v_and_b32_e32 v5, v5, v6
	; wave barrier
	s_delay_alu instid0(VALU_DEP_1) | instskip(NEXT) | instid1(VALU_DEP_1)
	v_and_b32_e32 v4, v5, v4
	v_mbcnt_lo_u32_b32 v15, v4, 0
	v_cmp_ne_u32_e64 s21, 0, v4
	s_delay_alu instid0(VALU_DEP_2)
	v_cmp_eq_u32_e32 vcc_lo, 0, v15
	s_and_b32 s27, s21, vcc_lo
	s_wait_alu 0xfffe
	s_and_saveexec_b32 s21, s27
	s_cbranch_execz .LBB201_71
; %bb.70:                               ;   in Loop: Header=BB201_67 Depth=1
	s_wait_dscnt 0x0
	v_bcnt_u32_b32 v4, v4, v14
	ds_store_b32 v16, v4 offset:32
.LBB201_71:                             ;   in Loop: Header=BB201_67 Depth=1
	s_wait_alu 0xfffe
	s_or_b32 exec_lo, exec_lo, s21
	v_cmp_ne_u32_e32 vcc_lo, 0x80000000, v60
	; wave barrier
	s_wait_alu 0xfffd
	v_cndmask_b32_e32 v4, 0x7fffffff, v60, vcc_lo
	s_delay_alu instid0(VALU_DEP_1) | instskip(NEXT) | instid1(VALU_DEP_1)
	v_lshrrev_b32_e32 v4, s24, v4
	v_and_b32_e32 v4, s26, v4
	s_delay_alu instid0(VALU_DEP_1)
	v_and_b32_e32 v5, 1, v4
	v_lshlrev_b32_e32 v6, 30, v4
	v_lshlrev_b32_e32 v7, 29, v4
	;; [unrolled: 1-line block ×4, first 2 shown]
	v_add_co_u32 v5, s21, v5, -1
	s_wait_alu 0xf1ff
	v_cndmask_b32_e64 v9, 0, 1, s21
	v_not_b32_e32 v18, v6
	v_cmp_gt_i32_e64 s21, 0, v6
	v_not_b32_e32 v6, v7
	v_lshlrev_b32_e32 v11, 26, v4
	v_cmp_ne_u32_e32 vcc_lo, 0, v9
	v_ashrrev_i32_e32 v18, 31, v18
	v_lshlrev_b32_e32 v17, 25, v4
	v_ashrrev_i32_e32 v6, 31, v6
	v_lshlrev_b32_e32 v9, 24, v4
	s_wait_alu 0xfffd
	v_xor_b32_e32 v5, vcc_lo, v5
	v_cmp_gt_i32_e32 vcc_lo, 0, v7
	v_not_b32_e32 v7, v8
	s_wait_alu 0xf1ff
	v_xor_b32_e32 v18, s21, v18
	v_cmp_gt_i32_e64 s21, 0, v8
	v_and_b32_e32 v5, exec_lo, v5
	v_not_b32_e32 v8, v10
	v_ashrrev_i32_e32 v7, 31, v7
	s_wait_alu 0xfffd
	v_xor_b32_e32 v6, vcc_lo, v6
	v_cmp_gt_i32_e32 vcc_lo, 0, v10
	v_and_b32_e32 v5, v5, v18
	v_not_b32_e32 v10, v11
	v_ashrrev_i32_e32 v8, 31, v8
	s_wait_alu 0xf1ff
	v_xor_b32_e32 v7, s21, v7
	v_cmp_gt_i32_e64 s21, 0, v11
	v_and_b32_e32 v5, v5, v6
	v_not_b32_e32 v6, v17
	v_ashrrev_i32_e32 v10, 31, v10
	s_wait_alu 0xfffd
	v_xor_b32_e32 v8, vcc_lo, v8
	v_cmp_gt_i32_e32 vcc_lo, 0, v17
	v_and_b32_e32 v5, v5, v7
	v_not_b32_e32 v7, v9
	v_ashrrev_i32_e32 v6, 31, v6
	s_wait_alu 0xf1ff
	v_xor_b32_e32 v10, s21, v10
	v_lshlrev_b32_e32 v4, 5, v4
	v_and_b32_e32 v5, v5, v8
	v_cmp_gt_i32_e64 s21, 0, v9
	v_ashrrev_i32_e32 v7, 31, v7
	s_wait_alu 0xfffd
	v_xor_b32_e32 v6, vcc_lo, v6
	v_add_nc_u32_e32 v19, v52, v4
	v_and_b32_e32 v5, v5, v10
	s_wait_alu 0xf1ff
	v_xor_b32_e32 v4, s21, v7
	ds_load_b32 v17, v19 offset:32
	v_and_b32_e32 v5, v5, v6
	; wave barrier
	s_delay_alu instid0(VALU_DEP_1) | instskip(NEXT) | instid1(VALU_DEP_1)
	v_and_b32_e32 v4, v5, v4
	v_mbcnt_lo_u32_b32 v18, v4, 0
	v_cmp_ne_u32_e64 s21, 0, v4
	s_delay_alu instid0(VALU_DEP_2)
	v_cmp_eq_u32_e32 vcc_lo, 0, v18
	s_and_b32 s27, s21, vcc_lo
	s_wait_alu 0xfffe
	s_and_saveexec_b32 s21, s27
	s_cbranch_execz .LBB201_73
; %bb.72:                               ;   in Loop: Header=BB201_67 Depth=1
	s_wait_dscnt 0x0
	v_bcnt_u32_b32 v4, v4, v17
	ds_store_b32 v19, v4 offset:32
.LBB201_73:                             ;   in Loop: Header=BB201_67 Depth=1
	s_wait_alu 0xfffe
	s_or_b32 exec_lo, exec_lo, s21
	v_cmp_ne_u32_e32 vcc_lo, 0x80000000, v59
	; wave barrier
	s_wait_alu 0xfffd
	v_cndmask_b32_e32 v4, 0x7fffffff, v59, vcc_lo
	s_delay_alu instid0(VALU_DEP_1) | instskip(NEXT) | instid1(VALU_DEP_1)
	v_lshrrev_b32_e32 v4, s24, v4
	v_and_b32_e32 v4, s26, v4
	s_delay_alu instid0(VALU_DEP_1)
	v_and_b32_e32 v5, 1, v4
	v_lshlrev_b32_e32 v6, 30, v4
	v_lshlrev_b32_e32 v7, 29, v4
	;; [unrolled: 1-line block ×4, first 2 shown]
	v_add_co_u32 v5, s21, v5, -1
	s_wait_alu 0xf1ff
	v_cndmask_b32_e64 v9, 0, 1, s21
	v_not_b32_e32 v37, v6
	v_cmp_gt_i32_e64 s21, 0, v6
	v_not_b32_e32 v6, v7
	v_lshlrev_b32_e32 v11, 26, v4
	v_cmp_ne_u32_e32 vcc_lo, 0, v9
	v_ashrrev_i32_e32 v37, 31, v37
	v_lshlrev_b32_e32 v36, 25, v4
	v_ashrrev_i32_e32 v6, 31, v6
	v_lshlrev_b32_e32 v9, 24, v4
	s_wait_alu 0xfffd
	v_xor_b32_e32 v5, vcc_lo, v5
	v_cmp_gt_i32_e32 vcc_lo, 0, v7
	v_not_b32_e32 v7, v8
	s_wait_alu 0xf1ff
	v_xor_b32_e32 v37, s21, v37
	v_cmp_gt_i32_e64 s21, 0, v8
	v_and_b32_e32 v5, exec_lo, v5
	v_not_b32_e32 v8, v10
	v_ashrrev_i32_e32 v7, 31, v7
	s_wait_alu 0xfffd
	v_xor_b32_e32 v6, vcc_lo, v6
	v_cmp_gt_i32_e32 vcc_lo, 0, v10
	v_and_b32_e32 v5, v5, v37
	v_not_b32_e32 v10, v11
	v_ashrrev_i32_e32 v8, 31, v8
	s_wait_alu 0xf1ff
	v_xor_b32_e32 v7, s21, v7
	v_cmp_gt_i32_e64 s21, 0, v11
	v_and_b32_e32 v5, v5, v6
	v_not_b32_e32 v6, v36
	v_ashrrev_i32_e32 v10, 31, v10
	s_wait_alu 0xfffd
	v_xor_b32_e32 v8, vcc_lo, v8
	v_cmp_gt_i32_e32 vcc_lo, 0, v36
	v_and_b32_e32 v5, v5, v7
	v_not_b32_e32 v7, v9
	v_ashrrev_i32_e32 v6, 31, v6
	s_wait_alu 0xf1ff
	v_xor_b32_e32 v10, s21, v10
	v_lshlrev_b32_e32 v4, 5, v4
	v_and_b32_e32 v5, v5, v8
	v_cmp_gt_i32_e64 s21, 0, v9
	v_ashrrev_i32_e32 v7, 31, v7
	s_wait_alu 0xfffd
	v_xor_b32_e32 v6, vcc_lo, v6
	v_add_nc_u32_e32 v38, v52, v4
	v_and_b32_e32 v5, v5, v10
	s_wait_alu 0xf1ff
	v_xor_b32_e32 v4, s21, v7
	ds_load_b32 v36, v38 offset:32
	v_and_b32_e32 v5, v5, v6
	; wave barrier
	s_delay_alu instid0(VALU_DEP_1) | instskip(NEXT) | instid1(VALU_DEP_1)
	v_and_b32_e32 v4, v5, v4
	v_mbcnt_lo_u32_b32 v37, v4, 0
	v_cmp_ne_u32_e64 s21, 0, v4
	s_delay_alu instid0(VALU_DEP_2)
	v_cmp_eq_u32_e32 vcc_lo, 0, v37
	s_and_b32 s27, s21, vcc_lo
	s_wait_alu 0xfffe
	s_and_saveexec_b32 s21, s27
	s_cbranch_execz .LBB201_75
; %bb.74:                               ;   in Loop: Header=BB201_67 Depth=1
	s_wait_dscnt 0x0
	v_bcnt_u32_b32 v4, v4, v36
	ds_store_b32 v38, v4 offset:32
.LBB201_75:                             ;   in Loop: Header=BB201_67 Depth=1
	s_wait_alu 0xfffe
	s_or_b32 exec_lo, exec_lo, s21
	v_cmp_ne_u32_e32 vcc_lo, 0x80000000, v58
	; wave barrier
	s_wait_alu 0xfffd
	v_cndmask_b32_e32 v4, 0x7fffffff, v58, vcc_lo
	s_delay_alu instid0(VALU_DEP_1) | instskip(NEXT) | instid1(VALU_DEP_1)
	v_lshrrev_b32_e32 v4, s24, v4
	v_and_b32_e32 v4, s26, v4
	s_delay_alu instid0(VALU_DEP_1)
	v_and_b32_e32 v5, 1, v4
	v_lshlrev_b32_e32 v6, 30, v4
	v_lshlrev_b32_e32 v7, 29, v4
	;; [unrolled: 1-line block ×4, first 2 shown]
	v_add_co_u32 v5, s21, v5, -1
	s_wait_alu 0xf1ff
	v_cndmask_b32_e64 v9, 0, 1, s21
	v_not_b32_e32 v41, v6
	v_cmp_gt_i32_e64 s21, 0, v6
	v_not_b32_e32 v6, v7
	v_lshlrev_b32_e32 v11, 26, v4
	v_cmp_ne_u32_e32 vcc_lo, 0, v9
	v_ashrrev_i32_e32 v41, 31, v41
	v_lshlrev_b32_e32 v39, 25, v4
	v_ashrrev_i32_e32 v6, 31, v6
	v_lshlrev_b32_e32 v9, 24, v4
	s_wait_alu 0xfffd
	v_xor_b32_e32 v5, vcc_lo, v5
	v_cmp_gt_i32_e32 vcc_lo, 0, v7
	v_not_b32_e32 v7, v8
	s_wait_alu 0xf1ff
	v_xor_b32_e32 v41, s21, v41
	v_cmp_gt_i32_e64 s21, 0, v8
	v_and_b32_e32 v5, exec_lo, v5
	v_not_b32_e32 v8, v10
	v_ashrrev_i32_e32 v7, 31, v7
	s_wait_alu 0xfffd
	v_xor_b32_e32 v6, vcc_lo, v6
	v_cmp_gt_i32_e32 vcc_lo, 0, v10
	v_and_b32_e32 v5, v5, v41
	v_not_b32_e32 v10, v11
	v_ashrrev_i32_e32 v8, 31, v8
	s_wait_alu 0xf1ff
	v_xor_b32_e32 v7, s21, v7
	v_cmp_gt_i32_e64 s21, 0, v11
	v_and_b32_e32 v5, v5, v6
	v_not_b32_e32 v6, v39
	v_ashrrev_i32_e32 v10, 31, v10
	s_wait_alu 0xfffd
	v_xor_b32_e32 v8, vcc_lo, v8
	v_cmp_gt_i32_e32 vcc_lo, 0, v39
	v_and_b32_e32 v5, v5, v7
	v_not_b32_e32 v7, v9
	v_ashrrev_i32_e32 v6, 31, v6
	s_wait_alu 0xf1ff
	v_xor_b32_e32 v10, s21, v10
	v_lshlrev_b32_e32 v4, 5, v4
	v_and_b32_e32 v5, v5, v8
	v_cmp_gt_i32_e64 s21, 0, v9
	v_ashrrev_i32_e32 v7, 31, v7
	s_wait_alu 0xfffd
	v_xor_b32_e32 v6, vcc_lo, v6
	v_add_nc_u32_e32 v42, v52, v4
	v_and_b32_e32 v5, v5, v10
	s_wait_alu 0xf1ff
	v_xor_b32_e32 v4, s21, v7
	ds_load_b32 v39, v42 offset:32
	v_and_b32_e32 v5, v5, v6
	; wave barrier
	s_delay_alu instid0(VALU_DEP_1) | instskip(NEXT) | instid1(VALU_DEP_1)
	v_and_b32_e32 v4, v5, v4
	v_mbcnt_lo_u32_b32 v41, v4, 0
	v_cmp_ne_u32_e64 s21, 0, v4
	s_delay_alu instid0(VALU_DEP_2)
	v_cmp_eq_u32_e32 vcc_lo, 0, v41
	s_and_b32 s27, s21, vcc_lo
	s_wait_alu 0xfffe
	s_and_saveexec_b32 s21, s27
	s_cbranch_execz .LBB201_77
; %bb.76:                               ;   in Loop: Header=BB201_67 Depth=1
	s_wait_dscnt 0x0
	v_bcnt_u32_b32 v4, v4, v39
	ds_store_b32 v42, v4 offset:32
.LBB201_77:                             ;   in Loop: Header=BB201_67 Depth=1
	s_wait_alu 0xfffe
	s_or_b32 exec_lo, exec_lo, s21
	v_cmp_ne_u32_e32 vcc_lo, 0x80000000, v57
	; wave barrier
	s_wait_alu 0xfffd
	v_cndmask_b32_e32 v4, 0x7fffffff, v57, vcc_lo
	s_delay_alu instid0(VALU_DEP_1) | instskip(NEXT) | instid1(VALU_DEP_1)
	v_lshrrev_b32_e32 v4, s24, v4
	v_and_b32_e32 v4, s26, v4
	s_delay_alu instid0(VALU_DEP_1)
	v_and_b32_e32 v5, 1, v4
	v_lshlrev_b32_e32 v6, 30, v4
	v_lshlrev_b32_e32 v7, 29, v4
	;; [unrolled: 1-line block ×4, first 2 shown]
	v_add_co_u32 v5, s21, v5, -1
	s_wait_alu 0xf1ff
	v_cndmask_b32_e64 v9, 0, 1, s21
	v_not_b32_e32 v47, v6
	v_cmp_gt_i32_e64 s21, 0, v6
	v_not_b32_e32 v6, v7
	v_lshlrev_b32_e32 v11, 26, v4
	v_cmp_ne_u32_e32 vcc_lo, 0, v9
	v_ashrrev_i32_e32 v47, 31, v47
	v_lshlrev_b32_e32 v46, 25, v4
	v_ashrrev_i32_e32 v6, 31, v6
	v_lshlrev_b32_e32 v9, 24, v4
	s_wait_alu 0xfffd
	v_xor_b32_e32 v5, vcc_lo, v5
	v_cmp_gt_i32_e32 vcc_lo, 0, v7
	v_not_b32_e32 v7, v8
	s_wait_alu 0xf1ff
	v_xor_b32_e32 v47, s21, v47
	v_cmp_gt_i32_e64 s21, 0, v8
	v_and_b32_e32 v5, exec_lo, v5
	v_not_b32_e32 v8, v10
	v_ashrrev_i32_e32 v7, 31, v7
	s_wait_alu 0xfffd
	v_xor_b32_e32 v6, vcc_lo, v6
	v_cmp_gt_i32_e32 vcc_lo, 0, v10
	v_and_b32_e32 v5, v5, v47
	v_not_b32_e32 v10, v11
	v_ashrrev_i32_e32 v8, 31, v8
	s_wait_alu 0xf1ff
	v_xor_b32_e32 v7, s21, v7
	v_cmp_gt_i32_e64 s21, 0, v11
	v_and_b32_e32 v5, v5, v6
	v_not_b32_e32 v6, v46
	v_ashrrev_i32_e32 v10, 31, v10
	s_wait_alu 0xfffd
	v_xor_b32_e32 v8, vcc_lo, v8
	v_cmp_gt_i32_e32 vcc_lo, 0, v46
	v_and_b32_e32 v5, v5, v7
	v_not_b32_e32 v7, v9
	v_ashrrev_i32_e32 v6, 31, v6
	s_wait_alu 0xf1ff
	v_xor_b32_e32 v10, s21, v10
	v_lshlrev_b32_e32 v4, 5, v4
	v_and_b32_e32 v5, v5, v8
	v_cmp_gt_i32_e64 s21, 0, v9
	v_ashrrev_i32_e32 v7, 31, v7
	s_wait_alu 0xfffd
	v_xor_b32_e32 v6, vcc_lo, v6
	v_add_nc_u32_e32 v47, v52, v4
	v_and_b32_e32 v5, v5, v10
	s_wait_alu 0xf1ff
	v_xor_b32_e32 v4, s21, v7
	ds_load_b32 v46, v47 offset:32
	v_and_b32_e32 v5, v5, v6
	; wave barrier
	s_delay_alu instid0(VALU_DEP_1) | instskip(NEXT) | instid1(VALU_DEP_1)
	v_and_b32_e32 v4, v5, v4
	v_mbcnt_lo_u32_b32 v62, v4, 0
	v_cmp_ne_u32_e64 s21, 0, v4
	s_delay_alu instid0(VALU_DEP_2)
	v_cmp_eq_u32_e32 vcc_lo, 0, v62
	s_and_b32 s27, s21, vcc_lo
	s_wait_alu 0xfffe
	s_and_saveexec_b32 s21, s27
	s_cbranch_execz .LBB201_79
; %bb.78:                               ;   in Loop: Header=BB201_67 Depth=1
	s_wait_dscnt 0x0
	v_bcnt_u32_b32 v4, v4, v46
	ds_store_b32 v47, v4 offset:32
.LBB201_79:                             ;   in Loop: Header=BB201_67 Depth=1
	s_wait_alu 0xfffe
	s_or_b32 exec_lo, exec_lo, s21
	v_cmp_ne_u32_e32 vcc_lo, 0x80000000, v56
	; wave barrier
	s_wait_alu 0xfffd
	v_cndmask_b32_e32 v4, 0x7fffffff, v56, vcc_lo
	s_delay_alu instid0(VALU_DEP_1) | instskip(NEXT) | instid1(VALU_DEP_1)
	v_lshrrev_b32_e32 v4, s24, v4
	v_and_b32_e32 v4, s26, v4
	s_delay_alu instid0(VALU_DEP_1)
	v_and_b32_e32 v5, 1, v4
	v_lshlrev_b32_e32 v6, 30, v4
	v_lshlrev_b32_e32 v7, 29, v4
	;; [unrolled: 1-line block ×4, first 2 shown]
	v_add_co_u32 v5, s21, v5, -1
	s_wait_alu 0xf1ff
	v_cndmask_b32_e64 v9, 0, 1, s21
	v_not_b32_e32 v64, v6
	v_cmp_gt_i32_e64 s21, 0, v6
	v_not_b32_e32 v6, v7
	v_lshlrev_b32_e32 v11, 26, v4
	v_cmp_ne_u32_e32 vcc_lo, 0, v9
	v_ashrrev_i32_e32 v64, 31, v64
	v_lshlrev_b32_e32 v63, 25, v4
	v_ashrrev_i32_e32 v6, 31, v6
	v_lshlrev_b32_e32 v9, 24, v4
	s_wait_alu 0xfffd
	v_xor_b32_e32 v5, vcc_lo, v5
	v_cmp_gt_i32_e32 vcc_lo, 0, v7
	v_not_b32_e32 v7, v8
	s_wait_alu 0xf1ff
	v_xor_b32_e32 v64, s21, v64
	v_cmp_gt_i32_e64 s21, 0, v8
	v_and_b32_e32 v5, exec_lo, v5
	v_not_b32_e32 v8, v10
	v_ashrrev_i32_e32 v7, 31, v7
	s_wait_alu 0xfffd
	v_xor_b32_e32 v6, vcc_lo, v6
	v_cmp_gt_i32_e32 vcc_lo, 0, v10
	v_and_b32_e32 v5, v5, v64
	v_not_b32_e32 v10, v11
	v_ashrrev_i32_e32 v8, 31, v8
	s_wait_alu 0xf1ff
	v_xor_b32_e32 v7, s21, v7
	v_cmp_gt_i32_e64 s21, 0, v11
	v_and_b32_e32 v5, v5, v6
	v_not_b32_e32 v6, v63
	v_ashrrev_i32_e32 v10, 31, v10
	s_wait_alu 0xfffd
	v_xor_b32_e32 v8, vcc_lo, v8
	v_cmp_gt_i32_e32 vcc_lo, 0, v63
	v_and_b32_e32 v5, v5, v7
	v_not_b32_e32 v7, v9
	v_ashrrev_i32_e32 v6, 31, v6
	s_wait_alu 0xf1ff
	v_xor_b32_e32 v10, s21, v10
	v_lshlrev_b32_e32 v4, 5, v4
	v_and_b32_e32 v5, v5, v8
	v_cmp_gt_i32_e64 s21, 0, v9
	v_ashrrev_i32_e32 v7, 31, v7
	s_wait_alu 0xfffd
	v_xor_b32_e32 v6, vcc_lo, v6
	v_add_nc_u32_e32 v64, v52, v4
	v_and_b32_e32 v5, v5, v10
	s_wait_alu 0xf1ff
	v_xor_b32_e32 v4, s21, v7
	ds_load_b32 v63, v64 offset:32
	v_and_b32_e32 v5, v5, v6
	; wave barrier
	s_delay_alu instid0(VALU_DEP_1) | instskip(NEXT) | instid1(VALU_DEP_1)
	v_and_b32_e32 v4, v5, v4
	v_mbcnt_lo_u32_b32 v65, v4, 0
	v_cmp_ne_u32_e64 s21, 0, v4
	s_delay_alu instid0(VALU_DEP_2)
	v_cmp_eq_u32_e32 vcc_lo, 0, v65
	s_and_b32 s27, s21, vcc_lo
	s_wait_alu 0xfffe
	s_and_saveexec_b32 s21, s27
	s_cbranch_execz .LBB201_81
; %bb.80:                               ;   in Loop: Header=BB201_67 Depth=1
	s_wait_dscnt 0x0
	v_bcnt_u32_b32 v4, v4, v63
	ds_store_b32 v64, v4 offset:32
.LBB201_81:                             ;   in Loop: Header=BB201_67 Depth=1
	s_wait_alu 0xfffe
	s_or_b32 exec_lo, exec_lo, s21
	v_cmp_ne_u32_e32 vcc_lo, 0x80000000, v55
	; wave barrier
	s_wait_alu 0xfffd
	v_cndmask_b32_e32 v4, 0x7fffffff, v55, vcc_lo
	s_delay_alu instid0(VALU_DEP_1) | instskip(NEXT) | instid1(VALU_DEP_1)
	v_lshrrev_b32_e32 v4, s24, v4
	v_and_b32_e32 v4, s26, v4
	s_delay_alu instid0(VALU_DEP_1)
	v_and_b32_e32 v5, 1, v4
	v_lshlrev_b32_e32 v6, 30, v4
	v_lshlrev_b32_e32 v7, 29, v4
	;; [unrolled: 1-line block ×4, first 2 shown]
	v_add_co_u32 v5, s21, v5, -1
	s_wait_alu 0xf1ff
	v_cndmask_b32_e64 v9, 0, 1, s21
	v_not_b32_e32 v67, v6
	v_cmp_gt_i32_e64 s21, 0, v6
	v_not_b32_e32 v6, v7
	v_lshlrev_b32_e32 v11, 26, v4
	v_cmp_ne_u32_e32 vcc_lo, 0, v9
	v_ashrrev_i32_e32 v67, 31, v67
	v_lshlrev_b32_e32 v66, 25, v4
	v_ashrrev_i32_e32 v6, 31, v6
	v_lshlrev_b32_e32 v9, 24, v4
	s_wait_alu 0xfffd
	v_xor_b32_e32 v5, vcc_lo, v5
	v_cmp_gt_i32_e32 vcc_lo, 0, v7
	v_not_b32_e32 v7, v8
	s_wait_alu 0xf1ff
	v_xor_b32_e32 v67, s21, v67
	v_cmp_gt_i32_e64 s21, 0, v8
	v_and_b32_e32 v5, exec_lo, v5
	v_not_b32_e32 v8, v10
	v_ashrrev_i32_e32 v7, 31, v7
	s_wait_alu 0xfffd
	v_xor_b32_e32 v6, vcc_lo, v6
	v_cmp_gt_i32_e32 vcc_lo, 0, v10
	v_and_b32_e32 v5, v5, v67
	v_not_b32_e32 v10, v11
	v_ashrrev_i32_e32 v8, 31, v8
	s_wait_alu 0xf1ff
	v_xor_b32_e32 v7, s21, v7
	v_cmp_gt_i32_e64 s21, 0, v11
	v_and_b32_e32 v5, v5, v6
	v_not_b32_e32 v6, v66
	v_ashrrev_i32_e32 v10, 31, v10
	s_wait_alu 0xfffd
	v_xor_b32_e32 v8, vcc_lo, v8
	v_cmp_gt_i32_e32 vcc_lo, 0, v66
	v_and_b32_e32 v5, v5, v7
	v_not_b32_e32 v7, v9
	v_ashrrev_i32_e32 v6, 31, v6
	s_wait_alu 0xf1ff
	v_xor_b32_e32 v10, s21, v10
	v_lshlrev_b32_e32 v4, 5, v4
	v_and_b32_e32 v5, v5, v8
	v_cmp_gt_i32_e64 s21, 0, v9
	v_ashrrev_i32_e32 v7, 31, v7
	s_wait_alu 0xfffd
	v_xor_b32_e32 v6, vcc_lo, v6
	v_add_nc_u32_e32 v66, v52, v4
	v_and_b32_e32 v5, v5, v10
	s_wait_alu 0xf1ff
	v_xor_b32_e32 v4, s21, v7
	ds_load_b32 v71, v66 offset:32
	v_and_b32_e32 v5, v5, v6
	; wave barrier
	s_delay_alu instid0(VALU_DEP_1) | instskip(NEXT) | instid1(VALU_DEP_1)
	v_and_b32_e32 v4, v5, v4
	v_mbcnt_lo_u32_b32 v91, v4, 0
	v_cmp_ne_u32_e64 s21, 0, v4
	s_delay_alu instid0(VALU_DEP_2)
	v_cmp_eq_u32_e32 vcc_lo, 0, v91
	s_and_b32 s26, s21, vcc_lo
	s_wait_alu 0xfffe
	s_and_saveexec_b32 s21, s26
	s_cbranch_execz .LBB201_83
; %bb.82:                               ;   in Loop: Header=BB201_67 Depth=1
	s_wait_dscnt 0x0
	v_bcnt_u32_b32 v4, v4, v71
	ds_store_b32 v66, v4 offset:32
.LBB201_83:                             ;   in Loop: Header=BB201_67 Depth=1
	s_wait_alu 0xfffe
	s_or_b32 exec_lo, exec_lo, s21
	; wave barrier
	s_wait_loadcnt_dscnt 0x0
	s_barrier_signal -1
	s_barrier_wait -1
	global_inv scope:SCOPE_SE
	ds_load_b128 v[8:11], v89 offset:32
	ds_load_b128 v[4:7], v89 offset:48
	s_wait_dscnt 0x1
	v_add_nc_u32_e32 v67, v9, v8
	s_delay_alu instid0(VALU_DEP_1) | instskip(SKIP_1) | instid1(VALU_DEP_1)
	v_add3_u32 v67, v67, v10, v11
	s_wait_dscnt 0x0
	v_add3_u32 v67, v67, v4, v5
	s_delay_alu instid0(VALU_DEP_1) | instskip(NEXT) | instid1(VALU_DEP_1)
	v_add3_u32 v7, v67, v6, v7
	v_mov_b32_dpp v67, v7 row_shr:1 row_mask:0xf bank_mask:0xf
	s_delay_alu instid0(VALU_DEP_1) | instskip(NEXT) | instid1(VALU_DEP_1)
	v_cndmask_b32_e64 v67, v67, 0, s8
	v_add_nc_u32_e32 v7, v67, v7
	s_delay_alu instid0(VALU_DEP_1) | instskip(NEXT) | instid1(VALU_DEP_1)
	v_mov_b32_dpp v67, v7 row_shr:2 row_mask:0xf bank_mask:0xf
	v_cndmask_b32_e64 v67, 0, v67, s9
	s_delay_alu instid0(VALU_DEP_1) | instskip(NEXT) | instid1(VALU_DEP_1)
	v_add_nc_u32_e32 v7, v7, v67
	v_mov_b32_dpp v67, v7 row_shr:4 row_mask:0xf bank_mask:0xf
	s_delay_alu instid0(VALU_DEP_1) | instskip(NEXT) | instid1(VALU_DEP_1)
	v_cndmask_b32_e64 v67, 0, v67, s11
	v_add_nc_u32_e32 v7, v7, v67
	s_delay_alu instid0(VALU_DEP_1) | instskip(NEXT) | instid1(VALU_DEP_1)
	v_mov_b32_dpp v67, v7 row_shr:8 row_mask:0xf bank_mask:0xf
	v_cndmask_b32_e64 v67, 0, v67, s12
	s_delay_alu instid0(VALU_DEP_1) | instskip(SKIP_3) | instid1(VALU_DEP_1)
	v_add_nc_u32_e32 v7, v7, v67
	ds_swizzle_b32 v67, v7 offset:swizzle(BROADCAST,32,15)
	s_wait_dscnt 0x0
	v_cndmask_b32_e64 v67, v67, 0, s13
	v_add_nc_u32_e32 v7, v7, v67
	s_and_saveexec_b32 s21, s14
; %bb.84:                               ;   in Loop: Header=BB201_67 Depth=1
	ds_store_b32 v90, v7
; %bb.85:                               ;   in Loop: Header=BB201_67 Depth=1
	s_wait_alu 0xfffe
	s_or_b32 exec_lo, exec_lo, s21
	s_wait_loadcnt_dscnt 0x0
	s_barrier_signal -1
	s_barrier_wait -1
	global_inv scope:SCOPE_SE
	s_and_saveexec_b32 s21, s15
	s_cbranch_execz .LBB201_87
; %bb.86:                               ;   in Loop: Header=BB201_67 Depth=1
	ds_load_b32 v67, v53
	s_wait_dscnt 0x0
	v_mov_b32_dpp v68, v67 row_shr:1 row_mask:0xf bank_mask:0xf
	s_delay_alu instid0(VALU_DEP_1) | instskip(NEXT) | instid1(VALU_DEP_1)
	v_cndmask_b32_e64 v68, v68, 0, s18
	v_add_nc_u32_e32 v67, v68, v67
	s_delay_alu instid0(VALU_DEP_1) | instskip(NEXT) | instid1(VALU_DEP_1)
	v_mov_b32_dpp v68, v67 row_shr:2 row_mask:0xf bank_mask:0xf
	v_cndmask_b32_e64 v68, 0, v68, s19
	s_delay_alu instid0(VALU_DEP_1) | instskip(NEXT) | instid1(VALU_DEP_1)
	v_add_nc_u32_e32 v67, v67, v68
	v_mov_b32_dpp v68, v67 row_shr:4 row_mask:0xf bank_mask:0xf
	s_delay_alu instid0(VALU_DEP_1) | instskip(NEXT) | instid1(VALU_DEP_1)
	v_cndmask_b32_e64 v68, 0, v68, s20
	v_add_nc_u32_e32 v67, v67, v68
	ds_store_b32 v53, v67
.LBB201_87:                             ;   in Loop: Header=BB201_67 Depth=1
	s_wait_alu 0xfffe
	s_or_b32 exec_lo, exec_lo, s21
	v_mov_b32_e32 v67, 0
	s_wait_loadcnt_dscnt 0x0
	s_barrier_signal -1
	s_barrier_wait -1
	global_inv scope:SCOPE_SE
	s_and_saveexec_b32 s21, s16
; %bb.88:                               ;   in Loop: Header=BB201_67 Depth=1
	ds_load_b32 v67, v51
; %bb.89:                               ;   in Loop: Header=BB201_67 Depth=1
	s_wait_alu 0xfffe
	s_or_b32 exec_lo, exec_lo, s21
	s_wait_dscnt 0x0
	v_add_nc_u32_e32 v7, v67, v7
	s_cmp_gt_u32 s24, 23
	s_mov_b32 s21, -1
	ds_bpermute_b32 v7, v50, v7
	s_wait_dscnt 0x0
	v_cndmask_b32_e64 v7, v7, v67, s10
	s_delay_alu instid0(VALU_DEP_1) | instskip(NEXT) | instid1(VALU_DEP_1)
	v_cndmask_b32_e64 v7, v7, 0, s17
	v_add_nc_u32_e32 v8, v7, v8
	s_delay_alu instid0(VALU_DEP_1) | instskip(NEXT) | instid1(VALU_DEP_1)
	v_add_nc_u32_e32 v9, v8, v9
	v_add_nc_u32_e32 v10, v9, v10
	s_delay_alu instid0(VALU_DEP_1) | instskip(NEXT) | instid1(VALU_DEP_1)
	v_add_nc_u32_e32 v67, v10, v11
	;; [unrolled: 3-line block ×3, first 2 shown]
	v_add_nc_u32_e32 v70, v69, v6
	ds_store_b128 v89, v[7:10] offset:32
	ds_store_b128 v89, v[67:70] offset:48
	s_wait_loadcnt_dscnt 0x0
	s_barrier_signal -1
	s_barrier_wait -1
	global_inv scope:SCOPE_SE
	ds_load_b32 v4, v13 offset:32
	ds_load_b32 v5, v16 offset:32
	;; [unrolled: 1-line block ×8, first 2 shown]
	s_wait_dscnt 0x7
	v_add_nc_u32_e32 v70, v4, v12
	s_wait_dscnt 0x6
	v_add3_u32 v69, v15, v14, v5
	s_wait_dscnt 0x5
	v_add3_u32 v68, v18, v17, v6
	;; [unrolled: 2-line block ×7, first 2 shown]
                                        ; implicit-def: $vgpr47
                                        ; implicit-def: $vgpr42
                                        ; implicit-def: $vgpr39
                                        ; implicit-def: $vgpr37
                                        ; implicit-def: $vgpr18_vgpr19
                                        ; implicit-def: $vgpr14_vgpr15
                                        ; implicit-def: $vgpr10_vgpr11
                                        ; implicit-def: $vgpr6_vgpr7
	s_cbranch_scc1 .LBB201_66
; %bb.90:                               ;   in Loop: Header=BB201_67 Depth=1
	v_lshlrev_b32_e32 v4, 2, v70
	v_lshlrev_b32_e32 v5, 2, v69
	;; [unrolled: 1-line block ×3, first 2 shown]
	s_wait_loadcnt 0x0
	s_barrier_signal -1
	s_barrier_wait -1
	global_inv scope:SCOPE_SE
	ds_store_b32 v4, v54
	ds_store_b32 v5, v61
	;; [unrolled: 1-line block ×3, first 2 shown]
	v_lshlrev_b32_e32 v7, 2, v67
	v_add_nc_u32_e32 v4, v4, v4
	v_lshlrev_b32_e32 v8, 2, v66
	v_add_nc_u32_e32 v5, v5, v5
	;; [unrolled: 2-line block ×3, first 2 shown]
	v_lshlrev_b32_e32 v10, 2, v63
	v_lshlrev_b32_e32 v11, 2, v62
	ds_store_b32 v7, v59
	ds_store_b32 v8, v58
	;; [unrolled: 1-line block ×5, first 2 shown]
	s_wait_loadcnt_dscnt 0x0
	s_barrier_signal -1
	s_barrier_wait -1
	global_inv scope:SCOPE_SE
	ds_load_2addr_b32 v[36:37], v48 offset1:32
	ds_load_2addr_b32 v[38:39], v48 offset0:64 offset1:96
	ds_load_2addr_b32 v[41:42], v48 offset0:128 offset1:160
	;; [unrolled: 1-line block ×3, first 2 shown]
	s_wait_loadcnt_dscnt 0x0
	s_barrier_signal -1
	s_barrier_wait -1
	global_inv scope:SCOPE_SE
	ds_store_b64 v4, v[34:35]
	ds_store_b64 v5, v[32:33]
	;; [unrolled: 1-line block ×3, first 2 shown]
	v_add_nc_u32_e32 v4, v7, v7
	v_add_nc_u32_e32 v5, v8, v8
	;; [unrolled: 1-line block ×5, first 2 shown]
	ds_store_b64 v4, v[28:29]
	ds_store_b64 v5, v[26:27]
	;; [unrolled: 1-line block ×5, first 2 shown]
	s_wait_loadcnt_dscnt 0x0
	s_barrier_signal -1
	s_barrier_wait -1
	global_inv scope:SCOPE_SE
	ds_load_2addr_b64 v[4:7], v49 offset1:32
	ds_load_2addr_b64 v[8:11], v49 offset0:64 offset1:96
	ds_load_2addr_b64 v[12:15], v49 offset0:128 offset1:160
	;; [unrolled: 1-line block ×3, first 2 shown]
	s_add_co_i32 s24, s24, 8
	s_add_co_i32 s25, s25, -8
	s_mov_b32 s21, 0
	s_wait_loadcnt_dscnt 0x0
	s_barrier_signal -1
	s_barrier_wait -1
	global_inv scope:SCOPE_SE
	s_branch .LBB201_66
.LBB201_91:
	v_lshlrev_b32_e32 v8, 2, v70
	v_lshlrev_b32_e32 v11, 2, v67
	;; [unrolled: 1-line block ×8, first 2 shown]
	s_wait_loadcnt 0x0
	s_barrier_signal -1
	s_barrier_wait -1
	global_inv scope:SCOPE_SE
	ds_store_b32 v8, v54
	ds_store_b32 v9, v61
	;; [unrolled: 1-line block ×8, first 2 shown]
	s_wait_loadcnt_dscnt 0x0
	s_barrier_signal -1
	s_barrier_wait -1
	global_inv scope:SCOPE_SE
	ds_load_b128 v[0:3], v89
	ds_load_b128 v[4:7], v89 offset:16
	v_add_nc_u32_e32 v8, v8, v8
	v_add_nc_u32_e32 v9, v9, v9
	;; [unrolled: 1-line block ×3, first 2 shown]
	s_wait_loadcnt_dscnt 0x0
	s_barrier_signal -1
	s_barrier_wait -1
	global_inv scope:SCOPE_SE
	ds_store_b64 v8, v[34:35]
	ds_store_b64 v9, v[32:33]
	;; [unrolled: 1-line block ×3, first 2 shown]
	v_add_nc_u32_e32 v8, v11, v11
	v_add_nc_u32_e32 v9, v12, v12
	;; [unrolled: 1-line block ×5, first 2 shown]
	ds_store_b64 v8, v[28:29]
	ds_store_b64 v9, v[26:27]
	;; [unrolled: 1-line block ×5, first 2 shown]
	v_lshl_add_u32 v8, v45, 5, v89
	s_wait_loadcnt_dscnt 0x0
	s_barrier_signal -1
	s_barrier_wait -1
	v_cmp_gt_i32_e32 vcc_lo, 0, v0
	global_inv scope:SCOPE_SE
	ds_load_b128 v[28:31], v8
	ds_load_b128 v[24:27], v8 offset:16
	ds_load_b128 v[36:39], v8 offset:32
	;; [unrolled: 1-line block ×3, first 2 shown]
	s_wait_alu 0xfffd
	v_cndmask_b32_e64 v9, 0x7fffffff, 0, vcc_lo
	v_cmp_gt_i32_e32 vcc_lo, 0, v1
	s_delay_alu instid0(VALU_DEP_2) | instskip(SKIP_3) | instid1(VALU_DEP_2)
	v_xor_b32_e32 v0, v9, v0
	s_wait_alu 0xfffd
	v_cndmask_b32_e64 v10, 0x7fffffff, 0, vcc_lo
	v_cmp_gt_i32_e32 vcc_lo, 0, v2
	v_xor_b32_e32 v1, v10, v1
	s_wait_alu 0xfffd
	v_cndmask_b32_e64 v11, 0x7fffffff, 0, vcc_lo
	v_cmp_gt_i32_e32 vcc_lo, 0, v3
	s_delay_alu instid0(VALU_DEP_2) | instskip(SKIP_3) | instid1(VALU_DEP_2)
	v_xor_b32_e32 v2, v11, v2
	s_wait_alu 0xfffd
	v_cndmask_b32_e64 v8, 0x7fffffff, 0, vcc_lo
	v_cmp_gt_i32_e32 vcc_lo, 0, v4
	v_xor_b32_e32 v3, v8, v3
	;; [unrolled: 9-line block ×3, first 2 shown]
	s_wait_alu 0xfffd
	v_cndmask_b32_e64 v11, 0x7fffffff, 0, vcc_lo
	v_cmp_gt_i32_e32 vcc_lo, 0, v7
	s_delay_alu instid0(VALU_DEP_2) | instskip(SKIP_2) | instid1(VALU_DEP_1)
	v_xor_b32_e32 v6, v11, v6
	s_wait_alu 0xfffd
	v_cndmask_b32_e64 v12, 0x7fffffff, 0, vcc_lo
	v_xor_b32_e32 v7, v12, v7
.LBB201_92:
	s_wait_loadcnt_dscnt 0x0
	s_barrier_signal -1
	s_barrier_wait -1
	global_inv scope:SCOPE_SE
	ds_store_2addr_b32 v79, v0, v1 offset1:1
	ds_store_2addr_b32 v79, v2, v3 offset0:2 offset1:3
	ds_store_2addr_b32 v79, v4, v5 offset0:4 offset1:5
	;; [unrolled: 1-line block ×3, first 2 shown]
	s_wait_loadcnt_dscnt 0x0
	s_barrier_signal -1
	s_barrier_wait -1
	global_inv scope:SCOPE_SE
	ds_load_b32 v8, v44 offset:1024
	ds_load_b32 v7, v73 offset:2048
	;; [unrolled: 1-line block ×7, first 2 shown]
	v_mov_b32_e32 v44, 0
	s_delay_alu instid0(VALU_DEP_1) | instskip(NEXT) | instid1(VALU_DEP_1)
	v_lshlrev_b64_e32 v[0:1], 2, v[43:44]
	v_add_co_u32 v0, vcc_lo, s30, v0
	s_wait_alu 0xfffd
	s_delay_alu instid0(VALU_DEP_2)
	v_add_co_ci_u32_e64 v1, null, s31, v1, vcc_lo
	s_and_saveexec_b32 s8, s0
	s_cbranch_execnz .LBB201_111
; %bb.93:
	s_wait_alu 0xfffe
	s_or_b32 exec_lo, exec_lo, s8
	s_and_saveexec_b32 s8, s1
	s_cbranch_execnz .LBB201_112
.LBB201_94:
	s_wait_alu 0xfffe
	s_or_b32 exec_lo, exec_lo, s8
	s_and_saveexec_b32 s8, s2
	s_cbranch_execnz .LBB201_113
.LBB201_95:
	s_wait_alu 0xfffe
	s_or_b32 exec_lo, exec_lo, s8
	s_and_saveexec_b32 s8, s3
	s_cbranch_execnz .LBB201_114
.LBB201_96:
	s_wait_alu 0xfffe
	s_or_b32 exec_lo, exec_lo, s8
	s_and_saveexec_b32 s8, s4
	s_cbranch_execnz .LBB201_115
.LBB201_97:
	s_wait_alu 0xfffe
	s_or_b32 exec_lo, exec_lo, s8
	s_and_saveexec_b32 s8, s5
	s_cbranch_execnz .LBB201_116
.LBB201_98:
	s_wait_alu 0xfffe
	s_or_b32 exec_lo, exec_lo, s8
	s_and_saveexec_b32 s8, s6
	s_cbranch_execnz .LBB201_117
.LBB201_99:
	s_wait_alu 0xfffe
	s_or_b32 exec_lo, exec_lo, s8
	s_and_saveexec_b32 s8, s7
	s_cbranch_execz .LBB201_101
.LBB201_100:
	s_mul_i32 s10, s22, 0x700
	s_mov_b32 s11, 0
	s_wait_alu 0xfffe
	s_lshl_b64 s[10:11], s[10:11], 2
	s_wait_alu 0xfffe
	v_add_co_u32 v0, vcc_lo, v0, s10
	s_wait_alu 0xfffd
	v_add_co_ci_u32_e64 v1, null, s11, v1, vcc_lo
	s_wait_dscnt 0x0
	global_store_b32 v[0:1], v2, off
.LBB201_101:
	s_wait_alu 0xfffe
	s_or_b32 exec_lo, exec_lo, s8
	s_wait_storecnt 0x0
	s_wait_loadcnt_dscnt 0x0
	s_barrier_signal -1
	s_barrier_wait -1
	global_inv scope:SCOPE_SE
	ds_store_2addr_b64 v88, v[28:29], v[30:31] offset1:1
	ds_store_2addr_b64 v88, v[24:25], v[26:27] offset0:2 offset1:3
	ds_store_2addr_b64 v88, v[36:37], v[38:39] offset0:4 offset1:5
	;; [unrolled: 1-line block ×3, first 2 shown]
	s_wait_loadcnt_dscnt 0x0
	s_barrier_signal -1
	s_barrier_wait -1
	global_inv scope:SCOPE_SE
	ds_load_b64 v[14:15], v81 offset:2048
	ds_load_b64 v[12:13], v82 offset:4096
	;; [unrolled: 1-line block ×7, first 2 shown]
	v_mov_b32_e32 v41, 0
	s_delay_alu instid0(VALU_DEP_1) | instskip(NEXT) | instid1(VALU_DEP_1)
	v_lshlrev_b64_e32 v[2:3], 3, v[40:41]
	v_add_co_u32 v2, vcc_lo, s34, v2
	s_wait_alu 0xfffd
	s_delay_alu instid0(VALU_DEP_2)
	v_add_co_ci_u32_e64 v3, null, s35, v3, vcc_lo
	s_and_saveexec_b32 s8, s0
	s_cbranch_execnz .LBB201_118
; %bb.102:
	s_wait_alu 0xfffe
	s_or_b32 exec_lo, exec_lo, s8
	s_and_saveexec_b32 s0, s1
	s_cbranch_execnz .LBB201_119
.LBB201_103:
	s_or_b32 exec_lo, exec_lo, s0
	s_and_saveexec_b32 s0, s2
	s_cbranch_execnz .LBB201_120
.LBB201_104:
	s_or_b32 exec_lo, exec_lo, s0
	s_and_saveexec_b32 s0, s3
	s_cbranch_execnz .LBB201_121
.LBB201_105:
	s_or_b32 exec_lo, exec_lo, s0
	s_and_saveexec_b32 s0, s4
	s_cbranch_execnz .LBB201_122
.LBB201_106:
	s_or_b32 exec_lo, exec_lo, s0
	s_and_saveexec_b32 s0, s5
	s_cbranch_execnz .LBB201_123
.LBB201_107:
	s_or_b32 exec_lo, exec_lo, s0
	s_and_saveexec_b32 s0, s6
	s_cbranch_execnz .LBB201_124
.LBB201_108:
	s_or_b32 exec_lo, exec_lo, s0
	s_and_saveexec_b32 s0, s7
	s_cbranch_execz .LBB201_110
.LBB201_109:
	s_mul_i32 s0, s28, 0x700
	s_mov_b32 s1, 0
	s_delay_alu instid0(SALU_CYCLE_1) | instskip(NEXT) | instid1(SALU_CYCLE_1)
	s_lshl_b64 s[0:1], s[0:1], 3
	v_add_co_u32 v2, vcc_lo, v2, s0
	s_wait_alu 0xfffd
	v_add_co_ci_u32_e64 v3, null, s1, v3, vcc_lo
	s_wait_dscnt 0x0
	global_store_b64 v[2:3], v[0:1], off
.LBB201_110:
	s_nop 0
	s_sendmsg sendmsg(MSG_DEALLOC_VGPRS)
	s_endpgm
.LBB201_111:
	ds_load_b32 v9, v72
	s_wait_dscnt 0x0
	global_store_b32 v[0:1], v9, off
	s_wait_alu 0xfffe
	s_or_b32 exec_lo, exec_lo, s8
	s_and_saveexec_b32 s8, s1
	s_cbranch_execz .LBB201_94
.LBB201_112:
	s_lshl_b32 s10, s22, 8
	s_mov_b32 s11, 0
	s_wait_alu 0xfffe
	s_lshl_b64 s[10:11], s[10:11], 2
	s_wait_alu 0xfffe
	v_add_co_u32 v9, vcc_lo, v0, s10
	s_wait_alu 0xfffd
	v_add_co_ci_u32_e64 v10, null, s11, v1, vcc_lo
	s_wait_dscnt 0x6
	global_store_b32 v[9:10], v8, off
	s_or_b32 exec_lo, exec_lo, s8
	s_and_saveexec_b32 s8, s2
	s_cbranch_execz .LBB201_95
.LBB201_113:
	s_lshl_b32 s10, s22, 9
	s_mov_b32 s11, 0
	s_wait_alu 0xfffe
	s_lshl_b64 s[10:11], s[10:11], 2
	s_wait_dscnt 0x6
	s_wait_alu 0xfffe
	v_add_co_u32 v8, vcc_lo, v0, s10
	s_wait_alu 0xfffd
	v_add_co_ci_u32_e64 v9, null, s11, v1, vcc_lo
	s_wait_dscnt 0x5
	global_store_b32 v[8:9], v7, off
	s_or_b32 exec_lo, exec_lo, s8
	s_and_saveexec_b32 s8, s3
	s_cbranch_execz .LBB201_96
.LBB201_114:
	s_mul_i32 s10, s22, 0x300
	s_mov_b32 s11, 0
	s_wait_alu 0xfffe
	s_lshl_b64 s[10:11], s[10:11], 2
	s_wait_dscnt 0x5
	s_wait_alu 0xfffe
	v_add_co_u32 v7, vcc_lo, v0, s10
	s_wait_alu 0xfffd
	v_add_co_ci_u32_e64 v8, null, s11, v1, vcc_lo
	s_wait_dscnt 0x4
	global_store_b32 v[7:8], v6, off
	s_or_b32 exec_lo, exec_lo, s8
	s_and_saveexec_b32 s8, s4
	s_cbranch_execz .LBB201_97
.LBB201_115:
	s_lshl_b32 s10, s22, 10
	s_mov_b32 s11, 0
	s_wait_alu 0xfffe
	s_lshl_b64 s[10:11], s[10:11], 2
	s_wait_dscnt 0x4
	s_wait_alu 0xfffe
	v_add_co_u32 v6, vcc_lo, v0, s10
	s_wait_alu 0xfffd
	v_add_co_ci_u32_e64 v7, null, s11, v1, vcc_lo
	s_wait_dscnt 0x3
	global_store_b32 v[6:7], v5, off
	s_or_b32 exec_lo, exec_lo, s8
	s_and_saveexec_b32 s8, s5
	s_cbranch_execz .LBB201_98
.LBB201_116:
	s_mul_i32 s10, s22, 0x500
	s_mov_b32 s11, 0
	s_wait_alu 0xfffe
	s_lshl_b64 s[10:11], s[10:11], 2
	s_wait_dscnt 0x3
	s_wait_alu 0xfffe
	v_add_co_u32 v5, vcc_lo, v0, s10
	s_wait_alu 0xfffd
	v_add_co_ci_u32_e64 v6, null, s11, v1, vcc_lo
	s_wait_dscnt 0x2
	global_store_b32 v[5:6], v4, off
	s_or_b32 exec_lo, exec_lo, s8
	s_and_saveexec_b32 s8, s6
	s_cbranch_execz .LBB201_99
.LBB201_117:
	s_mul_i32 s10, s22, 0x600
	s_mov_b32 s11, 0
	s_wait_alu 0xfffe
	s_lshl_b64 s[10:11], s[10:11], 2
	s_wait_dscnt 0x2
	s_wait_alu 0xfffe
	v_add_co_u32 v4, vcc_lo, v0, s10
	s_wait_alu 0xfffd
	v_add_co_ci_u32_e64 v5, null, s11, v1, vcc_lo
	s_wait_dscnt 0x1
	global_store_b32 v[4:5], v3, off
	s_or_b32 exec_lo, exec_lo, s8
	s_and_saveexec_b32 s8, s7
	s_cbranch_execnz .LBB201_100
	s_branch .LBB201_101
.LBB201_118:
	ds_load_b64 v[16:17], v80
	s_wait_dscnt 0x0
	global_store_b64 v[2:3], v[16:17], off
	s_wait_alu 0xfffe
	s_or_b32 exec_lo, exec_lo, s8
	s_and_saveexec_b32 s0, s1
	s_cbranch_execz .LBB201_103
.LBB201_119:
	s_lshl_b32 s8, s28, 8
	s_mov_b32 s9, 0
	s_wait_alu 0xfffe
	s_lshl_b64 s[8:9], s[8:9], 3
	s_wait_alu 0xfffe
	v_add_co_u32 v16, vcc_lo, v2, s8
	s_wait_alu 0xfffd
	v_add_co_ci_u32_e64 v17, null, s9, v3, vcc_lo
	s_wait_dscnt 0x6
	global_store_b64 v[16:17], v[14:15], off
	s_or_b32 exec_lo, exec_lo, s0
	s_and_saveexec_b32 s0, s2
	s_cbranch_execz .LBB201_104
.LBB201_120:
	s_lshl_b32 s8, s28, 9
	s_mov_b32 s9, 0
	s_wait_alu 0xfffe
	s_lshl_b64 s[8:9], s[8:9], 3
	s_wait_dscnt 0x6
	s_wait_alu 0xfffe
	v_add_co_u32 v14, vcc_lo, v2, s8
	s_wait_alu 0xfffd
	v_add_co_ci_u32_e64 v15, null, s9, v3, vcc_lo
	s_wait_dscnt 0x5
	global_store_b64 v[14:15], v[12:13], off
	s_or_b32 exec_lo, exec_lo, s0
	s_and_saveexec_b32 s0, s3
	s_cbranch_execz .LBB201_105
.LBB201_121:
	s_mul_i32 s2, s28, 0x300
	s_mov_b32 s3, 0
	s_delay_alu instid0(SALU_CYCLE_1)
	s_lshl_b64 s[2:3], s[2:3], 3
	s_wait_dscnt 0x5
	v_add_co_u32 v12, vcc_lo, v2, s2
	s_wait_alu 0xfffd
	v_add_co_ci_u32_e64 v13, null, s3, v3, vcc_lo
	s_wait_dscnt 0x4
	global_store_b64 v[12:13], v[10:11], off
	s_or_b32 exec_lo, exec_lo, s0
	s_and_saveexec_b32 s0, s4
	s_cbranch_execz .LBB201_106
.LBB201_122:
	s_lshl_b32 s2, s28, 10
	s_mov_b32 s3, 0
	s_wait_alu 0xfffe
	s_lshl_b64 s[2:3], s[2:3], 3
	s_wait_dscnt 0x4
	s_wait_alu 0xfffe
	v_add_co_u32 v10, vcc_lo, v2, s2
	s_wait_alu 0xfffd
	v_add_co_ci_u32_e64 v11, null, s3, v3, vcc_lo
	s_wait_dscnt 0x3
	global_store_b64 v[10:11], v[8:9], off
	s_or_b32 exec_lo, exec_lo, s0
	s_and_saveexec_b32 s0, s5
	s_cbranch_execz .LBB201_107
.LBB201_123:
	s_mul_i32 s2, s28, 0x500
	s_mov_b32 s3, 0
	s_wait_alu 0xfffe
	s_lshl_b64 s[2:3], s[2:3], 3
	s_wait_dscnt 0x3
	s_wait_alu 0xfffe
	v_add_co_u32 v8, vcc_lo, v2, s2
	s_wait_alu 0xfffd
	v_add_co_ci_u32_e64 v9, null, s3, v3, vcc_lo
	s_wait_dscnt 0x2
	global_store_b64 v[8:9], v[6:7], off
	s_or_b32 exec_lo, exec_lo, s0
	s_and_saveexec_b32 s0, s6
	s_cbranch_execz .LBB201_108
.LBB201_124:
	s_mul_i32 s2, s28, 0x600
	s_mov_b32 s3, 0
	s_wait_alu 0xfffe
	s_lshl_b64 s[2:3], s[2:3], 3
	s_wait_dscnt 0x2
	s_wait_alu 0xfffe
	v_add_co_u32 v6, vcc_lo, v2, s2
	s_wait_alu 0xfffd
	v_add_co_ci_u32_e64 v7, null, s3, v3, vcc_lo
	s_wait_dscnt 0x1
	global_store_b64 v[6:7], v[4:5], off
	s_or_b32 exec_lo, exec_lo, s0
	s_and_saveexec_b32 s0, s7
	s_cbranch_execnz .LBB201_109
	s_branch .LBB201_110
	.section	.rodata,"a",@progbits
	.p2align	6, 0x0
	.amdhsa_kernel _ZN2at6native18radixSortKVInPlaceILin2ELin1ELi256ELi8EfljEEvNS_4cuda6detail10TensorInfoIT3_T5_EES6_S6_S6_NS4_IT4_S6_EES6_b
		.amdhsa_group_segment_fixed_size 16896
		.amdhsa_private_segment_fixed_size 0
		.amdhsa_kernarg_size 712
		.amdhsa_user_sgpr_count 2
		.amdhsa_user_sgpr_dispatch_ptr 0
		.amdhsa_user_sgpr_queue_ptr 0
		.amdhsa_user_sgpr_kernarg_segment_ptr 1
		.amdhsa_user_sgpr_dispatch_id 0
		.amdhsa_user_sgpr_private_segment_size 0
		.amdhsa_wavefront_size32 1
		.amdhsa_uses_dynamic_stack 0
		.amdhsa_enable_private_segment 0
		.amdhsa_system_sgpr_workgroup_id_x 1
		.amdhsa_system_sgpr_workgroup_id_y 1
		.amdhsa_system_sgpr_workgroup_id_z 1
		.amdhsa_system_sgpr_workgroup_info 0
		.amdhsa_system_vgpr_workitem_id 2
		.amdhsa_next_free_vgpr 121
		.amdhsa_next_free_sgpr 38
		.amdhsa_reserve_vcc 1
		.amdhsa_float_round_mode_32 0
		.amdhsa_float_round_mode_16_64 0
		.amdhsa_float_denorm_mode_32 3
		.amdhsa_float_denorm_mode_16_64 3
		.amdhsa_fp16_overflow 0
		.amdhsa_workgroup_processor_mode 1
		.amdhsa_memory_ordered 1
		.amdhsa_forward_progress 1
		.amdhsa_inst_pref_size 120
		.amdhsa_round_robin_scheduling 0
		.amdhsa_exception_fp_ieee_invalid_op 0
		.amdhsa_exception_fp_denorm_src 0
		.amdhsa_exception_fp_ieee_div_zero 0
		.amdhsa_exception_fp_ieee_overflow 0
		.amdhsa_exception_fp_ieee_underflow 0
		.amdhsa_exception_fp_ieee_inexact 0
		.amdhsa_exception_int_div_zero 0
	.end_amdhsa_kernel
	.section	.text._ZN2at6native18radixSortKVInPlaceILin2ELin1ELi256ELi8EfljEEvNS_4cuda6detail10TensorInfoIT3_T5_EES6_S6_S6_NS4_IT4_S6_EES6_b,"axG",@progbits,_ZN2at6native18radixSortKVInPlaceILin2ELin1ELi256ELi8EfljEEvNS_4cuda6detail10TensorInfoIT3_T5_EES6_S6_S6_NS4_IT4_S6_EES6_b,comdat
.Lfunc_end201:
	.size	_ZN2at6native18radixSortKVInPlaceILin2ELin1ELi256ELi8EfljEEvNS_4cuda6detail10TensorInfoIT3_T5_EES6_S6_S6_NS4_IT4_S6_EES6_b, .Lfunc_end201-_ZN2at6native18radixSortKVInPlaceILin2ELin1ELi256ELi8EfljEEvNS_4cuda6detail10TensorInfoIT3_T5_EES6_S6_S6_NS4_IT4_S6_EES6_b
                                        ; -- End function
	.set _ZN2at6native18radixSortKVInPlaceILin2ELin1ELi256ELi8EfljEEvNS_4cuda6detail10TensorInfoIT3_T5_EES6_S6_S6_NS4_IT4_S6_EES6_b.num_vgpr, 121
	.set _ZN2at6native18radixSortKVInPlaceILin2ELin1ELi256ELi8EfljEEvNS_4cuda6detail10TensorInfoIT3_T5_EES6_S6_S6_NS4_IT4_S6_EES6_b.num_agpr, 0
	.set _ZN2at6native18radixSortKVInPlaceILin2ELin1ELi256ELi8EfljEEvNS_4cuda6detail10TensorInfoIT3_T5_EES6_S6_S6_NS4_IT4_S6_EES6_b.numbered_sgpr, 38
	.set _ZN2at6native18radixSortKVInPlaceILin2ELin1ELi256ELi8EfljEEvNS_4cuda6detail10TensorInfoIT3_T5_EES6_S6_S6_NS4_IT4_S6_EES6_b.num_named_barrier, 0
	.set _ZN2at6native18radixSortKVInPlaceILin2ELin1ELi256ELi8EfljEEvNS_4cuda6detail10TensorInfoIT3_T5_EES6_S6_S6_NS4_IT4_S6_EES6_b.private_seg_size, 0
	.set _ZN2at6native18radixSortKVInPlaceILin2ELin1ELi256ELi8EfljEEvNS_4cuda6detail10TensorInfoIT3_T5_EES6_S6_S6_NS4_IT4_S6_EES6_b.uses_vcc, 1
	.set _ZN2at6native18radixSortKVInPlaceILin2ELin1ELi256ELi8EfljEEvNS_4cuda6detail10TensorInfoIT3_T5_EES6_S6_S6_NS4_IT4_S6_EES6_b.uses_flat_scratch, 0
	.set _ZN2at6native18radixSortKVInPlaceILin2ELin1ELi256ELi8EfljEEvNS_4cuda6detail10TensorInfoIT3_T5_EES6_S6_S6_NS4_IT4_S6_EES6_b.has_dyn_sized_stack, 0
	.set _ZN2at6native18radixSortKVInPlaceILin2ELin1ELi256ELi8EfljEEvNS_4cuda6detail10TensorInfoIT3_T5_EES6_S6_S6_NS4_IT4_S6_EES6_b.has_recursion, 0
	.set _ZN2at6native18radixSortKVInPlaceILin2ELin1ELi256ELi8EfljEEvNS_4cuda6detail10TensorInfoIT3_T5_EES6_S6_S6_NS4_IT4_S6_EES6_b.has_indirect_call, 0
	.section	.AMDGPU.csdata,"",@progbits
; Kernel info:
; codeLenInByte = 15320
; TotalNumSgprs: 40
; NumVgprs: 121
; ScratchSize: 0
; MemoryBound: 0
; FloatMode: 240
; IeeeMode: 1
; LDSByteSize: 16896 bytes/workgroup (compile time only)
; SGPRBlocks: 0
; VGPRBlocks: 15
; NumSGPRsForWavesPerEU: 40
; NumVGPRsForWavesPerEU: 121
; Occupancy: 10
; WaveLimiterHint : 1
; COMPUTE_PGM_RSRC2:SCRATCH_EN: 0
; COMPUTE_PGM_RSRC2:USER_SGPR: 2
; COMPUTE_PGM_RSRC2:TRAP_HANDLER: 0
; COMPUTE_PGM_RSRC2:TGID_X_EN: 1
; COMPUTE_PGM_RSRC2:TGID_Y_EN: 1
; COMPUTE_PGM_RSRC2:TGID_Z_EN: 1
; COMPUTE_PGM_RSRC2:TIDIG_COMP_CNT: 2
	.section	.text._ZN2at6native18radixSortKVInPlaceILin2ELin1ELi128ELi8EfljEEvNS_4cuda6detail10TensorInfoIT3_T5_EES6_S6_S6_NS4_IT4_S6_EES6_b,"axG",@progbits,_ZN2at6native18radixSortKVInPlaceILin2ELin1ELi128ELi8EfljEEvNS_4cuda6detail10TensorInfoIT3_T5_EES6_S6_S6_NS4_IT4_S6_EES6_b,comdat
	.protected	_ZN2at6native18radixSortKVInPlaceILin2ELin1ELi128ELi8EfljEEvNS_4cuda6detail10TensorInfoIT3_T5_EES6_S6_S6_NS4_IT4_S6_EES6_b ; -- Begin function _ZN2at6native18radixSortKVInPlaceILin2ELin1ELi128ELi8EfljEEvNS_4cuda6detail10TensorInfoIT3_T5_EES6_S6_S6_NS4_IT4_S6_EES6_b
	.globl	_ZN2at6native18radixSortKVInPlaceILin2ELin1ELi128ELi8EfljEEvNS_4cuda6detail10TensorInfoIT3_T5_EES6_S6_S6_NS4_IT4_S6_EES6_b
	.p2align	8
	.type	_ZN2at6native18radixSortKVInPlaceILin2ELin1ELi128ELi8EfljEEvNS_4cuda6detail10TensorInfoIT3_T5_EES6_S6_S6_NS4_IT4_S6_EES6_b,@function
_ZN2at6native18radixSortKVInPlaceILin2ELin1ELi128ELi8EfljEEvNS_4cuda6detail10TensorInfoIT3_T5_EES6_S6_S6_NS4_IT4_S6_EES6_b: ; @_ZN2at6native18radixSortKVInPlaceILin2ELin1ELi128ELi8EfljEEvNS_4cuda6detail10TensorInfoIT3_T5_EES6_S6_S6_NS4_IT4_S6_EES6_b
; %bb.0:
	s_clause 0x1
	s_load_b64 s[2:3], s[0:1], 0x1c8
	s_load_b96 s[20:22], s[0:1], 0xd8
	s_lshr_b32 s4, ttmp7, 16
	s_wait_kmcnt 0x0
	s_mul_i32 s3, s3, s4
	s_and_b32 s4, ttmp7, 0xffff
	s_delay_alu instid0(SALU_CYCLE_1) | instskip(NEXT) | instid1(SALU_CYCLE_1)
	s_add_co_i32 s3, s3, s4
	s_mul_i32 s4, s3, s2
	s_delay_alu instid0(SALU_CYCLE_1) | instskip(NEXT) | instid1(SALU_CYCLE_1)
	s_add_co_i32 s4, s4, ttmp9
	s_cmp_ge_u32 s4, s20
	s_cbranch_scc1 .LBB202_110
; %bb.1:
	s_load_b32 s2, s[0:1], 0x1b8
	s_add_nc_u64 s[14:15], s[0:1], 0xe8
	s_mov_b32 s13, 0
	s_mov_b32 s16, s4
	s_wait_kmcnt 0x0
	s_cmp_lt_i32 s2, 2
	s_cbranch_scc1 .LBB202_4
; %bb.2:
	s_add_co_i32 s12, s2, -1
	s_add_co_i32 s5, s2, 1
	s_lshl_b64 s[6:7], s[12:13], 2
	s_mov_b32 s16, s4
	s_add_nc_u64 s[6:7], s[14:15], s[6:7]
	s_delay_alu instid0(SALU_CYCLE_1)
	s_add_nc_u64 s[2:3], s[6:7], 8
.LBB202_3:                              ; =>This Inner Loop Header: Depth=1
	s_clause 0x1
	s_load_b32 s6, s[2:3], 0x0
	s_load_b32 s7, s[2:3], 0x64
	s_mov_b32 s10, s16
	s_add_nc_u64 s[2:3], s[2:3], -4
	s_wait_kmcnt 0x0
	s_cvt_f32_u32 s8, s6
	s_sub_co_i32 s9, 0, s6
	s_wait_alu 0xfffe
	s_delay_alu instid0(SALU_CYCLE_1) | instskip(NEXT) | instid1(TRANS32_DEP_1)
	v_rcp_iflag_f32_e32 v1, s8
	v_readfirstlane_b32 s8, v1
	s_mul_f32 s8, s8, 0x4f7ffffe
	s_wait_alu 0xfffe
	s_delay_alu instid0(SALU_CYCLE_2) | instskip(SKIP_1) | instid1(SALU_CYCLE_2)
	s_cvt_u32_f32 s8, s8
	s_wait_alu 0xfffe
	s_mul_i32 s9, s9, s8
	s_wait_alu 0xfffe
	s_mul_hi_u32 s9, s8, s9
	s_wait_alu 0xfffe
	s_add_co_i32 s8, s8, s9
	s_wait_alu 0xfffe
	s_mul_hi_u32 s8, s16, s8
	s_wait_alu 0xfffe
	s_mul_i32 s9, s8, s6
	s_add_co_i32 s11, s8, 1
	s_wait_alu 0xfffe
	s_sub_co_i32 s9, s16, s9
	s_wait_alu 0xfffe
	s_sub_co_i32 s12, s9, s6
	s_cmp_ge_u32 s9, s6
	s_cselect_b32 s8, s11, s8
	s_cselect_b32 s9, s12, s9
	s_wait_alu 0xfffe
	s_add_co_i32 s11, s8, 1
	s_cmp_ge_u32 s9, s6
	s_cselect_b32 s16, s11, s8
	s_add_co_i32 s5, s5, -1
	s_mul_i32 s6, s16, s6
	s_delay_alu instid0(SALU_CYCLE_1) | instskip(NEXT) | instid1(SALU_CYCLE_1)
	s_sub_co_i32 s6, s10, s6
	s_mul_i32 s6, s7, s6
	s_delay_alu instid0(SALU_CYCLE_1)
	s_add_co_i32 s13, s6, s13
	s_cmp_gt_u32 s5, 2
	s_cbranch_scc1 .LBB202_3
.LBB202_4:
	s_clause 0x2
	s_load_b64 s[28:29], s[0:1], 0x1c0
	s_load_b64 s[2:3], s[0:1], 0x0
	s_load_b32 s5, s[0:1], 0x6c
	s_add_nc_u64 s[36:37], s[0:1], 0x1c8
	s_mov_b32 s19, 0
	s_wait_kmcnt 0x0
	s_bitcmp1_b32 s29, 0
	s_mul_i32 s18, s5, s4
	s_cselect_b32 s12, -1, 0
	s_delay_alu instid0(SALU_CYCLE_1)
	s_and_b32 s0, s12, exec_lo
	s_cselect_b32 s4, -1, 0x7fffffff
	s_lshl_b64 s[18:19], s[18:19], 2
	s_mov_b32 s5, s4
	s_mov_b32 s6, s4
	;; [unrolled: 1-line block ×7, first 2 shown]
	v_and_b32_e32 v45, 0x3ff, v0
	v_dual_mov_b32 v1, s4 :: v_dual_mov_b32 v4, s7
	v_dual_mov_b32 v2, s5 :: v_dual_mov_b32 v3, s6
	s_wait_alu 0xfffe
	v_mov_b32_e32 v6, s9
	v_mul_lo_u32 v43, s22, v45
	v_cmp_gt_u32_e64 s0, s21, v45
	v_dual_mov_b32 v5, s8 :: v_dual_mov_b32 v8, s11
	v_mov_b32_e32 v7, s10
	v_mov_b32_e32 v9, s4
	s_add_nc_u64 s[30:31], s[2:3], s[18:19]
	s_and_saveexec_b32 s1, s0
	s_cbranch_execz .LBB202_6
; %bb.5:
	v_mov_b32_e32 v44, 0
	s_delay_alu instid0(VALU_DEP_1) | instskip(NEXT) | instid1(VALU_DEP_1)
	v_lshlrev_b64_e32 v[1:2], 2, v[43:44]
	v_add_co_u32 v1, vcc_lo, s30, v1
	s_delay_alu instid0(VALU_DEP_1)
	v_add_co_ci_u32_e64 v2, null, s31, v2, vcc_lo
	global_load_b32 v9, v[1:2], off
	v_dual_mov_b32 v1, s4 :: v_dual_mov_b32 v2, s5
	v_dual_mov_b32 v3, s6 :: v_dual_mov_b32 v4, s7
	;; [unrolled: 1-line block ×4, first 2 shown]
.LBB202_6:
	s_or_b32 exec_lo, exec_lo, s1
	v_add_nc_u32_e32 v15, 0x80, v45
	s_delay_alu instid0(VALU_DEP_1)
	v_cmp_gt_u32_e64 s1, s21, v15
	s_and_saveexec_b32 s2, s1
	s_cbranch_execz .LBB202_8
; %bb.7:
	v_mul_lo_u32 v1, s22, v15
	v_mov_b32_e32 v2, 0
	s_delay_alu instid0(VALU_DEP_1) | instskip(NEXT) | instid1(VALU_DEP_1)
	v_lshlrev_b64_e32 v[1:2], 2, v[1:2]
	v_add_co_u32 v1, vcc_lo, s30, v1
	s_wait_alu 0xfffd
	s_delay_alu instid0(VALU_DEP_2)
	v_add_co_ci_u32_e64 v2, null, s31, v2, vcc_lo
	global_load_b32 v2, v[1:2], off
.LBB202_8:
	s_or_b32 exec_lo, exec_lo, s2
	v_add_nc_u32_e32 v16, 0x100, v45
	s_delay_alu instid0(VALU_DEP_1)
	v_cmp_gt_u32_e64 s2, s21, v16
	s_and_saveexec_b32 s3, s2
	s_cbranch_execz .LBB202_10
; %bb.9:
	v_mul_lo_u32 v10, s22, v16
	v_mov_b32_e32 v11, 0
	s_delay_alu instid0(VALU_DEP_1) | instskip(NEXT) | instid1(VALU_DEP_1)
	v_lshlrev_b64_e32 v[10:11], 2, v[10:11]
	v_add_co_u32 v10, vcc_lo, s30, v10
	s_wait_alu 0xfffd
	s_delay_alu instid0(VALU_DEP_2)
	v_add_co_ci_u32_e64 v11, null, s31, v11, vcc_lo
	global_load_b32 v3, v[10:11], off
.LBB202_10:
	s_or_b32 exec_lo, exec_lo, s3
	v_add_nc_u32_e32 v17, 0x180, v45
	s_delay_alu instid0(VALU_DEP_1)
	v_cmp_gt_u32_e64 s3, s21, v17
	s_and_saveexec_b32 s4, s3
	s_cbranch_execz .LBB202_12
; %bb.11:
	v_mul_lo_u32 v10, s22, v17
	v_mov_b32_e32 v11, 0
	s_delay_alu instid0(VALU_DEP_1) | instskip(NEXT) | instid1(VALU_DEP_1)
	v_lshlrev_b64_e32 v[10:11], 2, v[10:11]
	v_add_co_u32 v10, vcc_lo, s30, v10
	s_wait_alu 0xfffd
	s_delay_alu instid0(VALU_DEP_2)
	v_add_co_ci_u32_e64 v11, null, s31, v11, vcc_lo
	global_load_b32 v4, v[10:11], off
.LBB202_12:
	s_wait_alu 0xfffe
	s_or_b32 exec_lo, exec_lo, s4
	v_add_nc_u32_e32 v18, 0x200, v45
	s_delay_alu instid0(VALU_DEP_1)
	v_cmp_gt_u32_e64 s4, s21, v18
	s_and_saveexec_b32 s5, s4
	s_cbranch_execz .LBB202_14
; %bb.13:
	v_mul_lo_u32 v10, s22, v18
	v_mov_b32_e32 v11, 0
	s_delay_alu instid0(VALU_DEP_1) | instskip(NEXT) | instid1(VALU_DEP_1)
	v_lshlrev_b64_e32 v[10:11], 2, v[10:11]
	v_add_co_u32 v10, vcc_lo, s30, v10
	s_wait_alu 0xfffd
	s_delay_alu instid0(VALU_DEP_2)
	v_add_co_ci_u32_e64 v11, null, s31, v11, vcc_lo
	global_load_b32 v5, v[10:11], off
.LBB202_14:
	s_wait_alu 0xfffe
	s_or_b32 exec_lo, exec_lo, s5
	v_add_nc_u32_e32 v19, 0x280, v45
	s_delay_alu instid0(VALU_DEP_1)
	v_cmp_gt_u32_e64 s5, s21, v19
	s_and_saveexec_b32 s6, s5
	s_cbranch_execz .LBB202_16
; %bb.15:
	v_mul_lo_u32 v10, s22, v19
	v_mov_b32_e32 v11, 0
	s_delay_alu instid0(VALU_DEP_1) | instskip(NEXT) | instid1(VALU_DEP_1)
	v_lshlrev_b64_e32 v[10:11], 2, v[10:11]
	v_add_co_u32 v10, vcc_lo, s30, v10
	s_wait_alu 0xfffd
	s_delay_alu instid0(VALU_DEP_2)
	v_add_co_ci_u32_e64 v11, null, s31, v11, vcc_lo
	global_load_b32 v6, v[10:11], off
.LBB202_16:
	;; [unrolled: 18-line block ×3, first 2 shown]
	s_wait_alu 0xfffe
	s_or_b32 exec_lo, exec_lo, s7
	s_clause 0x1
	s_load_b32 s10, s[14:15], 0x6c
	s_load_b64 s[8:9], s[14:15], 0x0
	v_add_nc_u32_e32 v21, 0x380, v45
	s_delay_alu instid0(VALU_DEP_1)
	v_cmp_gt_u32_e64 s7, s21, v21
	s_and_saveexec_b32 s11, s7
	s_cbranch_execz .LBB202_20
; %bb.19:
	v_mul_lo_u32 v10, s22, v21
	v_mov_b32_e32 v11, 0
	s_delay_alu instid0(VALU_DEP_1) | instskip(NEXT) | instid1(VALU_DEP_1)
	v_lshlrev_b64_e32 v[10:11], 2, v[10:11]
	v_add_co_u32 v10, vcc_lo, s30, v10
	s_wait_alu 0xfffd
	s_delay_alu instid0(VALU_DEP_2)
	v_add_co_ci_u32_e64 v11, null, s31, v11, vcc_lo
	global_load_b32 v8, v[10:11], off
.LBB202_20:
	s_wait_alu 0xfffe
	s_or_b32 exec_lo, exec_lo, s11
	v_lshrrev_b32_e32 v1, 5, v15
	v_lshrrev_b32_e32 v24, 5, v45
	;; [unrolled: 1-line block ×3, first 2 shown]
	s_wait_kmcnt 0x0
	s_mul_i32 s10, s10, s16
	v_mul_lo_u32 v40, s28, v45
	v_add_nc_u32_e32 v25, v1, v45
	v_lshrrev_b32_e32 v1, 5, v17
	v_dual_mov_b32 v41, 0 :: v_dual_add_nc_u32 v26, v24, v45
	v_lshlrev_b32_e32 v91, 3, v45
	v_add_nc_u32_e32 v22, v10, v45
	s_delay_alu instid0(VALU_DEP_4) | instskip(SKIP_2) | instid1(VALU_DEP_4)
	v_add_nc_u32_e32 v23, v1, v45
	v_lshrrev_b32_e32 v1, 5, v18
	v_lshlrev_b32_e32 v72, 2, v26
	v_dual_mov_b32 v42, v41 :: v_dual_lshlrev_b32 v73, 2, v22
	s_delay_alu instid0(VALU_DEP_4) | instskip(NEXT) | instid1(VALU_DEP_4)
	v_lshlrev_b32_e32 v74, 2, v23
	v_add_nc_u32_e32 v27, v1, v45
	v_lshrrev_b32_e32 v1, 5, v19
	s_mov_b32 s11, 0
	v_mov_b32_e32 v10, v41
	s_wait_alu 0xfffe
	s_add_co_i32 s10, s10, s13
	v_lshlrev_b32_e32 v75, 2, v27
	v_add_nc_u32_e32 v31, v1, v45
	v_lshrrev_b32_e32 v1, 2, v45
	v_mov_b32_e32 v13, 0
	v_mov_b32_e32 v14, 0
	v_lshlrev_b32_e32 v44, 2, v25
	v_dual_mov_b32 v11, v41 :: v_dual_lshlrev_b32 v76, 2, v31
	v_add_nc_u32_e32 v30, v1, v91
	v_mov_b32_e32 v1, v41
	s_wait_loadcnt 0x0
	ds_store_b32 v72, v9
	ds_store_b32 v44, v2 offset:512
	ds_store_b32 v73, v3 offset:1024
	v_lshrrev_b32_e32 v2, 5, v20
	v_lshrrev_b32_e32 v3, 5, v21
	v_lshlrev_b32_e32 v79, 2, v30
	ds_store_b32 v74, v4 offset:1536
	ds_store_b32 v75, v5 offset:2048
	v_dual_mov_b32 v2, v41 :: v_dual_add_nc_u32 v29, v2, v45
	v_dual_mov_b32 v9, v41 :: v_dual_add_nc_u32 v28, v3, v45
	v_mov_b32_e32 v3, v41
	s_delay_alu instid0(VALU_DEP_3) | instskip(NEXT) | instid1(VALU_DEP_3)
	v_dual_mov_b32 v4, v41 :: v_dual_lshlrev_b32 v77, 2, v29
	v_lshlrev_b32_e32 v78, 2, v28
	ds_store_b32 v76, v6 offset:2560
	ds_store_b32 v77, v7 offset:3072
	;; [unrolled: 1-line block ×3, first 2 shown]
	s_wait_dscnt 0x0
	s_barrier_signal -1
	s_barrier_wait -1
	global_inv scope:SCOPE_SE
	v_mov_b32_e32 v8, v41
	ds_load_2addr_b32 v[52:53], v79 offset1:1
	ds_load_2addr_b32 v[50:51], v79 offset0:2 offset1:3
	ds_load_2addr_b32 v[48:49], v79 offset0:4 offset1:5
	;; [unrolled: 1-line block ×3, first 2 shown]
	v_dual_mov_b32 v5, v41 :: v_dual_mov_b32 v6, v41
	v_dual_mov_b32 v7, v41 :: v_dual_mov_b32 v12, v41
	s_wait_alu 0xfffe
	s_lshl_b64 s[10:11], s[10:11], 3
	s_wait_loadcnt_dscnt 0x0
	s_wait_alu 0xfffe
	s_add_nc_u64 s[34:35], s[8:9], s[10:11]
	s_barrier_signal -1
	s_barrier_wait -1
	global_inv scope:SCOPE_SE
	s_and_saveexec_b32 s8, s0
	s_cbranch_execnz .LBB202_56
; %bb.21:
	s_wait_alu 0xfffe
	s_or_b32 exec_lo, exec_lo, s8
	s_and_saveexec_b32 s8, s1
	s_cbranch_execnz .LBB202_57
.LBB202_22:
	s_wait_alu 0xfffe
	s_or_b32 exec_lo, exec_lo, s8
	s_and_saveexec_b32 s8, s2
	s_cbranch_execnz .LBB202_58
.LBB202_23:
	s_wait_alu 0xfffe
	s_or_b32 exec_lo, exec_lo, s8
	s_and_saveexec_b32 s8, s3
	s_cbranch_execnz .LBB202_59
.LBB202_24:
	s_wait_alu 0xfffe
	s_or_b32 exec_lo, exec_lo, s8
	s_and_saveexec_b32 s8, s4
	s_cbranch_execnz .LBB202_60
.LBB202_25:
	s_wait_alu 0xfffe
	s_or_b32 exec_lo, exec_lo, s8
	s_and_saveexec_b32 s8, s5
	s_cbranch_execnz .LBB202_61
.LBB202_26:
	s_wait_alu 0xfffe
	s_or_b32 exec_lo, exec_lo, s8
	s_and_saveexec_b32 s8, s6
	s_cbranch_execnz .LBB202_62
.LBB202_27:
	s_wait_alu 0xfffe
	s_or_b32 exec_lo, exec_lo, s8
	s_xor_b32 s8, s12, -1
	s_and_saveexec_b32 s9, s7
	s_cbranch_execz .LBB202_29
.LBB202_28:
	v_mul_lo_u32 v11, s28, v21
	v_mov_b32_e32 v12, 0
	s_delay_alu instid0(VALU_DEP_1) | instskip(NEXT) | instid1(VALU_DEP_1)
	v_lshlrev_b64_e32 v[11:12], 3, v[11:12]
	v_add_co_u32 v11, vcc_lo, s34, v11
	s_wait_alu 0xfffd
	s_delay_alu instid0(VALU_DEP_2)
	v_add_co_ci_u32_e64 v12, null, s35, v12, vcc_lo
	global_load_b64 v[11:12], v[11:12], off
.LBB202_29:
	s_wait_alu 0xfffe
	s_or_b32 exec_lo, exec_lo, s9
	v_lshlrev_b32_e32 v80, 3, v26
	v_lshlrev_b32_e32 v83, 3, v23
	;; [unrolled: 1-line block ×9, first 2 shown]
	s_wait_loadcnt 0x0
	ds_store_b64 v80, v[13:14]
	ds_store_b64 v81, v[41:42] offset:1024
	ds_store_b64 v82, v[9:10] offset:2048
	;; [unrolled: 1-line block ×7, first 2 shown]
	s_wait_dscnt 0x0
	s_barrier_signal -1
	s_barrier_wait -1
	global_inv scope:SCOPE_SE
	ds_load_2addr_b64 v[20:23], v88 offset1:1
	ds_load_2addr_b64 v[16:19], v88 offset0:2 offset1:3
	ds_load_2addr_b64 v[12:15], v88 offset0:4 offset1:5
	;; [unrolled: 1-line block ×3, first 2 shown]
	s_and_b32 vcc_lo, exec_lo, s8
	v_bfe_u32 v95, v0, 10, 10
	v_bfe_u32 v96, v0, 20, 10
	v_mbcnt_lo_u32_b32 v93, -1, 0
	v_and_b32_e32 v94, 0x3e0, v45
	v_lshlrev_b32_e32 v89, 2, v91
	v_cmp_gt_u32_e64 s8, 4, v45
	v_cmp_lt_u32_e64 s9, 31, v45
	v_cmp_eq_u32_e64 s10, 0, v45
	v_lshlrev_b32_e32 v90, 2, v24
	v_mul_i32_i24_e32 v92, 0xffffffe4, v45
	s_wait_loadcnt_dscnt 0x0
	s_barrier_signal -1
	s_barrier_wait -1
	global_inv scope:SCOPE_SE
	s_wait_alu 0xfffe
	s_cbranch_vccz .LBB202_63
; %bb.30:
	v_cmp_lt_i32_e32 vcc_lo, -1, v52
	v_or_b32_e32 v7, v93, v94
	s_getpc_b64 s[12:13]
	s_sext_i32_i16 s13, s13
	s_add_co_u32 s12, s12, _ZN7rocprim17ROCPRIM_400000_NS16block_radix_sortIfLj128ELj8ElLj1ELj1ELj0ELNS0_26block_radix_rank_algorithmE1ELNS0_18block_padding_hintE2ELNS0_4arch9wavefront6targetE0EE19radix_bits_per_passE@rel32@lo+8
	s_add_co_ci_u32 s13, s13, _ZN7rocprim17ROCPRIM_400000_NS16block_radix_sortIfLj128ELj8ElLj1ELj1ELj0ELNS0_26block_radix_rank_algorithmE1ELNS0_18block_padding_hintE2ELNS0_4arch9wavefront6targetE0EE19radix_bits_per_passE@rel32@hi+16
	v_and_or_b32 v25, 0x1f00, v91, v93
	s_load_b32 s21, s[12:13], 0x0
	v_cndmask_b32_e64 v0, -1, 0x80000000, vcc_lo
	v_cmp_lt_i32_e32 vcc_lo, -1, v53
	v_lshlrev_b32_e32 v26, 5, v7
	s_mov_b32 s24, 0
	v_and_b32_e32 v36, 16, v93
	v_xor_b32_e32 v0, v0, v52
	s_wait_alu 0xfffd
	v_cndmask_b32_e64 v1, -1, 0x80000000, vcc_lo
	v_cmp_lt_i32_e32 vcc_lo, -1, v50
	s_mov_b32 s25, s24
	s_mov_b32 s26, s24
	s_mov_b32 s27, s24
	v_xor_b32_e32 v1, v1, v53
	s_wait_alu 0xfffd
	v_cndmask_b32_e64 v2, -1, 0x80000000, vcc_lo
	v_cmp_lt_i32_e32 vcc_lo, -1, v51
	v_lshlrev_b32_e32 v97, 2, v25
	v_and_b32_e32 v37, 3, v93
	v_cmp_eq_u32_e64 s16, 0, v36
	v_xor_b32_e32 v2, v2, v50
	s_wait_alu 0xfffd
	v_cndmask_b32_e64 v3, -1, 0x80000000, vcc_lo
	v_cmp_lt_i32_e32 vcc_lo, -1, v48
	v_add_nc_u32_e32 v98, v97, v97
	v_add_nc_u32_e32 v101, v89, v92
	s_mov_b32 s23, 32
	v_xor_b32_e32 v3, v3, v51
	s_wait_alu 0xfffd
	v_cndmask_b32_e64 v4, -1, 0x80000000, vcc_lo
	v_cmp_lt_i32_e32 vcc_lo, -1, v49
	s_delay_alu instid0(VALU_DEP_2) | instskip(SKIP_3) | instid1(VALU_DEP_2)
	v_xor_b32_e32 v4, v4, v48
	s_wait_alu 0xfffd
	v_cndmask_b32_e64 v5, -1, 0x80000000, vcc_lo
	v_cmp_lt_i32_e32 vcc_lo, -1, v46
	v_xor_b32_e32 v5, v5, v49
	s_wait_alu 0xfffd
	v_cndmask_b32_e64 v6, -1, 0x80000000, vcc_lo
	v_cmp_lt_i32_e32 vcc_lo, -1, v47
	s_delay_alu instid0(VALU_DEP_2) | instskip(SKIP_2) | instid1(VALU_DEP_1)
	v_xor_b32_e32 v6, v6, v46
	s_wait_alu 0xfffd
	v_cndmask_b32_e64 v24, -1, 0x80000000, vcc_lo
	v_xor_b32_e32 v7, v24, v47
	ds_store_b128 v26, v[0:3]
	ds_store_b128 v26, v[4:7] offset:16
	v_sub_co_u32 v3, s12, v93, 1
	; wave barrier
	ds_load_2addr_b32 v[64:65], v97 offset1:32
	ds_load_2addr_b32 v[66:67], v97 offset0:64 offset1:96
	ds_load_2addr_b32 v[68:69], v97 offset0:128 offset1:160
	;; [unrolled: 1-line block ×3, first 2 shown]
	v_cmp_gt_i32_e32 vcc_lo, 0, v3
	s_wait_loadcnt_dscnt 0x0
	s_barrier_signal -1
	s_barrier_wait -1
	global_inv scope:SCOPE_SE
	s_wait_alu 0xfffd
	v_dual_cndmask_b32 v3, v3, v93 :: v_dual_add_nc_u32 v0, v26, v26
	ds_store_b128 v0, v[20:23]
	ds_store_b128 v0, v[16:19] offset:16
	ds_store_b128 v0, v[12:15] offset:32
	;; [unrolled: 1-line block ×3, first 2 shown]
	; wave barrier
	ds_load_2addr_b64 v[4:7], v98 offset1:32
	ds_load_2addr_b64 v[24:27], v98 offset0:64 offset1:96
	ds_load_2addr_b64 v[28:31], v98 offset0:128 offset1:160
	ds_load_2addr_b64 v[32:35], v98 offset0:192 offset1:224
	s_wait_loadcnt_dscnt 0x0
	s_barrier_signal -1
	s_barrier_wait -1
	global_inv scope:SCOPE_SE
	s_load_b32 s11, s[36:37], 0xc
	v_and_b32_e32 v2, 15, v93
	v_lshlrev_b32_e32 v99, 2, v3
	s_delay_alu instid0(VALU_DEP_2)
	v_cmp_lt_u32_e64 s13, 1, v2
	v_cmp_lt_u32_e64 s15, 7, v2
	s_wait_kmcnt 0x0
	s_lshr_b32 s14, s11, 16
	s_and_b32 s11, s11, 0xffff
	v_mad_u32_u24 v0, v96, s14, v95
	v_cmp_lt_u32_e64 s14, 3, v2
	s_wait_alu 0xfffe
	s_delay_alu instid0(VALU_DEP_2) | instskip(SKIP_2) | instid1(VALU_DEP_2)
	v_mad_co_u64_u32 v[0:1], null, v0, s11, v[45:46]
	v_min_u32_e32 v1, 0x60, v94
	v_cmp_eq_u32_e64 s11, 0, v2
	v_or_b32_e32 v1, 31, v1
	s_delay_alu instid0(VALU_DEP_4) | instskip(NEXT) | instid1(VALU_DEP_2)
	v_lshrrev_b32_e32 v0, 3, v0
	v_cmp_eq_u32_e64 s17, v45, v1
	s_delay_alu instid0(VALU_DEP_2)
	v_and_b32_e32 v100, 0x1ffffffc, v0
	v_dual_mov_b32 v0, s24 :: v_dual_mov_b32 v1, s25
	v_mov_b32_e32 v2, s26
	v_cmp_eq_u32_e64 s18, 0, v37
	v_cmp_lt_u32_e64 s19, 1, v37
	v_mov_b32_e32 v3, s27
	s_branch .LBB202_32
.LBB202_31:                             ;   in Loop: Header=BB202_32 Depth=1
	s_wait_alu 0xfffe
	s_and_not1_b32 vcc_lo, exec_lo, s20
	s_wait_alu 0xfffe
	s_cbranch_vccz .LBB202_64
.LBB202_32:                             ; =>This Inner Loop Header: Depth=1
	v_dual_mov_b32 v102, v64 :: v_dual_mov_b32 v103, v71
	s_min_u32 s20, s21, s23
	ds_store_b128 v89, v[0:3] offset:16
	ds_store_b128 v89, v[0:3] offset:32
	s_wait_alu 0xfffe
	s_lshl_b32 s20, -1, s20
	v_cmp_ne_u32_e32 vcc_lo, 0x7fffffff, v102
	s_wait_alu 0xfffe
	s_not_b32 s25, s20
	s_wait_loadcnt_dscnt 0x0
	s_barrier_signal -1
	s_barrier_wait -1
	s_wait_alu 0xfffd
	v_dual_cndmask_b32 v36, 0x80000000, v102 :: v_dual_mov_b32 v105, v69
	global_inv scope:SCOPE_SE
	; wave barrier
	v_lshrrev_b32_e32 v36, s24, v36
	v_mov_b32_e32 v107, v67
	v_dual_mov_b32 v109, v65 :: v_dual_mov_b32 v106, v68
	v_mov_b32_e32 v108, v66
	s_wait_alu 0xfffe
	v_and_b32_e32 v64, s25, v36
	v_dual_mov_b32 v104, v70 :: v_dual_mov_b32 v59, v25
	v_dual_mov_b32 v58, v24 :: v_dual_mov_b32 v61, v7
	s_delay_alu instid0(VALU_DEP_3)
	v_and_b32_e32 v36, 1, v64
	v_lshlrev_b32_e32 v37, 30, v64
	v_lshlrev_b32_e32 v38, 29, v64
	;; [unrolled: 1-line block ×4, first 2 shown]
	v_add_co_u32 v36, s20, v36, -1
	s_wait_alu 0xf1ff
	v_cndmask_b32_e64 v41, 0, 1, s20
	v_not_b32_e32 v56, v37
	v_cmp_gt_i32_e64 s20, 0, v37
	v_not_b32_e32 v37, v38
	v_lshlrev_b32_e32 v54, 26, v64
	v_cmp_ne_u32_e32 vcc_lo, 0, v41
	v_ashrrev_i32_e32 v56, 31, v56
	v_lshlrev_b32_e32 v55, 25, v64
	v_ashrrev_i32_e32 v37, 31, v37
	v_lshlrev_b32_e32 v41, 24, v64
	s_wait_alu 0xfffd
	v_xor_b32_e32 v36, vcc_lo, v36
	v_cmp_gt_i32_e32 vcc_lo, 0, v38
	v_not_b32_e32 v38, v39
	s_wait_alu 0xf1ff
	v_xor_b32_e32 v56, s20, v56
	v_cmp_gt_i32_e64 s20, 0, v39
	v_and_b32_e32 v36, exec_lo, v36
	v_not_b32_e32 v39, v42
	v_ashrrev_i32_e32 v38, 31, v38
	s_wait_alu 0xfffd
	v_xor_b32_e32 v37, vcc_lo, v37
	v_cmp_gt_i32_e32 vcc_lo, 0, v42
	v_and_b32_e32 v36, v36, v56
	v_not_b32_e32 v42, v54
	v_ashrrev_i32_e32 v39, 31, v39
	s_wait_alu 0xf1ff
	v_xor_b32_e32 v38, s20, v38
	v_cmp_gt_i32_e64 s20, 0, v54
	v_and_b32_e32 v36, v36, v37
	v_not_b32_e32 v37, v55
	v_ashrrev_i32_e32 v42, 31, v42
	s_wait_alu 0xfffd
	v_xor_b32_e32 v39, vcc_lo, v39
	v_cmp_gt_i32_e32 vcc_lo, 0, v55
	v_and_b32_e32 v36, v36, v38
	v_ashrrev_i32_e32 v37, 31, v37
	s_wait_alu 0xf1ff
	v_xor_b32_e32 v42, s20, v42
	v_dual_mov_b32 v55, v29 :: v_dual_mov_b32 v54, v28
	v_dual_mov_b32 v63, v5 :: v_dual_and_b32 v36, v36, v39
	s_wait_alu 0xfffd
	v_xor_b32_e32 v37, vcc_lo, v37
	v_mov_b32_e32 v62, v4
	v_lshlrev_b32_e32 v4, 4, v64
	v_and_b32_e32 v36, v36, v42
	s_delay_alu instid0(VALU_DEP_2) | instskip(NEXT) | instid1(VALU_DEP_2)
	v_dual_mov_b32 v60, v6 :: v_dual_add_nc_u32 v29, v100, v4
	v_and_b32_e32 v57, v36, v37
	v_dual_mov_b32 v37, v35 :: v_dual_mov_b32 v36, v34
	v_not_b32_e32 v38, v41
	v_cmp_gt_i32_e64 s20, 0, v41
	v_dual_mov_b32 v42, v31 :: v_dual_mov_b32 v41, v30
	s_delay_alu instid0(VALU_DEP_3) | instskip(SKIP_1) | instid1(VALU_DEP_1)
	v_ashrrev_i32_e32 v38, 31, v38
	s_wait_alu 0xf1ff
	v_xor_b32_e32 v56, s20, v38
	v_dual_mov_b32 v39, v33 :: v_dual_mov_b32 v38, v32
	s_delay_alu instid0(VALU_DEP_2) | instskip(SKIP_1) | instid1(VALU_DEP_2)
	v_dual_mov_b32 v57, v27 :: v_dual_and_b32 v30, v57, v56
	v_mov_b32_e32 v56, v26
	v_mbcnt_lo_u32_b32 v28, v30, 0
	v_cmp_ne_u32_e64 s20, 0, v30
	s_delay_alu instid0(VALU_DEP_2)
	v_cmp_eq_u32_e32 vcc_lo, 0, v28
	s_and_b32 s26, s20, vcc_lo
	s_wait_alu 0xfffe
	s_and_saveexec_b32 s20, s26
; %bb.33:                               ;   in Loop: Header=BB202_32 Depth=1
	v_bcnt_u32_b32 v4, v30, 0
	ds_store_b32 v29, v4 offset:16
; %bb.34:                               ;   in Loop: Header=BB202_32 Depth=1
	s_wait_alu 0xfffe
	s_or_b32 exec_lo, exec_lo, s20
	v_cmp_ne_u32_e32 vcc_lo, 0x7fffffff, v109
	; wave barrier
	s_wait_alu 0xfffd
	v_cndmask_b32_e32 v4, 0x80000000, v109, vcc_lo
	s_delay_alu instid0(VALU_DEP_1) | instskip(NEXT) | instid1(VALU_DEP_1)
	v_lshrrev_b32_e32 v4, s24, v4
	v_and_b32_e32 v4, s25, v4
	s_delay_alu instid0(VALU_DEP_1)
	v_and_b32_e32 v5, 1, v4
	v_lshlrev_b32_e32 v6, 30, v4
	v_lshlrev_b32_e32 v7, 29, v4
	;; [unrolled: 1-line block ×4, first 2 shown]
	v_add_co_u32 v5, s20, v5, -1
	s_wait_alu 0xf1ff
	v_cndmask_b32_e64 v25, 0, 1, s20
	v_not_b32_e32 v31, v6
	v_cmp_gt_i32_e64 s20, 0, v6
	v_not_b32_e32 v6, v7
	v_lshlrev_b32_e32 v27, 26, v4
	v_cmp_ne_u32_e32 vcc_lo, 0, v25
	v_ashrrev_i32_e32 v31, 31, v31
	v_lshlrev_b32_e32 v30, 25, v4
	v_ashrrev_i32_e32 v6, 31, v6
	v_lshlrev_b32_e32 v25, 24, v4
	s_wait_alu 0xfffd
	v_xor_b32_e32 v5, vcc_lo, v5
	v_cmp_gt_i32_e32 vcc_lo, 0, v7
	v_not_b32_e32 v7, v24
	s_wait_alu 0xf1ff
	v_xor_b32_e32 v31, s20, v31
	v_cmp_gt_i32_e64 s20, 0, v24
	v_and_b32_e32 v5, exec_lo, v5
	v_not_b32_e32 v24, v26
	v_ashrrev_i32_e32 v7, 31, v7
	s_wait_alu 0xfffd
	v_xor_b32_e32 v6, vcc_lo, v6
	v_cmp_gt_i32_e32 vcc_lo, 0, v26
	v_and_b32_e32 v5, v5, v31
	v_not_b32_e32 v26, v27
	v_ashrrev_i32_e32 v24, 31, v24
	s_wait_alu 0xf1ff
	v_xor_b32_e32 v7, s20, v7
	v_cmp_gt_i32_e64 s20, 0, v27
	v_and_b32_e32 v5, v5, v6
	v_not_b32_e32 v6, v30
	v_ashrrev_i32_e32 v26, 31, v26
	s_wait_alu 0xfffd
	v_xor_b32_e32 v24, vcc_lo, v24
	v_cmp_gt_i32_e32 vcc_lo, 0, v30
	v_and_b32_e32 v5, v5, v7
	v_not_b32_e32 v7, v25
	v_ashrrev_i32_e32 v6, 31, v6
	s_wait_alu 0xf1ff
	v_xor_b32_e32 v26, s20, v26
	v_lshlrev_b32_e32 v4, 4, v4
	v_and_b32_e32 v5, v5, v24
	v_cmp_gt_i32_e64 s20, 0, v25
	v_ashrrev_i32_e32 v7, 31, v7
	s_wait_alu 0xfffd
	v_xor_b32_e32 v6, vcc_lo, v6
	v_add_nc_u32_e32 v32, v100, v4
	v_and_b32_e32 v5, v5, v26
	s_wait_alu 0xf1ff
	v_xor_b32_e32 v4, s20, v7
	ds_load_b32 v30, v32 offset:16
	v_and_b32_e32 v5, v5, v6
	; wave barrier
	s_delay_alu instid0(VALU_DEP_1) | instskip(NEXT) | instid1(VALU_DEP_1)
	v_and_b32_e32 v4, v5, v4
	v_mbcnt_lo_u32_b32 v31, v4, 0
	v_cmp_ne_u32_e64 s20, 0, v4
	s_delay_alu instid0(VALU_DEP_2)
	v_cmp_eq_u32_e32 vcc_lo, 0, v31
	s_and_b32 s26, s20, vcc_lo
	s_wait_alu 0xfffe
	s_and_saveexec_b32 s20, s26
	s_cbranch_execz .LBB202_36
; %bb.35:                               ;   in Loop: Header=BB202_32 Depth=1
	s_wait_dscnt 0x0
	v_bcnt_u32_b32 v4, v4, v30
	ds_store_b32 v32, v4 offset:16
.LBB202_36:                             ;   in Loop: Header=BB202_32 Depth=1
	s_wait_alu 0xfffe
	s_or_b32 exec_lo, exec_lo, s20
	v_cmp_ne_u32_e32 vcc_lo, 0x7fffffff, v108
	; wave barrier
	s_wait_alu 0xfffd
	v_cndmask_b32_e32 v4, 0x80000000, v108, vcc_lo
	s_delay_alu instid0(VALU_DEP_1) | instskip(NEXT) | instid1(VALU_DEP_1)
	v_lshrrev_b32_e32 v4, s24, v4
	v_and_b32_e32 v4, s25, v4
	s_delay_alu instid0(VALU_DEP_1)
	v_and_b32_e32 v5, 1, v4
	v_lshlrev_b32_e32 v6, 30, v4
	v_lshlrev_b32_e32 v7, 29, v4
	;; [unrolled: 1-line block ×4, first 2 shown]
	v_add_co_u32 v5, s20, v5, -1
	s_wait_alu 0xf1ff
	v_cndmask_b32_e64 v25, 0, 1, s20
	v_not_b32_e32 v34, v6
	v_cmp_gt_i32_e64 s20, 0, v6
	v_not_b32_e32 v6, v7
	v_lshlrev_b32_e32 v27, 26, v4
	v_cmp_ne_u32_e32 vcc_lo, 0, v25
	v_ashrrev_i32_e32 v34, 31, v34
	v_lshlrev_b32_e32 v33, 25, v4
	v_ashrrev_i32_e32 v6, 31, v6
	v_lshlrev_b32_e32 v25, 24, v4
	s_wait_alu 0xfffd
	v_xor_b32_e32 v5, vcc_lo, v5
	v_cmp_gt_i32_e32 vcc_lo, 0, v7
	v_not_b32_e32 v7, v24
	s_wait_alu 0xf1ff
	v_xor_b32_e32 v34, s20, v34
	v_cmp_gt_i32_e64 s20, 0, v24
	v_and_b32_e32 v5, exec_lo, v5
	v_not_b32_e32 v24, v26
	v_ashrrev_i32_e32 v7, 31, v7
	s_wait_alu 0xfffd
	v_xor_b32_e32 v6, vcc_lo, v6
	v_cmp_gt_i32_e32 vcc_lo, 0, v26
	v_and_b32_e32 v5, v5, v34
	v_not_b32_e32 v26, v27
	v_ashrrev_i32_e32 v24, 31, v24
	s_wait_alu 0xf1ff
	v_xor_b32_e32 v7, s20, v7
	v_cmp_gt_i32_e64 s20, 0, v27
	v_and_b32_e32 v5, v5, v6
	v_not_b32_e32 v6, v33
	v_ashrrev_i32_e32 v26, 31, v26
	s_wait_alu 0xfffd
	v_xor_b32_e32 v24, vcc_lo, v24
	v_cmp_gt_i32_e32 vcc_lo, 0, v33
	v_and_b32_e32 v5, v5, v7
	v_not_b32_e32 v7, v25
	v_ashrrev_i32_e32 v6, 31, v6
	s_wait_alu 0xf1ff
	v_xor_b32_e32 v26, s20, v26
	v_lshlrev_b32_e32 v4, 4, v4
	v_and_b32_e32 v5, v5, v24
	v_cmp_gt_i32_e64 s20, 0, v25
	v_ashrrev_i32_e32 v7, 31, v7
	s_wait_alu 0xfffd
	v_xor_b32_e32 v6, vcc_lo, v6
	v_add_nc_u32_e32 v35, v100, v4
	v_and_b32_e32 v5, v5, v26
	s_wait_alu 0xf1ff
	v_xor_b32_e32 v4, s20, v7
	ds_load_b32 v33, v35 offset:16
	v_and_b32_e32 v5, v5, v6
	; wave barrier
	s_delay_alu instid0(VALU_DEP_1) | instskip(NEXT) | instid1(VALU_DEP_1)
	v_and_b32_e32 v4, v5, v4
	v_mbcnt_lo_u32_b32 v34, v4, 0
	v_cmp_ne_u32_e64 s20, 0, v4
	s_delay_alu instid0(VALU_DEP_2)
	v_cmp_eq_u32_e32 vcc_lo, 0, v34
	s_and_b32 s26, s20, vcc_lo
	s_wait_alu 0xfffe
	s_and_saveexec_b32 s20, s26
	s_cbranch_execz .LBB202_38
; %bb.37:                               ;   in Loop: Header=BB202_32 Depth=1
	s_wait_dscnt 0x0
	v_bcnt_u32_b32 v4, v4, v33
	ds_store_b32 v35, v4 offset:16
.LBB202_38:                             ;   in Loop: Header=BB202_32 Depth=1
	s_wait_alu 0xfffe
	s_or_b32 exec_lo, exec_lo, s20
	v_cmp_ne_u32_e32 vcc_lo, 0x7fffffff, v107
	; wave barrier
	s_wait_alu 0xfffd
	v_cndmask_b32_e32 v4, 0x80000000, v107, vcc_lo
	s_delay_alu instid0(VALU_DEP_1) | instskip(NEXT) | instid1(VALU_DEP_1)
	v_lshrrev_b32_e32 v4, s24, v4
	v_and_b32_e32 v4, s25, v4
	s_delay_alu instid0(VALU_DEP_1)
	v_and_b32_e32 v5, 1, v4
	v_lshlrev_b32_e32 v6, 30, v4
	v_lshlrev_b32_e32 v7, 29, v4
	;; [unrolled: 1-line block ×4, first 2 shown]
	v_add_co_u32 v5, s20, v5, -1
	s_wait_alu 0xf1ff
	v_cndmask_b32_e64 v25, 0, 1, s20
	v_not_b32_e32 v65, v6
	v_cmp_gt_i32_e64 s20, 0, v6
	v_not_b32_e32 v6, v7
	v_lshlrev_b32_e32 v27, 26, v4
	v_cmp_ne_u32_e32 vcc_lo, 0, v25
	v_ashrrev_i32_e32 v65, 31, v65
	v_lshlrev_b32_e32 v64, 25, v4
	v_ashrrev_i32_e32 v6, 31, v6
	v_lshlrev_b32_e32 v25, 24, v4
	s_wait_alu 0xfffd
	v_xor_b32_e32 v5, vcc_lo, v5
	v_cmp_gt_i32_e32 vcc_lo, 0, v7
	v_not_b32_e32 v7, v24
	s_wait_alu 0xf1ff
	v_xor_b32_e32 v65, s20, v65
	v_cmp_gt_i32_e64 s20, 0, v24
	v_and_b32_e32 v5, exec_lo, v5
	v_not_b32_e32 v24, v26
	v_ashrrev_i32_e32 v7, 31, v7
	s_wait_alu 0xfffd
	v_xor_b32_e32 v6, vcc_lo, v6
	v_cmp_gt_i32_e32 vcc_lo, 0, v26
	v_and_b32_e32 v5, v5, v65
	v_not_b32_e32 v26, v27
	v_ashrrev_i32_e32 v24, 31, v24
	s_wait_alu 0xf1ff
	v_xor_b32_e32 v7, s20, v7
	v_cmp_gt_i32_e64 s20, 0, v27
	v_and_b32_e32 v5, v5, v6
	v_not_b32_e32 v6, v64
	v_ashrrev_i32_e32 v26, 31, v26
	s_wait_alu 0xfffd
	v_xor_b32_e32 v24, vcc_lo, v24
	v_cmp_gt_i32_e32 vcc_lo, 0, v64
	v_and_b32_e32 v5, v5, v7
	v_not_b32_e32 v7, v25
	v_ashrrev_i32_e32 v6, 31, v6
	s_wait_alu 0xf1ff
	v_xor_b32_e32 v26, s20, v26
	v_lshlrev_b32_e32 v4, 4, v4
	v_and_b32_e32 v5, v5, v24
	v_cmp_gt_i32_e64 s20, 0, v25
	v_ashrrev_i32_e32 v7, 31, v7
	s_wait_alu 0xfffd
	v_xor_b32_e32 v6, vcc_lo, v6
	v_add_nc_u32_e32 v66, v100, v4
	v_and_b32_e32 v5, v5, v26
	s_wait_alu 0xf1ff
	v_xor_b32_e32 v4, s20, v7
	ds_load_b32 v64, v66 offset:16
	v_and_b32_e32 v5, v5, v6
	; wave barrier
	s_delay_alu instid0(VALU_DEP_1) | instskip(NEXT) | instid1(VALU_DEP_1)
	v_and_b32_e32 v4, v5, v4
	v_mbcnt_lo_u32_b32 v65, v4, 0
	v_cmp_ne_u32_e64 s20, 0, v4
	s_delay_alu instid0(VALU_DEP_2)
	v_cmp_eq_u32_e32 vcc_lo, 0, v65
	s_and_b32 s26, s20, vcc_lo
	s_wait_alu 0xfffe
	s_and_saveexec_b32 s20, s26
	s_cbranch_execz .LBB202_40
; %bb.39:                               ;   in Loop: Header=BB202_32 Depth=1
	s_wait_dscnt 0x0
	v_bcnt_u32_b32 v4, v4, v64
	ds_store_b32 v66, v4 offset:16
.LBB202_40:                             ;   in Loop: Header=BB202_32 Depth=1
	s_wait_alu 0xfffe
	s_or_b32 exec_lo, exec_lo, s20
	v_cmp_ne_u32_e32 vcc_lo, 0x7fffffff, v106
	; wave barrier
	s_wait_alu 0xfffd
	v_cndmask_b32_e32 v4, 0x80000000, v106, vcc_lo
	s_delay_alu instid0(VALU_DEP_1) | instskip(NEXT) | instid1(VALU_DEP_1)
	v_lshrrev_b32_e32 v4, s24, v4
	v_and_b32_e32 v4, s25, v4
	s_delay_alu instid0(VALU_DEP_1)
	v_and_b32_e32 v5, 1, v4
	v_lshlrev_b32_e32 v6, 30, v4
	v_lshlrev_b32_e32 v7, 29, v4
	;; [unrolled: 1-line block ×4, first 2 shown]
	v_add_co_u32 v5, s20, v5, -1
	s_wait_alu 0xf1ff
	v_cndmask_b32_e64 v25, 0, 1, s20
	v_not_b32_e32 v68, v6
	v_cmp_gt_i32_e64 s20, 0, v6
	v_not_b32_e32 v6, v7
	v_lshlrev_b32_e32 v27, 26, v4
	v_cmp_ne_u32_e32 vcc_lo, 0, v25
	v_ashrrev_i32_e32 v68, 31, v68
	v_lshlrev_b32_e32 v67, 25, v4
	v_ashrrev_i32_e32 v6, 31, v6
	v_lshlrev_b32_e32 v25, 24, v4
	s_wait_alu 0xfffd
	v_xor_b32_e32 v5, vcc_lo, v5
	v_cmp_gt_i32_e32 vcc_lo, 0, v7
	v_not_b32_e32 v7, v24
	s_wait_alu 0xf1ff
	v_xor_b32_e32 v68, s20, v68
	v_cmp_gt_i32_e64 s20, 0, v24
	v_and_b32_e32 v5, exec_lo, v5
	v_not_b32_e32 v24, v26
	v_ashrrev_i32_e32 v7, 31, v7
	s_wait_alu 0xfffd
	v_xor_b32_e32 v6, vcc_lo, v6
	v_cmp_gt_i32_e32 vcc_lo, 0, v26
	v_and_b32_e32 v5, v5, v68
	v_not_b32_e32 v26, v27
	v_ashrrev_i32_e32 v24, 31, v24
	s_wait_alu 0xf1ff
	v_xor_b32_e32 v7, s20, v7
	v_cmp_gt_i32_e64 s20, 0, v27
	v_and_b32_e32 v5, v5, v6
	v_not_b32_e32 v6, v67
	v_ashrrev_i32_e32 v26, 31, v26
	s_wait_alu 0xfffd
	v_xor_b32_e32 v24, vcc_lo, v24
	v_cmp_gt_i32_e32 vcc_lo, 0, v67
	v_and_b32_e32 v5, v5, v7
	v_not_b32_e32 v7, v25
	v_ashrrev_i32_e32 v6, 31, v6
	s_wait_alu 0xf1ff
	v_xor_b32_e32 v26, s20, v26
	v_lshlrev_b32_e32 v4, 4, v4
	v_and_b32_e32 v5, v5, v24
	v_cmp_gt_i32_e64 s20, 0, v25
	v_ashrrev_i32_e32 v7, 31, v7
	s_wait_alu 0xfffd
	v_xor_b32_e32 v6, vcc_lo, v6
	v_add_nc_u32_e32 v69, v100, v4
	v_and_b32_e32 v5, v5, v26
	s_wait_alu 0xf1ff
	v_xor_b32_e32 v4, s20, v7
	ds_load_b32 v67, v69 offset:16
	v_and_b32_e32 v5, v5, v6
	; wave barrier
	s_delay_alu instid0(VALU_DEP_1) | instskip(NEXT) | instid1(VALU_DEP_1)
	v_and_b32_e32 v4, v5, v4
	v_mbcnt_lo_u32_b32 v68, v4, 0
	v_cmp_ne_u32_e64 s20, 0, v4
	s_delay_alu instid0(VALU_DEP_2)
	v_cmp_eq_u32_e32 vcc_lo, 0, v68
	s_and_b32 s26, s20, vcc_lo
	s_wait_alu 0xfffe
	s_and_saveexec_b32 s20, s26
	s_cbranch_execz .LBB202_42
; %bb.41:                               ;   in Loop: Header=BB202_32 Depth=1
	s_wait_dscnt 0x0
	v_bcnt_u32_b32 v4, v4, v67
	ds_store_b32 v69, v4 offset:16
.LBB202_42:                             ;   in Loop: Header=BB202_32 Depth=1
	s_wait_alu 0xfffe
	s_or_b32 exec_lo, exec_lo, s20
	v_cmp_ne_u32_e32 vcc_lo, 0x7fffffff, v105
	; wave barrier
	s_wait_alu 0xfffd
	v_cndmask_b32_e32 v4, 0x80000000, v105, vcc_lo
	s_delay_alu instid0(VALU_DEP_1) | instskip(NEXT) | instid1(VALU_DEP_1)
	v_lshrrev_b32_e32 v4, s24, v4
	v_and_b32_e32 v4, s25, v4
	s_delay_alu instid0(VALU_DEP_1)
	v_and_b32_e32 v5, 1, v4
	v_lshlrev_b32_e32 v6, 30, v4
	v_lshlrev_b32_e32 v7, 29, v4
	;; [unrolled: 1-line block ×4, first 2 shown]
	v_add_co_u32 v5, s20, v5, -1
	s_wait_alu 0xf1ff
	v_cndmask_b32_e64 v25, 0, 1, s20
	v_not_b32_e32 v71, v6
	v_cmp_gt_i32_e64 s20, 0, v6
	v_not_b32_e32 v6, v7
	v_lshlrev_b32_e32 v27, 26, v4
	v_cmp_ne_u32_e32 vcc_lo, 0, v25
	v_ashrrev_i32_e32 v71, 31, v71
	v_lshlrev_b32_e32 v70, 25, v4
	v_ashrrev_i32_e32 v6, 31, v6
	v_lshlrev_b32_e32 v25, 24, v4
	s_wait_alu 0xfffd
	v_xor_b32_e32 v5, vcc_lo, v5
	v_cmp_gt_i32_e32 vcc_lo, 0, v7
	v_not_b32_e32 v7, v24
	s_wait_alu 0xf1ff
	v_xor_b32_e32 v71, s20, v71
	v_cmp_gt_i32_e64 s20, 0, v24
	v_and_b32_e32 v5, exec_lo, v5
	v_not_b32_e32 v24, v26
	v_ashrrev_i32_e32 v7, 31, v7
	s_wait_alu 0xfffd
	v_xor_b32_e32 v6, vcc_lo, v6
	v_cmp_gt_i32_e32 vcc_lo, 0, v26
	v_and_b32_e32 v5, v5, v71
	v_not_b32_e32 v26, v27
	v_ashrrev_i32_e32 v24, 31, v24
	s_wait_alu 0xf1ff
	v_xor_b32_e32 v7, s20, v7
	v_cmp_gt_i32_e64 s20, 0, v27
	v_and_b32_e32 v5, v5, v6
	v_not_b32_e32 v6, v70
	v_ashrrev_i32_e32 v26, 31, v26
	s_wait_alu 0xfffd
	v_xor_b32_e32 v24, vcc_lo, v24
	v_cmp_gt_i32_e32 vcc_lo, 0, v70
	v_and_b32_e32 v5, v5, v7
	v_not_b32_e32 v7, v25
	v_ashrrev_i32_e32 v6, 31, v6
	s_wait_alu 0xf1ff
	v_xor_b32_e32 v26, s20, v26
	v_lshlrev_b32_e32 v4, 4, v4
	v_and_b32_e32 v5, v5, v24
	v_cmp_gt_i32_e64 s20, 0, v25
	v_ashrrev_i32_e32 v7, 31, v7
	s_wait_alu 0xfffd
	v_xor_b32_e32 v6, vcc_lo, v6
	v_add_nc_u32_e32 v71, v100, v4
	v_and_b32_e32 v5, v5, v26
	s_wait_alu 0xf1ff
	v_xor_b32_e32 v4, s20, v7
	ds_load_b32 v70, v71 offset:16
	v_and_b32_e32 v5, v5, v6
	; wave barrier
	s_delay_alu instid0(VALU_DEP_1) | instskip(NEXT) | instid1(VALU_DEP_1)
	v_and_b32_e32 v4, v5, v4
	v_mbcnt_lo_u32_b32 v110, v4, 0
	v_cmp_ne_u32_e64 s20, 0, v4
	s_delay_alu instid0(VALU_DEP_2)
	v_cmp_eq_u32_e32 vcc_lo, 0, v110
	s_and_b32 s26, s20, vcc_lo
	s_wait_alu 0xfffe
	s_and_saveexec_b32 s20, s26
	s_cbranch_execz .LBB202_44
; %bb.43:                               ;   in Loop: Header=BB202_32 Depth=1
	s_wait_dscnt 0x0
	v_bcnt_u32_b32 v4, v4, v70
	ds_store_b32 v71, v4 offset:16
.LBB202_44:                             ;   in Loop: Header=BB202_32 Depth=1
	s_wait_alu 0xfffe
	s_or_b32 exec_lo, exec_lo, s20
	v_cmp_ne_u32_e32 vcc_lo, 0x7fffffff, v104
	; wave barrier
	s_wait_alu 0xfffd
	v_cndmask_b32_e32 v4, 0x80000000, v104, vcc_lo
	s_delay_alu instid0(VALU_DEP_1) | instskip(NEXT) | instid1(VALU_DEP_1)
	v_lshrrev_b32_e32 v4, s24, v4
	v_and_b32_e32 v4, s25, v4
	s_delay_alu instid0(VALU_DEP_1)
	v_and_b32_e32 v5, 1, v4
	v_lshlrev_b32_e32 v6, 30, v4
	v_lshlrev_b32_e32 v7, 29, v4
	;; [unrolled: 1-line block ×4, first 2 shown]
	v_add_co_u32 v5, s20, v5, -1
	s_wait_alu 0xf1ff
	v_cndmask_b32_e64 v25, 0, 1, s20
	v_not_b32_e32 v112, v6
	v_cmp_gt_i32_e64 s20, 0, v6
	v_not_b32_e32 v6, v7
	v_lshlrev_b32_e32 v27, 26, v4
	v_cmp_ne_u32_e32 vcc_lo, 0, v25
	v_ashrrev_i32_e32 v112, 31, v112
	v_lshlrev_b32_e32 v111, 25, v4
	v_ashrrev_i32_e32 v6, 31, v6
	v_lshlrev_b32_e32 v25, 24, v4
	s_wait_alu 0xfffd
	v_xor_b32_e32 v5, vcc_lo, v5
	v_cmp_gt_i32_e32 vcc_lo, 0, v7
	v_not_b32_e32 v7, v24
	s_wait_alu 0xf1ff
	v_xor_b32_e32 v112, s20, v112
	v_cmp_gt_i32_e64 s20, 0, v24
	v_and_b32_e32 v5, exec_lo, v5
	v_not_b32_e32 v24, v26
	v_ashrrev_i32_e32 v7, 31, v7
	s_wait_alu 0xfffd
	v_xor_b32_e32 v6, vcc_lo, v6
	v_cmp_gt_i32_e32 vcc_lo, 0, v26
	v_and_b32_e32 v5, v5, v112
	v_not_b32_e32 v26, v27
	v_ashrrev_i32_e32 v24, 31, v24
	s_wait_alu 0xf1ff
	v_xor_b32_e32 v7, s20, v7
	v_cmp_gt_i32_e64 s20, 0, v27
	v_and_b32_e32 v5, v5, v6
	v_not_b32_e32 v6, v111
	v_ashrrev_i32_e32 v26, 31, v26
	s_wait_alu 0xfffd
	v_xor_b32_e32 v24, vcc_lo, v24
	v_cmp_gt_i32_e32 vcc_lo, 0, v111
	v_and_b32_e32 v5, v5, v7
	v_not_b32_e32 v7, v25
	v_ashrrev_i32_e32 v6, 31, v6
	s_wait_alu 0xf1ff
	v_xor_b32_e32 v26, s20, v26
	v_lshlrev_b32_e32 v4, 4, v4
	v_and_b32_e32 v5, v5, v24
	v_cmp_gt_i32_e64 s20, 0, v25
	v_ashrrev_i32_e32 v7, 31, v7
	s_wait_alu 0xfffd
	v_xor_b32_e32 v6, vcc_lo, v6
	v_add_nc_u32_e32 v112, v100, v4
	v_and_b32_e32 v5, v5, v26
	s_wait_alu 0xf1ff
	v_xor_b32_e32 v4, s20, v7
	ds_load_b32 v111, v112 offset:16
	v_and_b32_e32 v5, v5, v6
	; wave barrier
	s_delay_alu instid0(VALU_DEP_1) | instskip(NEXT) | instid1(VALU_DEP_1)
	v_and_b32_e32 v4, v5, v4
	v_mbcnt_lo_u32_b32 v113, v4, 0
	v_cmp_ne_u32_e64 s20, 0, v4
	s_delay_alu instid0(VALU_DEP_2)
	v_cmp_eq_u32_e32 vcc_lo, 0, v113
	s_and_b32 s26, s20, vcc_lo
	s_wait_alu 0xfffe
	s_and_saveexec_b32 s20, s26
	s_cbranch_execz .LBB202_46
; %bb.45:                               ;   in Loop: Header=BB202_32 Depth=1
	s_wait_dscnt 0x0
	v_bcnt_u32_b32 v4, v4, v111
	ds_store_b32 v112, v4 offset:16
.LBB202_46:                             ;   in Loop: Header=BB202_32 Depth=1
	s_wait_alu 0xfffe
	s_or_b32 exec_lo, exec_lo, s20
	v_cmp_ne_u32_e32 vcc_lo, 0x7fffffff, v103
	; wave barrier
	s_wait_alu 0xfffd
	v_cndmask_b32_e32 v4, 0x80000000, v103, vcc_lo
	s_delay_alu instid0(VALU_DEP_1) | instskip(NEXT) | instid1(VALU_DEP_1)
	v_lshrrev_b32_e32 v4, s24, v4
	v_and_b32_e32 v4, s25, v4
	s_delay_alu instid0(VALU_DEP_1)
	v_and_b32_e32 v5, 1, v4
	v_lshlrev_b32_e32 v6, 30, v4
	v_lshlrev_b32_e32 v7, 29, v4
	;; [unrolled: 1-line block ×4, first 2 shown]
	v_add_co_u32 v5, s20, v5, -1
	s_wait_alu 0xf1ff
	v_cndmask_b32_e64 v25, 0, 1, s20
	v_not_b32_e32 v115, v6
	v_cmp_gt_i32_e64 s20, 0, v6
	v_not_b32_e32 v6, v7
	v_lshlrev_b32_e32 v27, 26, v4
	v_cmp_ne_u32_e32 vcc_lo, 0, v25
	v_ashrrev_i32_e32 v115, 31, v115
	v_lshlrev_b32_e32 v114, 25, v4
	v_ashrrev_i32_e32 v6, 31, v6
	v_lshlrev_b32_e32 v25, 24, v4
	s_wait_alu 0xfffd
	v_xor_b32_e32 v5, vcc_lo, v5
	v_cmp_gt_i32_e32 vcc_lo, 0, v7
	v_not_b32_e32 v7, v24
	s_wait_alu 0xf1ff
	v_xor_b32_e32 v115, s20, v115
	v_cmp_gt_i32_e64 s20, 0, v24
	v_and_b32_e32 v5, exec_lo, v5
	v_not_b32_e32 v24, v26
	v_ashrrev_i32_e32 v7, 31, v7
	s_wait_alu 0xfffd
	v_xor_b32_e32 v6, vcc_lo, v6
	v_cmp_gt_i32_e32 vcc_lo, 0, v26
	v_and_b32_e32 v5, v5, v115
	v_not_b32_e32 v26, v27
	v_ashrrev_i32_e32 v24, 31, v24
	s_wait_alu 0xf1ff
	v_xor_b32_e32 v7, s20, v7
	v_cmp_gt_i32_e64 s20, 0, v27
	v_and_b32_e32 v5, v5, v6
	v_not_b32_e32 v6, v114
	v_ashrrev_i32_e32 v26, 31, v26
	s_wait_alu 0xfffd
	v_xor_b32_e32 v24, vcc_lo, v24
	v_cmp_gt_i32_e32 vcc_lo, 0, v114
	v_and_b32_e32 v5, v5, v7
	v_not_b32_e32 v7, v25
	v_ashrrev_i32_e32 v6, 31, v6
	s_wait_alu 0xf1ff
	v_xor_b32_e32 v26, s20, v26
	v_lshlrev_b32_e32 v4, 4, v4
	v_and_b32_e32 v5, v5, v24
	v_cmp_gt_i32_e64 s20, 0, v25
	v_ashrrev_i32_e32 v7, 31, v7
	s_wait_alu 0xfffd
	v_xor_b32_e32 v6, vcc_lo, v6
	v_add_nc_u32_e32 v114, v100, v4
	v_and_b32_e32 v5, v5, v26
	s_wait_alu 0xf1ff
	v_xor_b32_e32 v4, s20, v7
	ds_load_b32 v119, v114 offset:16
	v_and_b32_e32 v5, v5, v6
	; wave barrier
	s_delay_alu instid0(VALU_DEP_1) | instskip(NEXT) | instid1(VALU_DEP_1)
	v_and_b32_e32 v4, v5, v4
	v_mbcnt_lo_u32_b32 v120, v4, 0
	v_cmp_ne_u32_e64 s20, 0, v4
	s_delay_alu instid0(VALU_DEP_2)
	v_cmp_eq_u32_e32 vcc_lo, 0, v120
	s_and_b32 s25, s20, vcc_lo
	s_wait_alu 0xfffe
	s_and_saveexec_b32 s20, s25
	s_cbranch_execz .LBB202_48
; %bb.47:                               ;   in Loop: Header=BB202_32 Depth=1
	s_wait_dscnt 0x0
	v_bcnt_u32_b32 v4, v4, v119
	ds_store_b32 v114, v4 offset:16
.LBB202_48:                             ;   in Loop: Header=BB202_32 Depth=1
	s_wait_alu 0xfffe
	s_or_b32 exec_lo, exec_lo, s20
	; wave barrier
	s_wait_loadcnt_dscnt 0x0
	s_barrier_signal -1
	s_barrier_wait -1
	global_inv scope:SCOPE_SE
	ds_load_b128 v[24:27], v89 offset:16
	ds_load_b128 v[4:7], v89 offset:32
	s_wait_dscnt 0x1
	v_add_nc_u32_e32 v115, v25, v24
	s_delay_alu instid0(VALU_DEP_1) | instskip(SKIP_1) | instid1(VALU_DEP_1)
	v_add3_u32 v115, v115, v26, v27
	s_wait_dscnt 0x0
	v_add3_u32 v115, v115, v4, v5
	s_delay_alu instid0(VALU_DEP_1) | instskip(NEXT) | instid1(VALU_DEP_1)
	v_add3_u32 v7, v115, v6, v7
	v_mov_b32_dpp v115, v7 row_shr:1 row_mask:0xf bank_mask:0xf
	s_delay_alu instid0(VALU_DEP_1) | instskip(NEXT) | instid1(VALU_DEP_1)
	v_cndmask_b32_e64 v115, v115, 0, s11
	v_add_nc_u32_e32 v7, v115, v7
	s_delay_alu instid0(VALU_DEP_1) | instskip(NEXT) | instid1(VALU_DEP_1)
	v_mov_b32_dpp v115, v7 row_shr:2 row_mask:0xf bank_mask:0xf
	v_cndmask_b32_e64 v115, 0, v115, s13
	s_delay_alu instid0(VALU_DEP_1) | instskip(NEXT) | instid1(VALU_DEP_1)
	v_add_nc_u32_e32 v7, v7, v115
	v_mov_b32_dpp v115, v7 row_shr:4 row_mask:0xf bank_mask:0xf
	s_delay_alu instid0(VALU_DEP_1) | instskip(NEXT) | instid1(VALU_DEP_1)
	v_cndmask_b32_e64 v115, 0, v115, s14
	v_add_nc_u32_e32 v7, v7, v115
	s_delay_alu instid0(VALU_DEP_1) | instskip(NEXT) | instid1(VALU_DEP_1)
	v_mov_b32_dpp v115, v7 row_shr:8 row_mask:0xf bank_mask:0xf
	v_cndmask_b32_e64 v115, 0, v115, s15
	s_delay_alu instid0(VALU_DEP_1) | instskip(SKIP_3) | instid1(VALU_DEP_1)
	v_add_nc_u32_e32 v7, v7, v115
	ds_swizzle_b32 v115, v7 offset:swizzle(BROADCAST,32,15)
	s_wait_dscnt 0x0
	v_cndmask_b32_e64 v115, v115, 0, s16
	v_add_nc_u32_e32 v7, v7, v115
	s_and_saveexec_b32 s20, s17
; %bb.49:                               ;   in Loop: Header=BB202_32 Depth=1
	ds_store_b32 v90, v7
; %bb.50:                               ;   in Loop: Header=BB202_32 Depth=1
	s_wait_alu 0xfffe
	s_or_b32 exec_lo, exec_lo, s20
	s_wait_loadcnt_dscnt 0x0
	s_barrier_signal -1
	s_barrier_wait -1
	global_inv scope:SCOPE_SE
	s_and_saveexec_b32 s20, s8
	s_cbranch_execz .LBB202_52
; %bb.51:                               ;   in Loop: Header=BB202_32 Depth=1
	ds_load_b32 v115, v101
	s_wait_dscnt 0x0
	v_mov_b32_dpp v116, v115 row_shr:1 row_mask:0xf bank_mask:0xf
	s_delay_alu instid0(VALU_DEP_1) | instskip(NEXT) | instid1(VALU_DEP_1)
	v_cndmask_b32_e64 v116, v116, 0, s18
	v_add_nc_u32_e32 v115, v116, v115
	s_delay_alu instid0(VALU_DEP_1) | instskip(NEXT) | instid1(VALU_DEP_1)
	v_mov_b32_dpp v116, v115 row_shr:2 row_mask:0xf bank_mask:0xf
	v_cndmask_b32_e64 v116, 0, v116, s19
	s_delay_alu instid0(VALU_DEP_1)
	v_add_nc_u32_e32 v115, v115, v116
	ds_store_b32 v101, v115
.LBB202_52:                             ;   in Loop: Header=BB202_32 Depth=1
	s_wait_alu 0xfffe
	s_or_b32 exec_lo, exec_lo, s20
	v_mov_b32_e32 v115, 0
	s_wait_loadcnt_dscnt 0x0
	s_barrier_signal -1
	s_barrier_wait -1
	global_inv scope:SCOPE_SE
	s_and_saveexec_b32 s20, s9
; %bb.53:                               ;   in Loop: Header=BB202_32 Depth=1
	v_add_nc_u32_e32 v115, -4, v90
	ds_load_b32 v115, v115
; %bb.54:                               ;   in Loop: Header=BB202_32 Depth=1
	s_wait_alu 0xfffe
	s_or_b32 exec_lo, exec_lo, s20
	s_wait_dscnt 0x0
	v_add_nc_u32_e32 v7, v115, v7
	s_cmp_gt_u32 s24, 23
	s_mov_b32 s20, -1
	ds_bpermute_b32 v7, v99, v7
	s_wait_dscnt 0x0
	v_cndmask_b32_e64 v7, v7, v115, s12
	s_delay_alu instid0(VALU_DEP_1) | instskip(NEXT) | instid1(VALU_DEP_1)
	v_cndmask_b32_e64 v115, v7, 0, s10
	v_add_nc_u32_e32 v116, v115, v24
	s_delay_alu instid0(VALU_DEP_1) | instskip(NEXT) | instid1(VALU_DEP_1)
	v_add_nc_u32_e32 v117, v116, v25
	v_add_nc_u32_e32 v118, v117, v26
	s_delay_alu instid0(VALU_DEP_1) | instskip(NEXT) | instid1(VALU_DEP_1)
	v_add_nc_u32_e32 v24, v118, v27
	v_add_nc_u32_e32 v25, v24, v4
	s_delay_alu instid0(VALU_DEP_1) | instskip(NEXT) | instid1(VALU_DEP_1)
	v_add_nc_u32_e32 v26, v25, v5
	v_add_nc_u32_e32 v27, v26, v6
	ds_store_b128 v89, v[115:118] offset:16
	ds_store_b128 v89, v[24:27] offset:32
	s_wait_loadcnt_dscnt 0x0
	s_barrier_signal -1
	s_barrier_wait -1
	global_inv scope:SCOPE_SE
	ds_load_b32 v4, v29 offset:16
	ds_load_b32 v5, v32 offset:16
	;; [unrolled: 1-line block ×8, first 2 shown]
	s_wait_dscnt 0x7
	v_add_nc_u32_e32 v118, v4, v28
	s_wait_dscnt 0x6
	v_add3_u32 v117, v31, v30, v5
	s_wait_dscnt 0x5
	v_add3_u32 v116, v34, v33, v6
	;; [unrolled: 2-line block ×7, first 2 shown]
                                        ; implicit-def: $vgpr71
                                        ; implicit-def: $vgpr69
                                        ; implicit-def: $vgpr67
                                        ; implicit-def: $vgpr65
                                        ; implicit-def: $vgpr34_vgpr35
                                        ; implicit-def: $vgpr30_vgpr31
                                        ; implicit-def: $vgpr26_vgpr27
                                        ; implicit-def: $vgpr6_vgpr7
	s_cbranch_scc1 .LBB202_31
; %bb.55:                               ;   in Loop: Header=BB202_32 Depth=1
	v_lshlrev_b32_e32 v4, 2, v118
	v_lshlrev_b32_e32 v5, 2, v117
	;; [unrolled: 1-line block ×3, first 2 shown]
	s_wait_loadcnt 0x0
	s_barrier_signal -1
	s_barrier_wait -1
	global_inv scope:SCOPE_SE
	ds_store_b32 v4, v102
	ds_store_b32 v5, v109
	;; [unrolled: 1-line block ×3, first 2 shown]
	v_lshlrev_b32_e32 v7, 2, v115
	v_add_nc_u32_e32 v4, v4, v4
	v_lshlrev_b32_e32 v24, 2, v114
	v_add_nc_u32_e32 v5, v5, v5
	;; [unrolled: 2-line block ×3, first 2 shown]
	v_lshlrev_b32_e32 v26, 2, v111
	v_lshlrev_b32_e32 v27, 2, v110
	ds_store_b32 v7, v107
	ds_store_b32 v24, v106
	ds_store_b32 v25, v105
	ds_store_b32 v26, v104
	ds_store_b32 v27, v103
	s_wait_loadcnt_dscnt 0x0
	s_barrier_signal -1
	s_barrier_wait -1
	global_inv scope:SCOPE_SE
	ds_load_2addr_b32 v[64:65], v97 offset1:32
	ds_load_2addr_b32 v[66:67], v97 offset0:64 offset1:96
	ds_load_2addr_b32 v[68:69], v97 offset0:128 offset1:160
	;; [unrolled: 1-line block ×3, first 2 shown]
	s_wait_loadcnt_dscnt 0x0
	s_barrier_signal -1
	s_barrier_wait -1
	global_inv scope:SCOPE_SE
	ds_store_b64 v4, v[62:63]
	ds_store_b64 v5, v[60:61]
	;; [unrolled: 1-line block ×3, first 2 shown]
	v_add_nc_u32_e32 v4, v7, v7
	v_add_nc_u32_e32 v5, v24, v24
	;; [unrolled: 1-line block ×5, first 2 shown]
	ds_store_b64 v4, v[56:57]
	ds_store_b64 v5, v[54:55]
	;; [unrolled: 1-line block ×5, first 2 shown]
	s_wait_loadcnt_dscnt 0x0
	s_barrier_signal -1
	s_barrier_wait -1
	global_inv scope:SCOPE_SE
	ds_load_2addr_b64 v[4:7], v98 offset1:32
	ds_load_2addr_b64 v[24:27], v98 offset0:64 offset1:96
	ds_load_2addr_b64 v[28:31], v98 offset0:128 offset1:160
	;; [unrolled: 1-line block ×3, first 2 shown]
	s_add_co_i32 s24, s24, 8
	s_add_co_i32 s23, s23, -8
	s_mov_b32 s20, 0
	s_wait_loadcnt_dscnt 0x0
	s_barrier_signal -1
	s_barrier_wait -1
	global_inv scope:SCOPE_SE
	s_branch .LBB202_31
.LBB202_56:
	v_lshlrev_b64_e32 v[1:2], 3, v[40:41]
	v_dual_mov_b32 v42, v41 :: v_dual_mov_b32 v9, v41
	v_mov_b32_e32 v10, v41
	v_dual_mov_b32 v4, v41 :: v_dual_mov_b32 v5, v41
	s_delay_alu instid0(VALU_DEP_4)
	v_add_co_u32 v1, vcc_lo, s34, v1
	s_wait_alu 0xfffd
	v_add_co_ci_u32_e64 v2, null, s35, v2, vcc_lo
	v_dual_mov_b32 v6, v41 :: v_dual_mov_b32 v7, v41
	v_dual_mov_b32 v8, v41 :: v_dual_mov_b32 v11, v41
	global_load_b64 v[13:14], v[1:2], off
	v_dual_mov_b32 v1, v41 :: v_dual_mov_b32 v2, v41
	v_dual_mov_b32 v3, v41 :: v_dual_mov_b32 v12, v41
	s_wait_alu 0xfffe
	s_or_b32 exec_lo, exec_lo, s8
	s_and_saveexec_b32 s8, s1
	s_cbranch_execz .LBB202_22
.LBB202_57:
	v_mul_lo_u32 v32, s28, v15
	v_mov_b32_e32 v33, 0
	s_delay_alu instid0(VALU_DEP_1) | instskip(NEXT) | instid1(VALU_DEP_1)
	v_lshlrev_b64_e32 v[32:33], 3, v[32:33]
	v_add_co_u32 v32, vcc_lo, s34, v32
	s_wait_alu 0xfffd
	s_delay_alu instid0(VALU_DEP_2)
	v_add_co_ci_u32_e64 v33, null, s35, v33, vcc_lo
	global_load_b64 v[41:42], v[32:33], off
	s_wait_alu 0xfffe
	s_or_b32 exec_lo, exec_lo, s8
	s_and_saveexec_b32 s8, s2
	s_cbranch_execz .LBB202_23
.LBB202_58:
	v_mul_lo_u32 v9, s28, v16
	v_mov_b32_e32 v10, 0
	s_delay_alu instid0(VALU_DEP_1) | instskip(NEXT) | instid1(VALU_DEP_1)
	v_lshlrev_b64_e32 v[9:10], 3, v[9:10]
	v_add_co_u32 v9, vcc_lo, s34, v9
	s_wait_alu 0xfffd
	s_delay_alu instid0(VALU_DEP_2)
	v_add_co_ci_u32_e64 v10, null, s35, v10, vcc_lo
	global_load_b64 v[9:10], v[9:10], off
	s_wait_alu 0xfffe
	s_or_b32 exec_lo, exec_lo, s8
	s_and_saveexec_b32 s8, s3
	s_cbranch_execz .LBB202_24
.LBB202_59:
	v_mul_lo_u32 v1, s28, v17
	v_mov_b32_e32 v2, 0
	s_delay_alu instid0(VALU_DEP_1) | instskip(NEXT) | instid1(VALU_DEP_1)
	v_lshlrev_b64_e32 v[1:2], 3, v[1:2]
	v_add_co_u32 v1, vcc_lo, s34, v1
	s_wait_alu 0xfffd
	s_delay_alu instid0(VALU_DEP_2)
	v_add_co_ci_u32_e64 v2, null, s35, v2, vcc_lo
	global_load_b64 v[1:2], v[1:2], off
	s_wait_alu 0xfffe
	s_or_b32 exec_lo, exec_lo, s8
	s_and_saveexec_b32 s8, s4
	s_cbranch_execz .LBB202_25
.LBB202_60:
	v_mul_lo_u32 v3, s28, v18
	v_mov_b32_e32 v4, 0
	s_delay_alu instid0(VALU_DEP_1) | instskip(NEXT) | instid1(VALU_DEP_1)
	v_lshlrev_b64_e32 v[3:4], 3, v[3:4]
	v_add_co_u32 v3, vcc_lo, s34, v3
	s_wait_alu 0xfffd
	s_delay_alu instid0(VALU_DEP_2)
	v_add_co_ci_u32_e64 v4, null, s35, v4, vcc_lo
	global_load_b64 v[3:4], v[3:4], off
	s_wait_alu 0xfffe
	s_or_b32 exec_lo, exec_lo, s8
	s_and_saveexec_b32 s8, s5
	s_cbranch_execz .LBB202_26
.LBB202_61:
	v_mul_lo_u32 v5, s28, v19
	v_mov_b32_e32 v6, 0
	s_delay_alu instid0(VALU_DEP_1) | instskip(NEXT) | instid1(VALU_DEP_1)
	v_lshlrev_b64_e32 v[5:6], 3, v[5:6]
	v_add_co_u32 v5, vcc_lo, s34, v5
	s_wait_alu 0xfffd
	s_delay_alu instid0(VALU_DEP_2)
	v_add_co_ci_u32_e64 v6, null, s35, v6, vcc_lo
	global_load_b64 v[5:6], v[5:6], off
	s_wait_alu 0xfffe
	s_or_b32 exec_lo, exec_lo, s8
	s_and_saveexec_b32 s8, s6
	s_cbranch_execz .LBB202_27
.LBB202_62:
	v_mul_lo_u32 v7, s28, v20
	v_mov_b32_e32 v8, 0
	s_delay_alu instid0(VALU_DEP_1) | instskip(NEXT) | instid1(VALU_DEP_1)
	v_lshlrev_b64_e32 v[7:8], 3, v[7:8]
	v_add_co_u32 v7, vcc_lo, s34, v7
	s_wait_alu 0xfffd
	s_delay_alu instid0(VALU_DEP_2)
	v_add_co_ci_u32_e64 v8, null, s35, v8, vcc_lo
	global_load_b64 v[7:8], v[7:8], off
	s_wait_alu 0xfffe
	s_or_b32 exec_lo, exec_lo, s8
	s_xor_b32 s8, s12, -1
	s_and_saveexec_b32 s9, s7
	s_cbranch_execnz .LBB202_28
	s_branch .LBB202_29
.LBB202_63:
                                        ; implicit-def: $vgpr34_vgpr35
                                        ; implicit-def: $vgpr38_vgpr39
                                        ; implicit-def: $vgpr26_vgpr27
                                        ; implicit-def: $vgpr30_vgpr31
                                        ; implicit-def: $vgpr0_vgpr1_vgpr2_vgpr3_vgpr4_vgpr5_vgpr6_vgpr7
	s_cbranch_execnz .LBB202_65
	s_branch .LBB202_92
.LBB202_64:
	v_lshlrev_b32_e32 v24, 2, v118
	v_lshlrev_b32_e32 v27, 2, v115
	;; [unrolled: 1-line block ×8, first 2 shown]
	s_wait_loadcnt 0x0
	s_barrier_signal -1
	s_barrier_wait -1
	global_inv scope:SCOPE_SE
	ds_store_b32 v24, v102
	ds_store_b32 v25, v109
	;; [unrolled: 1-line block ×8, first 2 shown]
	s_wait_loadcnt_dscnt 0x0
	s_barrier_signal -1
	s_barrier_wait -1
	global_inv scope:SCOPE_SE
	ds_load_b128 v[0:3], v89
	ds_load_b128 v[4:7], v89 offset:16
	v_add_nc_u32_e32 v24, v24, v24
	v_add_nc_u32_e32 v25, v25, v25
	;; [unrolled: 1-line block ×3, first 2 shown]
	s_wait_loadcnt_dscnt 0x0
	s_barrier_signal -1
	s_barrier_wait -1
	global_inv scope:SCOPE_SE
	ds_store_b64 v24, v[62:63]
	ds_store_b64 v25, v[60:61]
	;; [unrolled: 1-line block ×3, first 2 shown]
	v_add_nc_u32_e32 v24, v27, v27
	v_add_nc_u32_e32 v25, v28, v28
	;; [unrolled: 1-line block ×5, first 2 shown]
	ds_store_b64 v24, v[56:57]
	ds_store_b64 v25, v[54:55]
	ds_store_b64 v26, v[41:42]
	ds_store_b64 v27, v[38:39]
	ds_store_b64 v28, v[36:37]
	v_lshl_add_u32 v32, v45, 5, v89
	s_wait_loadcnt_dscnt 0x0
	s_barrier_signal -1
	s_barrier_wait -1
	v_cmp_lt_i32_e32 vcc_lo, -1, v0
	global_inv scope:SCOPE_SE
	ds_load_b128 v[28:31], v32
	ds_load_b128 v[24:27], v32 offset:16
	ds_load_b128 v[36:39], v32 offset:32
	;; [unrolled: 1-line block ×3, first 2 shown]
	s_wait_alu 0xfffd
	v_cndmask_b32_e64 v41, 0x80000000, -1, vcc_lo
	v_cmp_lt_i32_e32 vcc_lo, -1, v1
	s_delay_alu instid0(VALU_DEP_2) | instskip(SKIP_3) | instid1(VALU_DEP_2)
	v_xor_b32_e32 v0, v41, v0
	s_wait_alu 0xfffd
	v_cndmask_b32_e64 v42, 0x80000000, -1, vcc_lo
	v_cmp_lt_i32_e32 vcc_lo, -1, v2
	v_xor_b32_e32 v1, v42, v1
	s_wait_alu 0xfffd
	v_cndmask_b32_e64 v54, 0x80000000, -1, vcc_lo
	v_cmp_lt_i32_e32 vcc_lo, -1, v3
	s_delay_alu instid0(VALU_DEP_2) | instskip(SKIP_3) | instid1(VALU_DEP_2)
	v_xor_b32_e32 v2, v54, v2
	s_wait_alu 0xfffd
	v_cndmask_b32_e64 v41, 0x80000000, -1, vcc_lo
	v_cmp_lt_i32_e32 vcc_lo, -1, v4
	v_xor_b32_e32 v3, v41, v3
	;; [unrolled: 9-line block ×3, first 2 shown]
	s_wait_alu 0xfffd
	v_cndmask_b32_e64 v55, 0x80000000, -1, vcc_lo
	v_cmp_lt_i32_e32 vcc_lo, -1, v7
	s_delay_alu instid0(VALU_DEP_2) | instskip(SKIP_2) | instid1(VALU_DEP_1)
	v_xor_b32_e32 v6, v55, v6
	s_wait_alu 0xfffd
	v_cndmask_b32_e64 v56, 0x80000000, -1, vcc_lo
	v_xor_b32_e32 v7, v56, v7
	s_branch .LBB202_92
.LBB202_65:
	v_cmp_gt_i32_e32 vcc_lo, 0, v52
	v_or_b32_e32 v7, v93, v94
	s_wait_dscnt 0x2
	v_and_or_b32 v25, 0x1f00, v91, v93
	s_mov_b32 s24, 0
	s_getpc_b64 s[8:9]
	s_wait_alu 0xfffe
	s_sext_i32_i16 s9, s9
	s_add_co_u32 s8, s8, _ZN7rocprim17ROCPRIM_400000_NS16block_radix_sortIfLj128ELj8ElLj1ELj1ELj0ELNS0_26block_radix_rank_algorithmE1ELNS0_18block_padding_hintE2ELNS0_4arch9wavefront6targetE0EE19radix_bits_per_passE@rel32@lo+12
	s_wait_alu 0xfffe
	s_add_co_ci_u32 s9, s9, _ZN7rocprim17ROCPRIM_400000_NS16block_radix_sortIfLj128ELj8ElLj1ELj1ELj0ELNS0_26block_radix_rank_algorithmE1ELNS0_18block_padding_hintE2ELNS0_4arch9wavefront6targetE0EE19radix_bits_per_passE@rel32@hi+24
	s_wait_alu 0xfffd
	v_cndmask_b32_e64 v0, 0x7fffffff, 0, vcc_lo
	v_cmp_gt_i32_e32 vcc_lo, 0, v53
	s_mov_b32 s25, s24
	s_mov_b32 s26, s24
	;; [unrolled: 1-line block ×3, first 2 shown]
	v_xor_b32_e32 v0, v0, v52
	s_wait_alu 0xfffd
	v_cndmask_b32_e64 v1, 0x7fffffff, 0, vcc_lo
	v_cmp_gt_i32_e32 vcc_lo, 0, v50
	v_lshlrev_b32_e32 v26, 5, v7
	s_load_b32 s21, s[8:9], 0x0
	v_cmp_gt_u32_e64 s15, 4, v45
	v_xor_b32_e32 v1, v1, v53
	v_cndmask_b32_e64 v2, 0x7fffffff, 0, vcc_lo
	v_cmp_gt_i32_e32 vcc_lo, 0, v51
	v_cmp_lt_u32_e64 s16, 31, v45
	v_cmp_eq_u32_e64 s17, 0, v45
	v_add_nc_u32_e32 v53, v89, v92
	v_xor_b32_e32 v2, v2, v50
	s_wait_alu 0xfffd
	v_cndmask_b32_e64 v3, 0x7fffffff, 0, vcc_lo
	v_cmp_gt_i32_e32 vcc_lo, 0, v48
	s_mov_b32 s23, 32
	s_delay_alu instid0(VALU_DEP_2) | instskip(SKIP_4) | instid1(VALU_DEP_3)
	v_xor_b32_e32 v3, v3, v51
	s_wait_alu 0xfffd
	v_cndmask_b32_e64 v4, 0x7fffffff, 0, vcc_lo
	v_cmp_gt_i32_e32 vcc_lo, 0, v49
	v_add_nc_u32_e32 v51, -4, v90
	v_xor_b32_e32 v4, v4, v48
	s_wait_alu 0xfffd
	v_cndmask_b32_e64 v5, 0x7fffffff, 0, vcc_lo
	v_cmp_gt_i32_e32 vcc_lo, 0, v46
	v_lshlrev_b32_e32 v48, 2, v25
	s_delay_alu instid0(VALU_DEP_3) | instskip(SKIP_4) | instid1(VALU_DEP_3)
	v_xor_b32_e32 v5, v5, v49
	s_wait_alu 0xfffd
	v_cndmask_b32_e64 v6, 0x7fffffff, 0, vcc_lo
	v_cmp_gt_i32_e32 vcc_lo, 0, v47
	v_add_nc_u32_e32 v49, v48, v48
	v_xor_b32_e32 v6, v6, v46
	s_wait_alu 0xfffd
	v_cndmask_b32_e64 v24, 0x7fffffff, 0, vcc_lo
	s_delay_alu instid0(VALU_DEP_1)
	v_xor_b32_e32 v7, v24, v47
	ds_store_b128 v26, v[0:3]
	ds_store_b128 v26, v[4:7] offset:16
	v_add_nc_u32_e32 v0, v26, v26
	; wave barrier
	s_wait_dscnt 0x3
	ds_load_2addr_b32 v[36:37], v48 offset1:32
	ds_load_2addr_b32 v[38:39], v48 offset0:64 offset1:96
	ds_load_2addr_b32 v[41:42], v48 offset0:128 offset1:160
	;; [unrolled: 1-line block ×3, first 2 shown]
	s_wait_loadcnt_dscnt 0x0
	s_barrier_signal -1
	s_barrier_wait -1
	global_inv scope:SCOPE_SE
	ds_store_b128 v0, v[20:23]
	ds_store_b128 v0, v[16:19] offset:16
	ds_store_b128 v0, v[12:15] offset:32
	;; [unrolled: 1-line block ×3, first 2 shown]
	; wave barrier
	ds_load_2addr_b64 v[4:7], v49 offset1:32
	ds_load_2addr_b64 v[8:11], v49 offset0:64 offset1:96
	ds_load_2addr_b64 v[12:15], v49 offset0:128 offset1:160
	;; [unrolled: 1-line block ×3, first 2 shown]
	s_wait_loadcnt_dscnt 0x0
	s_barrier_signal -1
	s_barrier_wait -1
	global_inv scope:SCOPE_SE
	s_load_b32 s10, s[36:37], 0xc
	v_and_b32_e32 v2, 15, v93
	v_and_b32_e32 v3, 16, v93
	s_delay_alu instid0(VALU_DEP_2) | instskip(SKIP_1) | instid1(VALU_DEP_3)
	v_cmp_lt_u32_e64 s9, 1, v2
	v_cmp_lt_u32_e64 s12, 7, v2
	v_cmp_eq_u32_e64 s13, 0, v3
	s_wait_kmcnt 0x0
	s_lshr_b32 s11, s10, 16
	s_and_b32 s8, s10, 0xffff
	s_wait_alu 0xfffe
	v_mad_u32_u24 v0, v96, s11, v95
	v_sub_co_u32 v20, s10, v93, 1
	v_cmp_lt_u32_e64 s11, 3, v2
	s_delay_alu instid0(VALU_DEP_3) | instskip(SKIP_1) | instid1(VALU_DEP_4)
	v_mad_co_u64_u32 v[0:1], null, v0, s8, v[45:46]
	v_min_u32_e32 v1, 0x60, v94
	v_cmp_gt_i32_e32 vcc_lo, 0, v20
	v_cmp_eq_u32_e64 s8, 0, v2
	s_delay_alu instid0(VALU_DEP_3) | instskip(SKIP_3) | instid1(VALU_DEP_3)
	v_or_b32_e32 v1, 31, v1
	s_wait_alu 0xfffd
	v_cndmask_b32_e32 v2, v20, v93, vcc_lo
	v_lshrrev_b32_e32 v0, 3, v0
	v_cmp_eq_u32_e64 s14, v45, v1
	v_and_b32_e32 v1, 3, v93
	s_delay_alu instid0(VALU_DEP_4) | instskip(NEXT) | instid1(VALU_DEP_4)
	v_lshlrev_b32_e32 v50, 2, v2
	v_and_b32_e32 v52, 0x1ffffffc, v0
	s_delay_alu instid0(VALU_DEP_3)
	v_cmp_eq_u32_e64 s18, 0, v1
	v_cmp_lt_u32_e64 s19, 1, v1
	v_dual_mov_b32 v0, s24 :: v_dual_mov_b32 v1, s25
	v_dual_mov_b32 v2, s26 :: v_dual_mov_b32 v3, s27
	s_branch .LBB202_67
.LBB202_66:                             ;   in Loop: Header=BB202_67 Depth=1
	s_wait_alu 0xfffe
	s_and_not1_b32 vcc_lo, exec_lo, s20
	s_wait_alu 0xfffe
	s_cbranch_vccz .LBB202_91
.LBB202_67:                             ; =>This Inner Loop Header: Depth=1
	v_dual_mov_b32 v54, v36 :: v_dual_mov_b32 v55, v47
	s_min_u32 s20, s21, s23
	ds_store_b128 v89, v[0:3] offset:16
	ds_store_b128 v89, v[0:3] offset:32
	s_wait_alu 0xfffe
	s_lshl_b32 s20, -1, s20
	v_cmp_ne_u32_e32 vcc_lo, 0x80000000, v54
	s_wait_alu 0xfffe
	s_not_b32 s25, s20
	s_wait_loadcnt_dscnt 0x0
	s_barrier_signal -1
	s_barrier_wait -1
	s_wait_alu 0xfffd
	v_dual_cndmask_b32 v20, 0x7fffffff, v54 :: v_dual_mov_b32 v57, v42
	global_inv scope:SCOPE_SE
	; wave barrier
	v_lshrrev_b32_e32 v20, s24, v20
	v_mov_b32_e32 v59, v39
	v_dual_mov_b32 v61, v37 :: v_dual_mov_b32 v58, v41
	v_mov_b32_e32 v60, v38
	s_wait_alu 0xfffe
	v_and_b32_e32 v36, s25, v20
	v_dual_mov_b32 v56, v46 :: v_dual_mov_b32 v31, v9
	v_dual_mov_b32 v30, v8 :: v_dual_mov_b32 v33, v7
	s_delay_alu instid0(VALU_DEP_3)
	v_and_b32_e32 v20, 1, v36
	v_lshlrev_b32_e32 v21, 30, v36
	v_lshlrev_b32_e32 v22, 29, v36
	;; [unrolled: 1-line block ×4, first 2 shown]
	v_add_co_u32 v20, s20, v20, -1
	s_wait_alu 0xf1ff
	v_cndmask_b32_e64 v24, 0, 1, s20
	v_not_b32_e32 v28, v21
	v_cmp_gt_i32_e64 s20, 0, v21
	v_not_b32_e32 v21, v22
	v_lshlrev_b32_e32 v26, 26, v36
	v_cmp_ne_u32_e32 vcc_lo, 0, v24
	v_ashrrev_i32_e32 v28, 31, v28
	v_lshlrev_b32_e32 v27, 25, v36
	v_ashrrev_i32_e32 v21, 31, v21
	v_lshlrev_b32_e32 v24, 24, v36
	s_wait_alu 0xfffd
	v_xor_b32_e32 v20, vcc_lo, v20
	v_cmp_gt_i32_e32 vcc_lo, 0, v22
	v_not_b32_e32 v22, v23
	s_wait_alu 0xf1ff
	v_xor_b32_e32 v28, s20, v28
	v_cmp_gt_i32_e64 s20, 0, v23
	v_and_b32_e32 v20, exec_lo, v20
	v_not_b32_e32 v23, v25
	v_ashrrev_i32_e32 v22, 31, v22
	s_wait_alu 0xfffd
	v_xor_b32_e32 v21, vcc_lo, v21
	v_cmp_gt_i32_e32 vcc_lo, 0, v25
	v_and_b32_e32 v20, v20, v28
	v_not_b32_e32 v25, v26
	v_ashrrev_i32_e32 v23, 31, v23
	s_wait_alu 0xf1ff
	v_xor_b32_e32 v22, s20, v22
	v_cmp_gt_i32_e64 s20, 0, v26
	v_and_b32_e32 v20, v20, v21
	v_not_b32_e32 v21, v27
	v_ashrrev_i32_e32 v25, 31, v25
	s_wait_alu 0xfffd
	v_xor_b32_e32 v23, vcc_lo, v23
	v_cmp_gt_i32_e32 vcc_lo, 0, v27
	v_and_b32_e32 v20, v20, v22
	v_ashrrev_i32_e32 v21, 31, v21
	s_wait_alu 0xf1ff
	v_xor_b32_e32 v25, s20, v25
	v_mov_b32_e32 v27, v13
	v_not_b32_e32 v22, v24
	v_dual_mov_b32 v35, v5 :: v_dual_and_b32 v20, v20, v23
	v_cmp_gt_i32_e64 s20, 0, v24
	s_wait_alu 0xfffd
	v_xor_b32_e32 v21, vcc_lo, v21
	v_ashrrev_i32_e32 v22, 31, v22
	v_dual_mov_b32 v25, v15 :: v_dual_and_b32 v20, v20, v25
	v_mov_b32_e32 v26, v12
	v_mov_b32_e32 v34, v4
	s_wait_alu 0xf1ff
	v_xor_b32_e32 v28, s20, v22
	v_dual_mov_b32 v24, v14 :: v_dual_and_b32 v29, v20, v21
	v_dual_mov_b32 v21, v19 :: v_dual_lshlrev_b32 v4, 4, v36
	v_mov_b32_e32 v23, v17
	s_delay_alu instid0(VALU_DEP_3) | instskip(SKIP_3) | instid1(VALU_DEP_4)
	v_dual_mov_b32 v29, v11 :: v_dual_and_b32 v14, v29, v28
	v_mov_b32_e32 v20, v18
	v_mov_b32_e32 v22, v16
	v_dual_mov_b32 v28, v10 :: v_dual_add_nc_u32 v13, v52, v4
	v_mbcnt_lo_u32_b32 v12, v14, 0
	v_cmp_ne_u32_e64 s20, 0, v14
	v_mov_b32_e32 v32, v6
	s_delay_alu instid0(VALU_DEP_3)
	v_cmp_eq_u32_e32 vcc_lo, 0, v12
	s_and_b32 s26, s20, vcc_lo
	s_wait_alu 0xfffe
	s_and_saveexec_b32 s20, s26
; %bb.68:                               ;   in Loop: Header=BB202_67 Depth=1
	v_bcnt_u32_b32 v4, v14, 0
	ds_store_b32 v13, v4 offset:16
; %bb.69:                               ;   in Loop: Header=BB202_67 Depth=1
	s_wait_alu 0xfffe
	s_or_b32 exec_lo, exec_lo, s20
	v_cmp_ne_u32_e32 vcc_lo, 0x80000000, v61
	; wave barrier
	s_wait_alu 0xfffd
	v_cndmask_b32_e32 v4, 0x7fffffff, v61, vcc_lo
	s_delay_alu instid0(VALU_DEP_1) | instskip(NEXT) | instid1(VALU_DEP_1)
	v_lshrrev_b32_e32 v4, s24, v4
	v_and_b32_e32 v4, s25, v4
	s_delay_alu instid0(VALU_DEP_1)
	v_and_b32_e32 v5, 1, v4
	v_lshlrev_b32_e32 v6, 30, v4
	v_lshlrev_b32_e32 v7, 29, v4
	;; [unrolled: 1-line block ×4, first 2 shown]
	v_add_co_u32 v5, s20, v5, -1
	s_wait_alu 0xf1ff
	v_cndmask_b32_e64 v9, 0, 1, s20
	v_not_b32_e32 v15, v6
	v_cmp_gt_i32_e64 s20, 0, v6
	v_not_b32_e32 v6, v7
	v_lshlrev_b32_e32 v11, 26, v4
	v_cmp_ne_u32_e32 vcc_lo, 0, v9
	v_ashrrev_i32_e32 v15, 31, v15
	v_lshlrev_b32_e32 v14, 25, v4
	v_ashrrev_i32_e32 v6, 31, v6
	v_lshlrev_b32_e32 v9, 24, v4
	s_wait_alu 0xfffd
	v_xor_b32_e32 v5, vcc_lo, v5
	v_cmp_gt_i32_e32 vcc_lo, 0, v7
	v_not_b32_e32 v7, v8
	s_wait_alu 0xf1ff
	v_xor_b32_e32 v15, s20, v15
	v_cmp_gt_i32_e64 s20, 0, v8
	v_and_b32_e32 v5, exec_lo, v5
	v_not_b32_e32 v8, v10
	v_ashrrev_i32_e32 v7, 31, v7
	s_wait_alu 0xfffd
	v_xor_b32_e32 v6, vcc_lo, v6
	v_cmp_gt_i32_e32 vcc_lo, 0, v10
	v_and_b32_e32 v5, v5, v15
	v_not_b32_e32 v10, v11
	v_ashrrev_i32_e32 v8, 31, v8
	s_wait_alu 0xf1ff
	v_xor_b32_e32 v7, s20, v7
	v_cmp_gt_i32_e64 s20, 0, v11
	v_and_b32_e32 v5, v5, v6
	v_not_b32_e32 v6, v14
	v_ashrrev_i32_e32 v10, 31, v10
	s_wait_alu 0xfffd
	v_xor_b32_e32 v8, vcc_lo, v8
	v_cmp_gt_i32_e32 vcc_lo, 0, v14
	v_and_b32_e32 v5, v5, v7
	v_not_b32_e32 v7, v9
	v_ashrrev_i32_e32 v6, 31, v6
	s_wait_alu 0xf1ff
	v_xor_b32_e32 v10, s20, v10
	v_lshlrev_b32_e32 v4, 4, v4
	v_and_b32_e32 v5, v5, v8
	v_cmp_gt_i32_e64 s20, 0, v9
	v_ashrrev_i32_e32 v7, 31, v7
	s_wait_alu 0xfffd
	v_xor_b32_e32 v6, vcc_lo, v6
	v_add_nc_u32_e32 v16, v52, v4
	v_and_b32_e32 v5, v5, v10
	s_wait_alu 0xf1ff
	v_xor_b32_e32 v4, s20, v7
	ds_load_b32 v14, v16 offset:16
	v_and_b32_e32 v5, v5, v6
	; wave barrier
	s_delay_alu instid0(VALU_DEP_1) | instskip(NEXT) | instid1(VALU_DEP_1)
	v_and_b32_e32 v4, v5, v4
	v_mbcnt_lo_u32_b32 v15, v4, 0
	v_cmp_ne_u32_e64 s20, 0, v4
	s_delay_alu instid0(VALU_DEP_2)
	v_cmp_eq_u32_e32 vcc_lo, 0, v15
	s_and_b32 s26, s20, vcc_lo
	s_wait_alu 0xfffe
	s_and_saveexec_b32 s20, s26
	s_cbranch_execz .LBB202_71
; %bb.70:                               ;   in Loop: Header=BB202_67 Depth=1
	s_wait_dscnt 0x0
	v_bcnt_u32_b32 v4, v4, v14
	ds_store_b32 v16, v4 offset:16
.LBB202_71:                             ;   in Loop: Header=BB202_67 Depth=1
	s_wait_alu 0xfffe
	s_or_b32 exec_lo, exec_lo, s20
	v_cmp_ne_u32_e32 vcc_lo, 0x80000000, v60
	; wave barrier
	s_wait_alu 0xfffd
	v_cndmask_b32_e32 v4, 0x7fffffff, v60, vcc_lo
	s_delay_alu instid0(VALU_DEP_1) | instskip(NEXT) | instid1(VALU_DEP_1)
	v_lshrrev_b32_e32 v4, s24, v4
	v_and_b32_e32 v4, s25, v4
	s_delay_alu instid0(VALU_DEP_1)
	v_and_b32_e32 v5, 1, v4
	v_lshlrev_b32_e32 v6, 30, v4
	v_lshlrev_b32_e32 v7, 29, v4
	;; [unrolled: 1-line block ×4, first 2 shown]
	v_add_co_u32 v5, s20, v5, -1
	s_wait_alu 0xf1ff
	v_cndmask_b32_e64 v9, 0, 1, s20
	v_not_b32_e32 v18, v6
	v_cmp_gt_i32_e64 s20, 0, v6
	v_not_b32_e32 v6, v7
	v_lshlrev_b32_e32 v11, 26, v4
	v_cmp_ne_u32_e32 vcc_lo, 0, v9
	v_ashrrev_i32_e32 v18, 31, v18
	v_lshlrev_b32_e32 v17, 25, v4
	v_ashrrev_i32_e32 v6, 31, v6
	v_lshlrev_b32_e32 v9, 24, v4
	s_wait_alu 0xfffd
	v_xor_b32_e32 v5, vcc_lo, v5
	v_cmp_gt_i32_e32 vcc_lo, 0, v7
	v_not_b32_e32 v7, v8
	s_wait_alu 0xf1ff
	v_xor_b32_e32 v18, s20, v18
	v_cmp_gt_i32_e64 s20, 0, v8
	v_and_b32_e32 v5, exec_lo, v5
	v_not_b32_e32 v8, v10
	v_ashrrev_i32_e32 v7, 31, v7
	s_wait_alu 0xfffd
	v_xor_b32_e32 v6, vcc_lo, v6
	v_cmp_gt_i32_e32 vcc_lo, 0, v10
	v_and_b32_e32 v5, v5, v18
	v_not_b32_e32 v10, v11
	v_ashrrev_i32_e32 v8, 31, v8
	s_wait_alu 0xf1ff
	v_xor_b32_e32 v7, s20, v7
	v_cmp_gt_i32_e64 s20, 0, v11
	v_and_b32_e32 v5, v5, v6
	v_not_b32_e32 v6, v17
	v_ashrrev_i32_e32 v10, 31, v10
	s_wait_alu 0xfffd
	v_xor_b32_e32 v8, vcc_lo, v8
	v_cmp_gt_i32_e32 vcc_lo, 0, v17
	v_and_b32_e32 v5, v5, v7
	v_not_b32_e32 v7, v9
	v_ashrrev_i32_e32 v6, 31, v6
	s_wait_alu 0xf1ff
	v_xor_b32_e32 v10, s20, v10
	v_lshlrev_b32_e32 v4, 4, v4
	v_and_b32_e32 v5, v5, v8
	v_cmp_gt_i32_e64 s20, 0, v9
	v_ashrrev_i32_e32 v7, 31, v7
	s_wait_alu 0xfffd
	v_xor_b32_e32 v6, vcc_lo, v6
	v_add_nc_u32_e32 v19, v52, v4
	v_and_b32_e32 v5, v5, v10
	s_wait_alu 0xf1ff
	v_xor_b32_e32 v4, s20, v7
	ds_load_b32 v17, v19 offset:16
	v_and_b32_e32 v5, v5, v6
	; wave barrier
	s_delay_alu instid0(VALU_DEP_1) | instskip(NEXT) | instid1(VALU_DEP_1)
	v_and_b32_e32 v4, v5, v4
	v_mbcnt_lo_u32_b32 v18, v4, 0
	v_cmp_ne_u32_e64 s20, 0, v4
	s_delay_alu instid0(VALU_DEP_2)
	v_cmp_eq_u32_e32 vcc_lo, 0, v18
	s_and_b32 s26, s20, vcc_lo
	s_wait_alu 0xfffe
	s_and_saveexec_b32 s20, s26
	s_cbranch_execz .LBB202_73
; %bb.72:                               ;   in Loop: Header=BB202_67 Depth=1
	s_wait_dscnt 0x0
	v_bcnt_u32_b32 v4, v4, v17
	ds_store_b32 v19, v4 offset:16
.LBB202_73:                             ;   in Loop: Header=BB202_67 Depth=1
	s_wait_alu 0xfffe
	s_or_b32 exec_lo, exec_lo, s20
	v_cmp_ne_u32_e32 vcc_lo, 0x80000000, v59
	; wave barrier
	s_wait_alu 0xfffd
	v_cndmask_b32_e32 v4, 0x7fffffff, v59, vcc_lo
	s_delay_alu instid0(VALU_DEP_1) | instskip(NEXT) | instid1(VALU_DEP_1)
	v_lshrrev_b32_e32 v4, s24, v4
	v_and_b32_e32 v4, s25, v4
	s_delay_alu instid0(VALU_DEP_1)
	v_and_b32_e32 v5, 1, v4
	v_lshlrev_b32_e32 v6, 30, v4
	v_lshlrev_b32_e32 v7, 29, v4
	;; [unrolled: 1-line block ×4, first 2 shown]
	v_add_co_u32 v5, s20, v5, -1
	s_wait_alu 0xf1ff
	v_cndmask_b32_e64 v9, 0, 1, s20
	v_not_b32_e32 v37, v6
	v_cmp_gt_i32_e64 s20, 0, v6
	v_not_b32_e32 v6, v7
	v_lshlrev_b32_e32 v11, 26, v4
	v_cmp_ne_u32_e32 vcc_lo, 0, v9
	v_ashrrev_i32_e32 v37, 31, v37
	v_lshlrev_b32_e32 v36, 25, v4
	v_ashrrev_i32_e32 v6, 31, v6
	v_lshlrev_b32_e32 v9, 24, v4
	s_wait_alu 0xfffd
	v_xor_b32_e32 v5, vcc_lo, v5
	v_cmp_gt_i32_e32 vcc_lo, 0, v7
	v_not_b32_e32 v7, v8
	s_wait_alu 0xf1ff
	v_xor_b32_e32 v37, s20, v37
	v_cmp_gt_i32_e64 s20, 0, v8
	v_and_b32_e32 v5, exec_lo, v5
	v_not_b32_e32 v8, v10
	v_ashrrev_i32_e32 v7, 31, v7
	s_wait_alu 0xfffd
	v_xor_b32_e32 v6, vcc_lo, v6
	v_cmp_gt_i32_e32 vcc_lo, 0, v10
	v_and_b32_e32 v5, v5, v37
	v_not_b32_e32 v10, v11
	v_ashrrev_i32_e32 v8, 31, v8
	s_wait_alu 0xf1ff
	v_xor_b32_e32 v7, s20, v7
	v_cmp_gt_i32_e64 s20, 0, v11
	v_and_b32_e32 v5, v5, v6
	v_not_b32_e32 v6, v36
	v_ashrrev_i32_e32 v10, 31, v10
	s_wait_alu 0xfffd
	v_xor_b32_e32 v8, vcc_lo, v8
	v_cmp_gt_i32_e32 vcc_lo, 0, v36
	v_and_b32_e32 v5, v5, v7
	v_not_b32_e32 v7, v9
	v_ashrrev_i32_e32 v6, 31, v6
	s_wait_alu 0xf1ff
	v_xor_b32_e32 v10, s20, v10
	v_lshlrev_b32_e32 v4, 4, v4
	v_and_b32_e32 v5, v5, v8
	v_cmp_gt_i32_e64 s20, 0, v9
	v_ashrrev_i32_e32 v7, 31, v7
	s_wait_alu 0xfffd
	v_xor_b32_e32 v6, vcc_lo, v6
	v_add_nc_u32_e32 v38, v52, v4
	v_and_b32_e32 v5, v5, v10
	s_wait_alu 0xf1ff
	v_xor_b32_e32 v4, s20, v7
	ds_load_b32 v36, v38 offset:16
	v_and_b32_e32 v5, v5, v6
	; wave barrier
	s_delay_alu instid0(VALU_DEP_1) | instskip(NEXT) | instid1(VALU_DEP_1)
	v_and_b32_e32 v4, v5, v4
	v_mbcnt_lo_u32_b32 v37, v4, 0
	v_cmp_ne_u32_e64 s20, 0, v4
	s_delay_alu instid0(VALU_DEP_2)
	v_cmp_eq_u32_e32 vcc_lo, 0, v37
	s_and_b32 s26, s20, vcc_lo
	s_wait_alu 0xfffe
	s_and_saveexec_b32 s20, s26
	s_cbranch_execz .LBB202_75
; %bb.74:                               ;   in Loop: Header=BB202_67 Depth=1
	s_wait_dscnt 0x0
	v_bcnt_u32_b32 v4, v4, v36
	ds_store_b32 v38, v4 offset:16
.LBB202_75:                             ;   in Loop: Header=BB202_67 Depth=1
	s_wait_alu 0xfffe
	s_or_b32 exec_lo, exec_lo, s20
	v_cmp_ne_u32_e32 vcc_lo, 0x80000000, v58
	; wave barrier
	s_wait_alu 0xfffd
	v_cndmask_b32_e32 v4, 0x7fffffff, v58, vcc_lo
	s_delay_alu instid0(VALU_DEP_1) | instskip(NEXT) | instid1(VALU_DEP_1)
	v_lshrrev_b32_e32 v4, s24, v4
	v_and_b32_e32 v4, s25, v4
	s_delay_alu instid0(VALU_DEP_1)
	v_and_b32_e32 v5, 1, v4
	v_lshlrev_b32_e32 v6, 30, v4
	v_lshlrev_b32_e32 v7, 29, v4
	;; [unrolled: 1-line block ×4, first 2 shown]
	v_add_co_u32 v5, s20, v5, -1
	s_wait_alu 0xf1ff
	v_cndmask_b32_e64 v9, 0, 1, s20
	v_not_b32_e32 v41, v6
	v_cmp_gt_i32_e64 s20, 0, v6
	v_not_b32_e32 v6, v7
	v_lshlrev_b32_e32 v11, 26, v4
	v_cmp_ne_u32_e32 vcc_lo, 0, v9
	v_ashrrev_i32_e32 v41, 31, v41
	v_lshlrev_b32_e32 v39, 25, v4
	v_ashrrev_i32_e32 v6, 31, v6
	v_lshlrev_b32_e32 v9, 24, v4
	s_wait_alu 0xfffd
	v_xor_b32_e32 v5, vcc_lo, v5
	v_cmp_gt_i32_e32 vcc_lo, 0, v7
	v_not_b32_e32 v7, v8
	s_wait_alu 0xf1ff
	v_xor_b32_e32 v41, s20, v41
	v_cmp_gt_i32_e64 s20, 0, v8
	v_and_b32_e32 v5, exec_lo, v5
	v_not_b32_e32 v8, v10
	v_ashrrev_i32_e32 v7, 31, v7
	s_wait_alu 0xfffd
	v_xor_b32_e32 v6, vcc_lo, v6
	v_cmp_gt_i32_e32 vcc_lo, 0, v10
	v_and_b32_e32 v5, v5, v41
	v_not_b32_e32 v10, v11
	v_ashrrev_i32_e32 v8, 31, v8
	s_wait_alu 0xf1ff
	v_xor_b32_e32 v7, s20, v7
	v_cmp_gt_i32_e64 s20, 0, v11
	v_and_b32_e32 v5, v5, v6
	v_not_b32_e32 v6, v39
	v_ashrrev_i32_e32 v10, 31, v10
	s_wait_alu 0xfffd
	v_xor_b32_e32 v8, vcc_lo, v8
	v_cmp_gt_i32_e32 vcc_lo, 0, v39
	v_and_b32_e32 v5, v5, v7
	v_not_b32_e32 v7, v9
	v_ashrrev_i32_e32 v6, 31, v6
	s_wait_alu 0xf1ff
	v_xor_b32_e32 v10, s20, v10
	v_lshlrev_b32_e32 v4, 4, v4
	v_and_b32_e32 v5, v5, v8
	v_cmp_gt_i32_e64 s20, 0, v9
	v_ashrrev_i32_e32 v7, 31, v7
	s_wait_alu 0xfffd
	v_xor_b32_e32 v6, vcc_lo, v6
	v_add_nc_u32_e32 v42, v52, v4
	v_and_b32_e32 v5, v5, v10
	s_wait_alu 0xf1ff
	v_xor_b32_e32 v4, s20, v7
	ds_load_b32 v39, v42 offset:16
	v_and_b32_e32 v5, v5, v6
	; wave barrier
	s_delay_alu instid0(VALU_DEP_1) | instskip(NEXT) | instid1(VALU_DEP_1)
	v_and_b32_e32 v4, v5, v4
	v_mbcnt_lo_u32_b32 v41, v4, 0
	v_cmp_ne_u32_e64 s20, 0, v4
	s_delay_alu instid0(VALU_DEP_2)
	v_cmp_eq_u32_e32 vcc_lo, 0, v41
	s_and_b32 s26, s20, vcc_lo
	s_wait_alu 0xfffe
	s_and_saveexec_b32 s20, s26
	s_cbranch_execz .LBB202_77
; %bb.76:                               ;   in Loop: Header=BB202_67 Depth=1
	s_wait_dscnt 0x0
	v_bcnt_u32_b32 v4, v4, v39
	ds_store_b32 v42, v4 offset:16
.LBB202_77:                             ;   in Loop: Header=BB202_67 Depth=1
	s_wait_alu 0xfffe
	s_or_b32 exec_lo, exec_lo, s20
	v_cmp_ne_u32_e32 vcc_lo, 0x80000000, v57
	; wave barrier
	s_wait_alu 0xfffd
	v_cndmask_b32_e32 v4, 0x7fffffff, v57, vcc_lo
	s_delay_alu instid0(VALU_DEP_1) | instskip(NEXT) | instid1(VALU_DEP_1)
	v_lshrrev_b32_e32 v4, s24, v4
	v_and_b32_e32 v4, s25, v4
	s_delay_alu instid0(VALU_DEP_1)
	v_and_b32_e32 v5, 1, v4
	v_lshlrev_b32_e32 v6, 30, v4
	v_lshlrev_b32_e32 v7, 29, v4
	;; [unrolled: 1-line block ×4, first 2 shown]
	v_add_co_u32 v5, s20, v5, -1
	s_wait_alu 0xf1ff
	v_cndmask_b32_e64 v9, 0, 1, s20
	v_not_b32_e32 v47, v6
	v_cmp_gt_i32_e64 s20, 0, v6
	v_not_b32_e32 v6, v7
	v_lshlrev_b32_e32 v11, 26, v4
	v_cmp_ne_u32_e32 vcc_lo, 0, v9
	v_ashrrev_i32_e32 v47, 31, v47
	v_lshlrev_b32_e32 v46, 25, v4
	v_ashrrev_i32_e32 v6, 31, v6
	v_lshlrev_b32_e32 v9, 24, v4
	s_wait_alu 0xfffd
	v_xor_b32_e32 v5, vcc_lo, v5
	v_cmp_gt_i32_e32 vcc_lo, 0, v7
	v_not_b32_e32 v7, v8
	s_wait_alu 0xf1ff
	v_xor_b32_e32 v47, s20, v47
	v_cmp_gt_i32_e64 s20, 0, v8
	v_and_b32_e32 v5, exec_lo, v5
	v_not_b32_e32 v8, v10
	v_ashrrev_i32_e32 v7, 31, v7
	s_wait_alu 0xfffd
	v_xor_b32_e32 v6, vcc_lo, v6
	v_cmp_gt_i32_e32 vcc_lo, 0, v10
	v_and_b32_e32 v5, v5, v47
	v_not_b32_e32 v10, v11
	v_ashrrev_i32_e32 v8, 31, v8
	s_wait_alu 0xf1ff
	v_xor_b32_e32 v7, s20, v7
	v_cmp_gt_i32_e64 s20, 0, v11
	v_and_b32_e32 v5, v5, v6
	v_not_b32_e32 v6, v46
	v_ashrrev_i32_e32 v10, 31, v10
	s_wait_alu 0xfffd
	v_xor_b32_e32 v8, vcc_lo, v8
	v_cmp_gt_i32_e32 vcc_lo, 0, v46
	v_and_b32_e32 v5, v5, v7
	v_not_b32_e32 v7, v9
	v_ashrrev_i32_e32 v6, 31, v6
	s_wait_alu 0xf1ff
	v_xor_b32_e32 v10, s20, v10
	v_lshlrev_b32_e32 v4, 4, v4
	v_and_b32_e32 v5, v5, v8
	v_cmp_gt_i32_e64 s20, 0, v9
	v_ashrrev_i32_e32 v7, 31, v7
	s_wait_alu 0xfffd
	v_xor_b32_e32 v6, vcc_lo, v6
	v_add_nc_u32_e32 v47, v52, v4
	v_and_b32_e32 v5, v5, v10
	s_wait_alu 0xf1ff
	v_xor_b32_e32 v4, s20, v7
	ds_load_b32 v46, v47 offset:16
	v_and_b32_e32 v5, v5, v6
	; wave barrier
	s_delay_alu instid0(VALU_DEP_1) | instskip(NEXT) | instid1(VALU_DEP_1)
	v_and_b32_e32 v4, v5, v4
	v_mbcnt_lo_u32_b32 v62, v4, 0
	v_cmp_ne_u32_e64 s20, 0, v4
	s_delay_alu instid0(VALU_DEP_2)
	v_cmp_eq_u32_e32 vcc_lo, 0, v62
	s_and_b32 s26, s20, vcc_lo
	s_wait_alu 0xfffe
	s_and_saveexec_b32 s20, s26
	s_cbranch_execz .LBB202_79
; %bb.78:                               ;   in Loop: Header=BB202_67 Depth=1
	s_wait_dscnt 0x0
	v_bcnt_u32_b32 v4, v4, v46
	ds_store_b32 v47, v4 offset:16
.LBB202_79:                             ;   in Loop: Header=BB202_67 Depth=1
	s_wait_alu 0xfffe
	s_or_b32 exec_lo, exec_lo, s20
	v_cmp_ne_u32_e32 vcc_lo, 0x80000000, v56
	; wave barrier
	s_wait_alu 0xfffd
	v_cndmask_b32_e32 v4, 0x7fffffff, v56, vcc_lo
	s_delay_alu instid0(VALU_DEP_1) | instskip(NEXT) | instid1(VALU_DEP_1)
	v_lshrrev_b32_e32 v4, s24, v4
	v_and_b32_e32 v4, s25, v4
	s_delay_alu instid0(VALU_DEP_1)
	v_and_b32_e32 v5, 1, v4
	v_lshlrev_b32_e32 v6, 30, v4
	v_lshlrev_b32_e32 v7, 29, v4
	;; [unrolled: 1-line block ×4, first 2 shown]
	v_add_co_u32 v5, s20, v5, -1
	s_wait_alu 0xf1ff
	v_cndmask_b32_e64 v9, 0, 1, s20
	v_not_b32_e32 v64, v6
	v_cmp_gt_i32_e64 s20, 0, v6
	v_not_b32_e32 v6, v7
	v_lshlrev_b32_e32 v11, 26, v4
	v_cmp_ne_u32_e32 vcc_lo, 0, v9
	v_ashrrev_i32_e32 v64, 31, v64
	v_lshlrev_b32_e32 v63, 25, v4
	v_ashrrev_i32_e32 v6, 31, v6
	v_lshlrev_b32_e32 v9, 24, v4
	s_wait_alu 0xfffd
	v_xor_b32_e32 v5, vcc_lo, v5
	v_cmp_gt_i32_e32 vcc_lo, 0, v7
	v_not_b32_e32 v7, v8
	s_wait_alu 0xf1ff
	v_xor_b32_e32 v64, s20, v64
	v_cmp_gt_i32_e64 s20, 0, v8
	v_and_b32_e32 v5, exec_lo, v5
	v_not_b32_e32 v8, v10
	v_ashrrev_i32_e32 v7, 31, v7
	s_wait_alu 0xfffd
	v_xor_b32_e32 v6, vcc_lo, v6
	v_cmp_gt_i32_e32 vcc_lo, 0, v10
	v_and_b32_e32 v5, v5, v64
	v_not_b32_e32 v10, v11
	v_ashrrev_i32_e32 v8, 31, v8
	s_wait_alu 0xf1ff
	v_xor_b32_e32 v7, s20, v7
	v_cmp_gt_i32_e64 s20, 0, v11
	v_and_b32_e32 v5, v5, v6
	v_not_b32_e32 v6, v63
	v_ashrrev_i32_e32 v10, 31, v10
	s_wait_alu 0xfffd
	v_xor_b32_e32 v8, vcc_lo, v8
	v_cmp_gt_i32_e32 vcc_lo, 0, v63
	v_and_b32_e32 v5, v5, v7
	v_not_b32_e32 v7, v9
	v_ashrrev_i32_e32 v6, 31, v6
	s_wait_alu 0xf1ff
	v_xor_b32_e32 v10, s20, v10
	v_lshlrev_b32_e32 v4, 4, v4
	v_and_b32_e32 v5, v5, v8
	v_cmp_gt_i32_e64 s20, 0, v9
	v_ashrrev_i32_e32 v7, 31, v7
	s_wait_alu 0xfffd
	v_xor_b32_e32 v6, vcc_lo, v6
	v_add_nc_u32_e32 v64, v52, v4
	v_and_b32_e32 v5, v5, v10
	s_wait_alu 0xf1ff
	v_xor_b32_e32 v4, s20, v7
	ds_load_b32 v63, v64 offset:16
	v_and_b32_e32 v5, v5, v6
	; wave barrier
	s_delay_alu instid0(VALU_DEP_1) | instskip(NEXT) | instid1(VALU_DEP_1)
	v_and_b32_e32 v4, v5, v4
	v_mbcnt_lo_u32_b32 v65, v4, 0
	v_cmp_ne_u32_e64 s20, 0, v4
	s_delay_alu instid0(VALU_DEP_2)
	v_cmp_eq_u32_e32 vcc_lo, 0, v65
	s_and_b32 s26, s20, vcc_lo
	s_wait_alu 0xfffe
	s_and_saveexec_b32 s20, s26
	s_cbranch_execz .LBB202_81
; %bb.80:                               ;   in Loop: Header=BB202_67 Depth=1
	s_wait_dscnt 0x0
	v_bcnt_u32_b32 v4, v4, v63
	ds_store_b32 v64, v4 offset:16
.LBB202_81:                             ;   in Loop: Header=BB202_67 Depth=1
	s_wait_alu 0xfffe
	s_or_b32 exec_lo, exec_lo, s20
	v_cmp_ne_u32_e32 vcc_lo, 0x80000000, v55
	; wave barrier
	s_wait_alu 0xfffd
	v_cndmask_b32_e32 v4, 0x7fffffff, v55, vcc_lo
	s_delay_alu instid0(VALU_DEP_1) | instskip(NEXT) | instid1(VALU_DEP_1)
	v_lshrrev_b32_e32 v4, s24, v4
	v_and_b32_e32 v4, s25, v4
	s_delay_alu instid0(VALU_DEP_1)
	v_and_b32_e32 v5, 1, v4
	v_lshlrev_b32_e32 v6, 30, v4
	v_lshlrev_b32_e32 v7, 29, v4
	;; [unrolled: 1-line block ×4, first 2 shown]
	v_add_co_u32 v5, s20, v5, -1
	s_wait_alu 0xf1ff
	v_cndmask_b32_e64 v9, 0, 1, s20
	v_not_b32_e32 v67, v6
	v_cmp_gt_i32_e64 s20, 0, v6
	v_not_b32_e32 v6, v7
	v_lshlrev_b32_e32 v11, 26, v4
	v_cmp_ne_u32_e32 vcc_lo, 0, v9
	v_ashrrev_i32_e32 v67, 31, v67
	v_lshlrev_b32_e32 v66, 25, v4
	v_ashrrev_i32_e32 v6, 31, v6
	v_lshlrev_b32_e32 v9, 24, v4
	s_wait_alu 0xfffd
	v_xor_b32_e32 v5, vcc_lo, v5
	v_cmp_gt_i32_e32 vcc_lo, 0, v7
	v_not_b32_e32 v7, v8
	s_wait_alu 0xf1ff
	v_xor_b32_e32 v67, s20, v67
	v_cmp_gt_i32_e64 s20, 0, v8
	v_and_b32_e32 v5, exec_lo, v5
	v_not_b32_e32 v8, v10
	v_ashrrev_i32_e32 v7, 31, v7
	s_wait_alu 0xfffd
	v_xor_b32_e32 v6, vcc_lo, v6
	v_cmp_gt_i32_e32 vcc_lo, 0, v10
	v_and_b32_e32 v5, v5, v67
	v_not_b32_e32 v10, v11
	v_ashrrev_i32_e32 v8, 31, v8
	s_wait_alu 0xf1ff
	v_xor_b32_e32 v7, s20, v7
	v_cmp_gt_i32_e64 s20, 0, v11
	v_and_b32_e32 v5, v5, v6
	v_not_b32_e32 v6, v66
	v_ashrrev_i32_e32 v10, 31, v10
	s_wait_alu 0xfffd
	v_xor_b32_e32 v8, vcc_lo, v8
	v_cmp_gt_i32_e32 vcc_lo, 0, v66
	v_and_b32_e32 v5, v5, v7
	v_not_b32_e32 v7, v9
	v_ashrrev_i32_e32 v6, 31, v6
	s_wait_alu 0xf1ff
	v_xor_b32_e32 v10, s20, v10
	v_lshlrev_b32_e32 v4, 4, v4
	v_and_b32_e32 v5, v5, v8
	v_cmp_gt_i32_e64 s20, 0, v9
	v_ashrrev_i32_e32 v7, 31, v7
	s_wait_alu 0xfffd
	v_xor_b32_e32 v6, vcc_lo, v6
	v_add_nc_u32_e32 v66, v52, v4
	v_and_b32_e32 v5, v5, v10
	s_wait_alu 0xf1ff
	v_xor_b32_e32 v4, s20, v7
	ds_load_b32 v71, v66 offset:16
	v_and_b32_e32 v5, v5, v6
	; wave barrier
	s_delay_alu instid0(VALU_DEP_1) | instskip(NEXT) | instid1(VALU_DEP_1)
	v_and_b32_e32 v4, v5, v4
	v_mbcnt_lo_u32_b32 v91, v4, 0
	v_cmp_ne_u32_e64 s20, 0, v4
	s_delay_alu instid0(VALU_DEP_2)
	v_cmp_eq_u32_e32 vcc_lo, 0, v91
	s_and_b32 s25, s20, vcc_lo
	s_wait_alu 0xfffe
	s_and_saveexec_b32 s20, s25
	s_cbranch_execz .LBB202_83
; %bb.82:                               ;   in Loop: Header=BB202_67 Depth=1
	s_wait_dscnt 0x0
	v_bcnt_u32_b32 v4, v4, v71
	ds_store_b32 v66, v4 offset:16
.LBB202_83:                             ;   in Loop: Header=BB202_67 Depth=1
	s_wait_alu 0xfffe
	s_or_b32 exec_lo, exec_lo, s20
	; wave barrier
	s_wait_loadcnt_dscnt 0x0
	s_barrier_signal -1
	s_barrier_wait -1
	global_inv scope:SCOPE_SE
	ds_load_b128 v[8:11], v89 offset:16
	ds_load_b128 v[4:7], v89 offset:32
	s_wait_dscnt 0x1
	v_add_nc_u32_e32 v67, v9, v8
	s_delay_alu instid0(VALU_DEP_1) | instskip(SKIP_1) | instid1(VALU_DEP_1)
	v_add3_u32 v67, v67, v10, v11
	s_wait_dscnt 0x0
	v_add3_u32 v67, v67, v4, v5
	s_delay_alu instid0(VALU_DEP_1) | instskip(NEXT) | instid1(VALU_DEP_1)
	v_add3_u32 v7, v67, v6, v7
	v_mov_b32_dpp v67, v7 row_shr:1 row_mask:0xf bank_mask:0xf
	s_delay_alu instid0(VALU_DEP_1) | instskip(NEXT) | instid1(VALU_DEP_1)
	v_cndmask_b32_e64 v67, v67, 0, s8
	v_add_nc_u32_e32 v7, v67, v7
	s_delay_alu instid0(VALU_DEP_1) | instskip(NEXT) | instid1(VALU_DEP_1)
	v_mov_b32_dpp v67, v7 row_shr:2 row_mask:0xf bank_mask:0xf
	v_cndmask_b32_e64 v67, 0, v67, s9
	s_delay_alu instid0(VALU_DEP_1) | instskip(NEXT) | instid1(VALU_DEP_1)
	v_add_nc_u32_e32 v7, v7, v67
	v_mov_b32_dpp v67, v7 row_shr:4 row_mask:0xf bank_mask:0xf
	s_delay_alu instid0(VALU_DEP_1) | instskip(NEXT) | instid1(VALU_DEP_1)
	v_cndmask_b32_e64 v67, 0, v67, s11
	v_add_nc_u32_e32 v7, v7, v67
	s_delay_alu instid0(VALU_DEP_1) | instskip(NEXT) | instid1(VALU_DEP_1)
	v_mov_b32_dpp v67, v7 row_shr:8 row_mask:0xf bank_mask:0xf
	v_cndmask_b32_e64 v67, 0, v67, s12
	s_delay_alu instid0(VALU_DEP_1) | instskip(SKIP_3) | instid1(VALU_DEP_1)
	v_add_nc_u32_e32 v7, v7, v67
	ds_swizzle_b32 v67, v7 offset:swizzle(BROADCAST,32,15)
	s_wait_dscnt 0x0
	v_cndmask_b32_e64 v67, v67, 0, s13
	v_add_nc_u32_e32 v7, v7, v67
	s_and_saveexec_b32 s20, s14
; %bb.84:                               ;   in Loop: Header=BB202_67 Depth=1
	ds_store_b32 v90, v7
; %bb.85:                               ;   in Loop: Header=BB202_67 Depth=1
	s_wait_alu 0xfffe
	s_or_b32 exec_lo, exec_lo, s20
	s_wait_loadcnt_dscnt 0x0
	s_barrier_signal -1
	s_barrier_wait -1
	global_inv scope:SCOPE_SE
	s_and_saveexec_b32 s20, s15
	s_cbranch_execz .LBB202_87
; %bb.86:                               ;   in Loop: Header=BB202_67 Depth=1
	ds_load_b32 v67, v53
	s_wait_dscnt 0x0
	v_mov_b32_dpp v68, v67 row_shr:1 row_mask:0xf bank_mask:0xf
	s_delay_alu instid0(VALU_DEP_1) | instskip(NEXT) | instid1(VALU_DEP_1)
	v_cndmask_b32_e64 v68, v68, 0, s18
	v_add_nc_u32_e32 v67, v68, v67
	s_delay_alu instid0(VALU_DEP_1) | instskip(NEXT) | instid1(VALU_DEP_1)
	v_mov_b32_dpp v68, v67 row_shr:2 row_mask:0xf bank_mask:0xf
	v_cndmask_b32_e64 v68, 0, v68, s19
	s_delay_alu instid0(VALU_DEP_1)
	v_add_nc_u32_e32 v67, v67, v68
	ds_store_b32 v53, v67
.LBB202_87:                             ;   in Loop: Header=BB202_67 Depth=1
	s_wait_alu 0xfffe
	s_or_b32 exec_lo, exec_lo, s20
	v_mov_b32_e32 v67, 0
	s_wait_loadcnt_dscnt 0x0
	s_barrier_signal -1
	s_barrier_wait -1
	global_inv scope:SCOPE_SE
	s_and_saveexec_b32 s20, s16
; %bb.88:                               ;   in Loop: Header=BB202_67 Depth=1
	ds_load_b32 v67, v51
; %bb.89:                               ;   in Loop: Header=BB202_67 Depth=1
	s_wait_alu 0xfffe
	s_or_b32 exec_lo, exec_lo, s20
	s_wait_dscnt 0x0
	v_add_nc_u32_e32 v7, v67, v7
	s_cmp_gt_u32 s24, 23
	s_mov_b32 s20, -1
	ds_bpermute_b32 v7, v50, v7
	s_wait_dscnt 0x0
	v_cndmask_b32_e64 v7, v7, v67, s10
	s_delay_alu instid0(VALU_DEP_1) | instskip(NEXT) | instid1(VALU_DEP_1)
	v_cndmask_b32_e64 v7, v7, 0, s17
	v_add_nc_u32_e32 v8, v7, v8
	s_delay_alu instid0(VALU_DEP_1) | instskip(NEXT) | instid1(VALU_DEP_1)
	v_add_nc_u32_e32 v9, v8, v9
	v_add_nc_u32_e32 v10, v9, v10
	s_delay_alu instid0(VALU_DEP_1) | instskip(NEXT) | instid1(VALU_DEP_1)
	v_add_nc_u32_e32 v67, v10, v11
	;; [unrolled: 3-line block ×3, first 2 shown]
	v_add_nc_u32_e32 v70, v69, v6
	ds_store_b128 v89, v[7:10] offset:16
	ds_store_b128 v89, v[67:70] offset:32
	s_wait_loadcnt_dscnt 0x0
	s_barrier_signal -1
	s_barrier_wait -1
	global_inv scope:SCOPE_SE
	ds_load_b32 v4, v13 offset:16
	ds_load_b32 v5, v16 offset:16
	;; [unrolled: 1-line block ×8, first 2 shown]
	s_wait_dscnt 0x7
	v_add_nc_u32_e32 v70, v4, v12
	s_wait_dscnt 0x6
	v_add3_u32 v69, v15, v14, v5
	s_wait_dscnt 0x5
	v_add3_u32 v68, v18, v17, v6
	;; [unrolled: 2-line block ×7, first 2 shown]
                                        ; implicit-def: $vgpr47
                                        ; implicit-def: $vgpr42
                                        ; implicit-def: $vgpr39
                                        ; implicit-def: $vgpr37
                                        ; implicit-def: $vgpr18_vgpr19
                                        ; implicit-def: $vgpr14_vgpr15
                                        ; implicit-def: $vgpr10_vgpr11
                                        ; implicit-def: $vgpr6_vgpr7
	s_cbranch_scc1 .LBB202_66
; %bb.90:                               ;   in Loop: Header=BB202_67 Depth=1
	v_lshlrev_b32_e32 v4, 2, v70
	v_lshlrev_b32_e32 v5, 2, v69
	;; [unrolled: 1-line block ×3, first 2 shown]
	s_wait_loadcnt 0x0
	s_barrier_signal -1
	s_barrier_wait -1
	global_inv scope:SCOPE_SE
	ds_store_b32 v4, v54
	ds_store_b32 v5, v61
	;; [unrolled: 1-line block ×3, first 2 shown]
	v_lshlrev_b32_e32 v7, 2, v67
	v_add_nc_u32_e32 v4, v4, v4
	v_lshlrev_b32_e32 v8, 2, v66
	v_add_nc_u32_e32 v5, v5, v5
	;; [unrolled: 2-line block ×3, first 2 shown]
	v_lshlrev_b32_e32 v10, 2, v63
	v_lshlrev_b32_e32 v11, 2, v62
	ds_store_b32 v7, v59
	ds_store_b32 v8, v58
	;; [unrolled: 1-line block ×5, first 2 shown]
	s_wait_loadcnt_dscnt 0x0
	s_barrier_signal -1
	s_barrier_wait -1
	global_inv scope:SCOPE_SE
	ds_load_2addr_b32 v[36:37], v48 offset1:32
	ds_load_2addr_b32 v[38:39], v48 offset0:64 offset1:96
	ds_load_2addr_b32 v[41:42], v48 offset0:128 offset1:160
	;; [unrolled: 1-line block ×3, first 2 shown]
	s_wait_loadcnt_dscnt 0x0
	s_barrier_signal -1
	s_barrier_wait -1
	global_inv scope:SCOPE_SE
	ds_store_b64 v4, v[34:35]
	ds_store_b64 v5, v[32:33]
	;; [unrolled: 1-line block ×3, first 2 shown]
	v_add_nc_u32_e32 v4, v7, v7
	v_add_nc_u32_e32 v5, v8, v8
	;; [unrolled: 1-line block ×5, first 2 shown]
	ds_store_b64 v4, v[28:29]
	ds_store_b64 v5, v[26:27]
	;; [unrolled: 1-line block ×5, first 2 shown]
	s_wait_loadcnt_dscnt 0x0
	s_barrier_signal -1
	s_barrier_wait -1
	global_inv scope:SCOPE_SE
	ds_load_2addr_b64 v[4:7], v49 offset1:32
	ds_load_2addr_b64 v[8:11], v49 offset0:64 offset1:96
	ds_load_2addr_b64 v[12:15], v49 offset0:128 offset1:160
	;; [unrolled: 1-line block ×3, first 2 shown]
	s_add_co_i32 s24, s24, 8
	s_add_co_i32 s23, s23, -8
	s_mov_b32 s20, 0
	s_wait_loadcnt_dscnt 0x0
	s_barrier_signal -1
	s_barrier_wait -1
	global_inv scope:SCOPE_SE
	s_branch .LBB202_66
.LBB202_91:
	v_lshlrev_b32_e32 v8, 2, v70
	v_lshlrev_b32_e32 v11, 2, v67
	;; [unrolled: 1-line block ×8, first 2 shown]
	s_wait_loadcnt 0x0
	s_barrier_signal -1
	s_barrier_wait -1
	global_inv scope:SCOPE_SE
	ds_store_b32 v8, v54
	ds_store_b32 v9, v61
	ds_store_b32 v10, v60
	ds_store_b32 v11, v59
	ds_store_b32 v12, v58
	ds_store_b32 v13, v57
	ds_store_b32 v14, v56
	ds_store_b32 v15, v55
	s_wait_loadcnt_dscnt 0x0
	s_barrier_signal -1
	s_barrier_wait -1
	global_inv scope:SCOPE_SE
	ds_load_b128 v[0:3], v89
	ds_load_b128 v[4:7], v89 offset:16
	v_add_nc_u32_e32 v8, v8, v8
	v_add_nc_u32_e32 v9, v9, v9
	;; [unrolled: 1-line block ×3, first 2 shown]
	s_wait_loadcnt_dscnt 0x0
	s_barrier_signal -1
	s_barrier_wait -1
	global_inv scope:SCOPE_SE
	ds_store_b64 v8, v[34:35]
	ds_store_b64 v9, v[32:33]
	;; [unrolled: 1-line block ×3, first 2 shown]
	v_add_nc_u32_e32 v8, v11, v11
	v_add_nc_u32_e32 v9, v12, v12
	;; [unrolled: 1-line block ×5, first 2 shown]
	ds_store_b64 v8, v[28:29]
	ds_store_b64 v9, v[26:27]
	;; [unrolled: 1-line block ×5, first 2 shown]
	v_lshl_add_u32 v8, v45, 5, v89
	s_wait_loadcnt_dscnt 0x0
	s_barrier_signal -1
	s_barrier_wait -1
	v_cmp_gt_i32_e32 vcc_lo, 0, v0
	global_inv scope:SCOPE_SE
	ds_load_b128 v[28:31], v8
	ds_load_b128 v[24:27], v8 offset:16
	ds_load_b128 v[36:39], v8 offset:32
	;; [unrolled: 1-line block ×3, first 2 shown]
	s_wait_alu 0xfffd
	v_cndmask_b32_e64 v9, 0x7fffffff, 0, vcc_lo
	v_cmp_gt_i32_e32 vcc_lo, 0, v1
	s_delay_alu instid0(VALU_DEP_2) | instskip(SKIP_3) | instid1(VALU_DEP_2)
	v_xor_b32_e32 v0, v9, v0
	s_wait_alu 0xfffd
	v_cndmask_b32_e64 v10, 0x7fffffff, 0, vcc_lo
	v_cmp_gt_i32_e32 vcc_lo, 0, v2
	v_xor_b32_e32 v1, v10, v1
	s_wait_alu 0xfffd
	v_cndmask_b32_e64 v11, 0x7fffffff, 0, vcc_lo
	v_cmp_gt_i32_e32 vcc_lo, 0, v3
	s_delay_alu instid0(VALU_DEP_2) | instskip(SKIP_3) | instid1(VALU_DEP_2)
	v_xor_b32_e32 v2, v11, v2
	s_wait_alu 0xfffd
	v_cndmask_b32_e64 v8, 0x7fffffff, 0, vcc_lo
	v_cmp_gt_i32_e32 vcc_lo, 0, v4
	v_xor_b32_e32 v3, v8, v3
	;; [unrolled: 9-line block ×3, first 2 shown]
	s_wait_alu 0xfffd
	v_cndmask_b32_e64 v11, 0x7fffffff, 0, vcc_lo
	v_cmp_gt_i32_e32 vcc_lo, 0, v7
	s_delay_alu instid0(VALU_DEP_2) | instskip(SKIP_2) | instid1(VALU_DEP_1)
	v_xor_b32_e32 v6, v11, v6
	s_wait_alu 0xfffd
	v_cndmask_b32_e64 v12, 0x7fffffff, 0, vcc_lo
	v_xor_b32_e32 v7, v12, v7
.LBB202_92:
	s_wait_loadcnt_dscnt 0x0
	s_barrier_signal -1
	s_barrier_wait -1
	global_inv scope:SCOPE_SE
	ds_store_2addr_b32 v79, v0, v1 offset1:1
	ds_store_2addr_b32 v79, v2, v3 offset0:2 offset1:3
	ds_store_2addr_b32 v79, v4, v5 offset0:4 offset1:5
	ds_store_2addr_b32 v79, v6, v7 offset0:6 offset1:7
	s_wait_loadcnt_dscnt 0x0
	s_barrier_signal -1
	s_barrier_wait -1
	global_inv scope:SCOPE_SE
	ds_load_b32 v8, v44 offset:512
	ds_load_b32 v7, v73 offset:1024
	;; [unrolled: 1-line block ×7, first 2 shown]
	v_mov_b32_e32 v44, 0
	s_delay_alu instid0(VALU_DEP_1) | instskip(NEXT) | instid1(VALU_DEP_1)
	v_lshlrev_b64_e32 v[0:1], 2, v[43:44]
	v_add_co_u32 v0, vcc_lo, s30, v0
	s_wait_alu 0xfffd
	s_delay_alu instid0(VALU_DEP_2)
	v_add_co_ci_u32_e64 v1, null, s31, v1, vcc_lo
	s_and_saveexec_b32 s8, s0
	s_cbranch_execnz .LBB202_111
; %bb.93:
	s_wait_alu 0xfffe
	s_or_b32 exec_lo, exec_lo, s8
	s_and_saveexec_b32 s8, s1
	s_cbranch_execnz .LBB202_112
.LBB202_94:
	s_wait_alu 0xfffe
	s_or_b32 exec_lo, exec_lo, s8
	s_and_saveexec_b32 s8, s2
	s_cbranch_execnz .LBB202_113
.LBB202_95:
	s_wait_alu 0xfffe
	s_or_b32 exec_lo, exec_lo, s8
	s_and_saveexec_b32 s8, s3
	s_cbranch_execnz .LBB202_114
.LBB202_96:
	s_wait_alu 0xfffe
	s_or_b32 exec_lo, exec_lo, s8
	s_and_saveexec_b32 s8, s4
	s_cbranch_execnz .LBB202_115
.LBB202_97:
	s_wait_alu 0xfffe
	s_or_b32 exec_lo, exec_lo, s8
	s_and_saveexec_b32 s8, s5
	s_cbranch_execnz .LBB202_116
.LBB202_98:
	s_wait_alu 0xfffe
	s_or_b32 exec_lo, exec_lo, s8
	s_and_saveexec_b32 s8, s6
	s_cbranch_execnz .LBB202_117
.LBB202_99:
	s_wait_alu 0xfffe
	s_or_b32 exec_lo, exec_lo, s8
	s_and_saveexec_b32 s8, s7
	s_cbranch_execz .LBB202_101
.LBB202_100:
	s_mul_i32 s10, s22, 0x380
	s_mov_b32 s11, 0
	s_wait_alu 0xfffe
	s_lshl_b64 s[10:11], s[10:11], 2
	s_wait_alu 0xfffe
	v_add_co_u32 v0, vcc_lo, v0, s10
	s_wait_alu 0xfffd
	v_add_co_ci_u32_e64 v1, null, s11, v1, vcc_lo
	s_wait_dscnt 0x0
	global_store_b32 v[0:1], v2, off
.LBB202_101:
	s_wait_alu 0xfffe
	s_or_b32 exec_lo, exec_lo, s8
	s_wait_storecnt 0x0
	s_wait_loadcnt_dscnt 0x0
	s_barrier_signal -1
	s_barrier_wait -1
	global_inv scope:SCOPE_SE
	ds_store_2addr_b64 v88, v[28:29], v[30:31] offset1:1
	ds_store_2addr_b64 v88, v[24:25], v[26:27] offset0:2 offset1:3
	ds_store_2addr_b64 v88, v[36:37], v[38:39] offset0:4 offset1:5
	;; [unrolled: 1-line block ×3, first 2 shown]
	s_wait_loadcnt_dscnt 0x0
	s_barrier_signal -1
	s_barrier_wait -1
	global_inv scope:SCOPE_SE
	ds_load_b64 v[14:15], v81 offset:1024
	ds_load_b64 v[12:13], v82 offset:2048
	;; [unrolled: 1-line block ×7, first 2 shown]
	v_mov_b32_e32 v41, 0
	s_delay_alu instid0(VALU_DEP_1) | instskip(NEXT) | instid1(VALU_DEP_1)
	v_lshlrev_b64_e32 v[2:3], 3, v[40:41]
	v_add_co_u32 v2, vcc_lo, s34, v2
	s_wait_alu 0xfffd
	s_delay_alu instid0(VALU_DEP_2)
	v_add_co_ci_u32_e64 v3, null, s35, v3, vcc_lo
	s_and_saveexec_b32 s8, s0
	s_cbranch_execnz .LBB202_118
; %bb.102:
	s_wait_alu 0xfffe
	s_or_b32 exec_lo, exec_lo, s8
	s_and_saveexec_b32 s0, s1
	s_cbranch_execnz .LBB202_119
.LBB202_103:
	s_or_b32 exec_lo, exec_lo, s0
	s_and_saveexec_b32 s0, s2
	s_cbranch_execnz .LBB202_120
.LBB202_104:
	s_or_b32 exec_lo, exec_lo, s0
	s_and_saveexec_b32 s0, s3
	s_cbranch_execnz .LBB202_121
.LBB202_105:
	s_or_b32 exec_lo, exec_lo, s0
	s_and_saveexec_b32 s0, s4
	s_cbranch_execnz .LBB202_122
.LBB202_106:
	s_or_b32 exec_lo, exec_lo, s0
	s_and_saveexec_b32 s0, s5
	s_cbranch_execnz .LBB202_123
.LBB202_107:
	s_or_b32 exec_lo, exec_lo, s0
	s_and_saveexec_b32 s0, s6
	s_cbranch_execnz .LBB202_124
.LBB202_108:
	s_or_b32 exec_lo, exec_lo, s0
	s_and_saveexec_b32 s0, s7
	s_cbranch_execz .LBB202_110
.LBB202_109:
	s_mul_i32 s0, s28, 0x380
	s_mov_b32 s1, 0
	s_delay_alu instid0(SALU_CYCLE_1) | instskip(NEXT) | instid1(SALU_CYCLE_1)
	s_lshl_b64 s[0:1], s[0:1], 3
	v_add_co_u32 v2, vcc_lo, v2, s0
	s_wait_alu 0xfffd
	v_add_co_ci_u32_e64 v3, null, s1, v3, vcc_lo
	s_wait_dscnt 0x0
	global_store_b64 v[2:3], v[0:1], off
.LBB202_110:
	s_nop 0
	s_sendmsg sendmsg(MSG_DEALLOC_VGPRS)
	s_endpgm
.LBB202_111:
	ds_load_b32 v9, v72
	s_wait_dscnt 0x0
	global_store_b32 v[0:1], v9, off
	s_wait_alu 0xfffe
	s_or_b32 exec_lo, exec_lo, s8
	s_and_saveexec_b32 s8, s1
	s_cbranch_execz .LBB202_94
.LBB202_112:
	s_lshl_b32 s10, s22, 7
	s_mov_b32 s11, 0
	s_wait_alu 0xfffe
	s_lshl_b64 s[10:11], s[10:11], 2
	s_wait_alu 0xfffe
	v_add_co_u32 v9, vcc_lo, v0, s10
	s_wait_alu 0xfffd
	v_add_co_ci_u32_e64 v10, null, s11, v1, vcc_lo
	s_wait_dscnt 0x6
	global_store_b32 v[9:10], v8, off
	s_or_b32 exec_lo, exec_lo, s8
	s_and_saveexec_b32 s8, s2
	s_cbranch_execz .LBB202_95
.LBB202_113:
	s_lshl_b32 s10, s22, 8
	s_mov_b32 s11, 0
	s_wait_alu 0xfffe
	s_lshl_b64 s[10:11], s[10:11], 2
	s_wait_dscnt 0x6
	s_wait_alu 0xfffe
	v_add_co_u32 v8, vcc_lo, v0, s10
	s_wait_alu 0xfffd
	v_add_co_ci_u32_e64 v9, null, s11, v1, vcc_lo
	s_wait_dscnt 0x5
	global_store_b32 v[8:9], v7, off
	s_or_b32 exec_lo, exec_lo, s8
	s_and_saveexec_b32 s8, s3
	s_cbranch_execz .LBB202_96
.LBB202_114:
	s_mul_i32 s10, s22, 0x180
	s_mov_b32 s11, 0
	s_wait_alu 0xfffe
	s_lshl_b64 s[10:11], s[10:11], 2
	s_wait_dscnt 0x5
	s_wait_alu 0xfffe
	v_add_co_u32 v7, vcc_lo, v0, s10
	s_wait_alu 0xfffd
	v_add_co_ci_u32_e64 v8, null, s11, v1, vcc_lo
	s_wait_dscnt 0x4
	global_store_b32 v[7:8], v6, off
	s_or_b32 exec_lo, exec_lo, s8
	s_and_saveexec_b32 s8, s4
	s_cbranch_execz .LBB202_97
.LBB202_115:
	s_lshl_b32 s10, s22, 9
	s_mov_b32 s11, 0
	s_wait_alu 0xfffe
	s_lshl_b64 s[10:11], s[10:11], 2
	s_wait_dscnt 0x4
	s_wait_alu 0xfffe
	v_add_co_u32 v6, vcc_lo, v0, s10
	s_wait_alu 0xfffd
	v_add_co_ci_u32_e64 v7, null, s11, v1, vcc_lo
	s_wait_dscnt 0x3
	global_store_b32 v[6:7], v5, off
	s_or_b32 exec_lo, exec_lo, s8
	s_and_saveexec_b32 s8, s5
	s_cbranch_execz .LBB202_98
.LBB202_116:
	s_mul_i32 s10, s22, 0x280
	s_mov_b32 s11, 0
	s_wait_alu 0xfffe
	s_lshl_b64 s[10:11], s[10:11], 2
	s_wait_dscnt 0x3
	s_wait_alu 0xfffe
	v_add_co_u32 v5, vcc_lo, v0, s10
	s_wait_alu 0xfffd
	v_add_co_ci_u32_e64 v6, null, s11, v1, vcc_lo
	s_wait_dscnt 0x2
	global_store_b32 v[5:6], v4, off
	s_or_b32 exec_lo, exec_lo, s8
	s_and_saveexec_b32 s8, s6
	s_cbranch_execz .LBB202_99
.LBB202_117:
	s_mul_i32 s10, s22, 0x300
	s_mov_b32 s11, 0
	s_wait_alu 0xfffe
	s_lshl_b64 s[10:11], s[10:11], 2
	s_wait_dscnt 0x2
	s_wait_alu 0xfffe
	v_add_co_u32 v4, vcc_lo, v0, s10
	s_wait_alu 0xfffd
	v_add_co_ci_u32_e64 v5, null, s11, v1, vcc_lo
	s_wait_dscnt 0x1
	global_store_b32 v[4:5], v3, off
	s_or_b32 exec_lo, exec_lo, s8
	s_and_saveexec_b32 s8, s7
	s_cbranch_execnz .LBB202_100
	s_branch .LBB202_101
.LBB202_118:
	ds_load_b64 v[16:17], v80
	s_wait_dscnt 0x0
	global_store_b64 v[2:3], v[16:17], off
	s_wait_alu 0xfffe
	s_or_b32 exec_lo, exec_lo, s8
	s_and_saveexec_b32 s0, s1
	s_cbranch_execz .LBB202_103
.LBB202_119:
	s_lshl_b32 s8, s28, 7
	s_mov_b32 s9, 0
	s_wait_alu 0xfffe
	s_lshl_b64 s[8:9], s[8:9], 3
	s_wait_alu 0xfffe
	v_add_co_u32 v16, vcc_lo, v2, s8
	s_wait_alu 0xfffd
	v_add_co_ci_u32_e64 v17, null, s9, v3, vcc_lo
	s_wait_dscnt 0x6
	global_store_b64 v[16:17], v[14:15], off
	s_or_b32 exec_lo, exec_lo, s0
	s_and_saveexec_b32 s0, s2
	s_cbranch_execz .LBB202_104
.LBB202_120:
	s_lshl_b32 s8, s28, 8
	s_mov_b32 s9, 0
	s_wait_alu 0xfffe
	s_lshl_b64 s[8:9], s[8:9], 3
	s_wait_dscnt 0x6
	s_wait_alu 0xfffe
	v_add_co_u32 v14, vcc_lo, v2, s8
	s_wait_alu 0xfffd
	v_add_co_ci_u32_e64 v15, null, s9, v3, vcc_lo
	s_wait_dscnt 0x5
	global_store_b64 v[14:15], v[12:13], off
	s_or_b32 exec_lo, exec_lo, s0
	s_and_saveexec_b32 s0, s3
	s_cbranch_execz .LBB202_105
.LBB202_121:
	s_mul_i32 s2, s28, 0x180
	s_mov_b32 s3, 0
	s_delay_alu instid0(SALU_CYCLE_1)
	s_lshl_b64 s[2:3], s[2:3], 3
	s_wait_dscnt 0x5
	v_add_co_u32 v12, vcc_lo, v2, s2
	s_wait_alu 0xfffd
	v_add_co_ci_u32_e64 v13, null, s3, v3, vcc_lo
	s_wait_dscnt 0x4
	global_store_b64 v[12:13], v[10:11], off
	s_or_b32 exec_lo, exec_lo, s0
	s_and_saveexec_b32 s0, s4
	s_cbranch_execz .LBB202_106
.LBB202_122:
	s_lshl_b32 s2, s28, 9
	s_mov_b32 s3, 0
	s_wait_alu 0xfffe
	s_lshl_b64 s[2:3], s[2:3], 3
	s_wait_dscnt 0x4
	s_wait_alu 0xfffe
	v_add_co_u32 v10, vcc_lo, v2, s2
	s_wait_alu 0xfffd
	v_add_co_ci_u32_e64 v11, null, s3, v3, vcc_lo
	s_wait_dscnt 0x3
	global_store_b64 v[10:11], v[8:9], off
	s_or_b32 exec_lo, exec_lo, s0
	s_and_saveexec_b32 s0, s5
	s_cbranch_execz .LBB202_107
.LBB202_123:
	s_mul_i32 s2, s28, 0x280
	s_mov_b32 s3, 0
	s_wait_alu 0xfffe
	s_lshl_b64 s[2:3], s[2:3], 3
	s_wait_dscnt 0x3
	s_wait_alu 0xfffe
	v_add_co_u32 v8, vcc_lo, v2, s2
	s_wait_alu 0xfffd
	v_add_co_ci_u32_e64 v9, null, s3, v3, vcc_lo
	s_wait_dscnt 0x2
	global_store_b64 v[8:9], v[6:7], off
	s_or_b32 exec_lo, exec_lo, s0
	s_and_saveexec_b32 s0, s6
	s_cbranch_execz .LBB202_108
.LBB202_124:
	s_mul_i32 s2, s28, 0x300
	s_mov_b32 s3, 0
	s_wait_alu 0xfffe
	s_lshl_b64 s[2:3], s[2:3], 3
	s_wait_dscnt 0x2
	s_wait_alu 0xfffe
	v_add_co_u32 v6, vcc_lo, v2, s2
	s_wait_alu 0xfffd
	v_add_co_ci_u32_e64 v7, null, s3, v3, vcc_lo
	s_wait_dscnt 0x1
	global_store_b64 v[6:7], v[4:5], off
	s_or_b32 exec_lo, exec_lo, s0
	s_and_saveexec_b32 s0, s7
	s_cbranch_execnz .LBB202_109
	s_branch .LBB202_110
	.section	.rodata,"a",@progbits
	.p2align	6, 0x0
	.amdhsa_kernel _ZN2at6native18radixSortKVInPlaceILin2ELin1ELi128ELi8EfljEEvNS_4cuda6detail10TensorInfoIT3_T5_EES6_S6_S6_NS4_IT4_S6_EES6_b
		.amdhsa_group_segment_fixed_size 8448
		.amdhsa_private_segment_fixed_size 0
		.amdhsa_kernarg_size 712
		.amdhsa_user_sgpr_count 2
		.amdhsa_user_sgpr_dispatch_ptr 0
		.amdhsa_user_sgpr_queue_ptr 0
		.amdhsa_user_sgpr_kernarg_segment_ptr 1
		.amdhsa_user_sgpr_dispatch_id 0
		.amdhsa_user_sgpr_private_segment_size 0
		.amdhsa_wavefront_size32 1
		.amdhsa_uses_dynamic_stack 0
		.amdhsa_enable_private_segment 0
		.amdhsa_system_sgpr_workgroup_id_x 1
		.amdhsa_system_sgpr_workgroup_id_y 1
		.amdhsa_system_sgpr_workgroup_id_z 1
		.amdhsa_system_sgpr_workgroup_info 0
		.amdhsa_system_vgpr_workitem_id 2
		.amdhsa_next_free_vgpr 121
		.amdhsa_next_free_sgpr 38
		.amdhsa_reserve_vcc 1
		.amdhsa_float_round_mode_32 0
		.amdhsa_float_round_mode_16_64 0
		.amdhsa_float_denorm_mode_32 3
		.amdhsa_float_denorm_mode_16_64 3
		.amdhsa_fp16_overflow 0
		.amdhsa_workgroup_processor_mode 1
		.amdhsa_memory_ordered 1
		.amdhsa_forward_progress 1
		.amdhsa_inst_pref_size 120
		.amdhsa_round_robin_scheduling 0
		.amdhsa_exception_fp_ieee_invalid_op 0
		.amdhsa_exception_fp_denorm_src 0
		.amdhsa_exception_fp_ieee_div_zero 0
		.amdhsa_exception_fp_ieee_overflow 0
		.amdhsa_exception_fp_ieee_underflow 0
		.amdhsa_exception_fp_ieee_inexact 0
		.amdhsa_exception_int_div_zero 0
	.end_amdhsa_kernel
	.section	.text._ZN2at6native18radixSortKVInPlaceILin2ELin1ELi128ELi8EfljEEvNS_4cuda6detail10TensorInfoIT3_T5_EES6_S6_S6_NS4_IT4_S6_EES6_b,"axG",@progbits,_ZN2at6native18radixSortKVInPlaceILin2ELin1ELi128ELi8EfljEEvNS_4cuda6detail10TensorInfoIT3_T5_EES6_S6_S6_NS4_IT4_S6_EES6_b,comdat
.Lfunc_end202:
	.size	_ZN2at6native18radixSortKVInPlaceILin2ELin1ELi128ELi8EfljEEvNS_4cuda6detail10TensorInfoIT3_T5_EES6_S6_S6_NS4_IT4_S6_EES6_b, .Lfunc_end202-_ZN2at6native18radixSortKVInPlaceILin2ELin1ELi128ELi8EfljEEvNS_4cuda6detail10TensorInfoIT3_T5_EES6_S6_S6_NS4_IT4_S6_EES6_b
                                        ; -- End function
	.set _ZN2at6native18radixSortKVInPlaceILin2ELin1ELi128ELi8EfljEEvNS_4cuda6detail10TensorInfoIT3_T5_EES6_S6_S6_NS4_IT4_S6_EES6_b.num_vgpr, 121
	.set _ZN2at6native18radixSortKVInPlaceILin2ELin1ELi128ELi8EfljEEvNS_4cuda6detail10TensorInfoIT3_T5_EES6_S6_S6_NS4_IT4_S6_EES6_b.num_agpr, 0
	.set _ZN2at6native18radixSortKVInPlaceILin2ELin1ELi128ELi8EfljEEvNS_4cuda6detail10TensorInfoIT3_T5_EES6_S6_S6_NS4_IT4_S6_EES6_b.numbered_sgpr, 38
	.set _ZN2at6native18radixSortKVInPlaceILin2ELin1ELi128ELi8EfljEEvNS_4cuda6detail10TensorInfoIT3_T5_EES6_S6_S6_NS4_IT4_S6_EES6_b.num_named_barrier, 0
	.set _ZN2at6native18radixSortKVInPlaceILin2ELin1ELi128ELi8EfljEEvNS_4cuda6detail10TensorInfoIT3_T5_EES6_S6_S6_NS4_IT4_S6_EES6_b.private_seg_size, 0
	.set _ZN2at6native18radixSortKVInPlaceILin2ELin1ELi128ELi8EfljEEvNS_4cuda6detail10TensorInfoIT3_T5_EES6_S6_S6_NS4_IT4_S6_EES6_b.uses_vcc, 1
	.set _ZN2at6native18radixSortKVInPlaceILin2ELin1ELi128ELi8EfljEEvNS_4cuda6detail10TensorInfoIT3_T5_EES6_S6_S6_NS4_IT4_S6_EES6_b.uses_flat_scratch, 0
	.set _ZN2at6native18radixSortKVInPlaceILin2ELin1ELi128ELi8EfljEEvNS_4cuda6detail10TensorInfoIT3_T5_EES6_S6_S6_NS4_IT4_S6_EES6_b.has_dyn_sized_stack, 0
	.set _ZN2at6native18radixSortKVInPlaceILin2ELin1ELi128ELi8EfljEEvNS_4cuda6detail10TensorInfoIT3_T5_EES6_S6_S6_NS4_IT4_S6_EES6_b.has_recursion, 0
	.set _ZN2at6native18radixSortKVInPlaceILin2ELin1ELi128ELi8EfljEEvNS_4cuda6detail10TensorInfoIT3_T5_EES6_S6_S6_NS4_IT4_S6_EES6_b.has_indirect_call, 0
	.section	.AMDGPU.csdata,"",@progbits
; Kernel info:
; codeLenInByte = 15244
; TotalNumSgprs: 40
; NumVgprs: 121
; ScratchSize: 0
; MemoryBound: 0
; FloatMode: 240
; IeeeMode: 1
; LDSByteSize: 8448 bytes/workgroup (compile time only)
; SGPRBlocks: 0
; VGPRBlocks: 15
; NumSGPRsForWavesPerEU: 40
; NumVGPRsForWavesPerEU: 121
; Occupancy: 10
; WaveLimiterHint : 1
; COMPUTE_PGM_RSRC2:SCRATCH_EN: 0
; COMPUTE_PGM_RSRC2:USER_SGPR: 2
; COMPUTE_PGM_RSRC2:TRAP_HANDLER: 0
; COMPUTE_PGM_RSRC2:TGID_X_EN: 1
; COMPUTE_PGM_RSRC2:TGID_Y_EN: 1
; COMPUTE_PGM_RSRC2:TGID_Z_EN: 1
; COMPUTE_PGM_RSRC2:TIDIG_COMP_CNT: 2
	.section	.text._ZN2at6native18radixSortKVInPlaceILin2ELin1ELi32ELi4EfljEEvNS_4cuda6detail10TensorInfoIT3_T5_EES6_S6_S6_NS4_IT4_S6_EES6_b,"axG",@progbits,_ZN2at6native18radixSortKVInPlaceILin2ELin1ELi32ELi4EfljEEvNS_4cuda6detail10TensorInfoIT3_T5_EES6_S6_S6_NS4_IT4_S6_EES6_b,comdat
	.protected	_ZN2at6native18radixSortKVInPlaceILin2ELin1ELi32ELi4EfljEEvNS_4cuda6detail10TensorInfoIT3_T5_EES6_S6_S6_NS4_IT4_S6_EES6_b ; -- Begin function _ZN2at6native18radixSortKVInPlaceILin2ELin1ELi32ELi4EfljEEvNS_4cuda6detail10TensorInfoIT3_T5_EES6_S6_S6_NS4_IT4_S6_EES6_b
	.globl	_ZN2at6native18radixSortKVInPlaceILin2ELin1ELi32ELi4EfljEEvNS_4cuda6detail10TensorInfoIT3_T5_EES6_S6_S6_NS4_IT4_S6_EES6_b
	.p2align	8
	.type	_ZN2at6native18radixSortKVInPlaceILin2ELin1ELi32ELi4EfljEEvNS_4cuda6detail10TensorInfoIT3_T5_EES6_S6_S6_NS4_IT4_S6_EES6_b,@function
_ZN2at6native18radixSortKVInPlaceILin2ELin1ELi32ELi4EfljEEvNS_4cuda6detail10TensorInfoIT3_T5_EES6_S6_S6_NS4_IT4_S6_EES6_b: ; @_ZN2at6native18radixSortKVInPlaceILin2ELin1ELi32ELi4EfljEEvNS_4cuda6detail10TensorInfoIT3_T5_EES6_S6_S6_NS4_IT4_S6_EES6_b
; %bb.0:
	s_clause 0x1
	s_load_b64 s[2:3], s[0:1], 0x1c8
	s_load_b96 s[12:14], s[0:1], 0xd8
	s_lshr_b32 s4, ttmp7, 16
	s_wait_kmcnt 0x0
	s_mul_i32 s3, s3, s4
	s_and_b32 s4, ttmp7, 0xffff
	s_delay_alu instid0(SALU_CYCLE_1) | instskip(NEXT) | instid1(SALU_CYCLE_1)
	s_add_co_i32 s3, s3, s4
	s_mul_i32 s4, s3, s2
	s_delay_alu instid0(SALU_CYCLE_1) | instskip(NEXT) | instid1(SALU_CYCLE_1)
	s_add_co_i32 s4, s4, ttmp9
	s_cmp_ge_u32 s4, s12
	s_cbranch_scc1 .LBB203_62
; %bb.1:
	s_load_b32 s2, s[0:1], 0x1b8
	s_add_nc_u64 s[10:11], s[0:1], 0xe8
	s_mov_b32 s9, 0
	s_mov_b32 s8, s4
	s_wait_kmcnt 0x0
	s_cmp_lt_i32 s2, 2
	s_cbranch_scc1 .LBB203_4
; %bb.2:
	s_add_co_i32 s8, s2, -1
	s_add_co_i32 s5, s2, 1
	s_lshl_b64 s[6:7], s[8:9], 2
	s_mov_b32 s8, s4
	s_add_nc_u64 s[6:7], s[10:11], s[6:7]
	s_delay_alu instid0(SALU_CYCLE_1)
	s_add_nc_u64 s[2:3], s[6:7], 8
.LBB203_3:                              ; =>This Inner Loop Header: Depth=1
	s_clause 0x1
	s_load_b32 s6, s[2:3], 0x0
	s_load_b32 s7, s[2:3], 0x64
	s_mov_b32 s16, s8
	s_add_nc_u64 s[2:3], s[2:3], -4
	s_wait_kmcnt 0x0
	s_cvt_f32_u32 s12, s6
	s_sub_co_i32 s15, 0, s6
	s_wait_alu 0xfffe
	s_delay_alu instid0(SALU_CYCLE_1) | instskip(NEXT) | instid1(TRANS32_DEP_1)
	v_rcp_iflag_f32_e32 v1, s12
	v_readfirstlane_b32 s12, v1
	s_mul_f32 s12, s12, 0x4f7ffffe
	s_wait_alu 0xfffe
	s_delay_alu instid0(SALU_CYCLE_2) | instskip(SKIP_1) | instid1(SALU_CYCLE_2)
	s_cvt_u32_f32 s12, s12
	s_wait_alu 0xfffe
	s_mul_i32 s15, s15, s12
	s_delay_alu instid0(SALU_CYCLE_1) | instskip(NEXT) | instid1(SALU_CYCLE_1)
	s_mul_hi_u32 s15, s12, s15
	s_add_co_i32 s12, s12, s15
	s_wait_alu 0xfffe
	s_mul_hi_u32 s8, s8, s12
	s_delay_alu instid0(SALU_CYCLE_1)
	s_mul_i32 s12, s8, s6
	s_add_co_i32 s15, s8, 1
	s_wait_alu 0xfffe
	s_sub_co_i32 s12, s16, s12
	s_wait_alu 0xfffe
	s_sub_co_i32 s17, s12, s6
	s_cmp_ge_u32 s12, s6
	s_cselect_b32 s8, s15, s8
	s_cselect_b32 s12, s17, s12
	s_add_co_i32 s15, s8, 1
	s_wait_alu 0xfffe
	s_cmp_ge_u32 s12, s6
	s_cselect_b32 s8, s15, s8
	s_add_co_i32 s5, s5, -1
	s_mul_i32 s6, s8, s6
	s_delay_alu instid0(SALU_CYCLE_1) | instskip(NEXT) | instid1(SALU_CYCLE_1)
	s_sub_co_i32 s6, s16, s6
	s_mul_i32 s6, s7, s6
	s_delay_alu instid0(SALU_CYCLE_1)
	s_add_co_i32 s9, s6, s9
	s_cmp_gt_u32 s5, 2
	s_cbranch_scc1 .LBB203_3
.LBB203_4:
	s_clause 0x2
	s_load_b64 s[16:17], s[0:1], 0x1c0
	s_load_b64 s[2:3], s[0:1], 0x0
	s_load_b32 s5, s[0:1], 0x6c
	s_add_nc_u64 s[22:23], s[0:1], 0x1c8
	s_mov_b32 s19, 0
	s_wait_kmcnt 0x0
	s_bitcmp1_b32 s17, 0
	s_mul_i32 s18, s5, s4
	s_cselect_b32 s12, -1, 0
	s_wait_alu 0xfffe
	s_and_b32 s0, s12, exec_lo
	s_cselect_b32 s4, -1, 0x7fffffff
	s_lshl_b64 s[18:19], s[18:19], 2
	s_mov_b32 s5, s4
	s_mov_b32 s6, s4
	;; [unrolled: 1-line block ×3, first 2 shown]
	v_and_b32_e32 v21, 0x3ff, v0
	v_dual_mov_b32 v1, s4 :: v_dual_mov_b32 v4, s7
	v_dual_mov_b32 v2, s5 :: v_dual_mov_b32 v3, s6
	v_mov_b32_e32 v6, s4
	s_delay_alu instid0(VALU_DEP_4)
	v_mul_lo_u32 v17, s14, v21
	v_cmp_gt_u32_e64 s0, s13, v21
	s_add_nc_u64 s[18:19], s[2:3], s[18:19]
	s_and_saveexec_b32 s1, s0
	s_cbranch_execz .LBB203_6
; %bb.5:
	v_mov_b32_e32 v18, 0
	s_delay_alu instid0(VALU_DEP_1) | instskip(NEXT) | instid1(VALU_DEP_1)
	v_lshlrev_b64_e32 v[1:2], 2, v[17:18]
	v_add_co_u32 v1, vcc_lo, s18, v1
	s_delay_alu instid0(VALU_DEP_1)
	v_add_co_ci_u32_e64 v2, null, s19, v2, vcc_lo
	global_load_b32 v6, v[1:2], off
	v_dual_mov_b32 v1, s4 :: v_dual_mov_b32 v2, s5
	v_dual_mov_b32 v3, s6 :: v_dual_mov_b32 v4, s7
.LBB203_6:
	s_or_b32 exec_lo, exec_lo, s1
	v_add_nc_u32_e32 v5, 32, v21
	s_delay_alu instid0(VALU_DEP_1)
	v_cmp_gt_u32_e64 s1, s13, v5
	s_and_saveexec_b32 s2, s1
	s_cbranch_execz .LBB203_8
; %bb.7:
	v_mul_lo_u32 v1, s14, v5
	v_mov_b32_e32 v2, 0
	s_delay_alu instid0(VALU_DEP_1) | instskip(NEXT) | instid1(VALU_DEP_1)
	v_lshlrev_b64_e32 v[1:2], 2, v[1:2]
	v_add_co_u32 v1, vcc_lo, s18, v1
	s_wait_alu 0xfffd
	s_delay_alu instid0(VALU_DEP_2)
	v_add_co_ci_u32_e64 v2, null, s19, v2, vcc_lo
	global_load_b32 v2, v[1:2], off
.LBB203_8:
	s_or_b32 exec_lo, exec_lo, s2
	v_add_nc_u32_e32 v9, 64, v21
	s_delay_alu instid0(VALU_DEP_1)
	v_cmp_gt_u32_e64 s2, s13, v9
	s_and_saveexec_b32 s3, s2
	s_cbranch_execz .LBB203_10
; %bb.9:
	v_mul_lo_u32 v7, s14, v9
	v_mov_b32_e32 v8, 0
	s_delay_alu instid0(VALU_DEP_1) | instskip(NEXT) | instid1(VALU_DEP_1)
	v_lshlrev_b64_e32 v[7:8], 2, v[7:8]
	v_add_co_u32 v7, vcc_lo, s18, v7
	s_wait_alu 0xfffd
	s_delay_alu instid0(VALU_DEP_2)
	v_add_co_ci_u32_e64 v8, null, s19, v8, vcc_lo
	global_load_b32 v3, v[7:8], off
.LBB203_10:
	s_or_b32 exec_lo, exec_lo, s3
	s_clause 0x1
	s_load_b32 s6, s[10:11], 0x6c
	s_load_b64 s[4:5], s[10:11], 0x0
	v_add_nc_u32_e32 v10, 0x60, v21
	s_delay_alu instid0(VALU_DEP_1)
	v_cmp_gt_u32_e64 s3, s13, v10
	s_and_saveexec_b32 s7, s3
	s_cbranch_execz .LBB203_12
; %bb.11:
	v_mul_lo_u32 v7, s14, v10
	v_mov_b32_e32 v8, 0
	s_delay_alu instid0(VALU_DEP_1) | instskip(NEXT) | instid1(VALU_DEP_1)
	v_lshlrev_b64_e32 v[7:8], 2, v[7:8]
	v_add_co_u32 v7, vcc_lo, s18, v7
	s_wait_alu 0xfffd
	s_delay_alu instid0(VALU_DEP_2)
	v_add_co_ci_u32_e64 v8, null, s19, v8, vcc_lo
	global_load_b32 v4, v[7:8], off
.LBB203_12:
	s_wait_alu 0xfffe
	s_or_b32 exec_lo, exec_lo, s7
	v_lshrrev_b32_e32 v1, 5, v21
	v_lshrrev_b32_e32 v7, 5, v5
	;; [unrolled: 1-line block ×3, first 2 shown]
	v_lshlrev_b32_e32 v41, 2, v21
	v_lshrrev_b32_e32 v11, 5, v10
	v_add_nc_u32_e32 v1, v1, v21
	v_add_nc_u32_e32 v12, v7, v21
	v_lshrrev_b32_e32 v7, 3, v21
	v_add_nc_u32_e32 v13, v8, v21
	v_add_nc_u32_e32 v11, v11, v21
	v_lshlrev_b32_e32 v38, 2, v1
	v_lshlrev_b32_e32 v18, 2, v12
	v_add_nc_u32_e32 v1, v7, v41
	v_lshlrev_b32_e32 v39, 2, v13
	v_lshlrev_b32_e32 v40, 2, v11
	s_wait_loadcnt 0x0
	ds_store_b32 v38, v6
	ds_store_b32 v18, v2 offset:128
	ds_store_b32 v39, v3 offset:256
	;; [unrolled: 1-line block ×3, first 2 shown]
	v_lshlrev_b32_e32 v42, 2, v1
	s_wait_dscnt 0x0
	; wave barrier
	global_inv scope:SCOPE_SE
	ds_load_2addr_b32 v[24:25], v42 offset1:1
	ds_load_2addr_b32 v[22:23], v42 offset0:2 offset1:3
	s_wait_kmcnt 0x0
	s_mul_i32 s6, s6, s8
	v_mul_lo_u32 v19, s16, v21
	s_wait_alu 0xfffe
	s_add_co_i32 s6, s6, s9
	s_mov_b32 s7, 0
	v_mov_b32_e32 v1, 0
	v_dual_mov_b32 v3, 0 :: v_dual_mov_b32 v2, 0
	v_mov_b32_e32 v4, 0
	s_wait_alu 0xfffe
	s_lshl_b64 s[6:7], s[6:7], 3
	s_wait_loadcnt_dscnt 0x0
	s_wait_alu 0xfffe
	s_add_nc_u64 s[20:21], s[4:5], s[6:7]
	; wave barrier
	global_inv scope:SCOPE_SE
	s_and_saveexec_b32 s4, s0
	s_cbranch_execz .LBB203_14
; %bb.13:
	v_mov_b32_e32 v20, 0
	s_delay_alu instid0(VALU_DEP_1) | instskip(NEXT) | instid1(VALU_DEP_1)
	v_lshlrev_b64_e32 v[3:4], 3, v[19:20]
	v_add_co_u32 v3, vcc_lo, s20, v3
	s_wait_alu 0xfffd
	s_delay_alu instid0(VALU_DEP_2)
	v_add_co_ci_u32_e64 v4, null, s21, v4, vcc_lo
	global_load_b64 v[3:4], v[3:4], off
.LBB203_14:
	s_wait_alu 0xfffe
	s_or_b32 exec_lo, exec_lo, s4
	s_and_saveexec_b32 s4, s1
	s_cbranch_execz .LBB203_16
; %bb.15:
	v_mul_lo_u32 v1, s16, v5
	v_mov_b32_e32 v2, 0
	s_delay_alu instid0(VALU_DEP_1) | instskip(NEXT) | instid1(VALU_DEP_1)
	v_lshlrev_b64_e32 v[1:2], 3, v[1:2]
	v_add_co_u32 v1, vcc_lo, s20, v1
	s_wait_alu 0xfffd
	s_delay_alu instid0(VALU_DEP_2)
	v_add_co_ci_u32_e64 v2, null, s21, v2, vcc_lo
	global_load_b64 v[1:2], v[1:2], off
.LBB203_16:
	s_wait_alu 0xfffe
	s_or_b32 exec_lo, exec_lo, s4
	v_mov_b32_e32 v5, 0
	v_dual_mov_b32 v6, 0 :: v_dual_mov_b32 v7, 0
	v_mov_b32_e32 v8, 0
	s_and_saveexec_b32 s4, s2
	s_cbranch_execz .LBB203_18
; %bb.17:
	v_mul_lo_u32 v7, s16, v9
	v_mov_b32_e32 v8, 0
	s_delay_alu instid0(VALU_DEP_1) | instskip(NEXT) | instid1(VALU_DEP_1)
	v_lshlrev_b64_e32 v[7:8], 3, v[7:8]
	v_add_co_u32 v7, vcc_lo, s20, v7
	s_wait_alu 0xfffd
	s_delay_alu instid0(VALU_DEP_2)
	v_add_co_ci_u32_e64 v8, null, s21, v8, vcc_lo
	global_load_b64 v[7:8], v[7:8], off
.LBB203_18:
	s_wait_alu 0xfffe
	s_or_b32 exec_lo, exec_lo, s4
	s_xor_b32 s6, s12, -1
	s_and_saveexec_b32 s4, s3
	s_cbranch_execz .LBB203_20
; %bb.19:
	v_mul_lo_u32 v5, s16, v10
	v_mov_b32_e32 v6, 0
	s_delay_alu instid0(VALU_DEP_1) | instskip(NEXT) | instid1(VALU_DEP_1)
	v_lshlrev_b64_e32 v[5:6], 3, v[5:6]
	v_add_co_u32 v5, vcc_lo, s20, v5
	s_wait_alu 0xfffd
	s_delay_alu instid0(VALU_DEP_2)
	v_add_co_ci_u32_e64 v6, null, s21, v6, vcc_lo
	global_load_b64 v[5:6], v[5:6], off
.LBB203_20:
	s_wait_alu 0xfffe
	s_or_b32 exec_lo, exec_lo, s4
	v_add_nc_u32_e32 v43, v38, v38
	v_lshlrev_b32_e32 v45, 3, v11
	v_add_nc_u32_e32 v46, v42, v42
	v_lshlrev_b32_e32 v20, 3, v12
	v_lshlrev_b32_e32 v44, 3, v13
	s_wait_loadcnt 0x0
	ds_store_b64 v43, v[3:4]
	ds_store_b64 v20, v[1:2] offset:256
	ds_store_b64 v44, v[7:8] offset:512
	;; [unrolled: 1-line block ×3, first 2 shown]
	s_wait_dscnt 0x0
	; wave barrier
	global_inv scope:SCOPE_SE
	ds_load_2addr_b64 v[5:8], v46 offset1:1
	ds_load_2addr_b64 v[1:4], v46 offset0:2 offset1:3
	v_mbcnt_lo_u32_b32 v48, -1, 0
	s_and_b32 vcc_lo, exec_lo, s6
	v_bfe_u32 v52, v0, 10, 10
	v_bfe_u32 v53, v0, 20, 10
	v_lshlrev_b32_e32 v47, 5, v21
	v_and_b32_e32 v55, 3, v48
	v_and_b32_e32 v54, 28, v48
	;; [unrolled: 1-line block ×4, first 2 shown]
	v_cmp_eq_u32_e64 s6, 31, v21
	v_cmp_eq_u32_e64 s5, 0, v55
	;; [unrolled: 1-line block ×6, first 2 shown]
	v_and_or_b32 v49, 0xf80, v41, v48
	s_mov_b32 s13, 0
	s_mov_b32 s9, -1
	; wave barrier
	s_wait_loadcnt_dscnt 0x0
	global_inv scope:SCOPE_SE
                                        ; implicit-def: $vgpr9_vgpr10_vgpr11_vgpr12
	s_wait_alu 0xfffe
	s_cbranch_vccz .LBB203_36
; %bb.21:
	v_cmp_lt_i32_e32 vcc_lo, -1, v24
	ds_bpermute_b32 v13, v54, v5
	ds_bpermute_b32 v26, v54, v6
	;; [unrolled: 1-line block ×4, first 2 shown]
	s_wait_alu 0xfffd
	v_cndmask_b32_e64 v0, -1, 0x80000000, vcc_lo
	v_cmp_lt_i32_e32 vcc_lo, -1, v25
	ds_bpermute_b32 v37, v54, v1
	ds_bpermute_b32 v56, v54, v2
	ds_bpermute_b32 v57, v54, v5 offset:32
	v_xor_b32_e32 v0, v0, v24
	s_wait_alu 0xfffd
	v_cndmask_b32_e64 v9, -1, 0x80000000, vcc_lo
	v_cmp_lt_i32_e32 vcc_lo, -1, v22
	ds_bpermute_b32 v58, v54, v2 offset:96
	s_wait_loadcnt_dscnt 0x0
	ds_bpermute_b32 v12, v54, v0
	v_xor_b32_e32 v9, v9, v25
	s_wait_alu 0xfffd
	v_cndmask_b32_e64 v10, -1, 0x80000000, vcc_lo
	v_cmp_lt_i32_e32 vcc_lo, -1, v23
	ds_bpermute_b32 v14, v54, v0 offset:32
	ds_bpermute_b32 v15, v54, v0 offset:64
	ds_bpermute_b32 v16, v54, v9
	v_xor_b32_e32 v10, v10, v22
	s_wait_alu 0xfffd
	v_cndmask_b32_e64 v11, -1, 0x80000000, vcc_lo
	ds_bpermute_b32 v27, v54, v9 offset:32
	ds_bpermute_b32 v28, v54, v9 offset:64
	;; [unrolled: 1-line block ×3, first 2 shown]
	ds_bpermute_b32 v29, v54, v10
	v_xor_b32_e32 v11, v11, v23
	ds_bpermute_b32 v32, v54, v10 offset:32
	ds_bpermute_b32 v9, v54, v9 offset:96
	;; [unrolled: 1-line block ×4, first 2 shown]
	ds_bpermute_b32 v34, v54, v11
	ds_bpermute_b32 v35, v54, v11 offset:32
	s_wait_dscnt 0xd
	s_wait_alu 0xf1ff
	v_cndmask_b32_e64 v12, 0, v12, s5
	v_cndmask_b32_e64 v26, 0, v26, s5
	;; [unrolled: 1-line block ×3, first 2 shown]
	; wave barrier
	s_wait_dscnt 0x0
	global_inv scope:SCOPE_SE
	v_cndmask_b32_e64 v14, 0, v14, s5
	v_cndmask_b32_e64 v15, 0, v15, s5
	;; [unrolled: 1-line block ×3, first 2 shown]
	ds_bpermute_b32 v16, v54, v11 offset:64
	ds_bpermute_b32 v11, v54, v11 offset:96
	v_cndmask_b32_e64 v14, v14, v27, s4
	ds_bpermute_b32 v27, v54, v6 offset:32
	v_cndmask_b32_e64 v15, v15, v28, s4
	v_cndmask_b32_e64 v12, v12, v29, s8
	ds_bpermute_b32 v29, v54, v3
	ds_bpermute_b32 v28, v54, v8 offset:32
	v_cndmask_b32_e64 v0, 0, v0, s5
	v_cndmask_b32_e64 v14, v14, v32, s8
	ds_bpermute_b32 v32, v54, v7 offset:32
	v_cndmask_b32_e64 v34, v12, v34, s7
	ds_bpermute_b32 v12, v54, v4
	v_cndmask_b32_e64 v0, v0, v9, s4
	v_cndmask_b32_e64 v9, v26, v31, s4
	;; [unrolled: 1-line block ×4, first 2 shown]
	ds_bpermute_b32 v33, v54, v2 offset:32
	v_cndmask_b32_e64 v0, v0, v10, s8
	v_cndmask_b32_e64 v9, v9, v56, s8
	;; [unrolled: 1-line block ×3, first 2 shown]
	s_wait_dscnt 0x7
	v_cndmask_b32_e64 v36, v15, v16, s7
	v_cndmask_b32_e64 v16, 0, v57, s5
	s_wait_dscnt 0x5
	v_cndmask_b32_e64 v15, 0, v27, s5
	v_cndmask_b32_e64 v37, v0, v11, s7
	ds_bpermute_b32 v26, v54, v4 offset:32
	ds_bpermute_b32 v27, v54, v7 offset:64
	v_cndmask_b32_e64 v35, v14, v35, s7
	s_wait_dscnt 0x5
	v_cndmask_b32_e64 v0, v15, v28, s4
	ds_bpermute_b32 v28, v54, v6 offset:96
	ds_bpermute_b32 v14, v54, v6 offset:64
	s_wait_dscnt 0x6
	v_cndmask_b32_e64 v11, v16, v32, s4
	s_wait_dscnt 0x5
	v_cndmask_b32_e64 v10, v9, v12, s7
	v_cndmask_b32_e64 v9, v13, v29, s7
	ds_bpermute_b32 v13, v54, v5 offset:64
	ds_bpermute_b32 v12, v54, v1 offset:32
	;; [unrolled: 1-line block ×5, first 2 shown]
	s_wait_dscnt 0x9
	v_cndmask_b32_e64 v0, v0, v33, s8
	ds_bpermute_b32 v15, v54, v8 offset:64
	ds_bpermute_b32 v16, v54, v3 offset:32
	;; [unrolled: 1-line block ×4, first 2 shown]
	s_load_b32 s9, s[22:23], 0xc
	ds_bpermute_b32 v29, v54, v2 offset:64
	ds_bpermute_b32 v59, v54, v1 offset:96
	;; [unrolled: 1-line block ×3, first 2 shown]
	s_getpc_b64 s[10:11]
	s_sext_i32_i16 s11, s11
	s_add_co_u32 s10, s10, _ZN7rocprim17ROCPRIM_400000_NS16block_radix_sortIfLj32ELj4ElLj1ELj1ELj0ELNS0_26block_radix_rank_algorithmE1ELNS0_18block_padding_hintE2ELNS0_4arch9wavefront6targetE0EE19radix_bits_per_passE@rel32@lo+8
	s_add_co_ci_u32 s11, s11, _ZN7rocprim17ROCPRIM_400000_NS16block_radix_sortIfLj32ELj4ElLj1ELj1ELj0ELNS0_26block_radix_rank_algorithmE1ELNS0_18block_padding_hintE2ELNS0_4arch9wavefront6targetE0EE19radix_bits_per_passE@rel32@hi+16
	ds_bpermute_b32 v56, v54, v4 offset:64
	s_wait_dscnt 0xd
	v_cndmask_b32_e64 v14, 0, v14, s5
	s_mov_b32 s24, 32
	s_wait_dscnt 0xc
	v_cndmask_b32_e64 v13, 0, v13, s5
	s_wait_dscnt 0xb
	v_cndmask_b32_e64 v11, v11, v12, s8
	v_cndmask_b32_e64 v12, v0, v26, s7
	s_wait_dscnt 0xa
	v_cndmask_b32_e64 v26, 0, v30, s5
	v_cndmask_b32_e64 v0, v13, v27, s4
	;; [unrolled: 1-line block ×3, first 2 shown]
	s_wait_dscnt 0x7
	v_cndmask_b32_e64 v14, v14, v15, s4
	ds_bpermute_b32 v15, v54, v3 offset:96
	s_wait_dscnt 0x7
	v_cndmask_b32_e64 v11, v11, v16, s7
	v_cndmask_b32_e64 v0, v0, v31, s8
	;; [unrolled: 1-line block ×3, first 2 shown]
	s_wait_dscnt 0x5
	v_cndmask_b32_e64 v16, v26, v57, s4
	s_wait_kmcnt 0x0
	s_lshr_b32 s15, s9, 16
	s_wait_dscnt 0x4
	v_cndmask_b32_e64 v14, v14, v29, s8
	v_cndmask_b32_e64 v13, v0, v33, s7
	;; [unrolled: 1-line block ×3, first 2 shown]
	s_wait_alu 0xfffe
	v_mad_u32_u24 v26, v53, s15, v52
	s_wait_dscnt 0x3
	v_cndmask_b32_e64 v28, v16, v59, s8
	s_load_b32 s15, s[10:11], 0x0
	s_and_b32 s8, s9, 0xffff
	s_wait_dscnt 0x2
	v_cndmask_b32_e64 v16, v0, v60, s7
	v_sub_co_u32 v0, s17, v48, 1
	s_wait_alu 0xfffe
	v_mad_co_u64_u32 v[26:27], null, v26, s8, v[21:22]
	s_wait_dscnt 0x1
	v_cndmask_b32_e64 v14, v14, v56, s7
	v_cmp_gt_i32_e32 vcc_lo, 0, v0
	s_wait_dscnt 0x0
	v_cndmask_b32_e64 v15, v28, v15, s7
	v_cmp_eq_u32_e64 s7, 0, v51
	v_cmp_lt_u32_e64 s8, 1, v51
	v_cmp_lt_u32_e64 s9, 3, v51
	s_wait_alu 0xfffd
	v_dual_cndmask_b32 v27, v0, v48 :: v_dual_lshlrev_b32 v0, 2, v49
	v_lshrrev_b32_e32 v26, 3, v26
	v_cmp_lt_u32_e64 s10, 7, v51
	v_cmp_eq_u32_e64 s11, 0, v50
	s_delay_alu instid0(VALU_DEP_4) | instskip(NEXT) | instid1(VALU_DEP_4)
	v_lshlrev_b32_e32 v56, 2, v27
	v_dual_mov_b32 v58, 0 :: v_dual_and_b32 v57, 0x1ffffffc, v26
	v_add_nc_u32_e32 v59, v0, v0
	s_or_b32 s17, s12, s17
	s_branch .LBB203_23
.LBB203_22:                             ;   in Loop: Header=BB203_23 Depth=1
	s_wait_alu 0xfffe
	s_and_not1_b32 vcc_lo, exec_lo, s12
	s_wait_alu 0xfffe
	s_cbranch_vccz .LBB203_35
.LBB203_23:                             ; =>This Inner Loop Header: Depth=1
	v_mov_b32_e32 v60, v34
	s_wait_kmcnt 0x0
	s_min_u32 s12, s15, s24
	ds_store_2addr_b32 v47, v58, v58 offset0:1 offset1:2
	ds_store_2addr_b32 v47, v58, v58 offset0:3 offset1:4
	;; [unrolled: 1-line block ×4, first 2 shown]
	s_wait_alu 0xfffe
	s_lshl_b32 s12, -1, s12
	s_wait_loadcnt_dscnt 0x0
	v_cmp_ne_u32_e32 vcc_lo, 0x7fffffff, v60
	s_wait_alu 0xfffe
	s_not_b32 s25, s12
	; wave barrier
	global_inv scope:SCOPE_SE
	; wave barrier
	s_wait_alu 0xfffd
	v_dual_cndmask_b32 v26, 0x80000000, v60 :: v_dual_mov_b32 v61, v37
	v_dual_mov_b32 v63, v35 :: v_dual_mov_b32 v62, v36
	s_delay_alu instid0(VALU_DEP_2) | instskip(SKIP_1) | instid1(VALU_DEP_1)
	v_lshrrev_b32_e32 v26, s13, v26
	s_wait_alu 0xfffe
	v_and_b32_e32 v64, s25, v26
	s_delay_alu instid0(VALU_DEP_1)
	v_and_b32_e32 v26, 1, v64
	v_lshlrev_b32_e32 v27, 30, v64
	v_lshlrev_b32_e32 v28, 29, v64
	;; [unrolled: 1-line block ×4, first 2 shown]
	v_add_co_u32 v26, s12, v26, -1
	s_wait_alu 0xf1ff
	v_cndmask_b32_e64 v30, 0, 1, s12
	v_not_b32_e32 v34, v27
	v_cmp_gt_i32_e64 s12, 0, v27
	v_not_b32_e32 v27, v28
	v_lshlrev_b32_e32 v32, 26, v64
	v_cmp_ne_u32_e32 vcc_lo, 0, v30
	v_ashrrev_i32_e32 v34, 31, v34
	v_lshlrev_b32_e32 v30, 24, v64
	v_ashrrev_i32_e32 v27, 31, v27
	v_lshlrev_b32_e32 v33, 25, v64
	s_wait_alu 0xfffd
	v_xor_b32_e32 v26, vcc_lo, v26
	v_cmp_gt_i32_e32 vcc_lo, 0, v28
	v_not_b32_e32 v28, v29
	s_wait_alu 0xf1ff
	v_xor_b32_e32 v34, s12, v34
	v_cmp_gt_i32_e64 s12, 0, v29
	v_and_b32_e32 v26, exec_lo, v26
	v_not_b32_e32 v29, v31
	v_ashrrev_i32_e32 v28, 31, v28
	s_wait_alu 0xfffd
	v_xor_b32_e32 v27, vcc_lo, v27
	v_cmp_gt_i32_e32 vcc_lo, 0, v31
	v_and_b32_e32 v26, v26, v34
	v_not_b32_e32 v31, v32
	v_ashrrev_i32_e32 v29, 31, v29
	s_wait_alu 0xf1ff
	v_xor_b32_e32 v28, s12, v28
	v_cmp_gt_i32_e64 s12, 0, v32
	v_and_b32_e32 v26, v26, v27
	v_ashrrev_i32_e32 v31, 31, v31
	s_wait_alu 0xfffd
	v_xor_b32_e32 v29, vcc_lo, v29
	v_lshl_add_u32 v35, v64, 2, v57
	v_and_b32_e32 v26, v26, v28
	s_wait_alu 0xf1ff
	v_xor_b32_e32 v31, s12, v31
	v_not_b32_e32 v28, v30
	v_cmp_gt_i32_e64 s12, 0, v30
	v_and_b32_e32 v26, v26, v29
	s_delay_alu instid0(VALU_DEP_3) | instskip(NEXT) | instid1(VALU_DEP_2)
	v_ashrrev_i32_e32 v28, 31, v28
	v_dual_mov_b32 v31, v12 :: v_dual_and_b32 v26, v26, v31
	v_mov_b32_e32 v30, v11
	v_not_b32_e32 v27, v33
	v_cmp_gt_i32_e32 vcc_lo, 0, v33
	s_wait_alu 0xf1ff
	v_xor_b32_e32 v28, s12, v28
	v_dual_mov_b32 v33, v10 :: v_dual_mov_b32 v32, v9
	v_ashrrev_i32_e32 v27, 31, v27
	s_wait_alu 0xfffd
	s_delay_alu instid0(VALU_DEP_1) | instskip(NEXT) | instid1(VALU_DEP_1)
	v_xor_b32_e32 v27, vcc_lo, v27
	v_and_b32_e32 v26, v26, v27
	s_delay_alu instid0(VALU_DEP_1) | instskip(SKIP_3) | instid1(VALU_DEP_4)
	v_and_b32_e32 v36, v26, v28
	v_mov_b32_e32 v29, v14
	v_dual_mov_b32 v27, v16 :: v_dual_mov_b32 v28, v13
	v_mov_b32_e32 v26, v15
	v_mbcnt_lo_u32_b32 v34, v36, 0
	v_cmp_ne_u32_e64 s12, 0, v36
	s_delay_alu instid0(VALU_DEP_2) | instskip(SKIP_1) | instid1(SALU_CYCLE_1)
	v_cmp_eq_u32_e32 vcc_lo, 0, v34
	s_and_b32 s26, s12, vcc_lo
	s_and_saveexec_b32 s12, s26
; %bb.24:                               ;   in Loop: Header=BB203_23 Depth=1
	v_bcnt_u32_b32 v9, v36, 0
	ds_store_b32 v35, v9 offset:4
; %bb.25:                               ;   in Loop: Header=BB203_23 Depth=1
	s_wait_alu 0xfffe
	s_or_b32 exec_lo, exec_lo, s12
	v_cmp_ne_u32_e32 vcc_lo, 0x7fffffff, v63
	; wave barrier
	s_wait_alu 0xfffd
	v_cndmask_b32_e32 v9, 0x80000000, v63, vcc_lo
	s_delay_alu instid0(VALU_DEP_1) | instskip(NEXT) | instid1(VALU_DEP_1)
	v_lshrrev_b32_e32 v9, s13, v9
	v_and_b32_e32 v9, s25, v9
	s_delay_alu instid0(VALU_DEP_1)
	v_and_b32_e32 v10, 1, v9
	v_lshlrev_b32_e32 v11, 30, v9
	v_lshlrev_b32_e32 v12, 29, v9
	;; [unrolled: 1-line block ×4, first 2 shown]
	v_add_co_u32 v10, s12, v10, -1
	s_wait_alu 0xf1ff
	v_cndmask_b32_e64 v14, 0, 1, s12
	v_not_b32_e32 v37, v11
	v_cmp_gt_i32_e64 s12, 0, v11
	v_not_b32_e32 v11, v12
	v_lshlrev_b32_e32 v16, 26, v9
	v_cmp_ne_u32_e32 vcc_lo, 0, v14
	v_ashrrev_i32_e32 v37, 31, v37
	v_lshlrev_b32_e32 v36, 25, v9
	v_ashrrev_i32_e32 v11, 31, v11
	v_lshlrev_b32_e32 v14, 24, v9
	s_wait_alu 0xfffd
	v_xor_b32_e32 v10, vcc_lo, v10
	v_cmp_gt_i32_e32 vcc_lo, 0, v12
	v_not_b32_e32 v12, v13
	s_wait_alu 0xf1ff
	v_xor_b32_e32 v37, s12, v37
	v_cmp_gt_i32_e64 s12, 0, v13
	v_and_b32_e32 v10, exec_lo, v10
	v_not_b32_e32 v13, v15
	v_ashrrev_i32_e32 v12, 31, v12
	s_wait_alu 0xfffd
	v_xor_b32_e32 v11, vcc_lo, v11
	v_cmp_gt_i32_e32 vcc_lo, 0, v15
	v_and_b32_e32 v10, v10, v37
	v_not_b32_e32 v15, v16
	v_ashrrev_i32_e32 v13, 31, v13
	s_wait_alu 0xf1ff
	v_xor_b32_e32 v12, s12, v12
	v_cmp_gt_i32_e64 s12, 0, v16
	v_and_b32_e32 v10, v10, v11
	v_not_b32_e32 v11, v36
	v_ashrrev_i32_e32 v15, 31, v15
	s_wait_alu 0xfffd
	v_xor_b32_e32 v13, vcc_lo, v13
	v_cmp_gt_i32_e32 vcc_lo, 0, v36
	v_and_b32_e32 v10, v10, v12
	v_not_b32_e32 v12, v14
	v_ashrrev_i32_e32 v11, 31, v11
	s_wait_alu 0xf1ff
	v_xor_b32_e32 v15, s12, v15
	v_cmp_gt_i32_e64 s12, 0, v14
	v_and_b32_e32 v10, v10, v13
	v_ashrrev_i32_e32 v12, 31, v12
	s_wait_alu 0xfffd
	v_xor_b32_e32 v11, vcc_lo, v11
	v_lshl_add_u32 v36, v9, 2, v57
	v_and_b32_e32 v10, v10, v15
	s_wait_alu 0xf1ff
	v_xor_b32_e32 v9, s12, v12
	ds_load_b32 v37, v36 offset:4
	v_and_b32_e32 v10, v10, v11
	; wave barrier
	s_delay_alu instid0(VALU_DEP_1) | instskip(NEXT) | instid1(VALU_DEP_1)
	v_and_b32_e32 v9, v10, v9
	v_mbcnt_lo_u32_b32 v64, v9, 0
	v_cmp_ne_u32_e64 s12, 0, v9
	s_delay_alu instid0(VALU_DEP_2) | instskip(SKIP_1) | instid1(SALU_CYCLE_1)
	v_cmp_eq_u32_e32 vcc_lo, 0, v64
	s_and_b32 s26, s12, vcc_lo
	s_and_saveexec_b32 s12, s26
	s_cbranch_execz .LBB203_27
; %bb.26:                               ;   in Loop: Header=BB203_23 Depth=1
	s_wait_dscnt 0x0
	v_bcnt_u32_b32 v9, v9, v37
	ds_store_b32 v36, v9 offset:4
.LBB203_27:                             ;   in Loop: Header=BB203_23 Depth=1
	s_wait_alu 0xfffe
	s_or_b32 exec_lo, exec_lo, s12
	v_cmp_ne_u32_e32 vcc_lo, 0x7fffffff, v62
	; wave barrier
	s_wait_alu 0xfffd
	v_cndmask_b32_e32 v9, 0x80000000, v62, vcc_lo
	s_delay_alu instid0(VALU_DEP_1) | instskip(NEXT) | instid1(VALU_DEP_1)
	v_lshrrev_b32_e32 v9, s13, v9
	v_and_b32_e32 v9, s25, v9
	s_delay_alu instid0(VALU_DEP_1)
	v_and_b32_e32 v10, 1, v9
	v_lshlrev_b32_e32 v11, 30, v9
	v_lshlrev_b32_e32 v12, 29, v9
	;; [unrolled: 1-line block ×4, first 2 shown]
	v_add_co_u32 v10, s12, v10, -1
	s_wait_alu 0xf1ff
	v_cndmask_b32_e64 v14, 0, 1, s12
	v_not_b32_e32 v66, v11
	v_cmp_gt_i32_e64 s12, 0, v11
	v_not_b32_e32 v11, v12
	v_lshlrev_b32_e32 v16, 26, v9
	v_cmp_ne_u32_e32 vcc_lo, 0, v14
	v_ashrrev_i32_e32 v66, 31, v66
	v_lshlrev_b32_e32 v65, 25, v9
	v_ashrrev_i32_e32 v11, 31, v11
	v_lshlrev_b32_e32 v14, 24, v9
	s_wait_alu 0xfffd
	v_xor_b32_e32 v10, vcc_lo, v10
	v_cmp_gt_i32_e32 vcc_lo, 0, v12
	v_not_b32_e32 v12, v13
	s_wait_alu 0xf1ff
	v_xor_b32_e32 v66, s12, v66
	v_cmp_gt_i32_e64 s12, 0, v13
	v_and_b32_e32 v10, exec_lo, v10
	v_not_b32_e32 v13, v15
	v_ashrrev_i32_e32 v12, 31, v12
	s_wait_alu 0xfffd
	v_xor_b32_e32 v11, vcc_lo, v11
	v_cmp_gt_i32_e32 vcc_lo, 0, v15
	v_and_b32_e32 v10, v10, v66
	v_not_b32_e32 v15, v16
	v_ashrrev_i32_e32 v13, 31, v13
	s_wait_alu 0xf1ff
	v_xor_b32_e32 v12, s12, v12
	v_cmp_gt_i32_e64 s12, 0, v16
	v_and_b32_e32 v10, v10, v11
	v_not_b32_e32 v11, v65
	v_ashrrev_i32_e32 v15, 31, v15
	s_wait_alu 0xfffd
	v_xor_b32_e32 v13, vcc_lo, v13
	v_cmp_gt_i32_e32 vcc_lo, 0, v65
	v_and_b32_e32 v10, v10, v12
	v_not_b32_e32 v12, v14
	v_ashrrev_i32_e32 v11, 31, v11
	s_wait_alu 0xf1ff
	v_xor_b32_e32 v15, s12, v15
	v_cmp_gt_i32_e64 s12, 0, v14
	v_and_b32_e32 v10, v10, v13
	v_ashrrev_i32_e32 v12, 31, v12
	s_wait_alu 0xfffd
	v_xor_b32_e32 v11, vcc_lo, v11
	v_lshl_add_u32 v65, v9, 2, v57
	v_and_b32_e32 v10, v10, v15
	s_wait_alu 0xf1ff
	v_xor_b32_e32 v9, s12, v12
	ds_load_b32 v66, v65 offset:4
	v_and_b32_e32 v10, v10, v11
	; wave barrier
	s_delay_alu instid0(VALU_DEP_1) | instskip(NEXT) | instid1(VALU_DEP_1)
	v_and_b32_e32 v9, v10, v9
	v_mbcnt_lo_u32_b32 v67, v9, 0
	v_cmp_ne_u32_e64 s12, 0, v9
	s_delay_alu instid0(VALU_DEP_2) | instskip(SKIP_1) | instid1(SALU_CYCLE_1)
	v_cmp_eq_u32_e32 vcc_lo, 0, v67
	s_and_b32 s26, s12, vcc_lo
	s_and_saveexec_b32 s12, s26
	s_cbranch_execz .LBB203_29
; %bb.28:                               ;   in Loop: Header=BB203_23 Depth=1
	s_wait_dscnt 0x0
	v_bcnt_u32_b32 v9, v9, v66
	ds_store_b32 v65, v9 offset:4
.LBB203_29:                             ;   in Loop: Header=BB203_23 Depth=1
	s_wait_alu 0xfffe
	s_or_b32 exec_lo, exec_lo, s12
	v_cmp_ne_u32_e32 vcc_lo, 0x7fffffff, v61
	; wave barrier
	s_wait_alu 0xfffd
	v_cndmask_b32_e32 v9, 0x80000000, v61, vcc_lo
	s_delay_alu instid0(VALU_DEP_1) | instskip(NEXT) | instid1(VALU_DEP_1)
	v_lshrrev_b32_e32 v9, s13, v9
	v_and_b32_e32 v9, s25, v9
	s_delay_alu instid0(VALU_DEP_1)
	v_and_b32_e32 v10, 1, v9
	v_lshlrev_b32_e32 v11, 30, v9
	v_lshlrev_b32_e32 v12, 29, v9
	;; [unrolled: 1-line block ×4, first 2 shown]
	v_add_co_u32 v10, s12, v10, -1
	s_wait_alu 0xf1ff
	v_cndmask_b32_e64 v14, 0, 1, s12
	v_not_b32_e32 v69, v11
	v_cmp_gt_i32_e64 s12, 0, v11
	v_not_b32_e32 v11, v12
	v_lshlrev_b32_e32 v16, 26, v9
	v_cmp_ne_u32_e32 vcc_lo, 0, v14
	v_ashrrev_i32_e32 v69, 31, v69
	v_lshlrev_b32_e32 v68, 25, v9
	v_ashrrev_i32_e32 v11, 31, v11
	v_lshlrev_b32_e32 v14, 24, v9
	s_wait_alu 0xfffd
	v_xor_b32_e32 v10, vcc_lo, v10
	v_cmp_gt_i32_e32 vcc_lo, 0, v12
	v_not_b32_e32 v12, v13
	s_wait_alu 0xf1ff
	v_xor_b32_e32 v69, s12, v69
	v_cmp_gt_i32_e64 s12, 0, v13
	v_and_b32_e32 v10, exec_lo, v10
	v_not_b32_e32 v13, v15
	v_ashrrev_i32_e32 v12, 31, v12
	s_wait_alu 0xfffd
	v_xor_b32_e32 v11, vcc_lo, v11
	v_cmp_gt_i32_e32 vcc_lo, 0, v15
	v_and_b32_e32 v10, v10, v69
	v_not_b32_e32 v15, v16
	v_ashrrev_i32_e32 v13, 31, v13
	s_wait_alu 0xf1ff
	v_xor_b32_e32 v12, s12, v12
	v_cmp_gt_i32_e64 s12, 0, v16
	v_and_b32_e32 v10, v10, v11
	v_not_b32_e32 v11, v68
	v_ashrrev_i32_e32 v15, 31, v15
	s_wait_alu 0xfffd
	v_xor_b32_e32 v13, vcc_lo, v13
	v_cmp_gt_i32_e32 vcc_lo, 0, v68
	v_and_b32_e32 v10, v10, v12
	v_not_b32_e32 v12, v14
	v_ashrrev_i32_e32 v11, 31, v11
	s_wait_alu 0xf1ff
	v_xor_b32_e32 v15, s12, v15
	v_cmp_gt_i32_e64 s12, 0, v14
	v_and_b32_e32 v10, v10, v13
	v_ashrrev_i32_e32 v12, 31, v12
	s_wait_alu 0xfffd
	v_xor_b32_e32 v11, vcc_lo, v11
	v_lshl_add_u32 v68, v9, 2, v57
	v_and_b32_e32 v10, v10, v15
	s_wait_alu 0xf1ff
	v_xor_b32_e32 v9, s12, v12
	ds_load_b32 v70, v68 offset:4
	v_and_b32_e32 v10, v10, v11
	; wave barrier
	s_delay_alu instid0(VALU_DEP_1) | instskip(NEXT) | instid1(VALU_DEP_1)
	v_and_b32_e32 v9, v10, v9
	v_mbcnt_lo_u32_b32 v71, v9, 0
	v_cmp_ne_u32_e64 s12, 0, v9
	s_delay_alu instid0(VALU_DEP_2)
	v_cmp_eq_u32_e32 vcc_lo, 0, v71
	s_and_b32 s25, s12, vcc_lo
	s_wait_alu 0xfffe
	s_and_saveexec_b32 s12, s25
	s_cbranch_execz .LBB203_31
; %bb.30:                               ;   in Loop: Header=BB203_23 Depth=1
	s_wait_dscnt 0x0
	v_bcnt_u32_b32 v9, v9, v70
	ds_store_b32 v68, v9 offset:4
.LBB203_31:                             ;   in Loop: Header=BB203_23 Depth=1
	s_wait_alu 0xfffe
	s_or_b32 exec_lo, exec_lo, s12
	; wave barrier
	; wave barrier
	s_wait_loadcnt_dscnt 0x0
	global_inv scope:SCOPE_SE
	ds_load_2addr_b32 v[15:16], v47 offset0:1 offset1:2
	ds_load_2addr_b32 v[13:14], v47 offset0:3 offset1:4
	;; [unrolled: 1-line block ×4, first 2 shown]
	s_wait_dscnt 0x3
	v_add_nc_u32_e32 v69, v16, v15
	s_wait_dscnt 0x2
	s_delay_alu instid0(VALU_DEP_1) | instskip(SKIP_1) | instid1(VALU_DEP_1)
	v_add3_u32 v69, v69, v13, v14
	s_wait_dscnt 0x1
	v_add3_u32 v69, v69, v11, v12
	s_wait_dscnt 0x0
	s_delay_alu instid0(VALU_DEP_1) | instskip(NEXT) | instid1(VALU_DEP_1)
	v_add3_u32 v10, v69, v9, v10
	v_mov_b32_dpp v69, v10 row_shr:1 row_mask:0xf bank_mask:0xf
	s_delay_alu instid0(VALU_DEP_1) | instskip(NEXT) | instid1(VALU_DEP_1)
	v_cndmask_b32_e64 v69, v69, 0, s7
	v_add_nc_u32_e32 v10, v69, v10
	s_delay_alu instid0(VALU_DEP_1) | instskip(NEXT) | instid1(VALU_DEP_1)
	v_mov_b32_dpp v69, v10 row_shr:2 row_mask:0xf bank_mask:0xf
	v_cndmask_b32_e64 v69, 0, v69, s8
	s_delay_alu instid0(VALU_DEP_1) | instskip(NEXT) | instid1(VALU_DEP_1)
	v_add_nc_u32_e32 v10, v10, v69
	v_mov_b32_dpp v69, v10 row_shr:4 row_mask:0xf bank_mask:0xf
	s_delay_alu instid0(VALU_DEP_1) | instskip(NEXT) | instid1(VALU_DEP_1)
	v_cndmask_b32_e64 v69, 0, v69, s9
	v_add_nc_u32_e32 v10, v10, v69
	s_delay_alu instid0(VALU_DEP_1) | instskip(NEXT) | instid1(VALU_DEP_1)
	v_mov_b32_dpp v69, v10 row_shr:8 row_mask:0xf bank_mask:0xf
	v_cndmask_b32_e64 v69, 0, v69, s10
	s_delay_alu instid0(VALU_DEP_1) | instskip(SKIP_3) | instid1(VALU_DEP_1)
	v_add_nc_u32_e32 v10, v10, v69
	ds_swizzle_b32 v69, v10 offset:swizzle(BROADCAST,32,15)
	s_wait_dscnt 0x0
	v_cndmask_b32_e64 v69, v69, 0, s11
	v_add_nc_u32_e32 v10, v10, v69
	s_and_saveexec_b32 s12, s6
; %bb.32:                               ;   in Loop: Header=BB203_23 Depth=1
	ds_store_b32 v58, v10
; %bb.33:                               ;   in Loop: Header=BB203_23 Depth=1
	s_wait_alu 0xfffe
	s_or_b32 exec_lo, exec_lo, s12
	ds_bpermute_b32 v10, v56, v10
	; wave barrier
	s_wait_loadcnt_dscnt 0x0
	global_inv scope:SCOPE_SE
	s_cmp_gt_u32 s13, 23
	s_mov_b32 s12, -1
	v_cndmask_b32_e64 v10, v10, 0, s17
	s_delay_alu instid0(VALU_DEP_1) | instskip(NEXT) | instid1(VALU_DEP_1)
	v_add_nc_u32_e32 v15, v10, v15
	v_add_nc_u32_e32 v16, v15, v16
	s_delay_alu instid0(VALU_DEP_1) | instskip(NEXT) | instid1(VALU_DEP_1)
	v_add_nc_u32_e32 v13, v16, v13
	v_add_nc_u32_e32 v14, v13, v14
	s_delay_alu instid0(VALU_DEP_1) | instskip(NEXT) | instid1(VALU_DEP_1)
	v_add_nc_u32_e32 v11, v14, v11
	v_add_nc_u32_e32 v12, v11, v12
	s_delay_alu instid0(VALU_DEP_1)
	v_add_nc_u32_e32 v9, v12, v9
	ds_store_2addr_b32 v47, v10, v15 offset0:1 offset1:2
	ds_store_2addr_b32 v47, v16, v13 offset0:3 offset1:4
	;; [unrolled: 1-line block ×4, first 2 shown]
	; wave barrier
	s_wait_loadcnt_dscnt 0x0
	global_inv scope:SCOPE_SE
	ds_load_b32 v9, v35 offset:4
	ds_load_b32 v10, v36 offset:4
	;; [unrolled: 1-line block ×4, first 2 shown]
                                        ; implicit-def: $vgpr13_vgpr14
	s_wait_dscnt 0x3
	v_add_nc_u32_e32 v69, v9, v34
	s_wait_dscnt 0x2
	v_add3_u32 v68, v64, v37, v10
	s_wait_dscnt 0x1
	v_add3_u32 v65, v67, v66, v11
	;; [unrolled: 2-line block ×3, first 2 shown]
                                        ; implicit-def: $vgpr37
                                        ; implicit-def: $vgpr35
                                        ; implicit-def: $vgpr9_vgpr10
	s_cbranch_scc1 .LBB203_22
; %bb.34:                               ;   in Loop: Header=BB203_23 Depth=1
	v_lshlrev_b32_e32 v9, 2, v69
	v_lshlrev_b32_e32 v10, 2, v68
	;; [unrolled: 1-line block ×4, first 2 shown]
	s_wait_loadcnt 0x0
	; wave barrier
	global_inv scope:SCOPE_SE
	ds_store_b32 v9, v60
	ds_store_b32 v10, v63
	;; [unrolled: 1-line block ×4, first 2 shown]
	v_add_nc_u32_e32 v9, v9, v9
	v_add_nc_u32_e32 v10, v10, v10
	;; [unrolled: 1-line block ×4, first 2 shown]
	; wave barrier
	s_wait_loadcnt_dscnt 0x0
	global_inv scope:SCOPE_SE
	ds_load_2addr_b32 v[34:35], v0 offset1:32
	ds_load_2addr_b32 v[36:37], v0 offset0:64 offset1:96
	; wave barrier
	s_wait_loadcnt_dscnt 0x0
	global_inv scope:SCOPE_SE
	ds_store_b64 v9, v[32:33]
	ds_store_b64 v10, v[30:31]
	;; [unrolled: 1-line block ×4, first 2 shown]
	; wave barrier
	s_wait_loadcnt_dscnt 0x0
	global_inv scope:SCOPE_SE
	ds_load_2addr_b64 v[9:12], v59 offset1:32
	ds_load_2addr_b64 v[13:16], v59 offset0:64 offset1:96
	s_add_co_i32 s13, s13, 8
	s_add_co_i32 s24, s24, -8
	s_mov_b32 s12, 0
	; wave barrier
	s_wait_loadcnt_dscnt 0x0
	global_inv scope:SCOPE_SE
	s_branch .LBB203_22
.LBB203_35:
	v_lshlrev_b32_e32 v0, 2, v69
	v_lshlrev_b32_e32 v14, 2, v65
	;; [unrolled: 1-line block ×5, first 2 shown]
	s_wait_loadcnt 0x0
	; wave barrier
	global_inv scope:SCOPE_SE
	ds_store_b32 v0, v60
	ds_store_b32 v13, v63
	;; [unrolled: 1-line block ×4, first 2 shown]
	; wave barrier
	s_wait_loadcnt_dscnt 0x0
	global_inv scope:SCOPE_SE
	ds_load_b128 v[9:12], v9
	v_add_nc_u32_e32 v0, v0, v0
	v_add_nc_u32_e32 v13, v13, v13
	;; [unrolled: 1-line block ×3, first 2 shown]
	; wave barrier
	s_wait_loadcnt_dscnt 0x0
	global_inv scope:SCOPE_SE
	ds_store_b64 v0, v[32:33]
	ds_store_b64 v13, v[30:31]
	;; [unrolled: 1-line block ×3, first 2 shown]
	v_add_nc_u32_e32 v15, v15, v15
	s_mov_b32 s9, 0
	ds_store_b64 v15, v[26:27]
	; wave barrier
	s_wait_loadcnt_dscnt 0x0
	global_inv scope:SCOPE_SE
	v_cmp_lt_i32_e32 vcc_lo, -1, v9
	s_wait_alu 0xfffd
	v_cndmask_b32_e64 v0, 0x80000000, -1, vcc_lo
	v_cmp_lt_i32_e32 vcc_lo, -1, v10
	s_delay_alu instid0(VALU_DEP_2) | instskip(SKIP_3) | instid1(VALU_DEP_2)
	v_xor_b32_e32 v9, v0, v9
	s_wait_alu 0xfffd
	v_cndmask_b32_e64 v13, 0x80000000, -1, vcc_lo
	v_cmp_lt_i32_e32 vcc_lo, -1, v11
	v_xor_b32_e32 v10, v13, v10
	s_wait_alu 0xfffd
	v_cndmask_b32_e64 v14, 0x80000000, -1, vcc_lo
	v_cmp_lt_i32_e32 vcc_lo, -1, v12
	s_delay_alu instid0(VALU_DEP_2) | instskip(SKIP_2) | instid1(VALU_DEP_1)
	v_xor_b32_e32 v11, v14, v11
	s_wait_alu 0xfffd
	v_cndmask_b32_e64 v16, 0x80000000, -1, vcc_lo
	v_xor_b32_e32 v12, v16, v12
.LBB203_36:
	s_wait_alu 0xfffe
	s_and_b32 vcc_lo, exec_lo, s9
	s_wait_alu 0xfffe
	s_cbranch_vccz .LBB203_52
; %bb.37:
	v_cmp_gt_i32_e32 vcc_lo, 0, v24
	ds_bpermute_b32 v29, v54, v8
	ds_bpermute_b32 v13, v54, v5
	;; [unrolled: 1-line block ×4, first 2 shown]
	s_wait_alu 0xfffd
	v_cndmask_b32_e64 v0, 0x7fffffff, 0, vcc_lo
	v_cmp_gt_i32_e32 vcc_lo, 0, v25
	ds_bpermute_b32 v32, v54, v2
	v_cmp_eq_u32_e64 s6, 3, v55
	ds_bpermute_b32 v35, v54, v8 offset:32
	v_xor_b32_e32 v0, v0, v24
	s_wait_alu 0xfffd
	v_cndmask_b32_e64 v9, 0x7fffffff, 0, vcc_lo
	v_cmp_gt_i32_e32 vcc_lo, 0, v22
	ds_bpermute_b32 v24, v54, v6
	s_wait_loadcnt_dscnt 0x0
	ds_bpermute_b32 v12, v54, v0
	v_xor_b32_e32 v9, v9, v25
	s_wait_alu 0xfffd
	v_cndmask_b32_e64 v10, 0x7fffffff, 0, vcc_lo
	v_cmp_gt_i32_e32 vcc_lo, 0, v23
	ds_bpermute_b32 v14, v54, v0 offset:32
	ds_bpermute_b32 v15, v54, v0 offset:64
	ds_bpermute_b32 v16, v54, v9
	v_xor_b32_e32 v10, v10, v22
	s_wait_alu 0xfffd
	v_cndmask_b32_e64 v11, 0x7fffffff, 0, vcc_lo
	ds_bpermute_b32 v22, v54, v9 offset:32
	ds_bpermute_b32 v25, v54, v9 offset:64
	;; [unrolled: 1-line block ×4, first 2 shown]
	v_xor_b32_e32 v11, v11, v23
	ds_bpermute_b32 v23, v54, v10
	ds_bpermute_b32 v28, v54, v10 offset:64
	ds_bpermute_b32 v9, v54, v9 offset:96
	v_cmp_eq_u32_e32 vcc_lo, 2, v55
	ds_bpermute_b32 v30, v54, v11
	ds_bpermute_b32 v10, v54, v10 offset:96
	s_wait_dscnt 0xc
	v_cndmask_b32_e64 v12, 0, v12, s5
	ds_bpermute_b32 v33, v54, v11 offset:32
	ds_bpermute_b32 v34, v54, v11 offset:64
	;; [unrolled: 1-line block ×3, first 2 shown]
	s_wait_dscnt 0xe
	v_cndmask_b32_e64 v14, 0, v14, s5
	s_wait_dscnt 0xd
	v_cndmask_b32_e64 v15, 0, v15, s5
	;; [unrolled: 2-line block ×3, first 2 shown]
	ds_bpermute_b32 v16, v54, v5 offset:32
	v_cndmask_b32_e64 v13, 0, v13, s5
	s_wait_dscnt 0xc
	v_cndmask_b32_e64 v14, v14, v22, s4
	s_wait_dscnt 0xb
	;; [unrolled: 2-line block ×3, first 2 shown]
	v_cndmask_b32_e64 v0, 0, v0, s5
	v_cndmask_b32_e64 v25, 0, v24, s5
	;; [unrolled: 1-line block ×3, first 2 shown]
	s_wait_dscnt 0x7
	s_wait_alu 0xfffd
	v_dual_cndmask_b32 v12, v12, v23 :: v_dual_cndmask_b32 v15, v15, v28
	ds_bpermute_b32 v28, v54, v4
	s_wait_dscnt 0x7
	v_cndmask_b32_e64 v0, v0, v9, s4
	v_cndmask_b32_e64 v9, v25, v29, s4
	v_cndmask_b32_e32 v14, v14, v27, vcc_lo
	s_wait_dscnt 0x6
	s_wait_alu 0xf1ff
	v_cndmask_b32_e64 v22, v12, v30, s6
	ds_bpermute_b32 v12, v54, v6 offset:32
	ds_bpermute_b32 v27, v54, v7 offset:32
	ds_bpermute_b32 v30, v54, v3
	s_wait_dscnt 0x8
	v_dual_cndmask_b32 v0, v0, v10 :: v_dual_cndmask_b32 v13, v13, v31
	v_cndmask_b32_e32 v9, v9, v32, vcc_lo
	s_wait_dscnt 0x4
	v_cndmask_b32_e64 v10, 0, v16, s5
	v_cndmask_b32_e64 v23, v14, v33, s6
	ds_bpermute_b32 v14, v54, v6 offset:64
	v_cndmask_b32_e64 v25, v0, v11, s6
	ds_bpermute_b32 v6, v54, v6 offset:96
	ds_bpermute_b32 v26, v54, v8 offset:64
	;; [unrolled: 1-line block ×5, first 2 shown]
	; wave barrier
	s_wait_dscnt 0x0
	global_inv scope:SCOPE_SE
	s_load_b32 s7, s[22:23], 0xc
	ds_bpermute_b32 v31, v54, v4 offset:64
	ds_bpermute_b32 v32, v54, v1 offset:96
	ds_bpermute_b32 v4, v54, v4 offset:96
	v_cndmask_b32_e64 v12, 0, v12, s5
	v_cndmask_b32_e64 v0, v10, v27, s4
	;; [unrolled: 1-line block ×4, first 2 shown]
	ds_bpermute_b32 v13, v54, v5 offset:64
	v_cndmask_b32_e64 v11, v12, v35, s4
	ds_bpermute_b32 v12, v54, v2 offset:32
	ds_bpermute_b32 v27, v54, v7 offset:64
	;; [unrolled: 1-line block ×7, first 2 shown]
	v_cndmask_b32_e64 v14, 0, v14, s5
	v_cndmask_b32_e64 v6, 0, v6, s5
	;; [unrolled: 1-line block ×3, first 2 shown]
	ds_bpermute_b32 v15, v54, v3 offset:32
	ds_bpermute_b32 v30, v54, v3 offset:64
	v_cmp_eq_u32_e64 s9, 31, v21
	v_cndmask_b32_e64 v6, v6, v8, s4
	s_mov_b32 s12, 0
	s_mov_b32 s15, 32
	s_wait_dscnt 0x9
	v_cndmask_b32_e64 v1, 0, v13, s5
	ds_bpermute_b32 v13, v54, v3 offset:96
	s_wait_dscnt 0x7
	v_cndmask_b32_e64 v5, 0, v5, s5
	v_cndmask_b32_e64 v1, v1, v27, s4
	v_cndmask_b32_e32 v3, v11, v12, vcc_lo
	v_cndmask_b32_e64 v11, v14, v26, s4
	s_wait_dscnt 0x4
	v_cndmask_b32_e32 v2, v6, v2, vcc_lo
	v_cndmask_b32_e64 v5, v5, v7, s4
	v_cndmask_b32_e32 v8, v1, v29, vcc_lo
	v_cndmask_b32_e64 v12, v3, v16, s6
	v_cndmask_b32_e32 v3, v11, v28, vcc_lo
	s_getpc_b64 s[4:5]
	s_wait_alu 0xfffe
	s_sext_i32_i16 s5, s5
	s_add_co_u32 s4, s4, _ZN7rocprim17ROCPRIM_400000_NS16block_radix_sortIfLj32ELj4ElLj1ELj1ELj0ELNS0_26block_radix_rank_algorithmE1ELNS0_18block_padding_hintE2ELNS0_4arch9wavefront6targetE0EE19radix_bits_per_passE@rel32@lo+12
	s_wait_alu 0xfffe
	s_add_co_ci_u32 s5, s5, _ZN7rocprim17ROCPRIM_400000_NS16block_radix_sortIfLj32ELj4ElLj1ELj1ELj0ELNS0_26block_radix_rank_algorithmE1ELNS0_18block_padding_hintE2ELNS0_4arch9wavefront6targetE0EE19radix_bits_per_passE@rel32@hi+24
	s_wait_kmcnt 0x0
	s_lshr_b32 s8, s7, 16
	v_dual_cndmask_b32 v5, v5, v32 :: v_dual_lshlrev_b32 v26, 2, v49
	v_cndmask_b32_e64 v1, v3, v31, s6
	v_cndmask_b32_e64 v3, v2, v4, s6
	s_wait_alu 0xfffe
	v_mad_u32_u24 v4, v53, s8, v52
	s_load_b32 s11, s[4:5], 0x0
	s_and_b32 s4, s7, 0xffff
	s_wait_dscnt 0x0
	v_cndmask_b32_e64 v2, v5, v13, s6
	v_cndmask_b32_e32 v0, v0, v36, vcc_lo
	s_wait_alu 0xfffe
	v_mad_co_u64_u32 v[4:5], null, v4, s4, v[21:22]
	v_sub_co_u32 v5, s10, v48, 1
	v_cmp_eq_u32_e64 s4, 0, v51
	v_cmp_lt_u32_e64 s5, 1, v51
	v_cmp_lt_u32_e64 s7, 7, v51
	s_delay_alu instid0(VALU_DEP_4)
	v_cmp_gt_i32_e32 vcc_lo, 0, v5
	v_lshrrev_b32_e32 v4, 3, v4
	v_cmp_eq_u32_e64 s8, 0, v50
	v_dual_mov_b32 v28, 0 :: v_dual_add_nc_u32 v29, v26, v26
	s_wait_alu 0xfffd
	v_cndmask_b32_e32 v5, v5, v48, vcc_lo
	v_cmp_eq_u32_e32 vcc_lo, 0, v21
	v_and_b32_e32 v21, 0x1ffffffc, v4
	s_delay_alu instid0(VALU_DEP_3)
	v_lshlrev_b32_e32 v27, 2, v5
	v_cndmask_b32_e64 v11, v0, v15, s6
	v_cndmask_b32_e64 v0, v8, v30, s6
	v_cmp_lt_u32_e64 s6, 3, v51
	s_or_b32 s13, vcc_lo, s10
	s_branch .LBB203_39
.LBB203_38:                             ;   in Loop: Header=BB203_39 Depth=1
	s_wait_alu 0xfffe
	s_and_not1_b32 vcc_lo, exec_lo, s10
	s_wait_alu 0xfffe
	s_cbranch_vccz .LBB203_51
.LBB203_39:                             ; =>This Inner Loop Header: Depth=1
	v_mov_b32_e32 v30, v22
	s_wait_kmcnt 0x0
	s_min_u32 s10, s11, s15
	ds_store_2addr_b32 v47, v28, v28 offset0:1 offset1:2
	ds_store_2addr_b32 v47, v28, v28 offset0:3 offset1:4
	;; [unrolled: 1-line block ×4, first 2 shown]
	s_wait_alu 0xfffe
	s_lshl_b32 s10, -1, s10
	s_wait_loadcnt_dscnt 0x0
	v_cmp_ne_u32_e32 vcc_lo, 0x80000000, v30
	s_wait_alu 0xfffe
	s_not_b32 s17, s10
	; wave barrier
	global_inv scope:SCOPE_SE
	; wave barrier
	s_wait_alu 0xfffd
	v_dual_cndmask_b32 v4, 0x7fffffff, v30 :: v_dual_mov_b32 v31, v25
	v_dual_mov_b32 v33, v23 :: v_dual_mov_b32 v32, v24
	s_delay_alu instid0(VALU_DEP_2) | instskip(SKIP_1) | instid1(VALU_DEP_1)
	v_lshrrev_b32_e32 v4, s12, v4
	s_wait_alu 0xfffe
	v_and_b32_e32 v22, s17, v4
	s_delay_alu instid0(VALU_DEP_1)
	v_and_b32_e32 v4, 1, v22
	v_lshlrev_b32_e32 v5, 30, v22
	v_lshlrev_b32_e32 v6, 29, v22
	;; [unrolled: 1-line block ×4, first 2 shown]
	v_add_co_u32 v4, s10, v4, -1
	s_wait_alu 0xf1ff
	v_cndmask_b32_e64 v8, 0, 1, s10
	v_not_b32_e32 v16, v5
	v_cmp_gt_i32_e64 s10, 0, v5
	v_not_b32_e32 v5, v6
	v_lshlrev_b32_e32 v14, 26, v22
	v_cmp_ne_u32_e32 vcc_lo, 0, v8
	v_ashrrev_i32_e32 v16, 31, v16
	v_lshlrev_b32_e32 v15, 25, v22
	v_ashrrev_i32_e32 v5, 31, v5
	v_lshlrev_b32_e32 v8, 24, v22
	s_wait_alu 0xfffd
	v_xor_b32_e32 v4, vcc_lo, v4
	v_cmp_gt_i32_e32 vcc_lo, 0, v6
	v_not_b32_e32 v6, v7
	s_wait_alu 0xf1ff
	v_xor_b32_e32 v16, s10, v16
	v_cmp_gt_i32_e64 s10, 0, v7
	v_and_b32_e32 v4, exec_lo, v4
	v_not_b32_e32 v7, v13
	v_ashrrev_i32_e32 v6, 31, v6
	s_wait_alu 0xfffd
	v_xor_b32_e32 v5, vcc_lo, v5
	v_cmp_gt_i32_e32 vcc_lo, 0, v13
	v_and_b32_e32 v4, v4, v16
	v_not_b32_e32 v13, v14
	v_ashrrev_i32_e32 v7, 31, v7
	s_wait_alu 0xf1ff
	v_xor_b32_e32 v6, s10, v6
	v_cmp_gt_i32_e64 s10, 0, v14
	v_and_b32_e32 v4, v4, v5
	v_ashrrev_i32_e32 v13, 31, v13
	s_wait_alu 0xfffd
	v_xor_b32_e32 v7, vcc_lo, v7
	v_lshl_add_u32 v22, v22, 2, v21
	v_and_b32_e32 v4, v4, v6
	s_wait_alu 0xf1ff
	v_xor_b32_e32 v13, s10, v13
	v_not_b32_e32 v6, v8
	v_cmp_gt_i32_e64 s10, 0, v8
	v_and_b32_e32 v4, v4, v7
	s_delay_alu instid0(VALU_DEP_3) | instskip(NEXT) | instid1(VALU_DEP_2)
	v_ashrrev_i32_e32 v6, 31, v6
	v_and_b32_e32 v4, v4, v13
	v_mov_b32_e32 v14, v12
	v_not_b32_e32 v5, v15
	v_cmp_gt_i32_e32 vcc_lo, 0, v15
	s_wait_alu 0xf1ff
	v_xor_b32_e32 v6, s10, v6
	v_dual_mov_b32 v13, v11 :: v_dual_mov_b32 v16, v10
	v_ashrrev_i32_e32 v5, 31, v5
	v_mov_b32_e32 v15, v9
	s_wait_alu 0xfffd
	s_delay_alu instid0(VALU_DEP_2) | instskip(NEXT) | instid1(VALU_DEP_1)
	v_xor_b32_e32 v5, vcc_lo, v5
	v_and_b32_e32 v4, v4, v5
	s_delay_alu instid0(VALU_DEP_1) | instskip(SKIP_2) | instid1(VALU_DEP_3)
	v_dual_mov_b32 v7, v1 :: v_dual_and_b32 v8, v4, v6
	v_dual_mov_b32 v5, v3 :: v_dual_mov_b32 v6, v0
	v_mov_b32_e32 v4, v2
	v_mbcnt_lo_u32_b32 v12, v8, 0
	v_cmp_ne_u32_e64 s10, 0, v8
	s_delay_alu instid0(VALU_DEP_2) | instskip(SKIP_1) | instid1(SALU_CYCLE_1)
	v_cmp_eq_u32_e32 vcc_lo, 0, v12
	s_and_b32 s22, s10, vcc_lo
	s_and_saveexec_b32 s10, s22
; %bb.40:                               ;   in Loop: Header=BB203_39 Depth=1
	v_bcnt_u32_b32 v0, v8, 0
	ds_store_b32 v22, v0 offset:4
; %bb.41:                               ;   in Loop: Header=BB203_39 Depth=1
	s_wait_alu 0xfffe
	s_or_b32 exec_lo, exec_lo, s10
	v_cmp_ne_u32_e32 vcc_lo, 0x80000000, v33
	; wave barrier
	s_wait_alu 0xfffd
	v_cndmask_b32_e32 v0, 0x7fffffff, v33, vcc_lo
	s_delay_alu instid0(VALU_DEP_1) | instskip(NEXT) | instid1(VALU_DEP_1)
	v_lshrrev_b32_e32 v0, s12, v0
	v_and_b32_e32 v0, s17, v0
	s_delay_alu instid0(VALU_DEP_1)
	v_and_b32_e32 v1, 1, v0
	v_lshlrev_b32_e32 v2, 30, v0
	v_lshlrev_b32_e32 v3, 29, v0
	;; [unrolled: 1-line block ×4, first 2 shown]
	v_add_co_u32 v1, s10, v1, -1
	s_wait_alu 0xf1ff
	v_cndmask_b32_e64 v9, 0, 1, s10
	v_not_b32_e32 v24, v2
	v_cmp_gt_i32_e64 s10, 0, v2
	v_not_b32_e32 v2, v3
	v_lshlrev_b32_e32 v11, 26, v0
	v_cmp_ne_u32_e32 vcc_lo, 0, v9
	v_ashrrev_i32_e32 v24, 31, v24
	v_lshlrev_b32_e32 v23, 25, v0
	v_ashrrev_i32_e32 v2, 31, v2
	v_lshlrev_b32_e32 v9, 24, v0
	s_wait_alu 0xfffd
	v_xor_b32_e32 v1, vcc_lo, v1
	v_cmp_gt_i32_e32 vcc_lo, 0, v3
	v_not_b32_e32 v3, v8
	s_wait_alu 0xf1ff
	v_xor_b32_e32 v24, s10, v24
	v_cmp_gt_i32_e64 s10, 0, v8
	v_and_b32_e32 v1, exec_lo, v1
	v_not_b32_e32 v8, v10
	v_ashrrev_i32_e32 v3, 31, v3
	s_wait_alu 0xfffd
	v_xor_b32_e32 v2, vcc_lo, v2
	v_cmp_gt_i32_e32 vcc_lo, 0, v10
	v_and_b32_e32 v1, v1, v24
	v_not_b32_e32 v10, v11
	v_ashrrev_i32_e32 v8, 31, v8
	s_wait_alu 0xf1ff
	v_xor_b32_e32 v3, s10, v3
	v_cmp_gt_i32_e64 s10, 0, v11
	v_and_b32_e32 v1, v1, v2
	v_not_b32_e32 v2, v23
	v_ashrrev_i32_e32 v10, 31, v10
	s_wait_alu 0xfffd
	v_xor_b32_e32 v8, vcc_lo, v8
	v_cmp_gt_i32_e32 vcc_lo, 0, v23
	v_and_b32_e32 v1, v1, v3
	v_not_b32_e32 v3, v9
	v_ashrrev_i32_e32 v2, 31, v2
	s_wait_alu 0xf1ff
	v_xor_b32_e32 v10, s10, v10
	v_cmp_gt_i32_e64 s10, 0, v9
	v_and_b32_e32 v1, v1, v8
	v_ashrrev_i32_e32 v3, 31, v3
	s_wait_alu 0xfffd
	v_xor_b32_e32 v2, vcc_lo, v2
	v_lshl_add_u32 v23, v0, 2, v21
	v_and_b32_e32 v1, v1, v10
	s_wait_alu 0xf1ff
	v_xor_b32_e32 v0, s10, v3
	ds_load_b32 v24, v23 offset:4
	v_and_b32_e32 v1, v1, v2
	; wave barrier
	s_delay_alu instid0(VALU_DEP_1) | instskip(NEXT) | instid1(VALU_DEP_1)
	v_and_b32_e32 v0, v1, v0
	v_mbcnt_lo_u32_b32 v25, v0, 0
	v_cmp_ne_u32_e64 s10, 0, v0
	s_delay_alu instid0(VALU_DEP_2) | instskip(SKIP_1) | instid1(SALU_CYCLE_1)
	v_cmp_eq_u32_e32 vcc_lo, 0, v25
	s_and_b32 s22, s10, vcc_lo
	s_and_saveexec_b32 s10, s22
	s_cbranch_execz .LBB203_43
; %bb.42:                               ;   in Loop: Header=BB203_39 Depth=1
	s_wait_dscnt 0x0
	v_bcnt_u32_b32 v0, v0, v24
	ds_store_b32 v23, v0 offset:4
.LBB203_43:                             ;   in Loop: Header=BB203_39 Depth=1
	s_wait_alu 0xfffe
	s_or_b32 exec_lo, exec_lo, s10
	v_cmp_ne_u32_e32 vcc_lo, 0x80000000, v32
	; wave barrier
	s_wait_alu 0xfffd
	v_cndmask_b32_e32 v0, 0x7fffffff, v32, vcc_lo
	s_delay_alu instid0(VALU_DEP_1) | instskip(NEXT) | instid1(VALU_DEP_1)
	v_lshrrev_b32_e32 v0, s12, v0
	v_and_b32_e32 v0, s17, v0
	s_delay_alu instid0(VALU_DEP_1)
	v_and_b32_e32 v1, 1, v0
	v_lshlrev_b32_e32 v2, 30, v0
	v_lshlrev_b32_e32 v3, 29, v0
	;; [unrolled: 1-line block ×4, first 2 shown]
	v_add_co_u32 v1, s10, v1, -1
	s_wait_alu 0xf1ff
	v_cndmask_b32_e64 v9, 0, 1, s10
	v_not_b32_e32 v35, v2
	v_cmp_gt_i32_e64 s10, 0, v2
	v_not_b32_e32 v2, v3
	v_lshlrev_b32_e32 v11, 26, v0
	v_cmp_ne_u32_e32 vcc_lo, 0, v9
	v_ashrrev_i32_e32 v35, 31, v35
	v_lshlrev_b32_e32 v34, 25, v0
	v_ashrrev_i32_e32 v2, 31, v2
	v_lshlrev_b32_e32 v9, 24, v0
	s_wait_alu 0xfffd
	v_xor_b32_e32 v1, vcc_lo, v1
	v_cmp_gt_i32_e32 vcc_lo, 0, v3
	v_not_b32_e32 v3, v8
	s_wait_alu 0xf1ff
	v_xor_b32_e32 v35, s10, v35
	v_cmp_gt_i32_e64 s10, 0, v8
	v_and_b32_e32 v1, exec_lo, v1
	v_not_b32_e32 v8, v10
	v_ashrrev_i32_e32 v3, 31, v3
	s_wait_alu 0xfffd
	v_xor_b32_e32 v2, vcc_lo, v2
	v_cmp_gt_i32_e32 vcc_lo, 0, v10
	v_and_b32_e32 v1, v1, v35
	v_not_b32_e32 v10, v11
	v_ashrrev_i32_e32 v8, 31, v8
	s_wait_alu 0xf1ff
	v_xor_b32_e32 v3, s10, v3
	v_cmp_gt_i32_e64 s10, 0, v11
	v_and_b32_e32 v1, v1, v2
	v_not_b32_e32 v2, v34
	v_ashrrev_i32_e32 v10, 31, v10
	s_wait_alu 0xfffd
	v_xor_b32_e32 v8, vcc_lo, v8
	v_cmp_gt_i32_e32 vcc_lo, 0, v34
	v_and_b32_e32 v1, v1, v3
	v_not_b32_e32 v3, v9
	v_ashrrev_i32_e32 v2, 31, v2
	s_wait_alu 0xf1ff
	v_xor_b32_e32 v10, s10, v10
	v_cmp_gt_i32_e64 s10, 0, v9
	v_and_b32_e32 v1, v1, v8
	v_ashrrev_i32_e32 v3, 31, v3
	s_wait_alu 0xfffd
	v_xor_b32_e32 v2, vcc_lo, v2
	v_lshl_add_u32 v34, v0, 2, v21
	v_and_b32_e32 v1, v1, v10
	s_wait_alu 0xf1ff
	v_xor_b32_e32 v0, s10, v3
	ds_load_b32 v35, v34 offset:4
	v_and_b32_e32 v1, v1, v2
	; wave barrier
	s_delay_alu instid0(VALU_DEP_1) | instskip(NEXT) | instid1(VALU_DEP_1)
	v_and_b32_e32 v0, v1, v0
	v_mbcnt_lo_u32_b32 v36, v0, 0
	v_cmp_ne_u32_e64 s10, 0, v0
	s_delay_alu instid0(VALU_DEP_2) | instskip(SKIP_1) | instid1(SALU_CYCLE_1)
	v_cmp_eq_u32_e32 vcc_lo, 0, v36
	s_and_b32 s22, s10, vcc_lo
	s_and_saveexec_b32 s10, s22
	s_cbranch_execz .LBB203_45
; %bb.44:                               ;   in Loop: Header=BB203_39 Depth=1
	s_wait_dscnt 0x0
	v_bcnt_u32_b32 v0, v0, v35
	ds_store_b32 v34, v0 offset:4
.LBB203_45:                             ;   in Loop: Header=BB203_39 Depth=1
	s_wait_alu 0xfffe
	s_or_b32 exec_lo, exec_lo, s10
	v_cmp_ne_u32_e32 vcc_lo, 0x80000000, v31
	; wave barrier
	s_wait_alu 0xfffd
	v_cndmask_b32_e32 v0, 0x7fffffff, v31, vcc_lo
	s_delay_alu instid0(VALU_DEP_1) | instskip(NEXT) | instid1(VALU_DEP_1)
	v_lshrrev_b32_e32 v0, s12, v0
	v_and_b32_e32 v0, s17, v0
	s_delay_alu instid0(VALU_DEP_1)
	v_and_b32_e32 v1, 1, v0
	v_lshlrev_b32_e32 v2, 30, v0
	v_lshlrev_b32_e32 v3, 29, v0
	;; [unrolled: 1-line block ×4, first 2 shown]
	v_add_co_u32 v1, s10, v1, -1
	s_wait_alu 0xf1ff
	v_cndmask_b32_e64 v9, 0, 1, s10
	v_not_b32_e32 v48, v2
	v_cmp_gt_i32_e64 s10, 0, v2
	v_not_b32_e32 v2, v3
	v_lshlrev_b32_e32 v11, 26, v0
	v_cmp_ne_u32_e32 vcc_lo, 0, v9
	v_ashrrev_i32_e32 v48, 31, v48
	v_lshlrev_b32_e32 v37, 25, v0
	v_ashrrev_i32_e32 v2, 31, v2
	v_lshlrev_b32_e32 v9, 24, v0
	s_wait_alu 0xfffd
	v_xor_b32_e32 v1, vcc_lo, v1
	v_cmp_gt_i32_e32 vcc_lo, 0, v3
	v_not_b32_e32 v3, v8
	s_wait_alu 0xf1ff
	v_xor_b32_e32 v48, s10, v48
	v_cmp_gt_i32_e64 s10, 0, v8
	v_and_b32_e32 v1, exec_lo, v1
	v_not_b32_e32 v8, v10
	v_ashrrev_i32_e32 v3, 31, v3
	s_wait_alu 0xfffd
	v_xor_b32_e32 v2, vcc_lo, v2
	v_cmp_gt_i32_e32 vcc_lo, 0, v10
	v_and_b32_e32 v1, v1, v48
	v_not_b32_e32 v10, v11
	v_ashrrev_i32_e32 v8, 31, v8
	s_wait_alu 0xf1ff
	v_xor_b32_e32 v3, s10, v3
	v_cmp_gt_i32_e64 s10, 0, v11
	v_and_b32_e32 v1, v1, v2
	v_not_b32_e32 v2, v37
	v_ashrrev_i32_e32 v10, 31, v10
	s_wait_alu 0xfffd
	v_xor_b32_e32 v8, vcc_lo, v8
	v_cmp_gt_i32_e32 vcc_lo, 0, v37
	v_and_b32_e32 v1, v1, v3
	v_not_b32_e32 v3, v9
	v_ashrrev_i32_e32 v2, 31, v2
	s_wait_alu 0xf1ff
	v_xor_b32_e32 v10, s10, v10
	v_cmp_gt_i32_e64 s10, 0, v9
	v_and_b32_e32 v1, v1, v8
	v_ashrrev_i32_e32 v3, 31, v3
	s_wait_alu 0xfffd
	v_xor_b32_e32 v2, vcc_lo, v2
	v_lshl_add_u32 v37, v0, 2, v21
	v_and_b32_e32 v1, v1, v10
	s_wait_alu 0xf1ff
	v_xor_b32_e32 v0, s10, v3
	ds_load_b32 v49, v37 offset:4
	v_and_b32_e32 v1, v1, v2
	; wave barrier
	s_delay_alu instid0(VALU_DEP_1) | instskip(NEXT) | instid1(VALU_DEP_1)
	v_and_b32_e32 v0, v1, v0
	v_mbcnt_lo_u32_b32 v50, v0, 0
	v_cmp_ne_u32_e64 s10, 0, v0
	s_delay_alu instid0(VALU_DEP_2)
	v_cmp_eq_u32_e32 vcc_lo, 0, v50
	s_and_b32 s17, s10, vcc_lo
	s_wait_alu 0xfffe
	s_and_saveexec_b32 s10, s17
	s_cbranch_execz .LBB203_47
; %bb.46:                               ;   in Loop: Header=BB203_39 Depth=1
	s_wait_dscnt 0x0
	v_bcnt_u32_b32 v0, v0, v49
	ds_store_b32 v37, v0 offset:4
.LBB203_47:                             ;   in Loop: Header=BB203_39 Depth=1
	s_wait_alu 0xfffe
	s_or_b32 exec_lo, exec_lo, s10
	; wave barrier
	; wave barrier
	s_wait_loadcnt_dscnt 0x0
	global_inv scope:SCOPE_SE
	ds_load_2addr_b32 v[10:11], v47 offset0:1 offset1:2
	ds_load_2addr_b32 v[8:9], v47 offset0:3 offset1:4
	ds_load_2addr_b32 v[2:3], v47 offset0:5 offset1:6
	ds_load_2addr_b32 v[0:1], v47 offset0:7 offset1:8
	s_wait_dscnt 0x3
	v_add_nc_u32_e32 v48, v11, v10
	s_wait_dscnt 0x2
	s_delay_alu instid0(VALU_DEP_1) | instskip(SKIP_1) | instid1(VALU_DEP_1)
	v_add3_u32 v48, v48, v8, v9
	s_wait_dscnt 0x1
	v_add3_u32 v48, v48, v2, v3
	s_wait_dscnt 0x0
	s_delay_alu instid0(VALU_DEP_1) | instskip(NEXT) | instid1(VALU_DEP_1)
	v_add3_u32 v1, v48, v0, v1
	v_mov_b32_dpp v48, v1 row_shr:1 row_mask:0xf bank_mask:0xf
	s_delay_alu instid0(VALU_DEP_1) | instskip(NEXT) | instid1(VALU_DEP_1)
	v_cndmask_b32_e64 v48, v48, 0, s4
	v_add_nc_u32_e32 v1, v48, v1
	s_delay_alu instid0(VALU_DEP_1) | instskip(NEXT) | instid1(VALU_DEP_1)
	v_mov_b32_dpp v48, v1 row_shr:2 row_mask:0xf bank_mask:0xf
	v_cndmask_b32_e64 v48, 0, v48, s5
	s_delay_alu instid0(VALU_DEP_1) | instskip(NEXT) | instid1(VALU_DEP_1)
	v_add_nc_u32_e32 v1, v1, v48
	v_mov_b32_dpp v48, v1 row_shr:4 row_mask:0xf bank_mask:0xf
	s_delay_alu instid0(VALU_DEP_1) | instskip(NEXT) | instid1(VALU_DEP_1)
	v_cndmask_b32_e64 v48, 0, v48, s6
	v_add_nc_u32_e32 v1, v1, v48
	s_delay_alu instid0(VALU_DEP_1) | instskip(NEXT) | instid1(VALU_DEP_1)
	v_mov_b32_dpp v48, v1 row_shr:8 row_mask:0xf bank_mask:0xf
	v_cndmask_b32_e64 v48, 0, v48, s7
	s_delay_alu instid0(VALU_DEP_1) | instskip(SKIP_3) | instid1(VALU_DEP_1)
	v_add_nc_u32_e32 v1, v1, v48
	ds_swizzle_b32 v48, v1 offset:swizzle(BROADCAST,32,15)
	s_wait_dscnt 0x0
	v_cndmask_b32_e64 v48, v48, 0, s8
	v_add_nc_u32_e32 v1, v1, v48
	s_and_saveexec_b32 s10, s9
; %bb.48:                               ;   in Loop: Header=BB203_39 Depth=1
	ds_store_b32 v28, v1
; %bb.49:                               ;   in Loop: Header=BB203_39 Depth=1
	s_wait_alu 0xfffe
	s_or_b32 exec_lo, exec_lo, s10
	ds_bpermute_b32 v1, v27, v1
	; wave barrier
	s_wait_loadcnt_dscnt 0x0
	global_inv scope:SCOPE_SE
	s_cmp_gt_u32 s12, 23
	s_mov_b32 s10, -1
	v_cndmask_b32_e64 v1, v1, 0, s13
	s_delay_alu instid0(VALU_DEP_1) | instskip(NEXT) | instid1(VALU_DEP_1)
	v_add_nc_u32_e32 v10, v1, v10
	v_add_nc_u32_e32 v11, v10, v11
	s_delay_alu instid0(VALU_DEP_1) | instskip(NEXT) | instid1(VALU_DEP_1)
	v_add_nc_u32_e32 v8, v11, v8
	v_add_nc_u32_e32 v9, v8, v9
	;; [unrolled: 3-line block ×3, first 2 shown]
	s_delay_alu instid0(VALU_DEP_1)
	v_add_nc_u32_e32 v0, v3, v0
	ds_store_2addr_b32 v47, v1, v10 offset0:1 offset1:2
	ds_store_2addr_b32 v47, v11, v8 offset0:3 offset1:4
	;; [unrolled: 1-line block ×4, first 2 shown]
	; wave barrier
	s_wait_loadcnt_dscnt 0x0
	global_inv scope:SCOPE_SE
	ds_load_b32 v0, v22 offset:4
	ds_load_b32 v1, v23 offset:4
	;; [unrolled: 1-line block ×4, first 2 shown]
                                        ; implicit-def: $vgpr23
	s_wait_dscnt 0x3
	v_add_nc_u32_e32 v48, v0, v12
	s_wait_dscnt 0x2
	v_add3_u32 v37, v25, v24, v1
	s_wait_dscnt 0x1
	v_add3_u32 v34, v36, v35, v2
	s_wait_dscnt 0x0
	v_add3_u32 v8, v50, v49, v3
                                        ; implicit-def: $vgpr25
                                        ; implicit-def: $vgpr9_vgpr10
                                        ; implicit-def: $vgpr0_vgpr1
	s_cbranch_scc1 .LBB203_38
; %bb.50:                               ;   in Loop: Header=BB203_39 Depth=1
	v_lshlrev_b32_e32 v0, 2, v48
	v_lshlrev_b32_e32 v1, 2, v37
	v_lshlrev_b32_e32 v2, 2, v34
	v_lshlrev_b32_e32 v3, 2, v8
	s_wait_loadcnt 0x0
	; wave barrier
	global_inv scope:SCOPE_SE
	ds_store_b32 v0, v30
	ds_store_b32 v1, v33
	;; [unrolled: 1-line block ×4, first 2 shown]
	v_add_nc_u32_e32 v0, v0, v0
	v_add_nc_u32_e32 v1, v1, v1
	;; [unrolled: 1-line block ×4, first 2 shown]
	; wave barrier
	s_wait_loadcnt_dscnt 0x0
	global_inv scope:SCOPE_SE
	ds_load_2addr_b32 v[22:23], v26 offset1:32
	ds_load_2addr_b32 v[24:25], v26 offset0:64 offset1:96
	; wave barrier
	s_wait_loadcnt_dscnt 0x0
	global_inv scope:SCOPE_SE
	ds_store_b64 v0, v[15:16]
	ds_store_b64 v1, v[13:14]
	;; [unrolled: 1-line block ×4, first 2 shown]
	; wave barrier
	s_wait_loadcnt_dscnt 0x0
	global_inv scope:SCOPE_SE
	ds_load_2addr_b64 v[9:12], v29 offset1:32
	ds_load_2addr_b64 v[0:3], v29 offset0:64 offset1:96
	s_add_co_i32 s12, s12, 8
	s_add_co_i32 s15, s15, -8
	s_mov_b32 s10, 0
	; wave barrier
	s_wait_loadcnt_dscnt 0x0
	global_inv scope:SCOPE_SE
	s_branch .LBB203_38
.LBB203_51:
	v_lshlrev_b32_e32 v9, 2, v48
	v_lshlrev_b32_e32 v11, 2, v34
	;; [unrolled: 1-line block ×5, first 2 shown]
	s_wait_loadcnt 0x0
	; wave barrier
	global_inv scope:SCOPE_SE
	ds_store_b32 v9, v30
	ds_store_b32 v10, v33
	;; [unrolled: 1-line block ×4, first 2 shown]
	; wave barrier
	s_wait_loadcnt_dscnt 0x0
	global_inv scope:SCOPE_SE
	ds_load_b128 v[0:3], v0
	v_add_nc_u32_e32 v9, v9, v9
	; wave barrier
	s_wait_loadcnt_dscnt 0x0
	global_inv scope:SCOPE_SE
	v_add_nc_u32_e32 v21, v11, v11
	v_add_nc_u32_e32 v10, v10, v10
	ds_store_b64 v9, v[15:16]
	v_add_nc_u32_e32 v8, v8, v8
	ds_store_b64 v10, v[13:14]
	ds_store_b64 v21, v[6:7]
	;; [unrolled: 1-line block ×3, first 2 shown]
	; wave barrier
	s_wait_loadcnt_dscnt 0x0
	global_inv scope:SCOPE_SE
	v_cmp_gt_i32_e32 vcc_lo, 0, v0
	s_wait_alu 0xfffd
	v_cndmask_b32_e64 v9, 0x7fffffff, 0, vcc_lo
	v_cmp_gt_i32_e32 vcc_lo, 0, v1
	s_delay_alu instid0(VALU_DEP_2) | instskip(SKIP_3) | instid1(VALU_DEP_2)
	v_xor_b32_e32 v9, v9, v0
	s_wait_alu 0xfffd
	v_cndmask_b32_e64 v11, 0x7fffffff, 0, vcc_lo
	v_cmp_gt_i32_e32 vcc_lo, 0, v2
	v_xor_b32_e32 v10, v11, v1
	s_wait_alu 0xfffd
	v_cndmask_b32_e64 v12, 0x7fffffff, 0, vcc_lo
	v_cmp_gt_i32_e32 vcc_lo, 0, v3
	s_delay_alu instid0(VALU_DEP_2) | instskip(SKIP_2) | instid1(VALU_DEP_1)
	v_xor_b32_e32 v11, v12, v2
	s_wait_alu 0xfffd
	v_cndmask_b32_e64 v15, 0x7fffffff, 0, vcc_lo
	v_xor_b32_e32 v12, v15, v3
.LBB203_52:
	v_lshlrev_b32_e32 v4, 3, v41
	ds_load_b128 v[0:3], v4
	ds_load_b128 v[4:7], v4 offset:16
	; wave barrier
	s_wait_loadcnt_dscnt 0x0
	global_inv scope:SCOPE_SE
	ds_store_2addr_b32 v42, v9, v10 offset1:1
	ds_store_2addr_b32 v42, v11, v12 offset0:2 offset1:3
	; wave barrier
	s_wait_loadcnt_dscnt 0x0
	global_inv scope:SCOPE_SE
	ds_load_b32 v12, v18 offset:128
	ds_load_b32 v11, v39 offset:256
	;; [unrolled: 1-line block ×3, first 2 shown]
	v_mov_b32_e32 v18, 0
	s_delay_alu instid0(VALU_DEP_1) | instskip(NEXT) | instid1(VALU_DEP_1)
	v_lshlrev_b64_e32 v[8:9], 2, v[17:18]
	v_add_co_u32 v8, vcc_lo, s18, v8
	s_wait_alu 0xfffd
	s_delay_alu instid0(VALU_DEP_2)
	v_add_co_ci_u32_e64 v9, null, s19, v9, vcc_lo
	s_and_saveexec_b32 s4, s0
	s_cbranch_execnz .LBB203_63
; %bb.53:
	s_wait_alu 0xfffe
	s_or_b32 exec_lo, exec_lo, s4
	s_and_saveexec_b32 s4, s1
	s_cbranch_execnz .LBB203_64
.LBB203_54:
	s_wait_alu 0xfffe
	s_or_b32 exec_lo, exec_lo, s4
	s_and_saveexec_b32 s4, s2
	s_cbranch_execnz .LBB203_65
.LBB203_55:
	s_wait_alu 0xfffe
	s_or_b32 exec_lo, exec_lo, s4
	s_and_saveexec_b32 s4, s3
	s_cbranch_execz .LBB203_57
.LBB203_56:
	s_mul_i32 s6, s14, 0x60
	s_mov_b32 s7, 0
	s_wait_alu 0xfffe
	s_lshl_b64 s[6:7], s[6:7], 2
	s_wait_alu 0xfffe
	v_add_co_u32 v8, vcc_lo, v8, s6
	s_wait_alu 0xfffd
	v_add_co_ci_u32_e64 v9, null, s7, v9, vcc_lo
	s_wait_dscnt 0x0
	global_store_b32 v[8:9], v10, off
.LBB203_57:
	s_wait_alu 0xfffe
	s_or_b32 exec_lo, exec_lo, s4
	s_wait_storecnt 0x0
	; wave barrier
	s_wait_loadcnt_dscnt 0x0
	global_inv scope:SCOPE_SE
	ds_store_2addr_b64 v46, v[0:1], v[2:3] offset1:1
	ds_store_2addr_b64 v46, v[4:5], v[6:7] offset0:2 offset1:3
	; wave barrier
	s_wait_loadcnt_dscnt 0x0
	global_inv scope:SCOPE_SE
	ds_load_b64 v[6:7], v20 offset:256
	ds_load_b64 v[4:5], v44 offset:512
	;; [unrolled: 1-line block ×3, first 2 shown]
	v_mov_b32_e32 v20, 0
	s_delay_alu instid0(VALU_DEP_1) | instskip(NEXT) | instid1(VALU_DEP_1)
	v_lshlrev_b64_e32 v[2:3], 3, v[19:20]
	v_add_co_u32 v2, vcc_lo, s20, v2
	s_wait_alu 0xfffd
	s_delay_alu instid0(VALU_DEP_2)
	v_add_co_ci_u32_e64 v3, null, s21, v3, vcc_lo
	s_and_saveexec_b32 s4, s0
	s_cbranch_execnz .LBB203_66
; %bb.58:
	s_wait_alu 0xfffe
	s_or_b32 exec_lo, exec_lo, s4
	s_and_saveexec_b32 s0, s1
	s_cbranch_execnz .LBB203_67
.LBB203_59:
	s_or_b32 exec_lo, exec_lo, s0
	s_and_saveexec_b32 s0, s2
	s_cbranch_execnz .LBB203_68
.LBB203_60:
	s_or_b32 exec_lo, exec_lo, s0
	s_and_saveexec_b32 s0, s3
	s_cbranch_execz .LBB203_62
.LBB203_61:
	s_mul_i32 s0, s16, 0x60
	s_mov_b32 s1, 0
	s_delay_alu instid0(SALU_CYCLE_1) | instskip(NEXT) | instid1(SALU_CYCLE_1)
	s_lshl_b64 s[0:1], s[0:1], 3
	v_add_co_u32 v2, vcc_lo, v2, s0
	s_wait_alu 0xfffd
	v_add_co_ci_u32_e64 v3, null, s1, v3, vcc_lo
	s_wait_dscnt 0x0
	global_store_b64 v[2:3], v[0:1], off
.LBB203_62:
	s_endpgm
.LBB203_63:
	ds_load_b32 v13, v38
	s_wait_dscnt 0x0
	global_store_b32 v[8:9], v13, off
	s_wait_alu 0xfffe
	s_or_b32 exec_lo, exec_lo, s4
	s_and_saveexec_b32 s4, s1
	s_cbranch_execz .LBB203_54
.LBB203_64:
	s_lshl_b32 s6, s14, 5
	s_mov_b32 s7, 0
	s_wait_alu 0xfffe
	s_lshl_b64 s[6:7], s[6:7], 2
	s_wait_alu 0xfffe
	v_add_co_u32 v13, vcc_lo, v8, s6
	s_wait_alu 0xfffd
	v_add_co_ci_u32_e64 v14, null, s7, v9, vcc_lo
	s_wait_dscnt 0x2
	global_store_b32 v[13:14], v12, off
	s_or_b32 exec_lo, exec_lo, s4
	s_and_saveexec_b32 s4, s2
	s_cbranch_execz .LBB203_55
.LBB203_65:
	s_lshl_b32 s6, s14, 6
	s_mov_b32 s7, 0
	s_wait_alu 0xfffe
	s_lshl_b64 s[6:7], s[6:7], 2
	s_wait_dscnt 0x2
	s_wait_alu 0xfffe
	v_add_co_u32 v12, vcc_lo, v8, s6
	s_wait_alu 0xfffd
	v_add_co_ci_u32_e64 v13, null, s7, v9, vcc_lo
	s_wait_dscnt 0x1
	global_store_b32 v[12:13], v11, off
	s_or_b32 exec_lo, exec_lo, s4
	s_and_saveexec_b32 s4, s3
	s_cbranch_execnz .LBB203_56
	s_branch .LBB203_57
.LBB203_66:
	ds_load_b64 v[8:9], v43
	s_wait_dscnt 0x0
	global_store_b64 v[2:3], v[8:9], off
	s_wait_alu 0xfffe
	s_or_b32 exec_lo, exec_lo, s4
	s_and_saveexec_b32 s0, s1
	s_cbranch_execz .LBB203_59
.LBB203_67:
	s_lshl_b32 s4, s16, 5
	s_mov_b32 s5, 0
	s_wait_alu 0xfffe
	s_lshl_b64 s[4:5], s[4:5], 3
	s_wait_alu 0xfffe
	v_add_co_u32 v8, vcc_lo, v2, s4
	s_wait_alu 0xfffd
	v_add_co_ci_u32_e64 v9, null, s5, v3, vcc_lo
	s_wait_dscnt 0x2
	global_store_b64 v[8:9], v[6:7], off
	s_or_b32 exec_lo, exec_lo, s0
	s_and_saveexec_b32 s0, s2
	s_cbranch_execz .LBB203_60
.LBB203_68:
	s_lshl_b32 s4, s16, 6
	s_mov_b32 s5, 0
	s_wait_alu 0xfffe
	s_lshl_b64 s[4:5], s[4:5], 3
	s_wait_dscnt 0x2
	s_wait_alu 0xfffe
	v_add_co_u32 v6, vcc_lo, v2, s4
	s_wait_alu 0xfffd
	v_add_co_ci_u32_e64 v7, null, s5, v3, vcc_lo
	s_wait_dscnt 0x1
	global_store_b64 v[6:7], v[4:5], off
	s_or_b32 exec_lo, exec_lo, s0
	s_and_saveexec_b32 s0, s3
	s_cbranch_execnz .LBB203_61
	s_branch .LBB203_62
	.section	.rodata,"a",@progbits
	.p2align	6, 0x0
	.amdhsa_kernel _ZN2at6native18radixSortKVInPlaceILin2ELin1ELi32ELi4EfljEEvNS_4cuda6detail10TensorInfoIT3_T5_EES6_S6_S6_NS4_IT4_S6_EES6_b
		.amdhsa_group_segment_fixed_size 1056
		.amdhsa_private_segment_fixed_size 0
		.amdhsa_kernarg_size 712
		.amdhsa_user_sgpr_count 2
		.amdhsa_user_sgpr_dispatch_ptr 0
		.amdhsa_user_sgpr_queue_ptr 0
		.amdhsa_user_sgpr_kernarg_segment_ptr 1
		.amdhsa_user_sgpr_dispatch_id 0
		.amdhsa_user_sgpr_private_segment_size 0
		.amdhsa_wavefront_size32 1
		.amdhsa_uses_dynamic_stack 0
		.amdhsa_enable_private_segment 0
		.amdhsa_system_sgpr_workgroup_id_x 1
		.amdhsa_system_sgpr_workgroup_id_y 1
		.amdhsa_system_sgpr_workgroup_id_z 1
		.amdhsa_system_sgpr_workgroup_info 0
		.amdhsa_system_vgpr_workitem_id 2
		.amdhsa_next_free_vgpr 72
		.amdhsa_next_free_sgpr 27
		.amdhsa_reserve_vcc 1
		.amdhsa_float_round_mode_32 0
		.amdhsa_float_round_mode_16_64 0
		.amdhsa_float_denorm_mode_32 3
		.amdhsa_float_denorm_mode_16_64 3
		.amdhsa_fp16_overflow 0
		.amdhsa_workgroup_processor_mode 1
		.amdhsa_memory_ordered 1
		.amdhsa_forward_progress 1
		.amdhsa_inst_pref_size 78
		.amdhsa_round_robin_scheduling 0
		.amdhsa_exception_fp_ieee_invalid_op 0
		.amdhsa_exception_fp_denorm_src 0
		.amdhsa_exception_fp_ieee_div_zero 0
		.amdhsa_exception_fp_ieee_overflow 0
		.amdhsa_exception_fp_ieee_underflow 0
		.amdhsa_exception_fp_ieee_inexact 0
		.amdhsa_exception_int_div_zero 0
	.end_amdhsa_kernel
	.section	.text._ZN2at6native18radixSortKVInPlaceILin2ELin1ELi32ELi4EfljEEvNS_4cuda6detail10TensorInfoIT3_T5_EES6_S6_S6_NS4_IT4_S6_EES6_b,"axG",@progbits,_ZN2at6native18radixSortKVInPlaceILin2ELin1ELi32ELi4EfljEEvNS_4cuda6detail10TensorInfoIT3_T5_EES6_S6_S6_NS4_IT4_S6_EES6_b,comdat
.Lfunc_end203:
	.size	_ZN2at6native18radixSortKVInPlaceILin2ELin1ELi32ELi4EfljEEvNS_4cuda6detail10TensorInfoIT3_T5_EES6_S6_S6_NS4_IT4_S6_EES6_b, .Lfunc_end203-_ZN2at6native18radixSortKVInPlaceILin2ELin1ELi32ELi4EfljEEvNS_4cuda6detail10TensorInfoIT3_T5_EES6_S6_S6_NS4_IT4_S6_EES6_b
                                        ; -- End function
	.set _ZN2at6native18radixSortKVInPlaceILin2ELin1ELi32ELi4EfljEEvNS_4cuda6detail10TensorInfoIT3_T5_EES6_S6_S6_NS4_IT4_S6_EES6_b.num_vgpr, 72
	.set _ZN2at6native18radixSortKVInPlaceILin2ELin1ELi32ELi4EfljEEvNS_4cuda6detail10TensorInfoIT3_T5_EES6_S6_S6_NS4_IT4_S6_EES6_b.num_agpr, 0
	.set _ZN2at6native18radixSortKVInPlaceILin2ELin1ELi32ELi4EfljEEvNS_4cuda6detail10TensorInfoIT3_T5_EES6_S6_S6_NS4_IT4_S6_EES6_b.numbered_sgpr, 27
	.set _ZN2at6native18radixSortKVInPlaceILin2ELin1ELi32ELi4EfljEEvNS_4cuda6detail10TensorInfoIT3_T5_EES6_S6_S6_NS4_IT4_S6_EES6_b.num_named_barrier, 0
	.set _ZN2at6native18radixSortKVInPlaceILin2ELin1ELi32ELi4EfljEEvNS_4cuda6detail10TensorInfoIT3_T5_EES6_S6_S6_NS4_IT4_S6_EES6_b.private_seg_size, 0
	.set _ZN2at6native18radixSortKVInPlaceILin2ELin1ELi32ELi4EfljEEvNS_4cuda6detail10TensorInfoIT3_T5_EES6_S6_S6_NS4_IT4_S6_EES6_b.uses_vcc, 1
	.set _ZN2at6native18radixSortKVInPlaceILin2ELin1ELi32ELi4EfljEEvNS_4cuda6detail10TensorInfoIT3_T5_EES6_S6_S6_NS4_IT4_S6_EES6_b.uses_flat_scratch, 0
	.set _ZN2at6native18radixSortKVInPlaceILin2ELin1ELi32ELi4EfljEEvNS_4cuda6detail10TensorInfoIT3_T5_EES6_S6_S6_NS4_IT4_S6_EES6_b.has_dyn_sized_stack, 0
	.set _ZN2at6native18radixSortKVInPlaceILin2ELin1ELi32ELi4EfljEEvNS_4cuda6detail10TensorInfoIT3_T5_EES6_S6_S6_NS4_IT4_S6_EES6_b.has_recursion, 0
	.set _ZN2at6native18radixSortKVInPlaceILin2ELin1ELi32ELi4EfljEEvNS_4cuda6detail10TensorInfoIT3_T5_EES6_S6_S6_NS4_IT4_S6_EES6_b.has_indirect_call, 0
	.section	.AMDGPU.csdata,"",@progbits
; Kernel info:
; codeLenInByte = 9864
; TotalNumSgprs: 29
; NumVgprs: 72
; ScratchSize: 0
; MemoryBound: 0
; FloatMode: 240
; IeeeMode: 1
; LDSByteSize: 1056 bytes/workgroup (compile time only)
; SGPRBlocks: 0
; VGPRBlocks: 8
; NumSGPRsForWavesPerEU: 29
; NumVGPRsForWavesPerEU: 72
; Occupancy: 16
; WaveLimiterHint : 1
; COMPUTE_PGM_RSRC2:SCRATCH_EN: 0
; COMPUTE_PGM_RSRC2:USER_SGPR: 2
; COMPUTE_PGM_RSRC2:TRAP_HANDLER: 0
; COMPUTE_PGM_RSRC2:TGID_X_EN: 1
; COMPUTE_PGM_RSRC2:TGID_Y_EN: 1
; COMPUTE_PGM_RSRC2:TGID_Z_EN: 1
; COMPUTE_PGM_RSRC2:TIDIG_COMP_CNT: 2
	.section	.text._ZN2at6native18radixSortKVInPlaceILin2ELin1ELi16ELi2EfljEEvNS_4cuda6detail10TensorInfoIT3_T5_EES6_S6_S6_NS4_IT4_S6_EES6_b,"axG",@progbits,_ZN2at6native18radixSortKVInPlaceILin2ELin1ELi16ELi2EfljEEvNS_4cuda6detail10TensorInfoIT3_T5_EES6_S6_S6_NS4_IT4_S6_EES6_b,comdat
	.protected	_ZN2at6native18radixSortKVInPlaceILin2ELin1ELi16ELi2EfljEEvNS_4cuda6detail10TensorInfoIT3_T5_EES6_S6_S6_NS4_IT4_S6_EES6_b ; -- Begin function _ZN2at6native18radixSortKVInPlaceILin2ELin1ELi16ELi2EfljEEvNS_4cuda6detail10TensorInfoIT3_T5_EES6_S6_S6_NS4_IT4_S6_EES6_b
	.globl	_ZN2at6native18radixSortKVInPlaceILin2ELin1ELi16ELi2EfljEEvNS_4cuda6detail10TensorInfoIT3_T5_EES6_S6_S6_NS4_IT4_S6_EES6_b
	.p2align	8
	.type	_ZN2at6native18radixSortKVInPlaceILin2ELin1ELi16ELi2EfljEEvNS_4cuda6detail10TensorInfoIT3_T5_EES6_S6_S6_NS4_IT4_S6_EES6_b,@function
_ZN2at6native18radixSortKVInPlaceILin2ELin1ELi16ELi2EfljEEvNS_4cuda6detail10TensorInfoIT3_T5_EES6_S6_S6_NS4_IT4_S6_EES6_b: ; @_ZN2at6native18radixSortKVInPlaceILin2ELin1ELi16ELi2EfljEEvNS_4cuda6detail10TensorInfoIT3_T5_EES6_S6_S6_NS4_IT4_S6_EES6_b
; %bb.0:
	s_clause 0x1
	s_load_b64 s[2:3], s[0:1], 0x1c8
	s_load_b96 s[16:18], s[0:1], 0xd8
	s_lshr_b32 s4, ttmp7, 16
	s_wait_kmcnt 0x0
	s_mul_i32 s3, s3, s4
	s_and_b32 s4, ttmp7, 0xffff
	s_delay_alu instid0(SALU_CYCLE_1) | instskip(NEXT) | instid1(SALU_CYCLE_1)
	s_add_co_i32 s3, s3, s4
	s_mul_i32 s10, s3, s2
	s_delay_alu instid0(SALU_CYCLE_1) | instskip(NEXT) | instid1(SALU_CYCLE_1)
	s_add_co_i32 s10, s10, ttmp9
	s_cmp_ge_u32 s10, s16
	s_cbranch_scc1 .LBB204_54
; %bb.1:
	s_load_b32 s6, s[0:1], 0x1b8
	s_add_nc_u64 s[4:5], s[0:1], 0xe8
	s_mov_b32 s3, 0
	s_mov_b32 s2, s10
	s_wait_kmcnt 0x0
	s_cmp_lt_i32 s6, 2
	s_cbranch_scc1 .LBB204_4
; %bb.2:
	s_add_co_i32 s2, s6, -1
	s_delay_alu instid0(SALU_CYCLE_1)
	s_lshl_b64 s[8:9], s[2:3], 2
	s_mov_b32 s2, s10
	s_add_nc_u64 s[12:13], s[4:5], s[8:9]
	s_add_co_i32 s8, s6, 1
	s_add_nc_u64 s[6:7], s[12:13], 8
.LBB204_3:                              ; =>This Inner Loop Header: Depth=1
	s_clause 0x1
	s_load_b32 s9, s[6:7], 0x0
	s_load_b32 s11, s[6:7], 0x64
	s_mov_b32 s14, s2
	s_add_nc_u64 s[6:7], s[6:7], -4
	s_wait_kmcnt 0x0
	s_cvt_f32_u32 s12, s9
	s_sub_co_i32 s13, 0, s9
	s_wait_alu 0xfffe
	s_delay_alu instid0(SALU_CYCLE_1) | instskip(NEXT) | instid1(TRANS32_DEP_1)
	v_rcp_iflag_f32_e32 v1, s12
	v_readfirstlane_b32 s12, v1
	s_mul_f32 s12, s12, 0x4f7ffffe
	s_wait_alu 0xfffe
	s_delay_alu instid0(SALU_CYCLE_2) | instskip(SKIP_1) | instid1(SALU_CYCLE_2)
	s_cvt_u32_f32 s12, s12
	s_wait_alu 0xfffe
	s_mul_i32 s13, s13, s12
	s_wait_alu 0xfffe
	s_mul_hi_u32 s13, s12, s13
	s_wait_alu 0xfffe
	s_add_co_i32 s12, s12, s13
	s_wait_alu 0xfffe
	s_mul_hi_u32 s2, s2, s12
	s_delay_alu instid0(SALU_CYCLE_1)
	s_mul_i32 s12, s2, s9
	s_add_co_i32 s13, s2, 1
	s_wait_alu 0xfffe
	s_sub_co_i32 s12, s14, s12
	s_wait_alu 0xfffe
	s_sub_co_i32 s15, s12, s9
	s_cmp_ge_u32 s12, s9
	s_cselect_b32 s2, s13, s2
	s_cselect_b32 s12, s15, s12
	s_add_co_i32 s13, s2, 1
	s_wait_alu 0xfffe
	s_cmp_ge_u32 s12, s9
	s_cselect_b32 s2, s13, s2
	s_add_co_i32 s8, s8, -1
	s_mul_i32 s9, s2, s9
	s_delay_alu instid0(SALU_CYCLE_1) | instskip(NEXT) | instid1(SALU_CYCLE_1)
	s_sub_co_i32 s9, s14, s9
	s_mul_i32 s9, s11, s9
	s_delay_alu instid0(SALU_CYCLE_1)
	s_add_co_i32 s3, s9, s3
	s_cmp_gt_u32 s8, 2
	s_cbranch_scc1 .LBB204_3
.LBB204_4:
	s_clause 0x2
	s_load_b64 s[8:9], s[0:1], 0x0
	s_load_b32 s6, s[0:1], 0x6c
	s_load_b64 s[20:21], s[0:1], 0x1c0
	v_mul_lo_u32 v16, s18, v0
	s_mov_b32 s13, 0
	s_wait_kmcnt 0x0
	s_mul_i32 s12, s6, s10
	s_bitcmp1_b32 s21, 0
	s_cselect_b32 s10, -1, 0
	s_delay_alu instid0(SALU_CYCLE_1) | instskip(SKIP_3) | instid1(SALU_CYCLE_1)
	s_and_b32 s0, s10, exec_lo
	s_cselect_b32 s6, -1, 0x7fffffff
	v_cmp_gt_u32_e64 s0, s17, v0
	s_mov_b32 s7, s6
	v_dual_mov_b32 v1, s6 :: v_dual_mov_b32 v2, s7
	s_wait_alu 0xfffe
	s_lshl_b64 s[12:13], s[12:13], 2
	s_wait_alu 0xfffe
	s_add_nc_u64 s[22:23], s[8:9], s[12:13]
	s_and_saveexec_b32 s1, s0
	s_cbranch_execz .LBB204_6
; %bb.5:
	v_mov_b32_e32 v17, 0
	s_delay_alu instid0(VALU_DEP_1) | instskip(NEXT) | instid1(VALU_DEP_1)
	v_lshlrev_b64_e32 v[1:2], 2, v[16:17]
	v_add_co_u32 v1, vcc_lo, s22, v1
	s_delay_alu instid0(VALU_DEP_1)
	v_add_co_ci_u32_e64 v2, null, s23, v2, vcc_lo
	global_load_b32 v1, v[1:2], off
	v_mov_b32_e32 v2, s7
.LBB204_6:
	s_or_b32 exec_lo, exec_lo, s1
	s_clause 0x1
	s_load_b32 s6, s[4:5], 0x6c
	s_load_b64 s[4:5], s[4:5], 0x0
	v_or_b32_e32 v3, 16, v0
	s_delay_alu instid0(VALU_DEP_1)
	v_cmp_gt_u32_e64 s1, s17, v3
	s_and_saveexec_b32 s7, s1
	s_cbranch_execz .LBB204_8
; %bb.7:
	v_mul_lo_u32 v4, s18, v3
	v_mov_b32_e32 v5, 0
	s_delay_alu instid0(VALU_DEP_1) | instskip(NEXT) | instid1(VALU_DEP_1)
	v_lshlrev_b64_e32 v[4:5], 2, v[4:5]
	v_add_co_u32 v4, vcc_lo, s22, v4
	s_wait_alu 0xfffd
	s_delay_alu instid0(VALU_DEP_2)
	v_add_co_ci_u32_e64 v5, null, s23, v5, vcc_lo
	global_load_b32 v2, v[4:5], off
.LBB204_8:
	s_wait_alu 0xfffe
	s_or_b32 exec_lo, exec_lo, s7
	v_lshlrev_b32_e32 v22, 2, v0
	v_dual_mov_b32 v14, 0 :: v_dual_lshlrev_b32 v21, 3, v0
	s_wait_kmcnt 0x0
	s_mul_i32 s2, s6, s2
	v_mul_lo_u32 v13, s20, v0
	s_wait_loadcnt 0x0
	ds_store_2addr_b32 v22, v1, v2 offset1:16
	s_wait_dscnt 0x0
	; wave barrier
	global_inv scope:SCOPE_SE
	ds_load_2addr_b32 v[17:18], v21 offset1:1
	s_add_co_i32 s2, s2, s3
	s_mov_b32 s3, 0
	v_mov_b32_e32 v1, 0
	v_dual_mov_b32 v2, 0 :: v_dual_mov_b32 v15, v14
	s_lshl_b64 s[2:3], s[2:3], 3
	s_wait_loadcnt_dscnt 0x0
	s_add_nc_u64 s[16:17], s[4:5], s[2:3]
	; wave barrier
	global_inv scope:SCOPE_SE
	s_and_saveexec_b32 s2, s0
	s_cbranch_execz .LBB204_10
; %bb.9:
	v_lshlrev_b64_e32 v[1:2], 3, v[13:14]
	v_mov_b32_e32 v15, v14
	s_wait_alu 0xfffe
	s_delay_alu instid0(VALU_DEP_2) | instskip(SKIP_1) | instid1(VALU_DEP_3)
	v_add_co_u32 v1, vcc_lo, s16, v1
	s_wait_alu 0xfffd
	v_add_co_ci_u32_e64 v2, null, s17, v2, vcc_lo
	global_load_b64 v[1:2], v[1:2], off
.LBB204_10:
	s_or_b32 exec_lo, exec_lo, s2
	v_lshlrev_b32_e32 v4, 1, v0
	s_xor_b32 s8, s10, -1
	s_and_saveexec_b32 s2, s1
	s_cbranch_execz .LBB204_12
; %bb.11:
	v_mul_lo_u32 v5, s20, v3
	v_mov_b32_e32 v6, 0
	s_delay_alu instid0(VALU_DEP_1) | instskip(SKIP_1) | instid1(VALU_DEP_1)
	v_lshlrev_b64_e32 v[5:6], 3, v[5:6]
	s_wait_alu 0xfffe
	v_add_co_u32 v5, vcc_lo, s16, v5
	s_wait_alu 0xfffd
	s_delay_alu instid0(VALU_DEP_2)
	v_add_co_ci_u32_e64 v6, null, s17, v6, vcc_lo
	global_load_b64 v[14:15], v[5:6], off
.LBB204_12:
	s_or_b32 exec_lo, exec_lo, s2
	v_mbcnt_lo_u32_b32 v5, -1, 0
	v_lshlrev_b32_e32 v3, 2, v4
	v_add_nc_u32_e32 v23, v22, v22
	s_getpc_b64 s[2:3]
	s_sext_i32_i16 s3, s3
	s_add_co_u32 s2, s2, _ZN7rocprim17ROCPRIM_400000_NS16block_radix_sortIfLj16ELj2ElLj1ELj1ELj0ELNS0_26block_radix_rank_algorithmE1ELNS0_18block_padding_hintE2ELNS0_4arch9wavefront6targetE0EE19radix_bits_per_passE@rel32@lo+8
	s_add_co_ci_u32 s3, s3, _ZN7rocprim17ROCPRIM_400000_NS16block_radix_sortIfLj16ELj2ElLj1ELj1ELj0ELNS0_26block_radix_rank_algorithmE1ELNS0_18block_padding_hintE2ELNS0_4arch9wavefront6targetE0EE19radix_bits_per_passE@rel32@hi+16
	v_lshlrev_b32_e32 v27, 5, v0
	v_sub_co_u32 v7, s19, v5, 1
	v_and_b32_e32 v8, 16, v5
	s_wait_loadcnt 0x0
	ds_store_b64 v23, v[1:2]
	ds_store_b64 v21, v[14:15] offset:128
	s_wait_dscnt 0x0
	; wave barrier
	global_inv scope:SCOPE_SE
	s_load_b32 s15, s[2:3], 0x0
	v_cmp_lt_i32_e32 vcc_lo, v7, v8
	v_add_nc_u32_e32 v24, v21, v3
	v_and_b32_e32 v6, 15, v5
	v_mad_i32_i24 v26, 0xffffffe8, v0, v27
	v_cmp_gt_u32_e64 s2, 0x80, v0
	s_wait_alu 0xfffd
	v_cndmask_b32_e32 v5, v7, v5, vcc_lo
	ds_load_2addr_b64 v[1:4], v24 offset1:1
	v_cmp_eq_u32_e64 s3, 0, v6
	v_cmp_lt_u32_e64 s4, 1, v6
	v_cmp_lt_u32_e64 s5, 3, v6
	;; [unrolled: 1-line block ×3, first 2 shown]
	v_cmp_eq_u32_e64 s7, 15, v0
	v_lshlrev_b32_e32 v28, 2, v5
	v_lshl_add_u32 v25, v0, 3, v26
	s_and_b32 vcc_lo, exec_lo, s8
	v_cmp_gt_u32_e64 s8, 0x70, v0
	v_cmp_gt_u32_e64 s9, 0x60, v0
	;; [unrolled: 1-line block ×7, first 2 shown]
	s_mov_b32 s21, 0
	s_mov_b32 s24, -1
	; wave barrier
	s_wait_loadcnt_dscnt 0x0
	global_inv scope:SCOPE_SE
	s_wait_alu 0xfffe
	s_cbranch_vccz .LBB204_28
; %bb.13:
	v_cmp_lt_i32_e32 vcc_lo, -1, v17
	v_mov_b32_e32 v8, v4
	v_mov_b32_e32 v30, 0
	s_mov_b32 s24, 32
	v_mov_b32_e32 v7, v3
	s_wait_alu 0xfffd
	v_cndmask_b32_e64 v5, -1, 0x80000000, vcc_lo
	v_cmp_lt_i32_e32 vcc_lo, -1, v18
	s_delay_alu instid0(VALU_DEP_2) | instskip(SKIP_2) | instid1(VALU_DEP_1)
	v_xor_b32_e32 v9, v5, v17
	s_wait_alu 0xfffd
	v_cndmask_b32_e64 v6, -1, 0x80000000, vcc_lo
	v_xor_b32_e32 v10, v6, v18
	v_dual_mov_b32 v6, v2 :: v_dual_mov_b32 v5, v1
	s_branch .LBB204_15
.LBB204_14:                             ;   in Loop: Header=BB204_15 Depth=1
	s_wait_alu 0xfffe
	s_and_not1_b32 vcc_lo, exec_lo, s25
	s_wait_alu 0xfffe
	s_cbranch_vccz .LBB204_29
.LBB204_15:                             ; =>This Inner Loop Header: Depth=1
	s_delay_alu instid0(VALU_DEP_1)
	v_dual_mov_b32 v31, v9 :: v_dual_mov_b32 v20, v6
	v_mov_b32_e32 v15, v8
	v_dual_mov_b32 v29, v10 :: v_dual_mov_b32 v14, v7
	v_mov_b32_e32 v19, v5
	s_and_saveexec_b32 s25, s2
	s_cbranch_execz .LBB204_24
; %bb.16:                               ;   in Loop: Header=BB204_15 Depth=1
	ds_store_b32 v22, v30
	s_and_b32 exec_lo, exec_lo, s8
	s_cbranch_execz .LBB204_24
; %bb.17:                               ;   in Loop: Header=BB204_15 Depth=1
	ds_store_b32 v22, v30 offset:64
	s_and_b32 exec_lo, exec_lo, s9
	s_cbranch_execz .LBB204_24
; %bb.18:                               ;   in Loop: Header=BB204_15 Depth=1
	ds_store_b32 v22, v30 offset:128
	;; [unrolled: 4-line block ×6, first 2 shown]
	s_and_b32 exec_lo, exec_lo, s14
; %bb.23:                               ;   in Loop: Header=BB204_15 Depth=1
	ds_store_b32 v22, v30 offset:448
.LBB204_24:                             ;   in Loop: Header=BB204_15 Depth=1
	s_wait_alu 0xfffe
	s_or_b32 exec_lo, exec_lo, s25
	v_cmp_ne_u32_e32 vcc_lo, 0x7fffffff, v31
	s_wait_kmcnt 0x0
	s_min_u32 s25, s15, s24
	s_wait_alu 0xfffe
	s_lshl_b32 s25, -1, s25
	s_wait_alu 0xfffe
	s_not_b32 s25, s25
	s_wait_alu 0xfffd
	v_cndmask_b32_e32 v5, 0x80000000, v31, vcc_lo
	v_cmp_ne_u32_e32 vcc_lo, 0x7fffffff, v29
	s_delay_alu instid0(VALU_DEP_2) | instskip(SKIP_1) | instid1(VALU_DEP_1)
	v_lshrrev_b32_e32 v5, s21, v5
	s_wait_alu 0xfffe
	v_and_b32_e32 v5, s25, v5
	s_delay_alu instid0(VALU_DEP_1) | instskip(SKIP_1) | instid1(VALU_DEP_2)
	v_lshlrev_b32_e32 v6, 4, v5
	v_lshrrev_b32_e32 v5, 2, v5
	v_and_or_b32 v6, 0x70, v6, v0
	s_delay_alu instid0(VALU_DEP_2) | instskip(NEXT) | instid1(VALU_DEP_1)
	v_and_b32_e32 v5, 0x1ffffffe, v5
	v_lshl_add_u32 v32, v6, 2, v5
	s_wait_alu 0xfffd
	v_cndmask_b32_e32 v5, 0x80000000, v29, vcc_lo
	ds_load_u16 v33, v32
	v_lshrrev_b32_e32 v5, s21, v5
	s_delay_alu instid0(VALU_DEP_1) | instskip(NEXT) | instid1(VALU_DEP_1)
	v_and_b32_e32 v5, s25, v5
	v_lshlrev_b32_e32 v6, 4, v5
	v_lshrrev_b32_e32 v5, 2, v5
	s_delay_alu instid0(VALU_DEP_2) | instskip(NEXT) | instid1(VALU_DEP_2)
	v_and_or_b32 v6, 0x70, v6, v0
	v_and_b32_e32 v5, 0x1ffffffe, v5
	s_wait_dscnt 0x0
	v_add_nc_u16 v7, v33, 1
	s_delay_alu instid0(VALU_DEP_2)
	v_lshl_add_u32 v34, v6, 2, v5
	ds_store_b16 v32, v7
	ds_load_u16 v35, v34
	s_wait_dscnt 0x0
	v_add_nc_u16 v5, v35, 1
	ds_store_b16 v34, v5
	; wave barrier
	s_wait_loadcnt_dscnt 0x0
	global_inv scope:SCOPE_SE
	ds_load_b128 v[9:12], v27
	ds_load_b128 v[5:8], v27 offset:16
	s_wait_dscnt 0x1
	v_add_nc_u32_e32 v36, v10, v9
	s_delay_alu instid0(VALU_DEP_1) | instskip(SKIP_1) | instid1(VALU_DEP_1)
	v_add3_u32 v36, v36, v11, v12
	s_wait_dscnt 0x0
	v_add3_u32 v36, v36, v5, v6
	s_delay_alu instid0(VALU_DEP_1) | instskip(NEXT) | instid1(VALU_DEP_1)
	v_add3_u32 v8, v36, v7, v8
	v_mov_b32_dpp v36, v8 row_shr:1 row_mask:0xf bank_mask:0xf
	s_delay_alu instid0(VALU_DEP_1) | instskip(NEXT) | instid1(VALU_DEP_1)
	v_cndmask_b32_e64 v36, v36, 0, s3
	v_add_nc_u32_e32 v8, v36, v8
	s_delay_alu instid0(VALU_DEP_1) | instskip(NEXT) | instid1(VALU_DEP_1)
	v_mov_b32_dpp v36, v8 row_shr:2 row_mask:0xf bank_mask:0xf
	v_cndmask_b32_e64 v36, 0, v36, s4
	s_delay_alu instid0(VALU_DEP_1) | instskip(NEXT) | instid1(VALU_DEP_1)
	v_add_nc_u32_e32 v8, v8, v36
	v_mov_b32_dpp v36, v8 row_shr:4 row_mask:0xf bank_mask:0xf
	s_delay_alu instid0(VALU_DEP_1) | instskip(NEXT) | instid1(VALU_DEP_1)
	v_cndmask_b32_e64 v36, 0, v36, s5
	v_add_nc_u32_e32 v8, v8, v36
	s_delay_alu instid0(VALU_DEP_1) | instskip(NEXT) | instid1(VALU_DEP_1)
	v_mov_b32_dpp v36, v8 row_shr:8 row_mask:0xf bank_mask:0xf
	v_cndmask_b32_e64 v36, 0, v36, s6
	s_delay_alu instid0(VALU_DEP_1)
	v_add_nc_u32_e32 v8, v8, v36
	s_and_saveexec_b32 s25, s7
; %bb.25:                               ;   in Loop: Header=BB204_15 Depth=1
	ds_store_b32 v30, v8 offset:512
; %bb.26:                               ;   in Loop: Header=BB204_15 Depth=1
	s_wait_alu 0xfffe
	s_or_b32 exec_lo, exec_lo, s25
	ds_bpermute_b32 v8, v28, v8
	; wave barrier
	s_wait_loadcnt_dscnt 0x0
	global_inv scope:SCOPE_SE
	ds_load_b32 v36, v30 offset:512
	s_cmp_gt_u32 s21, 27
	s_mov_b32 s25, -1
	v_cndmask_b32_e64 v8, v8, 0, s19
	s_wait_dscnt 0x0
	s_delay_alu instid0(VALU_DEP_1) | instskip(NEXT) | instid1(VALU_DEP_1)
	v_lshl_add_u32 v8, v36, 16, v8
	v_add_nc_u32_e32 v9, v8, v9
	s_delay_alu instid0(VALU_DEP_1) | instskip(NEXT) | instid1(VALU_DEP_1)
	v_add_nc_u32_e32 v10, v9, v10
	v_add_nc_u32_e32 v11, v10, v11
	s_delay_alu instid0(VALU_DEP_1) | instskip(NEXT) | instid1(VALU_DEP_1)
	v_add_nc_u32_e32 v36, v11, v12
	;; [unrolled: 3-line block ×3, first 2 shown]
	v_add_nc_u32_e32 v39, v38, v7
	v_and_b32_e32 v7, 0xffff, v33
	ds_store_b128 v27, v[8:11]
	ds_store_b128 v27, v[36:39] offset:16
	; wave barrier
	s_wait_loadcnt_dscnt 0x0
	global_inv scope:SCOPE_SE
	ds_load_u16 v5, v32
	ds_load_u16 v6, v34
	v_and_b32_e32 v8, 0xffff, v35
                                        ; implicit-def: $vgpr10
	s_wait_dscnt 0x1
	v_add_nc_u32_e32 v12, v5, v7
	s_wait_dscnt 0x0
	s_delay_alu instid0(VALU_DEP_2)
	v_add_nc_u32_e32 v11, v6, v8
                                        ; implicit-def: $vgpr7_vgpr8
	s_cbranch_scc1 .LBB204_14
; %bb.27:                               ;   in Loop: Header=BB204_15 Depth=1
	s_delay_alu instid0(VALU_DEP_2) | instskip(NEXT) | instid1(VALU_DEP_2)
	v_lshlrev_b32_e32 v5, 2, v12
	v_lshlrev_b32_e32 v6, 2, v11
	s_wait_loadcnt 0x0
	; wave barrier
	global_inv scope:SCOPE_SE
	s_add_co_i32 s21, s21, 4
	ds_store_b32 v5, v31
	ds_store_b32 v6, v29
	v_add_nc_u32_e32 v5, v5, v5
	v_add_nc_u32_e32 v6, v6, v6
	; wave barrier
	s_wait_loadcnt_dscnt 0x0
	global_inv scope:SCOPE_SE
	ds_load_b64 v[9:10], v26
	; wave barrier
	s_wait_loadcnt_dscnt 0x0
	global_inv scope:SCOPE_SE
	ds_store_b64 v5, v[19:20]
	ds_store_b64 v6, v[14:15]
	; wave barrier
	s_wait_loadcnt_dscnt 0x0
	global_inv scope:SCOPE_SE
	ds_load_b128 v[5:8], v25
	s_add_co_i32 s24, s24, -4
	s_mov_b32 s25, 0
	; wave barrier
	s_wait_loadcnt_dscnt 0x0
	global_inv scope:SCOPE_SE
	s_branch .LBB204_14
.LBB204_28:
                                        ; implicit-def: $vgpr7_vgpr8
                                        ; implicit-def: $vgpr9_vgpr10
	s_and_b32 vcc_lo, exec_lo, s24
	s_wait_alu 0xfffe
	s_cbranch_vccnz .LBB204_30
	s_branch .LBB204_46
.LBB204_29:
	v_lshlrev_b32_e32 v5, 2, v12
	v_lshlrev_b32_e32 v6, 2, v11
	s_wait_loadcnt 0x0
	; wave barrier
	global_inv scope:SCOPE_SE
	ds_store_b32 v5, v31
	ds_store_b32 v6, v29
	; wave barrier
	s_wait_loadcnt_dscnt 0x0
	global_inv scope:SCOPE_SE
	ds_load_b64 v[9:10], v26
	v_add_nc_u32_e32 v5, v5, v5
	v_add_nc_u32_e32 v6, v6, v6
	; wave barrier
	s_wait_loadcnt_dscnt 0x0
	global_inv scope:SCOPE_SE
	ds_store_b64 v5, v[19:20]
	ds_store_b64 v6, v[14:15]
	; wave barrier
	s_wait_loadcnt_dscnt 0x0
	global_inv scope:SCOPE_SE
	ds_load_b128 v[5:8], v25
	v_cmp_lt_i32_e32 vcc_lo, -1, v9
	s_wait_alu 0xfffd
	v_cndmask_b32_e64 v11, 0x80000000, -1, vcc_lo
	v_cmp_lt_i32_e32 vcc_lo, -1, v10
	s_delay_alu instid0(VALU_DEP_2) | instskip(SKIP_2) | instid1(VALU_DEP_1)
	v_xor_b32_e32 v9, v11, v9
	s_wait_alu 0xfffd
	v_cndmask_b32_e64 v12, 0x80000000, -1, vcc_lo
	v_xor_b32_e32 v10, v12, v10
	s_branch .LBB204_46
.LBB204_30:
	v_cmp_gt_i32_e32 vcc_lo, 0, v17
	s_wait_dscnt 0x0
	v_mul_i32_i24_e32 v7, -12, v0
	v_cmp_gt_u32_e64 s8, 0x70, v0
	v_cmp_gt_u32_e64 s9, 0x60, v0
	;; [unrolled: 1-line block ×3, first 2 shown]
	s_wait_alu 0xfffd
	v_cndmask_b32_e64 v5, 0x7fffffff, 0, vcc_lo
	v_cmp_gt_i32_e32 vcc_lo, 0, v18
	v_cmp_gt_u32_e64 s11, 64, v0
	v_cmp_gt_u32_e64 s12, 48, v0
	;; [unrolled: 1-line block ×3, first 2 shown]
	v_xor_b32_e32 v5, v5, v17
	s_wait_alu 0xfffd
	v_cndmask_b32_e64 v6, 0x7fffffff, 0, vcc_lo
	v_cmp_gt_u32_e64 s14, 16, v0
	v_dual_mov_b32 v17, 0 :: v_dual_add_nc_u32 v14, v25, v7
	s_mov_b32 s21, 0
	v_xor_b32_e32 v6, v6, v18
	s_mov_b32 s24, 32
	s_branch .LBB204_32
.LBB204_31:                             ;   in Loop: Header=BB204_32 Depth=1
	s_wait_alu 0xfffe
	s_and_not1_b32 vcc_lo, exec_lo, s25
	s_wait_alu 0xfffe
	s_cbranch_vccz .LBB204_45
.LBB204_32:                             ; =>This Inner Loop Header: Depth=1
	s_delay_alu instid0(VALU_DEP_1)
	v_dual_mov_b32 v15, v6 :: v_dual_mov_b32 v18, v5
	v_dual_mov_b32 v10, v4 :: v_dual_mov_b32 v9, v3
	;; [unrolled: 1-line block ×3, first 2 shown]
	s_and_saveexec_b32 s25, s2
	s_cbranch_execz .LBB204_41
; %bb.33:                               ;   in Loop: Header=BB204_32 Depth=1
	ds_store_b32 v14, v17
	s_and_b32 exec_lo, exec_lo, s8
	s_cbranch_execz .LBB204_41
; %bb.34:                               ;   in Loop: Header=BB204_32 Depth=1
	ds_store_b32 v14, v17 offset:64
	s_and_b32 exec_lo, exec_lo, s9
	s_cbranch_execz .LBB204_41
; %bb.35:                               ;   in Loop: Header=BB204_32 Depth=1
	ds_store_b32 v14, v17 offset:128
	;; [unrolled: 4-line block ×6, first 2 shown]
	s_and_b32 exec_lo, exec_lo, s14
; %bb.40:                               ;   in Loop: Header=BB204_32 Depth=1
	ds_store_b32 v14, v17 offset:448
.LBB204_41:                             ;   in Loop: Header=BB204_32 Depth=1
	s_wait_alu 0xfffe
	s_or_b32 exec_lo, exec_lo, s25
	v_cmp_ne_u32_e32 vcc_lo, 0x80000000, v18
	s_wait_kmcnt 0x0
	s_min_u32 s25, s15, s24
	s_wait_alu 0xfffe
	s_lshl_b32 s25, -1, s25
	s_wait_alu 0xfffe
	s_not_b32 s25, s25
	s_wait_alu 0xfffd
	v_cndmask_b32_e32 v1, 0x7fffffff, v18, vcc_lo
	v_cmp_ne_u32_e32 vcc_lo, 0x80000000, v15
	s_delay_alu instid0(VALU_DEP_2) | instskip(SKIP_1) | instid1(VALU_DEP_1)
	v_lshrrev_b32_e32 v1, s21, v1
	s_wait_alu 0xfffe
	v_and_b32_e32 v1, s25, v1
	s_delay_alu instid0(VALU_DEP_1) | instskip(SKIP_1) | instid1(VALU_DEP_2)
	v_lshlrev_b32_e32 v2, 4, v1
	v_lshrrev_b32_e32 v1, 2, v1
	v_and_or_b32 v2, 0x70, v2, v0
	s_delay_alu instid0(VALU_DEP_2) | instskip(NEXT) | instid1(VALU_DEP_1)
	v_and_b32_e32 v1, 0x1ffffffe, v1
	v_lshl_add_u32 v19, v2, 2, v1
	s_wait_alu 0xfffd
	v_cndmask_b32_e32 v1, 0x7fffffff, v15, vcc_lo
	ds_load_u16 v20, v19
	v_lshrrev_b32_e32 v1, s21, v1
	s_delay_alu instid0(VALU_DEP_1) | instskip(NEXT) | instid1(VALU_DEP_1)
	v_and_b32_e32 v1, s25, v1
	v_lshlrev_b32_e32 v2, 4, v1
	v_lshrrev_b32_e32 v1, 2, v1
	s_delay_alu instid0(VALU_DEP_2) | instskip(NEXT) | instid1(VALU_DEP_2)
	v_and_or_b32 v2, 0x70, v2, v0
	v_and_b32_e32 v1, 0x1ffffffe, v1
	s_wait_dscnt 0x0
	v_add_nc_u16 v3, v20, 1
	s_delay_alu instid0(VALU_DEP_2)
	v_lshl_add_u32 v29, v2, 2, v1
	ds_store_b16 v19, v3
	ds_load_u16 v30, v29
	s_wait_dscnt 0x0
	v_add_nc_u16 v1, v30, 1
	ds_store_b16 v29, v1
	; wave barrier
	s_wait_loadcnt_dscnt 0x0
	global_inv scope:SCOPE_SE
	ds_load_b128 v[5:8], v27
	ds_load_b128 v[1:4], v27 offset:16
	s_wait_dscnt 0x1
	v_add_nc_u32_e32 v31, v6, v5
	s_delay_alu instid0(VALU_DEP_1) | instskip(SKIP_1) | instid1(VALU_DEP_1)
	v_add3_u32 v31, v31, v7, v8
	s_wait_dscnt 0x0
	v_add3_u32 v31, v31, v1, v2
	s_delay_alu instid0(VALU_DEP_1) | instskip(NEXT) | instid1(VALU_DEP_1)
	v_add3_u32 v4, v31, v3, v4
	v_mov_b32_dpp v31, v4 row_shr:1 row_mask:0xf bank_mask:0xf
	s_delay_alu instid0(VALU_DEP_1) | instskip(NEXT) | instid1(VALU_DEP_1)
	v_cndmask_b32_e64 v31, v31, 0, s3
	v_add_nc_u32_e32 v4, v31, v4
	s_delay_alu instid0(VALU_DEP_1) | instskip(NEXT) | instid1(VALU_DEP_1)
	v_mov_b32_dpp v31, v4 row_shr:2 row_mask:0xf bank_mask:0xf
	v_cndmask_b32_e64 v31, 0, v31, s4
	s_delay_alu instid0(VALU_DEP_1) | instskip(NEXT) | instid1(VALU_DEP_1)
	v_add_nc_u32_e32 v4, v4, v31
	v_mov_b32_dpp v31, v4 row_shr:4 row_mask:0xf bank_mask:0xf
	s_delay_alu instid0(VALU_DEP_1) | instskip(NEXT) | instid1(VALU_DEP_1)
	v_cndmask_b32_e64 v31, 0, v31, s5
	v_add_nc_u32_e32 v4, v4, v31
	s_delay_alu instid0(VALU_DEP_1) | instskip(NEXT) | instid1(VALU_DEP_1)
	v_mov_b32_dpp v31, v4 row_shr:8 row_mask:0xf bank_mask:0xf
	v_cndmask_b32_e64 v31, 0, v31, s6
	s_delay_alu instid0(VALU_DEP_1)
	v_add_nc_u32_e32 v4, v4, v31
	s_and_saveexec_b32 s25, s7
; %bb.42:                               ;   in Loop: Header=BB204_32 Depth=1
	ds_store_b32 v17, v4 offset:512
; %bb.43:                               ;   in Loop: Header=BB204_32 Depth=1
	s_wait_alu 0xfffe
	s_or_b32 exec_lo, exec_lo, s25
	ds_bpermute_b32 v4, v28, v4
	; wave barrier
	s_wait_loadcnt_dscnt 0x0
	global_inv scope:SCOPE_SE
	ds_load_b32 v31, v17 offset:512
	s_cmp_gt_u32 s21, 27
	s_mov_b32 s25, -1
	v_cndmask_b32_e64 v4, v4, 0, s19
	s_wait_dscnt 0x0
	s_delay_alu instid0(VALU_DEP_1) | instskip(NEXT) | instid1(VALU_DEP_1)
	v_lshl_add_u32 v4, v31, 16, v4
	v_add_nc_u32_e32 v5, v4, v5
	s_delay_alu instid0(VALU_DEP_1) | instskip(NEXT) | instid1(VALU_DEP_1)
	v_add_nc_u32_e32 v6, v5, v6
	v_add_nc_u32_e32 v7, v6, v7
	s_delay_alu instid0(VALU_DEP_1) | instskip(NEXT) | instid1(VALU_DEP_1)
	v_add_nc_u32_e32 v31, v7, v8
	v_add_nc_u32_e32 v32, v31, v1
	s_delay_alu instid0(VALU_DEP_1) | instskip(NEXT) | instid1(VALU_DEP_1)
	v_add_nc_u32_e32 v33, v32, v2
	v_add_nc_u32_e32 v34, v33, v3
	v_and_b32_e32 v3, 0xffff, v20
	ds_store_b128 v27, v[4:7]
	ds_store_b128 v27, v[31:34] offset:16
	; wave barrier
	s_wait_loadcnt_dscnt 0x0
	global_inv scope:SCOPE_SE
	ds_load_u16 v1, v19
	ds_load_u16 v2, v29
	v_and_b32_e32 v4, 0xffff, v30
                                        ; implicit-def: $vgpr6
	s_wait_dscnt 0x1
	v_add_nc_u32_e32 v8, v1, v3
	s_wait_dscnt 0x0
	s_delay_alu instid0(VALU_DEP_2)
	v_add_nc_u32_e32 v7, v2, v4
                                        ; implicit-def: $vgpr3_vgpr4
	s_cbranch_scc1 .LBB204_31
; %bb.44:                               ;   in Loop: Header=BB204_32 Depth=1
	s_delay_alu instid0(VALU_DEP_2) | instskip(NEXT) | instid1(VALU_DEP_2)
	v_lshlrev_b32_e32 v1, 2, v8
	v_lshlrev_b32_e32 v2, 2, v7
	s_wait_loadcnt 0x0
	; wave barrier
	global_inv scope:SCOPE_SE
	s_add_co_i32 s21, s21, 4
	ds_store_b32 v1, v18
	ds_store_b32 v2, v15
	v_add_nc_u32_e32 v1, v1, v1
	v_add_nc_u32_e32 v2, v2, v2
	; wave barrier
	s_wait_loadcnt_dscnt 0x0
	global_inv scope:SCOPE_SE
	ds_load_b64 v[5:6], v26
	; wave barrier
	s_wait_loadcnt_dscnt 0x0
	global_inv scope:SCOPE_SE
	ds_store_b64 v1, v[11:12]
	ds_store_b64 v2, v[9:10]
	; wave barrier
	s_wait_loadcnt_dscnt 0x0
	global_inv scope:SCOPE_SE
	ds_load_b128 v[1:4], v25
	s_add_co_i32 s24, s24, -4
	s_mov_b32 s25, 0
	; wave barrier
	s_wait_loadcnt_dscnt 0x0
	global_inv scope:SCOPE_SE
	s_branch .LBB204_31
.LBB204_45:
	v_lshlrev_b32_e32 v2, 2, v8
	v_lshlrev_b32_e32 v3, 2, v7
	s_wait_loadcnt 0x0
	; wave barrier
	global_inv scope:SCOPE_SE
	ds_store_b32 v2, v18
	ds_store_b32 v3, v15
	; wave barrier
	s_wait_loadcnt_dscnt 0x0
	global_inv scope:SCOPE_SE
	ds_load_b64 v[0:1], v26
	v_add_nc_u32_e32 v2, v2, v2
	v_add_nc_u32_e32 v3, v3, v3
	; wave barrier
	s_wait_loadcnt_dscnt 0x0
	global_inv scope:SCOPE_SE
	ds_store_b64 v2, v[11:12]
	ds_store_b64 v3, v[9:10]
	; wave barrier
	s_wait_loadcnt_dscnt 0x0
	global_inv scope:SCOPE_SE
	ds_load_b128 v[5:8], v25
	v_cmp_gt_i32_e32 vcc_lo, 0, v0
	s_wait_alu 0xfffd
	v_cndmask_b32_e64 v2, 0x7fffffff, 0, vcc_lo
	v_cmp_gt_i32_e32 vcc_lo, 0, v1
	s_delay_alu instid0(VALU_DEP_2) | instskip(SKIP_2) | instid1(VALU_DEP_1)
	v_xor_b32_e32 v9, v2, v0
	s_wait_alu 0xfffd
	v_cndmask_b32_e64 v3, 0x7fffffff, 0, vcc_lo
	v_xor_b32_e32 v10, v3, v1
.LBB204_46:
	; wave barrier
	s_wait_loadcnt_dscnt 0x0
	global_inv scope:SCOPE_SE
	ds_store_2addr_b32 v21, v9, v10 offset1:1
	; wave barrier
	s_wait_loadcnt_dscnt 0x0
	global_inv scope:SCOPE_SE
	ds_load_b32 v2, v22 offset:64
	v_mov_b32_e32 v17, 0
	s_delay_alu instid0(VALU_DEP_1) | instskip(NEXT) | instid1(VALU_DEP_1)
	v_lshlrev_b64_e32 v[0:1], 2, v[16:17]
	v_add_co_u32 v0, vcc_lo, s22, v0
	s_wait_alu 0xfffd
	s_delay_alu instid0(VALU_DEP_2)
	v_add_co_ci_u32_e64 v1, null, s23, v1, vcc_lo
	s_and_saveexec_b32 s2, s0
	s_cbranch_execz .LBB204_48
; %bb.47:
	ds_load_b32 v3, v22
	s_wait_dscnt 0x0
	global_store_b32 v[0:1], v3, off
.LBB204_48:
	s_wait_alu 0xfffe
	s_or_b32 exec_lo, exec_lo, s2
	s_and_saveexec_b32 s2, s1
	s_cbranch_execz .LBB204_50
; %bb.49:
	s_lshl_b32 s4, s18, 4
	s_mov_b32 s5, 0
	s_wait_alu 0xfffe
	s_lshl_b64 s[4:5], s[4:5], 2
	s_wait_alu 0xfffe
	v_add_co_u32 v0, vcc_lo, v0, s4
	s_wait_alu 0xfffd
	v_add_co_ci_u32_e64 v1, null, s5, v1, vcc_lo
	s_wait_dscnt 0x0
	global_store_b32 v[0:1], v2, off
.LBB204_50:
	s_wait_alu 0xfffe
	s_or_b32 exec_lo, exec_lo, s2
	s_wait_storecnt 0x0
	; wave barrier
	s_wait_loadcnt_dscnt 0x0
	global_inv scope:SCOPE_SE
	ds_store_2addr_b64 v24, v[5:6], v[7:8] offset1:1
	; wave barrier
	s_wait_loadcnt_dscnt 0x0
	global_inv scope:SCOPE_SE
	ds_load_b64 v[0:1], v21 offset:128
	v_mov_b32_e32 v14, 0
	s_delay_alu instid0(VALU_DEP_1) | instskip(NEXT) | instid1(VALU_DEP_1)
	v_lshlrev_b64_e32 v[2:3], 3, v[13:14]
	v_add_co_u32 v2, vcc_lo, s16, v2
	s_wait_alu 0xfffd
	s_delay_alu instid0(VALU_DEP_2)
	v_add_co_ci_u32_e64 v3, null, s17, v3, vcc_lo
	s_and_saveexec_b32 s2, s0
	s_cbranch_execz .LBB204_52
; %bb.51:
	ds_load_b64 v[4:5], v23
	s_wait_dscnt 0x0
	global_store_b64 v[2:3], v[4:5], off
.LBB204_52:
	s_wait_alu 0xfffe
	s_or_b32 exec_lo, exec_lo, s2
	s_and_saveexec_b32 s0, s1
	s_cbranch_execz .LBB204_54
; %bb.53:
	s_lshl_b32 s0, s20, 4
	s_mov_b32 s1, 0
	s_delay_alu instid0(SALU_CYCLE_1) | instskip(NEXT) | instid1(SALU_CYCLE_1)
	s_lshl_b64 s[0:1], s[0:1], 3
	v_add_co_u32 v2, vcc_lo, v2, s0
	s_wait_alu 0xfffd
	v_add_co_ci_u32_e64 v3, null, s1, v3, vcc_lo
	s_wait_dscnt 0x0
	global_store_b64 v[2:3], v[0:1], off
.LBB204_54:
	s_endpgm
	.section	.rodata,"a",@progbits
	.p2align	6, 0x0
	.amdhsa_kernel _ZN2at6native18radixSortKVInPlaceILin2ELin1ELi16ELi2EfljEEvNS_4cuda6detail10TensorInfoIT3_T5_EES6_S6_S6_NS4_IT4_S6_EES6_b
		.amdhsa_group_segment_fixed_size 528
		.amdhsa_private_segment_fixed_size 0
		.amdhsa_kernarg_size 712
		.amdhsa_user_sgpr_count 2
		.amdhsa_user_sgpr_dispatch_ptr 0
		.amdhsa_user_sgpr_queue_ptr 0
		.amdhsa_user_sgpr_kernarg_segment_ptr 1
		.amdhsa_user_sgpr_dispatch_id 0
		.amdhsa_user_sgpr_private_segment_size 0
		.amdhsa_wavefront_size32 1
		.amdhsa_uses_dynamic_stack 0
		.amdhsa_enable_private_segment 0
		.amdhsa_system_sgpr_workgroup_id_x 1
		.amdhsa_system_sgpr_workgroup_id_y 1
		.amdhsa_system_sgpr_workgroup_id_z 1
		.amdhsa_system_sgpr_workgroup_info 0
		.amdhsa_system_vgpr_workitem_id 0
		.amdhsa_next_free_vgpr 40
		.amdhsa_next_free_sgpr 26
		.amdhsa_reserve_vcc 1
		.amdhsa_float_round_mode_32 0
		.amdhsa_float_round_mode_16_64 0
		.amdhsa_float_denorm_mode_32 3
		.amdhsa_float_denorm_mode_16_64 3
		.amdhsa_fp16_overflow 0
		.amdhsa_workgroup_processor_mode 1
		.amdhsa_memory_ordered 1
		.amdhsa_forward_progress 1
		.amdhsa_inst_pref_size 32
		.amdhsa_round_robin_scheduling 0
		.amdhsa_exception_fp_ieee_invalid_op 0
		.amdhsa_exception_fp_denorm_src 0
		.amdhsa_exception_fp_ieee_div_zero 0
		.amdhsa_exception_fp_ieee_overflow 0
		.amdhsa_exception_fp_ieee_underflow 0
		.amdhsa_exception_fp_ieee_inexact 0
		.amdhsa_exception_int_div_zero 0
	.end_amdhsa_kernel
	.section	.text._ZN2at6native18radixSortKVInPlaceILin2ELin1ELi16ELi2EfljEEvNS_4cuda6detail10TensorInfoIT3_T5_EES6_S6_S6_NS4_IT4_S6_EES6_b,"axG",@progbits,_ZN2at6native18radixSortKVInPlaceILin2ELin1ELi16ELi2EfljEEvNS_4cuda6detail10TensorInfoIT3_T5_EES6_S6_S6_NS4_IT4_S6_EES6_b,comdat
.Lfunc_end204:
	.size	_ZN2at6native18radixSortKVInPlaceILin2ELin1ELi16ELi2EfljEEvNS_4cuda6detail10TensorInfoIT3_T5_EES6_S6_S6_NS4_IT4_S6_EES6_b, .Lfunc_end204-_ZN2at6native18radixSortKVInPlaceILin2ELin1ELi16ELi2EfljEEvNS_4cuda6detail10TensorInfoIT3_T5_EES6_S6_S6_NS4_IT4_S6_EES6_b
                                        ; -- End function
	.set _ZN2at6native18radixSortKVInPlaceILin2ELin1ELi16ELi2EfljEEvNS_4cuda6detail10TensorInfoIT3_T5_EES6_S6_S6_NS4_IT4_S6_EES6_b.num_vgpr, 40
	.set _ZN2at6native18radixSortKVInPlaceILin2ELin1ELi16ELi2EfljEEvNS_4cuda6detail10TensorInfoIT3_T5_EES6_S6_S6_NS4_IT4_S6_EES6_b.num_agpr, 0
	.set _ZN2at6native18radixSortKVInPlaceILin2ELin1ELi16ELi2EfljEEvNS_4cuda6detail10TensorInfoIT3_T5_EES6_S6_S6_NS4_IT4_S6_EES6_b.numbered_sgpr, 26
	.set _ZN2at6native18radixSortKVInPlaceILin2ELin1ELi16ELi2EfljEEvNS_4cuda6detail10TensorInfoIT3_T5_EES6_S6_S6_NS4_IT4_S6_EES6_b.num_named_barrier, 0
	.set _ZN2at6native18radixSortKVInPlaceILin2ELin1ELi16ELi2EfljEEvNS_4cuda6detail10TensorInfoIT3_T5_EES6_S6_S6_NS4_IT4_S6_EES6_b.private_seg_size, 0
	.set _ZN2at6native18radixSortKVInPlaceILin2ELin1ELi16ELi2EfljEEvNS_4cuda6detail10TensorInfoIT3_T5_EES6_S6_S6_NS4_IT4_S6_EES6_b.uses_vcc, 1
	.set _ZN2at6native18radixSortKVInPlaceILin2ELin1ELi16ELi2EfljEEvNS_4cuda6detail10TensorInfoIT3_T5_EES6_S6_S6_NS4_IT4_S6_EES6_b.uses_flat_scratch, 0
	.set _ZN2at6native18radixSortKVInPlaceILin2ELin1ELi16ELi2EfljEEvNS_4cuda6detail10TensorInfoIT3_T5_EES6_S6_S6_NS4_IT4_S6_EES6_b.has_dyn_sized_stack, 0
	.set _ZN2at6native18radixSortKVInPlaceILin2ELin1ELi16ELi2EfljEEvNS_4cuda6detail10TensorInfoIT3_T5_EES6_S6_S6_NS4_IT4_S6_EES6_b.has_recursion, 0
	.set _ZN2at6native18radixSortKVInPlaceILin2ELin1ELi16ELi2EfljEEvNS_4cuda6detail10TensorInfoIT3_T5_EES6_S6_S6_NS4_IT4_S6_EES6_b.has_indirect_call, 0
	.section	.AMDGPU.csdata,"",@progbits
; Kernel info:
; codeLenInByte = 4092
; TotalNumSgprs: 28
; NumVgprs: 40
; ScratchSize: 0
; MemoryBound: 0
; FloatMode: 240
; IeeeMode: 1
; LDSByteSize: 528 bytes/workgroup (compile time only)
; SGPRBlocks: 0
; VGPRBlocks: 4
; NumSGPRsForWavesPerEU: 28
; NumVGPRsForWavesPerEU: 40
; Occupancy: 16
; WaveLimiterHint : 1
; COMPUTE_PGM_RSRC2:SCRATCH_EN: 0
; COMPUTE_PGM_RSRC2:USER_SGPR: 2
; COMPUTE_PGM_RSRC2:TRAP_HANDLER: 0
; COMPUTE_PGM_RSRC2:TGID_X_EN: 1
; COMPUTE_PGM_RSRC2:TGID_Y_EN: 1
; COMPUTE_PGM_RSRC2:TGID_Z_EN: 1
; COMPUTE_PGM_RSRC2:TIDIG_COMP_CNT: 0
	.section	.text._ZN2at6native18radixSortKVInPlaceILi2ELin1ELi512ELi8EfljEEvNS_4cuda6detail10TensorInfoIT3_T5_EES6_S6_S6_NS4_IT4_S6_EES6_b,"axG",@progbits,_ZN2at6native18radixSortKVInPlaceILi2ELin1ELi512ELi8EfljEEvNS_4cuda6detail10TensorInfoIT3_T5_EES6_S6_S6_NS4_IT4_S6_EES6_b,comdat
	.protected	_ZN2at6native18radixSortKVInPlaceILi2ELin1ELi512ELi8EfljEEvNS_4cuda6detail10TensorInfoIT3_T5_EES6_S6_S6_NS4_IT4_S6_EES6_b ; -- Begin function _ZN2at6native18radixSortKVInPlaceILi2ELin1ELi512ELi8EfljEEvNS_4cuda6detail10TensorInfoIT3_T5_EES6_S6_S6_NS4_IT4_S6_EES6_b
	.globl	_ZN2at6native18radixSortKVInPlaceILi2ELin1ELi512ELi8EfljEEvNS_4cuda6detail10TensorInfoIT3_T5_EES6_S6_S6_NS4_IT4_S6_EES6_b
	.p2align	8
	.type	_ZN2at6native18radixSortKVInPlaceILi2ELin1ELi512ELi8EfljEEvNS_4cuda6detail10TensorInfoIT3_T5_EES6_S6_S6_NS4_IT4_S6_EES6_b,@function
_ZN2at6native18radixSortKVInPlaceILi2ELin1ELi512ELi8EfljEEvNS_4cuda6detail10TensorInfoIT3_T5_EES6_S6_S6_NS4_IT4_S6_EES6_b: ; @_ZN2at6native18radixSortKVInPlaceILi2ELin1ELi512ELi8EfljEEvNS_4cuda6detail10TensorInfoIT3_T5_EES6_S6_S6_NS4_IT4_S6_EES6_b
; %bb.0:
	s_clause 0x1
	s_load_b64 s[2:3], s[0:1], 0x1c8
	s_load_b96 s[24:26], s[0:1], 0xd8
	s_lshr_b32 s4, ttmp7, 16
	s_wait_kmcnt 0x0
	s_mul_i32 s3, s3, s4
	s_and_b32 s4, ttmp7, 0xffff
	s_delay_alu instid0(SALU_CYCLE_1) | instskip(NEXT) | instid1(SALU_CYCLE_1)
	s_add_co_i32 s3, s3, s4
	s_mul_i32 s2, s3, s2
	s_delay_alu instid0(SALU_CYCLE_1) | instskip(NEXT) | instid1(SALU_CYCLE_1)
	s_add_co_i32 s2, s2, ttmp9
	s_cmp_ge_u32 s2, s24
	s_cbranch_scc1 .LBB205_110
; %bb.1:
	s_clause 0x2
	s_load_b32 s10, s[0:1], 0xc
	s_load_b64 s[4:5], s[0:1], 0x6c
	s_load_b32 s8, s[0:1], 0x1b8
	s_add_nc_u64 s[14:15], s[0:1], 0xe8
	s_mov_b32 s18, s2
	s_wait_kmcnt 0x0
	s_cvt_f32_u32 s3, s10
	s_delay_alu instid0(SALU_CYCLE_3) | instskip(NEXT) | instid1(TRANS32_DEP_1)
	v_rcp_iflag_f32_e32 v1, s3
	v_readfirstlane_b32 s3, v1
	s_mul_f32 s3, s3, 0x4f7ffffe
	s_wait_alu 0xfffe
	s_delay_alu instid0(SALU_CYCLE_2) | instskip(SKIP_2) | instid1(SALU_CYCLE_1)
	s_cvt_u32_f32 s6, s3
	s_sub_co_i32 s3, 0, s10
	s_wait_alu 0xfffe
	s_mul_i32 s7, s3, s6
	s_mov_b32 s3, 0
	s_mul_hi_u32 s9, s6, s7
	s_wait_alu 0xfffe
	s_mov_b32 s7, s3
	s_add_co_i32 s6, s6, s9
	s_cmp_lt_i32 s8, 2
	s_mov_b32 s13, s3
	s_cbranch_scc1 .LBB205_4
; %bb.2:
	s_add_co_i32 s12, s8, -1
	s_mov_b32 s13, 0
	s_add_co_i32 s11, s8, 1
	s_lshl_b64 s[16:17], s[12:13], 2
	s_mov_b32 s18, s2
	s_add_nc_u64 s[16:17], s[14:15], s[16:17]
	s_delay_alu instid0(SALU_CYCLE_1)
	s_add_nc_u64 s[8:9], s[16:17], 8
.LBB205_3:                              ; =>This Inner Loop Header: Depth=1
	s_clause 0x1
	s_load_b32 s12, s[8:9], 0x0
	s_load_b32 s16, s[8:9], 0x64
	s_mov_b32 s20, s18
	s_add_nc_u64 s[8:9], s[8:9], -4
	s_wait_kmcnt 0x0
	s_cvt_f32_u32 s17, s12
	s_sub_co_i32 s19, 0, s12
	s_wait_alu 0xfffe
	s_delay_alu instid0(SALU_CYCLE_1) | instskip(NEXT) | instid1(TRANS32_DEP_1)
	v_rcp_iflag_f32_e32 v1, s17
	v_readfirstlane_b32 s17, v1
	s_mul_f32 s17, s17, 0x4f7ffffe
	s_wait_alu 0xfffe
	s_delay_alu instid0(SALU_CYCLE_2) | instskip(SKIP_1) | instid1(SALU_CYCLE_2)
	s_cvt_u32_f32 s17, s17
	s_wait_alu 0xfffe
	s_mul_i32 s19, s19, s17
	s_delay_alu instid0(SALU_CYCLE_1) | instskip(NEXT) | instid1(SALU_CYCLE_1)
	s_mul_hi_u32 s19, s17, s19
	s_add_co_i32 s17, s17, s19
	s_wait_alu 0xfffe
	s_mul_hi_u32 s17, s18, s17
	s_wait_alu 0xfffe
	s_mul_i32 s18, s17, s12
	s_add_co_i32 s19, s17, 1
	s_sub_co_i32 s18, s20, s18
	s_delay_alu instid0(SALU_CYCLE_1)
	s_sub_co_i32 s21, s18, s12
	s_cmp_ge_u32 s18, s12
	s_cselect_b32 s17, s19, s17
	s_cselect_b32 s18, s21, s18
	s_wait_alu 0xfffe
	s_add_co_i32 s19, s17, 1
	s_cmp_ge_u32 s18, s12
	s_cselect_b32 s18, s19, s17
	s_add_co_i32 s11, s11, -1
	s_mul_i32 s12, s18, s12
	s_delay_alu instid0(SALU_CYCLE_1) | instskip(NEXT) | instid1(SALU_CYCLE_1)
	s_sub_co_i32 s12, s20, s12
	s_mul_i32 s12, s16, s12
	s_delay_alu instid0(SALU_CYCLE_1)
	s_add_co_i32 s13, s12, s13
	s_cmp_gt_u32 s11, 2
	s_cbranch_scc1 .LBB205_3
.LBB205_4:
	s_mul_u64 s[6:7], s[2:3], s[6:7]
	s_clause 0x1
	s_load_b64 s[16:17], s[0:1], 0x0
	s_load_b64 s[28:29], s[0:1], 0x1c0
	s_mul_i32 s3, s7, s10
	s_add_nc_u64 s[34:35], s[0:1], 0x1c8
	s_wait_alu 0xfffe
	s_sub_co_i32 s0, s2, s3
	s_add_co_i32 s1, s7, 1
	s_sub_co_i32 s3, s0, s10
	s_cmp_ge_u32 s0, s10
	s_cselect_b32 s1, s1, s7
	s_wait_alu 0xfffe
	s_cselect_b32 s0, s3, s0
	s_add_co_i32 s3, s1, 1
	s_cmp_ge_u32 s0, s10
	s_wait_alu 0xfffe
	s_cselect_b32 s0, s3, s1
	s_mov_b32 s3, 0
	s_mul_i32 s1, s0, s10
	s_mul_i32 s0, s0, s4
	s_sub_co_i32 s1, s2, s1
	s_delay_alu instid0(SALU_CYCLE_1) | instskip(NEXT) | instid1(SALU_CYCLE_1)
	s_mul_i32 s1, s1, s5
	s_add_co_i32 s2, s0, s1
	s_wait_kmcnt 0x0
	s_bitcmp1_b32 s29, 0
	s_cselect_b32 s12, -1, 0
	s_delay_alu instid0(SALU_CYCLE_1)
	s_and_b32 s0, s12, exec_lo
	s_cselect_b32 s4, -1, 0x7fffffff
	s_wait_alu 0xfffe
	s_lshl_b64 s[2:3], s[2:3], 2
	s_mov_b32 s5, s4
	s_mov_b32 s6, s4
	;; [unrolled: 1-line block ×7, first 2 shown]
	v_and_b32_e32 v45, 0x3ff, v0
	v_dual_mov_b32 v1, s4 :: v_dual_mov_b32 v4, s7
	v_dual_mov_b32 v2, s5 :: v_dual_mov_b32 v3, s6
	v_mov_b32_e32 v6, s9
	s_delay_alu instid0(VALU_DEP_4)
	v_mul_lo_u32 v43, s26, v45
	v_cmp_gt_u32_e64 s0, s25, v45
	v_dual_mov_b32 v5, s8 :: v_dual_mov_b32 v8, s11
	v_mov_b32_e32 v7, s10
	v_mov_b32_e32 v9, s4
	s_wait_alu 0xfffe
	s_add_nc_u64 s[30:31], s[16:17], s[2:3]
	s_and_saveexec_b32 s1, s0
	s_cbranch_execz .LBB205_6
; %bb.5:
	v_mov_b32_e32 v44, 0
	s_delay_alu instid0(VALU_DEP_1) | instskip(NEXT) | instid1(VALU_DEP_1)
	v_lshlrev_b64_e32 v[1:2], 2, v[43:44]
	v_add_co_u32 v1, vcc_lo, s30, v1
	s_delay_alu instid0(VALU_DEP_1)
	v_add_co_ci_u32_e64 v2, null, s31, v2, vcc_lo
	global_load_b32 v9, v[1:2], off
	v_dual_mov_b32 v1, s4 :: v_dual_mov_b32 v2, s5
	v_dual_mov_b32 v3, s6 :: v_dual_mov_b32 v4, s7
	;; [unrolled: 1-line block ×4, first 2 shown]
.LBB205_6:
	s_or_b32 exec_lo, exec_lo, s1
	v_add_nc_u32_e32 v15, 0x200, v45
	s_delay_alu instid0(VALU_DEP_1)
	v_cmp_gt_u32_e64 s1, s25, v15
	s_and_saveexec_b32 s2, s1
	s_cbranch_execz .LBB205_8
; %bb.7:
	v_mul_lo_u32 v1, s26, v15
	v_mov_b32_e32 v2, 0
	s_delay_alu instid0(VALU_DEP_1) | instskip(NEXT) | instid1(VALU_DEP_1)
	v_lshlrev_b64_e32 v[1:2], 2, v[1:2]
	v_add_co_u32 v1, vcc_lo, s30, v1
	s_wait_alu 0xfffd
	s_delay_alu instid0(VALU_DEP_2)
	v_add_co_ci_u32_e64 v2, null, s31, v2, vcc_lo
	global_load_b32 v2, v[1:2], off
.LBB205_8:
	s_wait_alu 0xfffe
	s_or_b32 exec_lo, exec_lo, s2
	v_or_b32_e32 v16, 0x400, v45
	s_delay_alu instid0(VALU_DEP_1)
	v_cmp_gt_u32_e64 s2, s25, v16
	s_and_saveexec_b32 s3, s2
	s_cbranch_execz .LBB205_10
; %bb.9:
	v_mul_lo_u32 v10, s26, v16
	v_mov_b32_e32 v11, 0
	s_delay_alu instid0(VALU_DEP_1) | instskip(NEXT) | instid1(VALU_DEP_1)
	v_lshlrev_b64_e32 v[10:11], 2, v[10:11]
	v_add_co_u32 v10, vcc_lo, s30, v10
	s_wait_alu 0xfffd
	s_delay_alu instid0(VALU_DEP_2)
	v_add_co_ci_u32_e64 v11, null, s31, v11, vcc_lo
	global_load_b32 v3, v[10:11], off
.LBB205_10:
	s_wait_alu 0xfffe
	s_or_b32 exec_lo, exec_lo, s3
	v_add_nc_u32_e32 v17, 0x600, v45
	s_delay_alu instid0(VALU_DEP_1)
	v_cmp_gt_u32_e64 s3, s25, v17
	s_and_saveexec_b32 s4, s3
	s_cbranch_execz .LBB205_12
; %bb.11:
	v_mul_lo_u32 v10, s26, v17
	v_mov_b32_e32 v11, 0
	s_delay_alu instid0(VALU_DEP_1) | instskip(NEXT) | instid1(VALU_DEP_1)
	v_lshlrev_b64_e32 v[10:11], 2, v[10:11]
	v_add_co_u32 v10, vcc_lo, s30, v10
	s_wait_alu 0xfffd
	s_delay_alu instid0(VALU_DEP_2)
	v_add_co_ci_u32_e64 v11, null, s31, v11, vcc_lo
	global_load_b32 v4, v[10:11], off
.LBB205_12:
	s_wait_alu 0xfffe
	s_or_b32 exec_lo, exec_lo, s4
	v_or_b32_e32 v18, 0x800, v45
	s_delay_alu instid0(VALU_DEP_1)
	v_cmp_gt_u32_e64 s4, s25, v18
	s_and_saveexec_b32 s5, s4
	s_cbranch_execz .LBB205_14
; %bb.13:
	v_mul_lo_u32 v10, s26, v18
	v_mov_b32_e32 v11, 0
	s_delay_alu instid0(VALU_DEP_1) | instskip(NEXT) | instid1(VALU_DEP_1)
	v_lshlrev_b64_e32 v[10:11], 2, v[10:11]
	v_add_co_u32 v10, vcc_lo, s30, v10
	s_wait_alu 0xfffd
	s_delay_alu instid0(VALU_DEP_2)
	v_add_co_ci_u32_e64 v11, null, s31, v11, vcc_lo
	global_load_b32 v5, v[10:11], off
.LBB205_14:
	s_wait_alu 0xfffe
	s_or_b32 exec_lo, exec_lo, s5
	v_add_nc_u32_e32 v19, 0xa00, v45
	s_delay_alu instid0(VALU_DEP_1)
	v_cmp_gt_u32_e64 s5, s25, v19
	s_and_saveexec_b32 s6, s5
	s_cbranch_execz .LBB205_16
; %bb.15:
	v_mul_lo_u32 v10, s26, v19
	v_mov_b32_e32 v11, 0
	s_delay_alu instid0(VALU_DEP_1) | instskip(NEXT) | instid1(VALU_DEP_1)
	v_lshlrev_b64_e32 v[10:11], 2, v[10:11]
	v_add_co_u32 v10, vcc_lo, s30, v10
	s_wait_alu 0xfffd
	s_delay_alu instid0(VALU_DEP_2)
	v_add_co_ci_u32_e64 v11, null, s31, v11, vcc_lo
	global_load_b32 v6, v[10:11], off
.LBB205_16:
	s_wait_alu 0xfffe
	s_or_b32 exec_lo, exec_lo, s6
	v_or_b32_e32 v20, 0xc00, v45
	s_delay_alu instid0(VALU_DEP_1)
	v_cmp_gt_u32_e64 s6, s25, v20
	s_and_saveexec_b32 s7, s6
	s_cbranch_execz .LBB205_18
; %bb.17:
	v_mul_lo_u32 v10, s26, v20
	v_mov_b32_e32 v11, 0
	s_delay_alu instid0(VALU_DEP_1) | instskip(NEXT) | instid1(VALU_DEP_1)
	v_lshlrev_b64_e32 v[10:11], 2, v[10:11]
	v_add_co_u32 v10, vcc_lo, s30, v10
	s_wait_alu 0xfffd
	s_delay_alu instid0(VALU_DEP_2)
	v_add_co_ci_u32_e64 v11, null, s31, v11, vcc_lo
	global_load_b32 v7, v[10:11], off
.LBB205_18:
	s_wait_alu 0xfffe
	s_or_b32 exec_lo, exec_lo, s7
	s_clause 0x1
	s_load_b32 s10, s[14:15], 0x6c
	s_load_b64 s[8:9], s[14:15], 0x0
	v_add_nc_u32_e32 v21, 0xe00, v45
	s_delay_alu instid0(VALU_DEP_1)
	v_cmp_gt_u32_e64 s7, s25, v21
	s_and_saveexec_b32 s11, s7
	s_cbranch_execz .LBB205_20
; %bb.19:
	v_mul_lo_u32 v10, s26, v21
	v_mov_b32_e32 v11, 0
	s_delay_alu instid0(VALU_DEP_1) | instskip(NEXT) | instid1(VALU_DEP_1)
	v_lshlrev_b64_e32 v[10:11], 2, v[10:11]
	v_add_co_u32 v10, vcc_lo, s30, v10
	s_wait_alu 0xfffd
	s_delay_alu instid0(VALU_DEP_2)
	v_add_co_ci_u32_e64 v11, null, s31, v11, vcc_lo
	global_load_b32 v8, v[10:11], off
.LBB205_20:
	s_wait_alu 0xfffe
	s_or_b32 exec_lo, exec_lo, s11
	v_lshrrev_b32_e32 v1, 5, v15
	v_lshrrev_b32_e32 v24, 5, v45
	;; [unrolled: 1-line block ×3, first 2 shown]
	s_wait_kmcnt 0x0
	s_mul_i32 s10, s10, s18
	v_mul_lo_u32 v40, s28, v45
	v_add_nc_u32_e32 v25, v1, v45
	v_lshrrev_b32_e32 v1, 5, v17
	v_dual_mov_b32 v41, 0 :: v_dual_add_nc_u32 v26, v24, v45
	v_lshlrev_b32_e32 v91, 3, v45
	v_add_nc_u32_e32 v22, v10, v45
	s_delay_alu instid0(VALU_DEP_4) | instskip(SKIP_2) | instid1(VALU_DEP_4)
	v_add_nc_u32_e32 v23, v1, v45
	v_lshrrev_b32_e32 v1, 5, v18
	v_lshlrev_b32_e32 v72, 2, v26
	v_dual_mov_b32 v42, v41 :: v_dual_lshlrev_b32 v73, 2, v22
	s_delay_alu instid0(VALU_DEP_4) | instskip(NEXT) | instid1(VALU_DEP_4)
	v_lshlrev_b32_e32 v74, 2, v23
	v_add_nc_u32_e32 v27, v1, v45
	v_lshrrev_b32_e32 v1, 5, v19
	s_mov_b32 s11, 0
	v_mov_b32_e32 v10, v41
	s_wait_alu 0xfffe
	s_add_co_i32 s10, s10, s13
	v_lshlrev_b32_e32 v75, 2, v27
	v_add_nc_u32_e32 v31, v1, v45
	v_lshrrev_b32_e32 v1, 2, v45
	v_mov_b32_e32 v13, 0
	v_mov_b32_e32 v14, 0
	v_lshlrev_b32_e32 v44, 2, v25
	v_dual_mov_b32 v11, v41 :: v_dual_lshlrev_b32 v76, 2, v31
	v_add_nc_u32_e32 v30, v1, v91
	v_mov_b32_e32 v1, v41
	s_wait_loadcnt 0x0
	ds_store_b32 v72, v9
	ds_store_b32 v44, v2 offset:2048
	ds_store_b32 v73, v3 offset:4096
	v_lshrrev_b32_e32 v2, 5, v20
	v_lshrrev_b32_e32 v3, 5, v21
	v_lshlrev_b32_e32 v79, 2, v30
	ds_store_b32 v74, v4 offset:6144
	ds_store_b32 v75, v5 offset:8192
	v_dual_mov_b32 v2, v41 :: v_dual_add_nc_u32 v29, v2, v45
	v_dual_mov_b32 v9, v41 :: v_dual_add_nc_u32 v28, v3, v45
	v_mov_b32_e32 v3, v41
	s_delay_alu instid0(VALU_DEP_3) | instskip(NEXT) | instid1(VALU_DEP_3)
	v_dual_mov_b32 v4, v41 :: v_dual_lshlrev_b32 v77, 2, v29
	v_lshlrev_b32_e32 v78, 2, v28
	ds_store_b32 v76, v6 offset:10240
	ds_store_b32 v77, v7 offset:12288
	;; [unrolled: 1-line block ×3, first 2 shown]
	s_wait_dscnt 0x0
	s_barrier_signal -1
	s_barrier_wait -1
	global_inv scope:SCOPE_SE
	v_mov_b32_e32 v8, v41
	ds_load_2addr_b32 v[52:53], v79 offset1:1
	ds_load_2addr_b32 v[50:51], v79 offset0:2 offset1:3
	ds_load_2addr_b32 v[48:49], v79 offset0:4 offset1:5
	;; [unrolled: 1-line block ×3, first 2 shown]
	v_dual_mov_b32 v5, v41 :: v_dual_mov_b32 v6, v41
	v_dual_mov_b32 v7, v41 :: v_dual_mov_b32 v12, v41
	s_wait_alu 0xfffe
	s_lshl_b64 s[10:11], s[10:11], 3
	s_wait_loadcnt_dscnt 0x0
	s_wait_alu 0xfffe
	s_add_nc_u64 s[24:25], s[8:9], s[10:11]
	s_barrier_signal -1
	s_barrier_wait -1
	global_inv scope:SCOPE_SE
	s_and_saveexec_b32 s8, s0
	s_cbranch_execnz .LBB205_56
; %bb.21:
	s_wait_alu 0xfffe
	s_or_b32 exec_lo, exec_lo, s8
	s_and_saveexec_b32 s8, s1
	s_cbranch_execnz .LBB205_57
.LBB205_22:
	s_wait_alu 0xfffe
	s_or_b32 exec_lo, exec_lo, s8
	s_and_saveexec_b32 s8, s2
	s_cbranch_execnz .LBB205_58
.LBB205_23:
	s_wait_alu 0xfffe
	s_or_b32 exec_lo, exec_lo, s8
	s_and_saveexec_b32 s8, s3
	s_cbranch_execnz .LBB205_59
.LBB205_24:
	s_wait_alu 0xfffe
	s_or_b32 exec_lo, exec_lo, s8
	s_and_saveexec_b32 s8, s4
	s_cbranch_execnz .LBB205_60
.LBB205_25:
	s_wait_alu 0xfffe
	s_or_b32 exec_lo, exec_lo, s8
	s_and_saveexec_b32 s8, s5
	s_cbranch_execnz .LBB205_61
.LBB205_26:
	s_wait_alu 0xfffe
	s_or_b32 exec_lo, exec_lo, s8
	s_and_saveexec_b32 s8, s6
	s_cbranch_execnz .LBB205_62
.LBB205_27:
	s_wait_alu 0xfffe
	s_or_b32 exec_lo, exec_lo, s8
	s_xor_b32 s8, s12, -1
	s_and_saveexec_b32 s9, s7
	s_cbranch_execz .LBB205_29
.LBB205_28:
	v_mul_lo_u32 v11, s28, v21
	v_mov_b32_e32 v12, 0
	s_delay_alu instid0(VALU_DEP_1) | instskip(NEXT) | instid1(VALU_DEP_1)
	v_lshlrev_b64_e32 v[11:12], 3, v[11:12]
	v_add_co_u32 v11, vcc_lo, s24, v11
	s_wait_alu 0xfffd
	s_delay_alu instid0(VALU_DEP_2)
	v_add_co_ci_u32_e64 v12, null, s25, v12, vcc_lo
	global_load_b64 v[11:12], v[11:12], off
.LBB205_29:
	s_wait_alu 0xfffe
	s_or_b32 exec_lo, exec_lo, s9
	v_lshlrev_b32_e32 v80, 3, v26
	v_lshlrev_b32_e32 v83, 3, v23
	;; [unrolled: 1-line block ×9, first 2 shown]
	s_wait_loadcnt 0x0
	ds_store_b64 v80, v[13:14]
	ds_store_b64 v81, v[41:42] offset:4096
	ds_store_b64 v82, v[9:10] offset:8192
	;; [unrolled: 1-line block ×7, first 2 shown]
	s_wait_dscnt 0x0
	s_barrier_signal -1
	s_barrier_wait -1
	global_inv scope:SCOPE_SE
	ds_load_2addr_b64 v[20:23], v88 offset1:1
	ds_load_2addr_b64 v[16:19], v88 offset0:2 offset1:3
	ds_load_2addr_b64 v[12:15], v88 offset0:4 offset1:5
	ds_load_2addr_b64 v[8:11], v88 offset0:6 offset1:7
	s_and_b32 vcc_lo, exec_lo, s8
	v_bfe_u32 v95, v0, 10, 10
	v_bfe_u32 v96, v0, 20, 10
	v_mbcnt_lo_u32_b32 v93, -1, 0
	v_and_b32_e32 v94, 0x3e0, v45
	v_lshlrev_b32_e32 v89, 2, v91
	v_cmp_gt_u32_e64 s8, 16, v45
	v_cmp_lt_u32_e64 s9, 31, v45
	v_cmp_eq_u32_e64 s10, 0, v45
	v_lshlrev_b32_e32 v90, 2, v24
	v_mul_i32_i24_e32 v92, 0xffffffe4, v45
	s_wait_loadcnt_dscnt 0x0
	s_barrier_signal -1
	s_barrier_wait -1
	global_inv scope:SCOPE_SE
	s_wait_alu 0xfffe
	s_cbranch_vccz .LBB205_63
; %bb.30:
	v_cmp_lt_i32_e32 vcc_lo, -1, v52
	v_or_b32_e32 v7, v93, v94
	v_and_or_b32 v25, 0x1f00, v91, v93
	s_mov_b32 s20, 0
	s_getpc_b64 s[12:13]
	s_sext_i32_i16 s13, s13
	s_add_co_u32 s12, s12, _ZN7rocprim17ROCPRIM_400000_NS16block_radix_sortIfLj512ELj8ElLj1ELj1ELj0ELNS0_26block_radix_rank_algorithmE1ELNS0_18block_padding_hintE2ELNS0_4arch9wavefront6targetE0EE19radix_bits_per_passE@rel32@lo+8
	s_add_co_ci_u32 s13, s13, _ZN7rocprim17ROCPRIM_400000_NS16block_radix_sortIfLj512ELj8ElLj1ELj1ELj0ELNS0_26block_radix_rank_algorithmE1ELNS0_18block_padding_hintE2ELNS0_4arch9wavefront6targetE0EE19radix_bits_per_passE@rel32@hi+16
	s_wait_alu 0xfffd
	v_cndmask_b32_e64 v0, -1, 0x80000000, vcc_lo
	v_cmp_lt_i32_e32 vcc_lo, -1, v53
	v_lshlrev_b32_e32 v26, 5, v7
	s_mov_b32 s21, s20
	s_mov_b32 s22, s20
	v_xor_b32_e32 v0, v0, v52
	s_wait_alu 0xfffd
	v_cndmask_b32_e64 v1, -1, 0x80000000, vcc_lo
	v_cmp_lt_i32_e32 vcc_lo, -1, v50
	s_mov_b32 s23, s20
	v_lshlrev_b32_e32 v97, 2, v25
	s_load_b32 s19, s[12:13], 0x0
	v_xor_b32_e32 v1, v1, v53
	v_cndmask_b32_e64 v2, -1, 0x80000000, vcc_lo
	v_cmp_lt_i32_e32 vcc_lo, -1, v51
	v_add_nc_u32_e32 v98, v97, v97
	v_and_b32_e32 v36, 16, v93
	v_add_nc_u32_e32 v101, v89, v92
	v_xor_b32_e32 v2, v2, v50
	s_wait_alu 0xfffd
	v_cndmask_b32_e64 v3, -1, 0x80000000, vcc_lo
	v_cmp_lt_i32_e32 vcc_lo, -1, v48
	v_cmp_eq_u32_e64 s16, 0, v36
	s_delay_alu instid0(VALU_DEP_3) | instskip(SKIP_3) | instid1(VALU_DEP_2)
	v_xor_b32_e32 v3, v3, v51
	s_wait_alu 0xfffd
	v_cndmask_b32_e64 v4, -1, 0x80000000, vcc_lo
	v_cmp_lt_i32_e32 vcc_lo, -1, v49
	v_xor_b32_e32 v4, v4, v48
	s_wait_alu 0xfffd
	v_cndmask_b32_e64 v5, -1, 0x80000000, vcc_lo
	v_cmp_lt_i32_e32 vcc_lo, -1, v46
	s_delay_alu instid0(VALU_DEP_2) | instskip(SKIP_3) | instid1(VALU_DEP_2)
	v_xor_b32_e32 v5, v5, v49
	s_wait_alu 0xfffd
	v_cndmask_b32_e64 v6, -1, 0x80000000, vcc_lo
	v_cmp_lt_i32_e32 vcc_lo, -1, v47
	v_xor_b32_e32 v6, v6, v46
	s_wait_alu 0xfffd
	v_cndmask_b32_e64 v24, -1, 0x80000000, vcc_lo
	s_delay_alu instid0(VALU_DEP_1)
	v_xor_b32_e32 v7, v24, v47
	ds_store_b128 v26, v[0:3]
	ds_store_b128 v26, v[4:7] offset:16
	v_add_nc_u32_e32 v0, v26, v26
	; wave barrier
	ds_load_2addr_b32 v[64:65], v97 offset1:32
	ds_load_2addr_b32 v[66:67], v97 offset0:64 offset1:96
	ds_load_2addr_b32 v[68:69], v97 offset0:128 offset1:160
	;; [unrolled: 1-line block ×3, first 2 shown]
	s_wait_loadcnt_dscnt 0x0
	s_barrier_signal -1
	s_barrier_wait -1
	global_inv scope:SCOPE_SE
	ds_store_b128 v0, v[20:23]
	ds_store_b128 v0, v[16:19] offset:16
	ds_store_b128 v0, v[12:15] offset:32
	;; [unrolled: 1-line block ×3, first 2 shown]
	; wave barrier
	ds_load_2addr_b64 v[4:7], v98 offset1:32
	ds_load_2addr_b64 v[24:27], v98 offset0:64 offset1:96
	ds_load_2addr_b64 v[28:31], v98 offset0:128 offset1:160
	;; [unrolled: 1-line block ×3, first 2 shown]
	s_wait_loadcnt_dscnt 0x0
	s_barrier_signal -1
	s_barrier_wait -1
	global_inv scope:SCOPE_SE
	s_load_b32 s11, s[34:35], 0xc
	v_and_b32_e32 v2, 15, v93
	s_delay_alu instid0(VALU_DEP_1)
	v_cmp_eq_u32_e64 s12, 0, v2
	v_cmp_lt_u32_e64 s13, 1, v2
	v_cmp_lt_u32_e64 s15, 7, v2
	s_wait_kmcnt 0x0
	s_lshr_b32 s14, s11, 16
	s_and_b32 s11, s11, 0xffff
	v_mad_u32_u24 v0, v96, s14, v95
	v_cmp_lt_u32_e64 s14, 3, v2
	s_wait_alu 0xfffe
	s_delay_alu instid0(VALU_DEP_2) | instskip(SKIP_2) | instid1(VALU_DEP_2)
	v_mad_co_u64_u32 v[0:1], null, v0, s11, v[45:46]
	v_sub_co_u32 v3, s11, v93, 1
	v_min_u32_e32 v1, 0x1e0, v94
	v_cmp_gt_i32_e32 vcc_lo, 0, v3
	s_delay_alu instid0(VALU_DEP_4) | instskip(NEXT) | instid1(VALU_DEP_3)
	v_lshrrev_b32_e32 v0, 3, v0
	v_or_b32_e32 v1, 31, v1
	s_wait_alu 0xfffd
	s_delay_alu instid0(VALU_DEP_2) | instskip(NEXT) | instid1(VALU_DEP_2)
	v_dual_cndmask_b32 v3, v3, v93 :: v_dual_and_b32 v100, 0x1ffffffc, v0
	v_cmp_eq_u32_e64 s17, v45, v1
	s_delay_alu instid0(VALU_DEP_2)
	v_dual_mov_b32 v0, s20 :: v_dual_lshlrev_b32 v99, 2, v3
	v_dual_mov_b32 v1, s21 :: v_dual_mov_b32 v2, s22
	v_mov_b32_e32 v3, s23
	s_mov_b32 s21, 32
	s_branch .LBB205_32
.LBB205_31:                             ;   in Loop: Header=BB205_32 Depth=1
	s_wait_alu 0xfffe
	s_and_not1_b32 vcc_lo, exec_lo, s18
	s_wait_alu 0xfffe
	s_cbranch_vccz .LBB205_64
.LBB205_32:                             ; =>This Inner Loop Header: Depth=1
	v_dual_mov_b32 v102, v64 :: v_dual_mov_b32 v103, v71
	s_wait_alu 0xfffe
	s_min_u32 s18, s19, s21
	ds_store_b128 v89, v[0:3] offset:64
	ds_store_b128 v89, v[0:3] offset:80
	s_wait_alu 0xfffe
	s_lshl_b32 s18, -1, s18
	v_cmp_ne_u32_e32 vcc_lo, 0x7fffffff, v102
	s_wait_alu 0xfffe
	s_not_b32 s22, s18
	s_wait_loadcnt_dscnt 0x0
	s_barrier_signal -1
	s_barrier_wait -1
	s_wait_alu 0xfffd
	v_dual_cndmask_b32 v36, 0x80000000, v102 :: v_dual_mov_b32 v105, v69
	global_inv scope:SCOPE_SE
	; wave barrier
	v_lshrrev_b32_e32 v36, s20, v36
	v_mov_b32_e32 v107, v67
	v_dual_mov_b32 v109, v65 :: v_dual_mov_b32 v106, v68
	v_mov_b32_e32 v108, v66
	s_wait_alu 0xfffe
	v_and_b32_e32 v64, s22, v36
	v_dual_mov_b32 v104, v70 :: v_dual_mov_b32 v59, v25
	v_dual_mov_b32 v58, v24 :: v_dual_mov_b32 v61, v7
	s_delay_alu instid0(VALU_DEP_3)
	v_and_b32_e32 v36, 1, v64
	v_lshlrev_b32_e32 v37, 30, v64
	v_lshlrev_b32_e32 v38, 29, v64
	;; [unrolled: 1-line block ×4, first 2 shown]
	v_add_co_u32 v36, s18, v36, -1
	s_wait_alu 0xf1ff
	v_cndmask_b32_e64 v41, 0, 1, s18
	v_not_b32_e32 v56, v37
	v_cmp_gt_i32_e64 s18, 0, v37
	v_not_b32_e32 v37, v38
	v_lshlrev_b32_e32 v54, 26, v64
	v_cmp_ne_u32_e32 vcc_lo, 0, v41
	v_ashrrev_i32_e32 v56, 31, v56
	v_lshlrev_b32_e32 v55, 25, v64
	v_ashrrev_i32_e32 v37, 31, v37
	v_lshlrev_b32_e32 v41, 24, v64
	s_wait_alu 0xfffd
	v_xor_b32_e32 v36, vcc_lo, v36
	v_cmp_gt_i32_e32 vcc_lo, 0, v38
	v_not_b32_e32 v38, v39
	s_wait_alu 0xf1ff
	v_xor_b32_e32 v56, s18, v56
	v_cmp_gt_i32_e64 s18, 0, v39
	v_and_b32_e32 v36, exec_lo, v36
	v_not_b32_e32 v39, v42
	v_ashrrev_i32_e32 v38, 31, v38
	s_wait_alu 0xfffd
	v_xor_b32_e32 v37, vcc_lo, v37
	v_cmp_gt_i32_e32 vcc_lo, 0, v42
	v_and_b32_e32 v36, v36, v56
	v_not_b32_e32 v42, v54
	v_ashrrev_i32_e32 v39, 31, v39
	s_wait_alu 0xf1ff
	v_xor_b32_e32 v38, s18, v38
	v_cmp_gt_i32_e64 s18, 0, v54
	v_and_b32_e32 v36, v36, v37
	v_not_b32_e32 v37, v55
	v_ashrrev_i32_e32 v42, 31, v42
	s_wait_alu 0xfffd
	v_xor_b32_e32 v39, vcc_lo, v39
	v_cmp_gt_i32_e32 vcc_lo, 0, v55
	v_and_b32_e32 v36, v36, v38
	v_ashrrev_i32_e32 v37, 31, v37
	s_wait_alu 0xf1ff
	v_xor_b32_e32 v42, s18, v42
	v_dual_mov_b32 v55, v29 :: v_dual_mov_b32 v54, v28
	v_dual_mov_b32 v63, v5 :: v_dual_and_b32 v36, v36, v39
	s_wait_alu 0xfffd
	v_xor_b32_e32 v37, vcc_lo, v37
	v_mov_b32_e32 v62, v4
	v_lshlrev_b32_e32 v4, 6, v64
	v_and_b32_e32 v36, v36, v42
	s_delay_alu instid0(VALU_DEP_2) | instskip(NEXT) | instid1(VALU_DEP_2)
	v_dual_mov_b32 v60, v6 :: v_dual_add_nc_u32 v29, v100, v4
	v_and_b32_e32 v57, v36, v37
	v_dual_mov_b32 v37, v35 :: v_dual_mov_b32 v36, v34
	v_not_b32_e32 v38, v41
	v_cmp_gt_i32_e64 s18, 0, v41
	v_dual_mov_b32 v42, v31 :: v_dual_mov_b32 v41, v30
	s_delay_alu instid0(VALU_DEP_3) | instskip(SKIP_1) | instid1(VALU_DEP_1)
	v_ashrrev_i32_e32 v38, 31, v38
	s_wait_alu 0xf1ff
	v_xor_b32_e32 v56, s18, v38
	v_dual_mov_b32 v39, v33 :: v_dual_mov_b32 v38, v32
	s_delay_alu instid0(VALU_DEP_2) | instskip(SKIP_1) | instid1(VALU_DEP_2)
	v_dual_mov_b32 v57, v27 :: v_dual_and_b32 v30, v57, v56
	v_mov_b32_e32 v56, v26
	v_mbcnt_lo_u32_b32 v28, v30, 0
	v_cmp_ne_u32_e64 s18, 0, v30
	s_delay_alu instid0(VALU_DEP_2)
	v_cmp_eq_u32_e32 vcc_lo, 0, v28
	s_and_b32 s23, s18, vcc_lo
	s_wait_alu 0xfffe
	s_and_saveexec_b32 s18, s23
; %bb.33:                               ;   in Loop: Header=BB205_32 Depth=1
	v_bcnt_u32_b32 v4, v30, 0
	ds_store_b32 v29, v4 offset:64
; %bb.34:                               ;   in Loop: Header=BB205_32 Depth=1
	s_wait_alu 0xfffe
	s_or_b32 exec_lo, exec_lo, s18
	v_cmp_ne_u32_e32 vcc_lo, 0x7fffffff, v109
	; wave barrier
	s_wait_alu 0xfffd
	v_cndmask_b32_e32 v4, 0x80000000, v109, vcc_lo
	s_delay_alu instid0(VALU_DEP_1) | instskip(NEXT) | instid1(VALU_DEP_1)
	v_lshrrev_b32_e32 v4, s20, v4
	v_and_b32_e32 v4, s22, v4
	s_delay_alu instid0(VALU_DEP_1)
	v_and_b32_e32 v5, 1, v4
	v_lshlrev_b32_e32 v6, 30, v4
	v_lshlrev_b32_e32 v7, 29, v4
	;; [unrolled: 1-line block ×4, first 2 shown]
	v_add_co_u32 v5, s18, v5, -1
	s_wait_alu 0xf1ff
	v_cndmask_b32_e64 v25, 0, 1, s18
	v_not_b32_e32 v31, v6
	v_cmp_gt_i32_e64 s18, 0, v6
	v_not_b32_e32 v6, v7
	v_lshlrev_b32_e32 v27, 26, v4
	v_cmp_ne_u32_e32 vcc_lo, 0, v25
	v_ashrrev_i32_e32 v31, 31, v31
	v_lshlrev_b32_e32 v30, 25, v4
	v_ashrrev_i32_e32 v6, 31, v6
	v_lshlrev_b32_e32 v25, 24, v4
	s_wait_alu 0xfffd
	v_xor_b32_e32 v5, vcc_lo, v5
	v_cmp_gt_i32_e32 vcc_lo, 0, v7
	v_not_b32_e32 v7, v24
	s_wait_alu 0xf1ff
	v_xor_b32_e32 v31, s18, v31
	v_cmp_gt_i32_e64 s18, 0, v24
	v_and_b32_e32 v5, exec_lo, v5
	v_not_b32_e32 v24, v26
	v_ashrrev_i32_e32 v7, 31, v7
	s_wait_alu 0xfffd
	v_xor_b32_e32 v6, vcc_lo, v6
	v_cmp_gt_i32_e32 vcc_lo, 0, v26
	v_and_b32_e32 v5, v5, v31
	v_not_b32_e32 v26, v27
	v_ashrrev_i32_e32 v24, 31, v24
	s_wait_alu 0xf1ff
	v_xor_b32_e32 v7, s18, v7
	v_cmp_gt_i32_e64 s18, 0, v27
	v_and_b32_e32 v5, v5, v6
	v_not_b32_e32 v6, v30
	v_ashrrev_i32_e32 v26, 31, v26
	s_wait_alu 0xfffd
	v_xor_b32_e32 v24, vcc_lo, v24
	v_cmp_gt_i32_e32 vcc_lo, 0, v30
	v_and_b32_e32 v5, v5, v7
	v_not_b32_e32 v7, v25
	v_ashrrev_i32_e32 v6, 31, v6
	s_wait_alu 0xf1ff
	v_xor_b32_e32 v26, s18, v26
	v_lshlrev_b32_e32 v4, 6, v4
	v_and_b32_e32 v5, v5, v24
	v_cmp_gt_i32_e64 s18, 0, v25
	v_ashrrev_i32_e32 v7, 31, v7
	s_wait_alu 0xfffd
	v_xor_b32_e32 v6, vcc_lo, v6
	v_add_nc_u32_e32 v32, v100, v4
	v_and_b32_e32 v5, v5, v26
	s_wait_alu 0xf1ff
	v_xor_b32_e32 v4, s18, v7
	ds_load_b32 v30, v32 offset:64
	v_and_b32_e32 v5, v5, v6
	; wave barrier
	s_delay_alu instid0(VALU_DEP_1) | instskip(NEXT) | instid1(VALU_DEP_1)
	v_and_b32_e32 v4, v5, v4
	v_mbcnt_lo_u32_b32 v31, v4, 0
	v_cmp_ne_u32_e64 s18, 0, v4
	s_delay_alu instid0(VALU_DEP_2)
	v_cmp_eq_u32_e32 vcc_lo, 0, v31
	s_and_b32 s23, s18, vcc_lo
	s_wait_alu 0xfffe
	s_and_saveexec_b32 s18, s23
	s_cbranch_execz .LBB205_36
; %bb.35:                               ;   in Loop: Header=BB205_32 Depth=1
	s_wait_dscnt 0x0
	v_bcnt_u32_b32 v4, v4, v30
	ds_store_b32 v32, v4 offset:64
.LBB205_36:                             ;   in Loop: Header=BB205_32 Depth=1
	s_wait_alu 0xfffe
	s_or_b32 exec_lo, exec_lo, s18
	v_cmp_ne_u32_e32 vcc_lo, 0x7fffffff, v108
	; wave barrier
	s_wait_alu 0xfffd
	v_cndmask_b32_e32 v4, 0x80000000, v108, vcc_lo
	s_delay_alu instid0(VALU_DEP_1) | instskip(NEXT) | instid1(VALU_DEP_1)
	v_lshrrev_b32_e32 v4, s20, v4
	v_and_b32_e32 v4, s22, v4
	s_delay_alu instid0(VALU_DEP_1)
	v_and_b32_e32 v5, 1, v4
	v_lshlrev_b32_e32 v6, 30, v4
	v_lshlrev_b32_e32 v7, 29, v4
	;; [unrolled: 1-line block ×4, first 2 shown]
	v_add_co_u32 v5, s18, v5, -1
	s_wait_alu 0xf1ff
	v_cndmask_b32_e64 v25, 0, 1, s18
	v_not_b32_e32 v34, v6
	v_cmp_gt_i32_e64 s18, 0, v6
	v_not_b32_e32 v6, v7
	v_lshlrev_b32_e32 v27, 26, v4
	v_cmp_ne_u32_e32 vcc_lo, 0, v25
	v_ashrrev_i32_e32 v34, 31, v34
	v_lshlrev_b32_e32 v33, 25, v4
	v_ashrrev_i32_e32 v6, 31, v6
	v_lshlrev_b32_e32 v25, 24, v4
	s_wait_alu 0xfffd
	v_xor_b32_e32 v5, vcc_lo, v5
	v_cmp_gt_i32_e32 vcc_lo, 0, v7
	v_not_b32_e32 v7, v24
	s_wait_alu 0xf1ff
	v_xor_b32_e32 v34, s18, v34
	v_cmp_gt_i32_e64 s18, 0, v24
	v_and_b32_e32 v5, exec_lo, v5
	v_not_b32_e32 v24, v26
	v_ashrrev_i32_e32 v7, 31, v7
	s_wait_alu 0xfffd
	v_xor_b32_e32 v6, vcc_lo, v6
	v_cmp_gt_i32_e32 vcc_lo, 0, v26
	v_and_b32_e32 v5, v5, v34
	v_not_b32_e32 v26, v27
	v_ashrrev_i32_e32 v24, 31, v24
	s_wait_alu 0xf1ff
	v_xor_b32_e32 v7, s18, v7
	v_cmp_gt_i32_e64 s18, 0, v27
	v_and_b32_e32 v5, v5, v6
	v_not_b32_e32 v6, v33
	v_ashrrev_i32_e32 v26, 31, v26
	s_wait_alu 0xfffd
	v_xor_b32_e32 v24, vcc_lo, v24
	v_cmp_gt_i32_e32 vcc_lo, 0, v33
	v_and_b32_e32 v5, v5, v7
	v_not_b32_e32 v7, v25
	v_ashrrev_i32_e32 v6, 31, v6
	s_wait_alu 0xf1ff
	v_xor_b32_e32 v26, s18, v26
	v_lshlrev_b32_e32 v4, 6, v4
	v_and_b32_e32 v5, v5, v24
	v_cmp_gt_i32_e64 s18, 0, v25
	v_ashrrev_i32_e32 v7, 31, v7
	s_wait_alu 0xfffd
	v_xor_b32_e32 v6, vcc_lo, v6
	v_add_nc_u32_e32 v35, v100, v4
	v_and_b32_e32 v5, v5, v26
	s_wait_alu 0xf1ff
	v_xor_b32_e32 v4, s18, v7
	ds_load_b32 v33, v35 offset:64
	v_and_b32_e32 v5, v5, v6
	; wave barrier
	s_delay_alu instid0(VALU_DEP_1) | instskip(NEXT) | instid1(VALU_DEP_1)
	v_and_b32_e32 v4, v5, v4
	v_mbcnt_lo_u32_b32 v34, v4, 0
	v_cmp_ne_u32_e64 s18, 0, v4
	s_delay_alu instid0(VALU_DEP_2)
	v_cmp_eq_u32_e32 vcc_lo, 0, v34
	s_and_b32 s23, s18, vcc_lo
	s_wait_alu 0xfffe
	s_and_saveexec_b32 s18, s23
	s_cbranch_execz .LBB205_38
; %bb.37:                               ;   in Loop: Header=BB205_32 Depth=1
	s_wait_dscnt 0x0
	v_bcnt_u32_b32 v4, v4, v33
	ds_store_b32 v35, v4 offset:64
.LBB205_38:                             ;   in Loop: Header=BB205_32 Depth=1
	s_wait_alu 0xfffe
	s_or_b32 exec_lo, exec_lo, s18
	v_cmp_ne_u32_e32 vcc_lo, 0x7fffffff, v107
	; wave barrier
	s_wait_alu 0xfffd
	v_cndmask_b32_e32 v4, 0x80000000, v107, vcc_lo
	s_delay_alu instid0(VALU_DEP_1) | instskip(NEXT) | instid1(VALU_DEP_1)
	v_lshrrev_b32_e32 v4, s20, v4
	v_and_b32_e32 v4, s22, v4
	s_delay_alu instid0(VALU_DEP_1)
	v_and_b32_e32 v5, 1, v4
	v_lshlrev_b32_e32 v6, 30, v4
	v_lshlrev_b32_e32 v7, 29, v4
	v_lshlrev_b32_e32 v24, 28, v4
	v_lshlrev_b32_e32 v26, 27, v4
	v_add_co_u32 v5, s18, v5, -1
	s_wait_alu 0xf1ff
	v_cndmask_b32_e64 v25, 0, 1, s18
	v_not_b32_e32 v65, v6
	v_cmp_gt_i32_e64 s18, 0, v6
	v_not_b32_e32 v6, v7
	v_lshlrev_b32_e32 v27, 26, v4
	v_cmp_ne_u32_e32 vcc_lo, 0, v25
	v_ashrrev_i32_e32 v65, 31, v65
	v_lshlrev_b32_e32 v64, 25, v4
	v_ashrrev_i32_e32 v6, 31, v6
	v_lshlrev_b32_e32 v25, 24, v4
	s_wait_alu 0xfffd
	v_xor_b32_e32 v5, vcc_lo, v5
	v_cmp_gt_i32_e32 vcc_lo, 0, v7
	v_not_b32_e32 v7, v24
	s_wait_alu 0xf1ff
	v_xor_b32_e32 v65, s18, v65
	v_cmp_gt_i32_e64 s18, 0, v24
	v_and_b32_e32 v5, exec_lo, v5
	v_not_b32_e32 v24, v26
	v_ashrrev_i32_e32 v7, 31, v7
	s_wait_alu 0xfffd
	v_xor_b32_e32 v6, vcc_lo, v6
	v_cmp_gt_i32_e32 vcc_lo, 0, v26
	v_and_b32_e32 v5, v5, v65
	v_not_b32_e32 v26, v27
	v_ashrrev_i32_e32 v24, 31, v24
	s_wait_alu 0xf1ff
	v_xor_b32_e32 v7, s18, v7
	v_cmp_gt_i32_e64 s18, 0, v27
	v_and_b32_e32 v5, v5, v6
	v_not_b32_e32 v6, v64
	v_ashrrev_i32_e32 v26, 31, v26
	s_wait_alu 0xfffd
	v_xor_b32_e32 v24, vcc_lo, v24
	v_cmp_gt_i32_e32 vcc_lo, 0, v64
	v_and_b32_e32 v5, v5, v7
	v_not_b32_e32 v7, v25
	v_ashrrev_i32_e32 v6, 31, v6
	s_wait_alu 0xf1ff
	v_xor_b32_e32 v26, s18, v26
	v_lshlrev_b32_e32 v4, 6, v4
	v_and_b32_e32 v5, v5, v24
	v_cmp_gt_i32_e64 s18, 0, v25
	v_ashrrev_i32_e32 v7, 31, v7
	s_wait_alu 0xfffd
	v_xor_b32_e32 v6, vcc_lo, v6
	v_add_nc_u32_e32 v66, v100, v4
	v_and_b32_e32 v5, v5, v26
	s_wait_alu 0xf1ff
	v_xor_b32_e32 v4, s18, v7
	ds_load_b32 v64, v66 offset:64
	v_and_b32_e32 v5, v5, v6
	; wave barrier
	s_delay_alu instid0(VALU_DEP_1) | instskip(NEXT) | instid1(VALU_DEP_1)
	v_and_b32_e32 v4, v5, v4
	v_mbcnt_lo_u32_b32 v65, v4, 0
	v_cmp_ne_u32_e64 s18, 0, v4
	s_delay_alu instid0(VALU_DEP_2)
	v_cmp_eq_u32_e32 vcc_lo, 0, v65
	s_and_b32 s23, s18, vcc_lo
	s_wait_alu 0xfffe
	s_and_saveexec_b32 s18, s23
	s_cbranch_execz .LBB205_40
; %bb.39:                               ;   in Loop: Header=BB205_32 Depth=1
	s_wait_dscnt 0x0
	v_bcnt_u32_b32 v4, v4, v64
	ds_store_b32 v66, v4 offset:64
.LBB205_40:                             ;   in Loop: Header=BB205_32 Depth=1
	s_wait_alu 0xfffe
	s_or_b32 exec_lo, exec_lo, s18
	v_cmp_ne_u32_e32 vcc_lo, 0x7fffffff, v106
	; wave barrier
	s_wait_alu 0xfffd
	v_cndmask_b32_e32 v4, 0x80000000, v106, vcc_lo
	s_delay_alu instid0(VALU_DEP_1) | instskip(NEXT) | instid1(VALU_DEP_1)
	v_lshrrev_b32_e32 v4, s20, v4
	v_and_b32_e32 v4, s22, v4
	s_delay_alu instid0(VALU_DEP_1)
	v_and_b32_e32 v5, 1, v4
	v_lshlrev_b32_e32 v6, 30, v4
	v_lshlrev_b32_e32 v7, 29, v4
	;; [unrolled: 1-line block ×4, first 2 shown]
	v_add_co_u32 v5, s18, v5, -1
	s_wait_alu 0xf1ff
	v_cndmask_b32_e64 v25, 0, 1, s18
	v_not_b32_e32 v68, v6
	v_cmp_gt_i32_e64 s18, 0, v6
	v_not_b32_e32 v6, v7
	v_lshlrev_b32_e32 v27, 26, v4
	v_cmp_ne_u32_e32 vcc_lo, 0, v25
	v_ashrrev_i32_e32 v68, 31, v68
	v_lshlrev_b32_e32 v67, 25, v4
	v_ashrrev_i32_e32 v6, 31, v6
	v_lshlrev_b32_e32 v25, 24, v4
	s_wait_alu 0xfffd
	v_xor_b32_e32 v5, vcc_lo, v5
	v_cmp_gt_i32_e32 vcc_lo, 0, v7
	v_not_b32_e32 v7, v24
	s_wait_alu 0xf1ff
	v_xor_b32_e32 v68, s18, v68
	v_cmp_gt_i32_e64 s18, 0, v24
	v_and_b32_e32 v5, exec_lo, v5
	v_not_b32_e32 v24, v26
	v_ashrrev_i32_e32 v7, 31, v7
	s_wait_alu 0xfffd
	v_xor_b32_e32 v6, vcc_lo, v6
	v_cmp_gt_i32_e32 vcc_lo, 0, v26
	v_and_b32_e32 v5, v5, v68
	v_not_b32_e32 v26, v27
	v_ashrrev_i32_e32 v24, 31, v24
	s_wait_alu 0xf1ff
	v_xor_b32_e32 v7, s18, v7
	v_cmp_gt_i32_e64 s18, 0, v27
	v_and_b32_e32 v5, v5, v6
	v_not_b32_e32 v6, v67
	v_ashrrev_i32_e32 v26, 31, v26
	s_wait_alu 0xfffd
	v_xor_b32_e32 v24, vcc_lo, v24
	v_cmp_gt_i32_e32 vcc_lo, 0, v67
	v_and_b32_e32 v5, v5, v7
	v_not_b32_e32 v7, v25
	v_ashrrev_i32_e32 v6, 31, v6
	s_wait_alu 0xf1ff
	v_xor_b32_e32 v26, s18, v26
	v_lshlrev_b32_e32 v4, 6, v4
	v_and_b32_e32 v5, v5, v24
	v_cmp_gt_i32_e64 s18, 0, v25
	v_ashrrev_i32_e32 v7, 31, v7
	s_wait_alu 0xfffd
	v_xor_b32_e32 v6, vcc_lo, v6
	v_add_nc_u32_e32 v69, v100, v4
	v_and_b32_e32 v5, v5, v26
	s_wait_alu 0xf1ff
	v_xor_b32_e32 v4, s18, v7
	ds_load_b32 v67, v69 offset:64
	v_and_b32_e32 v5, v5, v6
	; wave barrier
	s_delay_alu instid0(VALU_DEP_1) | instskip(NEXT) | instid1(VALU_DEP_1)
	v_and_b32_e32 v4, v5, v4
	v_mbcnt_lo_u32_b32 v68, v4, 0
	v_cmp_ne_u32_e64 s18, 0, v4
	s_delay_alu instid0(VALU_DEP_2)
	v_cmp_eq_u32_e32 vcc_lo, 0, v68
	s_and_b32 s23, s18, vcc_lo
	s_wait_alu 0xfffe
	s_and_saveexec_b32 s18, s23
	s_cbranch_execz .LBB205_42
; %bb.41:                               ;   in Loop: Header=BB205_32 Depth=1
	s_wait_dscnt 0x0
	v_bcnt_u32_b32 v4, v4, v67
	ds_store_b32 v69, v4 offset:64
.LBB205_42:                             ;   in Loop: Header=BB205_32 Depth=1
	s_wait_alu 0xfffe
	s_or_b32 exec_lo, exec_lo, s18
	v_cmp_ne_u32_e32 vcc_lo, 0x7fffffff, v105
	; wave barrier
	s_wait_alu 0xfffd
	v_cndmask_b32_e32 v4, 0x80000000, v105, vcc_lo
	s_delay_alu instid0(VALU_DEP_1) | instskip(NEXT) | instid1(VALU_DEP_1)
	v_lshrrev_b32_e32 v4, s20, v4
	v_and_b32_e32 v4, s22, v4
	s_delay_alu instid0(VALU_DEP_1)
	v_and_b32_e32 v5, 1, v4
	v_lshlrev_b32_e32 v6, 30, v4
	v_lshlrev_b32_e32 v7, 29, v4
	;; [unrolled: 1-line block ×4, first 2 shown]
	v_add_co_u32 v5, s18, v5, -1
	s_wait_alu 0xf1ff
	v_cndmask_b32_e64 v25, 0, 1, s18
	v_not_b32_e32 v71, v6
	v_cmp_gt_i32_e64 s18, 0, v6
	v_not_b32_e32 v6, v7
	v_lshlrev_b32_e32 v27, 26, v4
	v_cmp_ne_u32_e32 vcc_lo, 0, v25
	v_ashrrev_i32_e32 v71, 31, v71
	v_lshlrev_b32_e32 v70, 25, v4
	v_ashrrev_i32_e32 v6, 31, v6
	v_lshlrev_b32_e32 v25, 24, v4
	s_wait_alu 0xfffd
	v_xor_b32_e32 v5, vcc_lo, v5
	v_cmp_gt_i32_e32 vcc_lo, 0, v7
	v_not_b32_e32 v7, v24
	s_wait_alu 0xf1ff
	v_xor_b32_e32 v71, s18, v71
	v_cmp_gt_i32_e64 s18, 0, v24
	v_and_b32_e32 v5, exec_lo, v5
	v_not_b32_e32 v24, v26
	v_ashrrev_i32_e32 v7, 31, v7
	s_wait_alu 0xfffd
	v_xor_b32_e32 v6, vcc_lo, v6
	v_cmp_gt_i32_e32 vcc_lo, 0, v26
	v_and_b32_e32 v5, v5, v71
	v_not_b32_e32 v26, v27
	v_ashrrev_i32_e32 v24, 31, v24
	s_wait_alu 0xf1ff
	v_xor_b32_e32 v7, s18, v7
	v_cmp_gt_i32_e64 s18, 0, v27
	v_and_b32_e32 v5, v5, v6
	v_not_b32_e32 v6, v70
	v_ashrrev_i32_e32 v26, 31, v26
	s_wait_alu 0xfffd
	v_xor_b32_e32 v24, vcc_lo, v24
	v_cmp_gt_i32_e32 vcc_lo, 0, v70
	v_and_b32_e32 v5, v5, v7
	v_not_b32_e32 v7, v25
	v_ashrrev_i32_e32 v6, 31, v6
	s_wait_alu 0xf1ff
	v_xor_b32_e32 v26, s18, v26
	v_lshlrev_b32_e32 v4, 6, v4
	v_and_b32_e32 v5, v5, v24
	v_cmp_gt_i32_e64 s18, 0, v25
	v_ashrrev_i32_e32 v7, 31, v7
	s_wait_alu 0xfffd
	v_xor_b32_e32 v6, vcc_lo, v6
	v_add_nc_u32_e32 v71, v100, v4
	v_and_b32_e32 v5, v5, v26
	s_wait_alu 0xf1ff
	v_xor_b32_e32 v4, s18, v7
	ds_load_b32 v70, v71 offset:64
	v_and_b32_e32 v5, v5, v6
	; wave barrier
	s_delay_alu instid0(VALU_DEP_1) | instskip(NEXT) | instid1(VALU_DEP_1)
	v_and_b32_e32 v4, v5, v4
	v_mbcnt_lo_u32_b32 v110, v4, 0
	v_cmp_ne_u32_e64 s18, 0, v4
	s_delay_alu instid0(VALU_DEP_2)
	v_cmp_eq_u32_e32 vcc_lo, 0, v110
	s_and_b32 s23, s18, vcc_lo
	s_wait_alu 0xfffe
	s_and_saveexec_b32 s18, s23
	s_cbranch_execz .LBB205_44
; %bb.43:                               ;   in Loop: Header=BB205_32 Depth=1
	s_wait_dscnt 0x0
	v_bcnt_u32_b32 v4, v4, v70
	ds_store_b32 v71, v4 offset:64
.LBB205_44:                             ;   in Loop: Header=BB205_32 Depth=1
	s_wait_alu 0xfffe
	s_or_b32 exec_lo, exec_lo, s18
	v_cmp_ne_u32_e32 vcc_lo, 0x7fffffff, v104
	; wave barrier
	s_wait_alu 0xfffd
	v_cndmask_b32_e32 v4, 0x80000000, v104, vcc_lo
	s_delay_alu instid0(VALU_DEP_1) | instskip(NEXT) | instid1(VALU_DEP_1)
	v_lshrrev_b32_e32 v4, s20, v4
	v_and_b32_e32 v4, s22, v4
	s_delay_alu instid0(VALU_DEP_1)
	v_and_b32_e32 v5, 1, v4
	v_lshlrev_b32_e32 v6, 30, v4
	v_lshlrev_b32_e32 v7, 29, v4
	;; [unrolled: 1-line block ×4, first 2 shown]
	v_add_co_u32 v5, s18, v5, -1
	s_wait_alu 0xf1ff
	v_cndmask_b32_e64 v25, 0, 1, s18
	v_not_b32_e32 v112, v6
	v_cmp_gt_i32_e64 s18, 0, v6
	v_not_b32_e32 v6, v7
	v_lshlrev_b32_e32 v27, 26, v4
	v_cmp_ne_u32_e32 vcc_lo, 0, v25
	v_ashrrev_i32_e32 v112, 31, v112
	v_lshlrev_b32_e32 v111, 25, v4
	v_ashrrev_i32_e32 v6, 31, v6
	v_lshlrev_b32_e32 v25, 24, v4
	s_wait_alu 0xfffd
	v_xor_b32_e32 v5, vcc_lo, v5
	v_cmp_gt_i32_e32 vcc_lo, 0, v7
	v_not_b32_e32 v7, v24
	s_wait_alu 0xf1ff
	v_xor_b32_e32 v112, s18, v112
	v_cmp_gt_i32_e64 s18, 0, v24
	v_and_b32_e32 v5, exec_lo, v5
	v_not_b32_e32 v24, v26
	v_ashrrev_i32_e32 v7, 31, v7
	s_wait_alu 0xfffd
	v_xor_b32_e32 v6, vcc_lo, v6
	v_cmp_gt_i32_e32 vcc_lo, 0, v26
	v_and_b32_e32 v5, v5, v112
	v_not_b32_e32 v26, v27
	v_ashrrev_i32_e32 v24, 31, v24
	s_wait_alu 0xf1ff
	v_xor_b32_e32 v7, s18, v7
	v_cmp_gt_i32_e64 s18, 0, v27
	v_and_b32_e32 v5, v5, v6
	v_not_b32_e32 v6, v111
	v_ashrrev_i32_e32 v26, 31, v26
	s_wait_alu 0xfffd
	v_xor_b32_e32 v24, vcc_lo, v24
	v_cmp_gt_i32_e32 vcc_lo, 0, v111
	v_and_b32_e32 v5, v5, v7
	v_not_b32_e32 v7, v25
	v_ashrrev_i32_e32 v6, 31, v6
	s_wait_alu 0xf1ff
	v_xor_b32_e32 v26, s18, v26
	v_lshlrev_b32_e32 v4, 6, v4
	v_and_b32_e32 v5, v5, v24
	v_cmp_gt_i32_e64 s18, 0, v25
	v_ashrrev_i32_e32 v7, 31, v7
	s_wait_alu 0xfffd
	v_xor_b32_e32 v6, vcc_lo, v6
	v_add_nc_u32_e32 v112, v100, v4
	v_and_b32_e32 v5, v5, v26
	s_wait_alu 0xf1ff
	v_xor_b32_e32 v4, s18, v7
	ds_load_b32 v111, v112 offset:64
	v_and_b32_e32 v5, v5, v6
	; wave barrier
	s_delay_alu instid0(VALU_DEP_1) | instskip(NEXT) | instid1(VALU_DEP_1)
	v_and_b32_e32 v4, v5, v4
	v_mbcnt_lo_u32_b32 v113, v4, 0
	v_cmp_ne_u32_e64 s18, 0, v4
	s_delay_alu instid0(VALU_DEP_2)
	v_cmp_eq_u32_e32 vcc_lo, 0, v113
	s_and_b32 s23, s18, vcc_lo
	s_wait_alu 0xfffe
	s_and_saveexec_b32 s18, s23
	s_cbranch_execz .LBB205_46
; %bb.45:                               ;   in Loop: Header=BB205_32 Depth=1
	s_wait_dscnt 0x0
	v_bcnt_u32_b32 v4, v4, v111
	ds_store_b32 v112, v4 offset:64
.LBB205_46:                             ;   in Loop: Header=BB205_32 Depth=1
	s_wait_alu 0xfffe
	s_or_b32 exec_lo, exec_lo, s18
	v_cmp_ne_u32_e32 vcc_lo, 0x7fffffff, v103
	; wave barrier
	s_wait_alu 0xfffd
	v_cndmask_b32_e32 v4, 0x80000000, v103, vcc_lo
	s_delay_alu instid0(VALU_DEP_1) | instskip(NEXT) | instid1(VALU_DEP_1)
	v_lshrrev_b32_e32 v4, s20, v4
	v_and_b32_e32 v4, s22, v4
	s_delay_alu instid0(VALU_DEP_1)
	v_and_b32_e32 v5, 1, v4
	v_lshlrev_b32_e32 v6, 30, v4
	v_lshlrev_b32_e32 v7, 29, v4
	;; [unrolled: 1-line block ×4, first 2 shown]
	v_add_co_u32 v5, s18, v5, -1
	s_wait_alu 0xf1ff
	v_cndmask_b32_e64 v25, 0, 1, s18
	v_not_b32_e32 v115, v6
	v_cmp_gt_i32_e64 s18, 0, v6
	v_not_b32_e32 v6, v7
	v_lshlrev_b32_e32 v27, 26, v4
	v_cmp_ne_u32_e32 vcc_lo, 0, v25
	v_ashrrev_i32_e32 v115, 31, v115
	v_lshlrev_b32_e32 v114, 25, v4
	v_ashrrev_i32_e32 v6, 31, v6
	v_lshlrev_b32_e32 v25, 24, v4
	s_wait_alu 0xfffd
	v_xor_b32_e32 v5, vcc_lo, v5
	v_cmp_gt_i32_e32 vcc_lo, 0, v7
	v_not_b32_e32 v7, v24
	s_wait_alu 0xf1ff
	v_xor_b32_e32 v115, s18, v115
	v_cmp_gt_i32_e64 s18, 0, v24
	v_and_b32_e32 v5, exec_lo, v5
	v_not_b32_e32 v24, v26
	v_ashrrev_i32_e32 v7, 31, v7
	s_wait_alu 0xfffd
	v_xor_b32_e32 v6, vcc_lo, v6
	v_cmp_gt_i32_e32 vcc_lo, 0, v26
	v_and_b32_e32 v5, v5, v115
	v_not_b32_e32 v26, v27
	v_ashrrev_i32_e32 v24, 31, v24
	s_wait_alu 0xf1ff
	v_xor_b32_e32 v7, s18, v7
	v_cmp_gt_i32_e64 s18, 0, v27
	v_and_b32_e32 v5, v5, v6
	v_not_b32_e32 v6, v114
	v_ashrrev_i32_e32 v26, 31, v26
	s_wait_alu 0xfffd
	v_xor_b32_e32 v24, vcc_lo, v24
	v_cmp_gt_i32_e32 vcc_lo, 0, v114
	v_and_b32_e32 v5, v5, v7
	v_not_b32_e32 v7, v25
	v_ashrrev_i32_e32 v6, 31, v6
	s_wait_alu 0xf1ff
	v_xor_b32_e32 v26, s18, v26
	v_lshlrev_b32_e32 v4, 6, v4
	v_and_b32_e32 v5, v5, v24
	v_cmp_gt_i32_e64 s18, 0, v25
	v_ashrrev_i32_e32 v7, 31, v7
	s_wait_alu 0xfffd
	v_xor_b32_e32 v6, vcc_lo, v6
	v_add_nc_u32_e32 v114, v100, v4
	v_and_b32_e32 v5, v5, v26
	s_wait_alu 0xf1ff
	v_xor_b32_e32 v4, s18, v7
	ds_load_b32 v119, v114 offset:64
	v_and_b32_e32 v5, v5, v6
	; wave barrier
	s_delay_alu instid0(VALU_DEP_1) | instskip(NEXT) | instid1(VALU_DEP_1)
	v_and_b32_e32 v4, v5, v4
	v_mbcnt_lo_u32_b32 v120, v4, 0
	v_cmp_ne_u32_e64 s18, 0, v4
	s_delay_alu instid0(VALU_DEP_2)
	v_cmp_eq_u32_e32 vcc_lo, 0, v120
	s_and_b32 s22, s18, vcc_lo
	s_wait_alu 0xfffe
	s_and_saveexec_b32 s18, s22
	s_cbranch_execz .LBB205_48
; %bb.47:                               ;   in Loop: Header=BB205_32 Depth=1
	s_wait_dscnt 0x0
	v_bcnt_u32_b32 v4, v4, v119
	ds_store_b32 v114, v4 offset:64
.LBB205_48:                             ;   in Loop: Header=BB205_32 Depth=1
	s_wait_alu 0xfffe
	s_or_b32 exec_lo, exec_lo, s18
	; wave barrier
	s_wait_loadcnt_dscnt 0x0
	s_barrier_signal -1
	s_barrier_wait -1
	global_inv scope:SCOPE_SE
	ds_load_b128 v[24:27], v89 offset:64
	ds_load_b128 v[4:7], v89 offset:80
	s_wait_dscnt 0x1
	v_add_nc_u32_e32 v115, v25, v24
	s_delay_alu instid0(VALU_DEP_1) | instskip(SKIP_1) | instid1(VALU_DEP_1)
	v_add3_u32 v115, v115, v26, v27
	s_wait_dscnt 0x0
	v_add3_u32 v115, v115, v4, v5
	s_delay_alu instid0(VALU_DEP_1) | instskip(NEXT) | instid1(VALU_DEP_1)
	v_add3_u32 v7, v115, v6, v7
	v_mov_b32_dpp v115, v7 row_shr:1 row_mask:0xf bank_mask:0xf
	s_delay_alu instid0(VALU_DEP_1) | instskip(NEXT) | instid1(VALU_DEP_1)
	v_cndmask_b32_e64 v115, v115, 0, s12
	v_add_nc_u32_e32 v7, v115, v7
	s_delay_alu instid0(VALU_DEP_1) | instskip(NEXT) | instid1(VALU_DEP_1)
	v_mov_b32_dpp v115, v7 row_shr:2 row_mask:0xf bank_mask:0xf
	v_cndmask_b32_e64 v115, 0, v115, s13
	s_delay_alu instid0(VALU_DEP_1) | instskip(NEXT) | instid1(VALU_DEP_1)
	v_add_nc_u32_e32 v7, v7, v115
	v_mov_b32_dpp v115, v7 row_shr:4 row_mask:0xf bank_mask:0xf
	s_delay_alu instid0(VALU_DEP_1) | instskip(NEXT) | instid1(VALU_DEP_1)
	v_cndmask_b32_e64 v115, 0, v115, s14
	v_add_nc_u32_e32 v7, v7, v115
	s_delay_alu instid0(VALU_DEP_1) | instskip(NEXT) | instid1(VALU_DEP_1)
	v_mov_b32_dpp v115, v7 row_shr:8 row_mask:0xf bank_mask:0xf
	v_cndmask_b32_e64 v115, 0, v115, s15
	s_delay_alu instid0(VALU_DEP_1) | instskip(SKIP_3) | instid1(VALU_DEP_1)
	v_add_nc_u32_e32 v7, v7, v115
	ds_swizzle_b32 v115, v7 offset:swizzle(BROADCAST,32,15)
	s_wait_dscnt 0x0
	v_cndmask_b32_e64 v115, v115, 0, s16
	v_add_nc_u32_e32 v7, v7, v115
	s_and_saveexec_b32 s18, s17
; %bb.49:                               ;   in Loop: Header=BB205_32 Depth=1
	ds_store_b32 v90, v7
; %bb.50:                               ;   in Loop: Header=BB205_32 Depth=1
	s_wait_alu 0xfffe
	s_or_b32 exec_lo, exec_lo, s18
	s_wait_loadcnt_dscnt 0x0
	s_barrier_signal -1
	s_barrier_wait -1
	global_inv scope:SCOPE_SE
	s_and_saveexec_b32 s18, s8
	s_cbranch_execz .LBB205_52
; %bb.51:                               ;   in Loop: Header=BB205_32 Depth=1
	ds_load_b32 v115, v101
	s_wait_dscnt 0x0
	v_mov_b32_dpp v116, v115 row_shr:1 row_mask:0xf bank_mask:0xf
	s_delay_alu instid0(VALU_DEP_1) | instskip(NEXT) | instid1(VALU_DEP_1)
	v_cndmask_b32_e64 v116, v116, 0, s12
	v_add_nc_u32_e32 v115, v116, v115
	s_delay_alu instid0(VALU_DEP_1) | instskip(NEXT) | instid1(VALU_DEP_1)
	v_mov_b32_dpp v116, v115 row_shr:2 row_mask:0xf bank_mask:0xf
	v_cndmask_b32_e64 v116, 0, v116, s13
	s_delay_alu instid0(VALU_DEP_1) | instskip(NEXT) | instid1(VALU_DEP_1)
	v_add_nc_u32_e32 v115, v115, v116
	v_mov_b32_dpp v116, v115 row_shr:4 row_mask:0xf bank_mask:0xf
	s_delay_alu instid0(VALU_DEP_1) | instskip(NEXT) | instid1(VALU_DEP_1)
	v_cndmask_b32_e64 v116, 0, v116, s14
	v_add_nc_u32_e32 v115, v115, v116
	s_delay_alu instid0(VALU_DEP_1) | instskip(NEXT) | instid1(VALU_DEP_1)
	v_mov_b32_dpp v116, v115 row_shr:8 row_mask:0xf bank_mask:0xf
	v_cndmask_b32_e64 v116, 0, v116, s15
	s_delay_alu instid0(VALU_DEP_1)
	v_add_nc_u32_e32 v115, v115, v116
	ds_store_b32 v101, v115
.LBB205_52:                             ;   in Loop: Header=BB205_32 Depth=1
	s_wait_alu 0xfffe
	s_or_b32 exec_lo, exec_lo, s18
	v_mov_b32_e32 v115, 0
	s_wait_loadcnt_dscnt 0x0
	s_barrier_signal -1
	s_barrier_wait -1
	global_inv scope:SCOPE_SE
	s_and_saveexec_b32 s18, s9
; %bb.53:                               ;   in Loop: Header=BB205_32 Depth=1
	v_add_nc_u32_e32 v115, -4, v90
	ds_load_b32 v115, v115
; %bb.54:                               ;   in Loop: Header=BB205_32 Depth=1
	s_wait_alu 0xfffe
	s_or_b32 exec_lo, exec_lo, s18
	s_wait_dscnt 0x0
	v_add_nc_u32_e32 v7, v115, v7
	s_cmp_gt_u32 s20, 23
	s_mov_b32 s18, -1
	ds_bpermute_b32 v7, v99, v7
	s_wait_dscnt 0x0
	v_cndmask_b32_e64 v7, v7, v115, s11
	s_delay_alu instid0(VALU_DEP_1) | instskip(NEXT) | instid1(VALU_DEP_1)
	v_cndmask_b32_e64 v115, v7, 0, s10
	v_add_nc_u32_e32 v116, v115, v24
	s_delay_alu instid0(VALU_DEP_1) | instskip(NEXT) | instid1(VALU_DEP_1)
	v_add_nc_u32_e32 v117, v116, v25
	v_add_nc_u32_e32 v118, v117, v26
	s_delay_alu instid0(VALU_DEP_1) | instskip(NEXT) | instid1(VALU_DEP_1)
	v_add_nc_u32_e32 v24, v118, v27
	;; [unrolled: 3-line block ×3, first 2 shown]
	v_add_nc_u32_e32 v27, v26, v6
	ds_store_b128 v89, v[115:118] offset:64
	ds_store_b128 v89, v[24:27] offset:80
	s_wait_loadcnt_dscnt 0x0
	s_barrier_signal -1
	s_barrier_wait -1
	global_inv scope:SCOPE_SE
	ds_load_b32 v4, v29 offset:64
	ds_load_b32 v5, v32 offset:64
	;; [unrolled: 1-line block ×8, first 2 shown]
	s_wait_dscnt 0x7
	v_add_nc_u32_e32 v118, v4, v28
	s_wait_dscnt 0x6
	v_add3_u32 v117, v31, v30, v5
	s_wait_dscnt 0x5
	v_add3_u32 v116, v34, v33, v6
	s_wait_dscnt 0x4
	v_add3_u32 v115, v65, v64, v7
	s_wait_dscnt 0x3
	v_add3_u32 v114, v68, v67, v24
	s_wait_dscnt 0x2
	v_add3_u32 v112, v110, v70, v25
	s_wait_dscnt 0x1
	v_add3_u32 v111, v113, v111, v26
	s_wait_dscnt 0x0
	v_add3_u32 v110, v120, v119, v27
                                        ; implicit-def: $vgpr71
                                        ; implicit-def: $vgpr69
                                        ; implicit-def: $vgpr67
                                        ; implicit-def: $vgpr65
                                        ; implicit-def: $vgpr34_vgpr35
                                        ; implicit-def: $vgpr30_vgpr31
                                        ; implicit-def: $vgpr26_vgpr27
                                        ; implicit-def: $vgpr6_vgpr7
	s_cbranch_scc1 .LBB205_31
; %bb.55:                               ;   in Loop: Header=BB205_32 Depth=1
	v_lshlrev_b32_e32 v4, 2, v118
	v_lshlrev_b32_e32 v5, 2, v117
	;; [unrolled: 1-line block ×3, first 2 shown]
	s_wait_loadcnt 0x0
	s_barrier_signal -1
	s_barrier_wait -1
	global_inv scope:SCOPE_SE
	ds_store_b32 v4, v102
	ds_store_b32 v5, v109
	;; [unrolled: 1-line block ×3, first 2 shown]
	v_lshlrev_b32_e32 v7, 2, v115
	v_add_nc_u32_e32 v4, v4, v4
	v_lshlrev_b32_e32 v24, 2, v114
	v_add_nc_u32_e32 v5, v5, v5
	;; [unrolled: 2-line block ×3, first 2 shown]
	v_lshlrev_b32_e32 v26, 2, v111
	v_lshlrev_b32_e32 v27, 2, v110
	ds_store_b32 v7, v107
	ds_store_b32 v24, v106
	;; [unrolled: 1-line block ×5, first 2 shown]
	s_wait_loadcnt_dscnt 0x0
	s_barrier_signal -1
	s_barrier_wait -1
	global_inv scope:SCOPE_SE
	ds_load_2addr_b32 v[64:65], v97 offset1:32
	ds_load_2addr_b32 v[66:67], v97 offset0:64 offset1:96
	ds_load_2addr_b32 v[68:69], v97 offset0:128 offset1:160
	;; [unrolled: 1-line block ×3, first 2 shown]
	s_wait_loadcnt_dscnt 0x0
	s_barrier_signal -1
	s_barrier_wait -1
	global_inv scope:SCOPE_SE
	ds_store_b64 v4, v[62:63]
	ds_store_b64 v5, v[60:61]
	;; [unrolled: 1-line block ×3, first 2 shown]
	v_add_nc_u32_e32 v4, v7, v7
	v_add_nc_u32_e32 v5, v24, v24
	;; [unrolled: 1-line block ×5, first 2 shown]
	ds_store_b64 v4, v[56:57]
	ds_store_b64 v5, v[54:55]
	;; [unrolled: 1-line block ×5, first 2 shown]
	s_wait_loadcnt_dscnt 0x0
	s_barrier_signal -1
	s_barrier_wait -1
	global_inv scope:SCOPE_SE
	ds_load_2addr_b64 v[4:7], v98 offset1:32
	ds_load_2addr_b64 v[24:27], v98 offset0:64 offset1:96
	ds_load_2addr_b64 v[28:31], v98 offset0:128 offset1:160
	;; [unrolled: 1-line block ×3, first 2 shown]
	s_add_co_i32 s20, s20, 8
	s_add_co_i32 s21, s21, -8
	s_mov_b32 s18, 0
	s_wait_loadcnt_dscnt 0x0
	s_barrier_signal -1
	s_barrier_wait -1
	global_inv scope:SCOPE_SE
	s_branch .LBB205_31
.LBB205_56:
	v_lshlrev_b64_e32 v[1:2], 3, v[40:41]
	v_dual_mov_b32 v42, v41 :: v_dual_mov_b32 v9, v41
	v_mov_b32_e32 v10, v41
	v_dual_mov_b32 v4, v41 :: v_dual_mov_b32 v5, v41
	s_wait_alu 0xfffe
	s_delay_alu instid0(VALU_DEP_4)
	v_add_co_u32 v1, vcc_lo, s24, v1
	s_wait_alu 0xfffd
	v_add_co_ci_u32_e64 v2, null, s25, v2, vcc_lo
	v_dual_mov_b32 v6, v41 :: v_dual_mov_b32 v7, v41
	v_dual_mov_b32 v8, v41 :: v_dual_mov_b32 v11, v41
	global_load_b64 v[13:14], v[1:2], off
	v_dual_mov_b32 v1, v41 :: v_dual_mov_b32 v2, v41
	v_dual_mov_b32 v3, v41 :: v_dual_mov_b32 v12, v41
	s_or_b32 exec_lo, exec_lo, s8
	s_and_saveexec_b32 s8, s1
	s_cbranch_execz .LBB205_22
.LBB205_57:
	v_mul_lo_u32 v32, s28, v15
	v_mov_b32_e32 v33, 0
	s_delay_alu instid0(VALU_DEP_1) | instskip(NEXT) | instid1(VALU_DEP_1)
	v_lshlrev_b64_e32 v[32:33], 3, v[32:33]
	v_add_co_u32 v32, vcc_lo, s24, v32
	s_wait_alu 0xfffd
	s_delay_alu instid0(VALU_DEP_2)
	v_add_co_ci_u32_e64 v33, null, s25, v33, vcc_lo
	global_load_b64 v[41:42], v[32:33], off
	s_wait_alu 0xfffe
	s_or_b32 exec_lo, exec_lo, s8
	s_and_saveexec_b32 s8, s2
	s_cbranch_execz .LBB205_23
.LBB205_58:
	v_mul_lo_u32 v9, s28, v16
	v_mov_b32_e32 v10, 0
	s_delay_alu instid0(VALU_DEP_1) | instskip(NEXT) | instid1(VALU_DEP_1)
	v_lshlrev_b64_e32 v[9:10], 3, v[9:10]
	v_add_co_u32 v9, vcc_lo, s24, v9
	s_wait_alu 0xfffd
	s_delay_alu instid0(VALU_DEP_2)
	v_add_co_ci_u32_e64 v10, null, s25, v10, vcc_lo
	global_load_b64 v[9:10], v[9:10], off
	s_wait_alu 0xfffe
	s_or_b32 exec_lo, exec_lo, s8
	s_and_saveexec_b32 s8, s3
	s_cbranch_execz .LBB205_24
.LBB205_59:
	v_mul_lo_u32 v1, s28, v17
	v_mov_b32_e32 v2, 0
	s_delay_alu instid0(VALU_DEP_1) | instskip(NEXT) | instid1(VALU_DEP_1)
	v_lshlrev_b64_e32 v[1:2], 3, v[1:2]
	v_add_co_u32 v1, vcc_lo, s24, v1
	s_wait_alu 0xfffd
	s_delay_alu instid0(VALU_DEP_2)
	v_add_co_ci_u32_e64 v2, null, s25, v2, vcc_lo
	global_load_b64 v[1:2], v[1:2], off
	s_wait_alu 0xfffe
	s_or_b32 exec_lo, exec_lo, s8
	s_and_saveexec_b32 s8, s4
	s_cbranch_execz .LBB205_25
.LBB205_60:
	v_mul_lo_u32 v3, s28, v18
	v_mov_b32_e32 v4, 0
	s_delay_alu instid0(VALU_DEP_1) | instskip(NEXT) | instid1(VALU_DEP_1)
	v_lshlrev_b64_e32 v[3:4], 3, v[3:4]
	v_add_co_u32 v3, vcc_lo, s24, v3
	s_wait_alu 0xfffd
	s_delay_alu instid0(VALU_DEP_2)
	v_add_co_ci_u32_e64 v4, null, s25, v4, vcc_lo
	global_load_b64 v[3:4], v[3:4], off
	s_wait_alu 0xfffe
	s_or_b32 exec_lo, exec_lo, s8
	s_and_saveexec_b32 s8, s5
	s_cbranch_execz .LBB205_26
.LBB205_61:
	v_mul_lo_u32 v5, s28, v19
	v_mov_b32_e32 v6, 0
	s_delay_alu instid0(VALU_DEP_1) | instskip(NEXT) | instid1(VALU_DEP_1)
	v_lshlrev_b64_e32 v[5:6], 3, v[5:6]
	v_add_co_u32 v5, vcc_lo, s24, v5
	s_wait_alu 0xfffd
	s_delay_alu instid0(VALU_DEP_2)
	v_add_co_ci_u32_e64 v6, null, s25, v6, vcc_lo
	global_load_b64 v[5:6], v[5:6], off
	s_wait_alu 0xfffe
	s_or_b32 exec_lo, exec_lo, s8
	s_and_saveexec_b32 s8, s6
	s_cbranch_execz .LBB205_27
.LBB205_62:
	v_mul_lo_u32 v7, s28, v20
	v_mov_b32_e32 v8, 0
	s_delay_alu instid0(VALU_DEP_1) | instskip(NEXT) | instid1(VALU_DEP_1)
	v_lshlrev_b64_e32 v[7:8], 3, v[7:8]
	v_add_co_u32 v7, vcc_lo, s24, v7
	s_wait_alu 0xfffd
	s_delay_alu instid0(VALU_DEP_2)
	v_add_co_ci_u32_e64 v8, null, s25, v8, vcc_lo
	global_load_b64 v[7:8], v[7:8], off
	s_wait_alu 0xfffe
	s_or_b32 exec_lo, exec_lo, s8
	s_xor_b32 s8, s12, -1
	s_and_saveexec_b32 s9, s7
	s_cbranch_execnz .LBB205_28
	s_branch .LBB205_29
.LBB205_63:
                                        ; implicit-def: $vgpr34_vgpr35
                                        ; implicit-def: $vgpr38_vgpr39
                                        ; implicit-def: $vgpr26_vgpr27
                                        ; implicit-def: $vgpr30_vgpr31
                                        ; implicit-def: $vgpr0_vgpr1_vgpr2_vgpr3_vgpr4_vgpr5_vgpr6_vgpr7
	s_cbranch_execnz .LBB205_65
	s_branch .LBB205_92
.LBB205_64:
	v_lshlrev_b32_e32 v24, 2, v118
	v_lshlrev_b32_e32 v27, 2, v115
	;; [unrolled: 1-line block ×8, first 2 shown]
	s_wait_loadcnt 0x0
	s_barrier_signal -1
	s_barrier_wait -1
	global_inv scope:SCOPE_SE
	ds_store_b32 v24, v102
	ds_store_b32 v25, v109
	;; [unrolled: 1-line block ×8, first 2 shown]
	s_wait_loadcnt_dscnt 0x0
	s_barrier_signal -1
	s_barrier_wait -1
	global_inv scope:SCOPE_SE
	ds_load_b128 v[0:3], v89
	ds_load_b128 v[4:7], v89 offset:16
	v_add_nc_u32_e32 v24, v24, v24
	v_add_nc_u32_e32 v25, v25, v25
	;; [unrolled: 1-line block ×3, first 2 shown]
	s_wait_loadcnt_dscnt 0x0
	s_barrier_signal -1
	s_barrier_wait -1
	global_inv scope:SCOPE_SE
	ds_store_b64 v24, v[62:63]
	ds_store_b64 v25, v[60:61]
	;; [unrolled: 1-line block ×3, first 2 shown]
	v_add_nc_u32_e32 v24, v27, v27
	v_add_nc_u32_e32 v25, v28, v28
	;; [unrolled: 1-line block ×5, first 2 shown]
	ds_store_b64 v24, v[56:57]
	ds_store_b64 v25, v[54:55]
	;; [unrolled: 1-line block ×5, first 2 shown]
	v_lshl_add_u32 v32, v45, 5, v89
	s_wait_loadcnt_dscnt 0x0
	s_barrier_signal -1
	s_barrier_wait -1
	v_cmp_lt_i32_e32 vcc_lo, -1, v0
	global_inv scope:SCOPE_SE
	ds_load_b128 v[28:31], v32
	ds_load_b128 v[24:27], v32 offset:16
	ds_load_b128 v[36:39], v32 offset:32
	;; [unrolled: 1-line block ×3, first 2 shown]
	s_wait_alu 0xfffd
	v_cndmask_b32_e64 v41, 0x80000000, -1, vcc_lo
	v_cmp_lt_i32_e32 vcc_lo, -1, v1
	s_delay_alu instid0(VALU_DEP_2) | instskip(SKIP_3) | instid1(VALU_DEP_2)
	v_xor_b32_e32 v0, v41, v0
	s_wait_alu 0xfffd
	v_cndmask_b32_e64 v42, 0x80000000, -1, vcc_lo
	v_cmp_lt_i32_e32 vcc_lo, -1, v2
	v_xor_b32_e32 v1, v42, v1
	s_wait_alu 0xfffd
	v_cndmask_b32_e64 v54, 0x80000000, -1, vcc_lo
	v_cmp_lt_i32_e32 vcc_lo, -1, v3
	s_delay_alu instid0(VALU_DEP_2) | instskip(SKIP_3) | instid1(VALU_DEP_2)
	v_xor_b32_e32 v2, v54, v2
	s_wait_alu 0xfffd
	v_cndmask_b32_e64 v41, 0x80000000, -1, vcc_lo
	v_cmp_lt_i32_e32 vcc_lo, -1, v4
	v_xor_b32_e32 v3, v41, v3
	;; [unrolled: 9-line block ×3, first 2 shown]
	s_wait_alu 0xfffd
	v_cndmask_b32_e64 v55, 0x80000000, -1, vcc_lo
	v_cmp_lt_i32_e32 vcc_lo, -1, v7
	s_delay_alu instid0(VALU_DEP_2) | instskip(SKIP_2) | instid1(VALU_DEP_1)
	v_xor_b32_e32 v6, v55, v6
	s_wait_alu 0xfffd
	v_cndmask_b32_e64 v56, 0x80000000, -1, vcc_lo
	v_xor_b32_e32 v7, v56, v7
	s_branch .LBB205_92
.LBB205_65:
	v_cmp_gt_i32_e32 vcc_lo, 0, v52
	v_or_b32_e32 v7, v93, v94
	s_wait_dscnt 0x2
	v_and_or_b32 v25, 0x1f00, v91, v93
	s_mov_b32 s20, 0
	s_getpc_b64 s[8:9]
	s_wait_alu 0xfffe
	s_sext_i32_i16 s9, s9
	s_add_co_u32 s8, s8, _ZN7rocprim17ROCPRIM_400000_NS16block_radix_sortIfLj512ELj8ElLj1ELj1ELj0ELNS0_26block_radix_rank_algorithmE1ELNS0_18block_padding_hintE2ELNS0_4arch9wavefront6targetE0EE19radix_bits_per_passE@rel32@lo+12
	s_wait_alu 0xfffe
	s_add_co_ci_u32 s9, s9, _ZN7rocprim17ROCPRIM_400000_NS16block_radix_sortIfLj512ELj8ElLj1ELj1ELj0ELNS0_26block_radix_rank_algorithmE1ELNS0_18block_padding_hintE2ELNS0_4arch9wavefront6targetE0EE19radix_bits_per_passE@rel32@hi+24
	s_wait_alu 0xfffd
	v_cndmask_b32_e64 v0, 0x7fffffff, 0, vcc_lo
	v_cmp_gt_i32_e32 vcc_lo, 0, v53
	s_mov_b32 s21, s20
	s_mov_b32 s22, s20
	;; [unrolled: 1-line block ×3, first 2 shown]
	v_xor_b32_e32 v0, v0, v52
	s_wait_alu 0xfffd
	v_cndmask_b32_e64 v1, 0x7fffffff, 0, vcc_lo
	v_cmp_gt_i32_e32 vcc_lo, 0, v50
	v_lshlrev_b32_e32 v26, 5, v7
	s_load_b32 s19, s[8:9], 0x0
	v_cmp_gt_u32_e64 s15, 16, v45
	v_xor_b32_e32 v1, v1, v53
	v_cndmask_b32_e64 v2, 0x7fffffff, 0, vcc_lo
	v_cmp_gt_i32_e32 vcc_lo, 0, v51
	v_cmp_lt_u32_e64 s16, 31, v45
	v_cmp_eq_u32_e64 s17, 0, v45
	v_add_nc_u32_e32 v53, v89, v92
	v_xor_b32_e32 v2, v2, v50
	s_wait_alu 0xfffd
	v_cndmask_b32_e64 v3, 0x7fffffff, 0, vcc_lo
	v_cmp_gt_i32_e32 vcc_lo, 0, v48
	s_delay_alu instid0(VALU_DEP_2) | instskip(SKIP_4) | instid1(VALU_DEP_3)
	v_xor_b32_e32 v3, v3, v51
	s_wait_alu 0xfffd
	v_cndmask_b32_e64 v4, 0x7fffffff, 0, vcc_lo
	v_cmp_gt_i32_e32 vcc_lo, 0, v49
	v_add_nc_u32_e32 v51, -4, v90
	v_xor_b32_e32 v4, v4, v48
	s_wait_alu 0xfffd
	v_cndmask_b32_e64 v5, 0x7fffffff, 0, vcc_lo
	v_cmp_gt_i32_e32 vcc_lo, 0, v46
	v_lshlrev_b32_e32 v48, 2, v25
	s_delay_alu instid0(VALU_DEP_3) | instskip(SKIP_4) | instid1(VALU_DEP_3)
	v_xor_b32_e32 v5, v5, v49
	s_wait_alu 0xfffd
	v_cndmask_b32_e64 v6, 0x7fffffff, 0, vcc_lo
	v_cmp_gt_i32_e32 vcc_lo, 0, v47
	v_add_nc_u32_e32 v49, v48, v48
	v_xor_b32_e32 v6, v6, v46
	s_wait_alu 0xfffd
	v_cndmask_b32_e64 v24, 0x7fffffff, 0, vcc_lo
	s_delay_alu instid0(VALU_DEP_1)
	v_xor_b32_e32 v7, v24, v47
	ds_store_b128 v26, v[0:3]
	ds_store_b128 v26, v[4:7] offset:16
	v_add_nc_u32_e32 v0, v26, v26
	; wave barrier
	s_wait_dscnt 0x3
	ds_load_2addr_b32 v[36:37], v48 offset1:32
	ds_load_2addr_b32 v[38:39], v48 offset0:64 offset1:96
	ds_load_2addr_b32 v[41:42], v48 offset0:128 offset1:160
	;; [unrolled: 1-line block ×3, first 2 shown]
	s_wait_loadcnt_dscnt 0x0
	s_barrier_signal -1
	s_barrier_wait -1
	global_inv scope:SCOPE_SE
	ds_store_b128 v0, v[20:23]
	ds_store_b128 v0, v[16:19] offset:16
	ds_store_b128 v0, v[12:15] offset:32
	;; [unrolled: 1-line block ×3, first 2 shown]
	; wave barrier
	ds_load_2addr_b64 v[4:7], v49 offset1:32
	ds_load_2addr_b64 v[8:11], v49 offset0:64 offset1:96
	ds_load_2addr_b64 v[12:15], v49 offset0:128 offset1:160
	;; [unrolled: 1-line block ×3, first 2 shown]
	s_wait_loadcnt_dscnt 0x0
	s_barrier_signal -1
	s_barrier_wait -1
	global_inv scope:SCOPE_SE
	s_load_b32 s10, s[34:35], 0xc
	v_and_b32_e32 v2, 15, v93
	v_and_b32_e32 v20, 16, v93
	s_delay_alu instid0(VALU_DEP_2) | instskip(SKIP_1) | instid1(VALU_DEP_3)
	v_cmp_lt_u32_e64 s9, 1, v2
	v_cmp_lt_u32_e64 s12, 7, v2
	v_cmp_eq_u32_e64 s13, 0, v20
	s_wait_kmcnt 0x0
	s_lshr_b32 s11, s10, 16
	s_and_b32 s8, s10, 0xffff
	s_wait_alu 0xfffe
	v_mad_u32_u24 v0, v96, s11, v95
	v_sub_co_u32 v3, s10, v93, 1
	v_cmp_lt_u32_e64 s11, 3, v2
	s_delay_alu instid0(VALU_DEP_3) | instskip(SKIP_1) | instid1(VALU_DEP_4)
	v_mad_co_u64_u32 v[0:1], null, v0, s8, v[45:46]
	v_min_u32_e32 v1, 0x1e0, v94
	v_cmp_gt_i32_e32 vcc_lo, 0, v3
	v_cmp_eq_u32_e64 s8, 0, v2
	s_delay_alu instid0(VALU_DEP_3) | instskip(SKIP_3) | instid1(VALU_DEP_3)
	v_or_b32_e32 v1, 31, v1
	s_wait_alu 0xfffd
	v_cndmask_b32_e32 v2, v3, v93, vcc_lo
	v_lshrrev_b32_e32 v0, 3, v0
	v_cmp_eq_u32_e64 s14, v45, v1
	s_delay_alu instid0(VALU_DEP_3) | instskip(NEXT) | instid1(VALU_DEP_3)
	v_lshlrev_b32_e32 v50, 2, v2
	v_and_b32_e32 v52, 0x1ffffffc, v0
	v_dual_mov_b32 v0, s20 :: v_dual_mov_b32 v1, s21
	v_dual_mov_b32 v2, s22 :: v_dual_mov_b32 v3, s23
	s_mov_b32 s21, 32
	s_branch .LBB205_67
.LBB205_66:                             ;   in Loop: Header=BB205_67 Depth=1
	s_wait_alu 0xfffe
	s_and_not1_b32 vcc_lo, exec_lo, s18
	s_wait_alu 0xfffe
	s_cbranch_vccz .LBB205_91
.LBB205_67:                             ; =>This Inner Loop Header: Depth=1
	v_dual_mov_b32 v54, v36 :: v_dual_mov_b32 v55, v47
	s_wait_alu 0xfffe
	s_min_u32 s18, s19, s21
	ds_store_b128 v89, v[0:3] offset:64
	ds_store_b128 v89, v[0:3] offset:80
	s_wait_alu 0xfffe
	s_lshl_b32 s18, -1, s18
	v_cmp_ne_u32_e32 vcc_lo, 0x80000000, v54
	s_wait_alu 0xfffe
	s_not_b32 s22, s18
	s_wait_loadcnt_dscnt 0x0
	s_barrier_signal -1
	s_barrier_wait -1
	s_wait_alu 0xfffd
	v_dual_cndmask_b32 v20, 0x7fffffff, v54 :: v_dual_mov_b32 v57, v42
	global_inv scope:SCOPE_SE
	; wave barrier
	v_lshrrev_b32_e32 v20, s20, v20
	v_mov_b32_e32 v59, v39
	v_dual_mov_b32 v61, v37 :: v_dual_mov_b32 v58, v41
	v_mov_b32_e32 v60, v38
	s_wait_alu 0xfffe
	v_and_b32_e32 v36, s22, v20
	v_dual_mov_b32 v56, v46 :: v_dual_mov_b32 v31, v9
	v_dual_mov_b32 v30, v8 :: v_dual_mov_b32 v33, v7
	s_delay_alu instid0(VALU_DEP_3)
	v_and_b32_e32 v20, 1, v36
	v_lshlrev_b32_e32 v21, 30, v36
	v_lshlrev_b32_e32 v22, 29, v36
	;; [unrolled: 1-line block ×4, first 2 shown]
	v_add_co_u32 v20, s18, v20, -1
	s_wait_alu 0xf1ff
	v_cndmask_b32_e64 v24, 0, 1, s18
	v_not_b32_e32 v28, v21
	v_cmp_gt_i32_e64 s18, 0, v21
	v_not_b32_e32 v21, v22
	v_lshlrev_b32_e32 v26, 26, v36
	v_cmp_ne_u32_e32 vcc_lo, 0, v24
	v_ashrrev_i32_e32 v28, 31, v28
	v_lshlrev_b32_e32 v27, 25, v36
	v_ashrrev_i32_e32 v21, 31, v21
	v_lshlrev_b32_e32 v24, 24, v36
	s_wait_alu 0xfffd
	v_xor_b32_e32 v20, vcc_lo, v20
	v_cmp_gt_i32_e32 vcc_lo, 0, v22
	v_not_b32_e32 v22, v23
	s_wait_alu 0xf1ff
	v_xor_b32_e32 v28, s18, v28
	v_cmp_gt_i32_e64 s18, 0, v23
	v_and_b32_e32 v20, exec_lo, v20
	v_not_b32_e32 v23, v25
	v_ashrrev_i32_e32 v22, 31, v22
	s_wait_alu 0xfffd
	v_xor_b32_e32 v21, vcc_lo, v21
	v_cmp_gt_i32_e32 vcc_lo, 0, v25
	v_and_b32_e32 v20, v20, v28
	v_not_b32_e32 v25, v26
	v_ashrrev_i32_e32 v23, 31, v23
	s_wait_alu 0xf1ff
	v_xor_b32_e32 v22, s18, v22
	v_cmp_gt_i32_e64 s18, 0, v26
	v_and_b32_e32 v20, v20, v21
	v_not_b32_e32 v21, v27
	v_ashrrev_i32_e32 v25, 31, v25
	s_wait_alu 0xfffd
	v_xor_b32_e32 v23, vcc_lo, v23
	v_cmp_gt_i32_e32 vcc_lo, 0, v27
	v_and_b32_e32 v20, v20, v22
	v_ashrrev_i32_e32 v21, 31, v21
	s_wait_alu 0xf1ff
	v_xor_b32_e32 v25, s18, v25
	v_mov_b32_e32 v27, v13
	v_not_b32_e32 v22, v24
	v_dual_mov_b32 v35, v5 :: v_dual_and_b32 v20, v20, v23
	v_cmp_gt_i32_e64 s18, 0, v24
	s_wait_alu 0xfffd
	v_xor_b32_e32 v21, vcc_lo, v21
	v_ashrrev_i32_e32 v22, 31, v22
	v_dual_mov_b32 v25, v15 :: v_dual_and_b32 v20, v20, v25
	v_mov_b32_e32 v26, v12
	v_mov_b32_e32 v34, v4
	s_wait_alu 0xf1ff
	v_xor_b32_e32 v28, s18, v22
	v_dual_mov_b32 v24, v14 :: v_dual_and_b32 v29, v20, v21
	v_dual_mov_b32 v21, v19 :: v_dual_lshlrev_b32 v4, 6, v36
	v_mov_b32_e32 v23, v17
	s_delay_alu instid0(VALU_DEP_3) | instskip(SKIP_3) | instid1(VALU_DEP_4)
	v_dual_mov_b32 v29, v11 :: v_dual_and_b32 v14, v29, v28
	v_mov_b32_e32 v20, v18
	v_mov_b32_e32 v22, v16
	v_dual_mov_b32 v28, v10 :: v_dual_add_nc_u32 v13, v52, v4
	v_mbcnt_lo_u32_b32 v12, v14, 0
	v_cmp_ne_u32_e64 s18, 0, v14
	v_mov_b32_e32 v32, v6
	s_delay_alu instid0(VALU_DEP_3)
	v_cmp_eq_u32_e32 vcc_lo, 0, v12
	s_and_b32 s23, s18, vcc_lo
	s_wait_alu 0xfffe
	s_and_saveexec_b32 s18, s23
; %bb.68:                               ;   in Loop: Header=BB205_67 Depth=1
	v_bcnt_u32_b32 v4, v14, 0
	ds_store_b32 v13, v4 offset:64
; %bb.69:                               ;   in Loop: Header=BB205_67 Depth=1
	s_wait_alu 0xfffe
	s_or_b32 exec_lo, exec_lo, s18
	v_cmp_ne_u32_e32 vcc_lo, 0x80000000, v61
	; wave barrier
	s_wait_alu 0xfffd
	v_cndmask_b32_e32 v4, 0x7fffffff, v61, vcc_lo
	s_delay_alu instid0(VALU_DEP_1) | instskip(NEXT) | instid1(VALU_DEP_1)
	v_lshrrev_b32_e32 v4, s20, v4
	v_and_b32_e32 v4, s22, v4
	s_delay_alu instid0(VALU_DEP_1)
	v_and_b32_e32 v5, 1, v4
	v_lshlrev_b32_e32 v6, 30, v4
	v_lshlrev_b32_e32 v7, 29, v4
	;; [unrolled: 1-line block ×4, first 2 shown]
	v_add_co_u32 v5, s18, v5, -1
	s_wait_alu 0xf1ff
	v_cndmask_b32_e64 v9, 0, 1, s18
	v_not_b32_e32 v15, v6
	v_cmp_gt_i32_e64 s18, 0, v6
	v_not_b32_e32 v6, v7
	v_lshlrev_b32_e32 v11, 26, v4
	v_cmp_ne_u32_e32 vcc_lo, 0, v9
	v_ashrrev_i32_e32 v15, 31, v15
	v_lshlrev_b32_e32 v14, 25, v4
	v_ashrrev_i32_e32 v6, 31, v6
	v_lshlrev_b32_e32 v9, 24, v4
	s_wait_alu 0xfffd
	v_xor_b32_e32 v5, vcc_lo, v5
	v_cmp_gt_i32_e32 vcc_lo, 0, v7
	v_not_b32_e32 v7, v8
	s_wait_alu 0xf1ff
	v_xor_b32_e32 v15, s18, v15
	v_cmp_gt_i32_e64 s18, 0, v8
	v_and_b32_e32 v5, exec_lo, v5
	v_not_b32_e32 v8, v10
	v_ashrrev_i32_e32 v7, 31, v7
	s_wait_alu 0xfffd
	v_xor_b32_e32 v6, vcc_lo, v6
	v_cmp_gt_i32_e32 vcc_lo, 0, v10
	v_and_b32_e32 v5, v5, v15
	v_not_b32_e32 v10, v11
	v_ashrrev_i32_e32 v8, 31, v8
	s_wait_alu 0xf1ff
	v_xor_b32_e32 v7, s18, v7
	v_cmp_gt_i32_e64 s18, 0, v11
	v_and_b32_e32 v5, v5, v6
	v_not_b32_e32 v6, v14
	v_ashrrev_i32_e32 v10, 31, v10
	s_wait_alu 0xfffd
	v_xor_b32_e32 v8, vcc_lo, v8
	v_cmp_gt_i32_e32 vcc_lo, 0, v14
	v_and_b32_e32 v5, v5, v7
	v_not_b32_e32 v7, v9
	v_ashrrev_i32_e32 v6, 31, v6
	s_wait_alu 0xf1ff
	v_xor_b32_e32 v10, s18, v10
	v_lshlrev_b32_e32 v4, 6, v4
	v_and_b32_e32 v5, v5, v8
	v_cmp_gt_i32_e64 s18, 0, v9
	v_ashrrev_i32_e32 v7, 31, v7
	s_wait_alu 0xfffd
	v_xor_b32_e32 v6, vcc_lo, v6
	v_add_nc_u32_e32 v16, v52, v4
	v_and_b32_e32 v5, v5, v10
	s_wait_alu 0xf1ff
	v_xor_b32_e32 v4, s18, v7
	ds_load_b32 v14, v16 offset:64
	v_and_b32_e32 v5, v5, v6
	; wave barrier
	s_delay_alu instid0(VALU_DEP_1) | instskip(NEXT) | instid1(VALU_DEP_1)
	v_and_b32_e32 v4, v5, v4
	v_mbcnt_lo_u32_b32 v15, v4, 0
	v_cmp_ne_u32_e64 s18, 0, v4
	s_delay_alu instid0(VALU_DEP_2)
	v_cmp_eq_u32_e32 vcc_lo, 0, v15
	s_and_b32 s23, s18, vcc_lo
	s_wait_alu 0xfffe
	s_and_saveexec_b32 s18, s23
	s_cbranch_execz .LBB205_71
; %bb.70:                               ;   in Loop: Header=BB205_67 Depth=1
	s_wait_dscnt 0x0
	v_bcnt_u32_b32 v4, v4, v14
	ds_store_b32 v16, v4 offset:64
.LBB205_71:                             ;   in Loop: Header=BB205_67 Depth=1
	s_wait_alu 0xfffe
	s_or_b32 exec_lo, exec_lo, s18
	v_cmp_ne_u32_e32 vcc_lo, 0x80000000, v60
	; wave barrier
	s_wait_alu 0xfffd
	v_cndmask_b32_e32 v4, 0x7fffffff, v60, vcc_lo
	s_delay_alu instid0(VALU_DEP_1) | instskip(NEXT) | instid1(VALU_DEP_1)
	v_lshrrev_b32_e32 v4, s20, v4
	v_and_b32_e32 v4, s22, v4
	s_delay_alu instid0(VALU_DEP_1)
	v_and_b32_e32 v5, 1, v4
	v_lshlrev_b32_e32 v6, 30, v4
	v_lshlrev_b32_e32 v7, 29, v4
	;; [unrolled: 1-line block ×4, first 2 shown]
	v_add_co_u32 v5, s18, v5, -1
	s_wait_alu 0xf1ff
	v_cndmask_b32_e64 v9, 0, 1, s18
	v_not_b32_e32 v18, v6
	v_cmp_gt_i32_e64 s18, 0, v6
	v_not_b32_e32 v6, v7
	v_lshlrev_b32_e32 v11, 26, v4
	v_cmp_ne_u32_e32 vcc_lo, 0, v9
	v_ashrrev_i32_e32 v18, 31, v18
	v_lshlrev_b32_e32 v17, 25, v4
	v_ashrrev_i32_e32 v6, 31, v6
	v_lshlrev_b32_e32 v9, 24, v4
	s_wait_alu 0xfffd
	v_xor_b32_e32 v5, vcc_lo, v5
	v_cmp_gt_i32_e32 vcc_lo, 0, v7
	v_not_b32_e32 v7, v8
	s_wait_alu 0xf1ff
	v_xor_b32_e32 v18, s18, v18
	v_cmp_gt_i32_e64 s18, 0, v8
	v_and_b32_e32 v5, exec_lo, v5
	v_not_b32_e32 v8, v10
	v_ashrrev_i32_e32 v7, 31, v7
	s_wait_alu 0xfffd
	v_xor_b32_e32 v6, vcc_lo, v6
	v_cmp_gt_i32_e32 vcc_lo, 0, v10
	v_and_b32_e32 v5, v5, v18
	v_not_b32_e32 v10, v11
	v_ashrrev_i32_e32 v8, 31, v8
	s_wait_alu 0xf1ff
	v_xor_b32_e32 v7, s18, v7
	v_cmp_gt_i32_e64 s18, 0, v11
	v_and_b32_e32 v5, v5, v6
	v_not_b32_e32 v6, v17
	v_ashrrev_i32_e32 v10, 31, v10
	s_wait_alu 0xfffd
	v_xor_b32_e32 v8, vcc_lo, v8
	v_cmp_gt_i32_e32 vcc_lo, 0, v17
	v_and_b32_e32 v5, v5, v7
	v_not_b32_e32 v7, v9
	v_ashrrev_i32_e32 v6, 31, v6
	s_wait_alu 0xf1ff
	v_xor_b32_e32 v10, s18, v10
	v_lshlrev_b32_e32 v4, 6, v4
	v_and_b32_e32 v5, v5, v8
	v_cmp_gt_i32_e64 s18, 0, v9
	v_ashrrev_i32_e32 v7, 31, v7
	s_wait_alu 0xfffd
	v_xor_b32_e32 v6, vcc_lo, v6
	v_add_nc_u32_e32 v19, v52, v4
	v_and_b32_e32 v5, v5, v10
	s_wait_alu 0xf1ff
	v_xor_b32_e32 v4, s18, v7
	ds_load_b32 v17, v19 offset:64
	v_and_b32_e32 v5, v5, v6
	; wave barrier
	s_delay_alu instid0(VALU_DEP_1) | instskip(NEXT) | instid1(VALU_DEP_1)
	v_and_b32_e32 v4, v5, v4
	v_mbcnt_lo_u32_b32 v18, v4, 0
	v_cmp_ne_u32_e64 s18, 0, v4
	s_delay_alu instid0(VALU_DEP_2)
	v_cmp_eq_u32_e32 vcc_lo, 0, v18
	s_and_b32 s23, s18, vcc_lo
	s_wait_alu 0xfffe
	s_and_saveexec_b32 s18, s23
	s_cbranch_execz .LBB205_73
; %bb.72:                               ;   in Loop: Header=BB205_67 Depth=1
	s_wait_dscnt 0x0
	v_bcnt_u32_b32 v4, v4, v17
	ds_store_b32 v19, v4 offset:64
.LBB205_73:                             ;   in Loop: Header=BB205_67 Depth=1
	s_wait_alu 0xfffe
	s_or_b32 exec_lo, exec_lo, s18
	v_cmp_ne_u32_e32 vcc_lo, 0x80000000, v59
	; wave barrier
	s_wait_alu 0xfffd
	v_cndmask_b32_e32 v4, 0x7fffffff, v59, vcc_lo
	s_delay_alu instid0(VALU_DEP_1) | instskip(NEXT) | instid1(VALU_DEP_1)
	v_lshrrev_b32_e32 v4, s20, v4
	v_and_b32_e32 v4, s22, v4
	s_delay_alu instid0(VALU_DEP_1)
	v_and_b32_e32 v5, 1, v4
	v_lshlrev_b32_e32 v6, 30, v4
	v_lshlrev_b32_e32 v7, 29, v4
	v_lshlrev_b32_e32 v8, 28, v4
	v_lshlrev_b32_e32 v10, 27, v4
	v_add_co_u32 v5, s18, v5, -1
	s_wait_alu 0xf1ff
	v_cndmask_b32_e64 v9, 0, 1, s18
	v_not_b32_e32 v37, v6
	v_cmp_gt_i32_e64 s18, 0, v6
	v_not_b32_e32 v6, v7
	v_lshlrev_b32_e32 v11, 26, v4
	v_cmp_ne_u32_e32 vcc_lo, 0, v9
	v_ashrrev_i32_e32 v37, 31, v37
	v_lshlrev_b32_e32 v36, 25, v4
	v_ashrrev_i32_e32 v6, 31, v6
	v_lshlrev_b32_e32 v9, 24, v4
	s_wait_alu 0xfffd
	v_xor_b32_e32 v5, vcc_lo, v5
	v_cmp_gt_i32_e32 vcc_lo, 0, v7
	v_not_b32_e32 v7, v8
	s_wait_alu 0xf1ff
	v_xor_b32_e32 v37, s18, v37
	v_cmp_gt_i32_e64 s18, 0, v8
	v_and_b32_e32 v5, exec_lo, v5
	v_not_b32_e32 v8, v10
	v_ashrrev_i32_e32 v7, 31, v7
	s_wait_alu 0xfffd
	v_xor_b32_e32 v6, vcc_lo, v6
	v_cmp_gt_i32_e32 vcc_lo, 0, v10
	v_and_b32_e32 v5, v5, v37
	v_not_b32_e32 v10, v11
	v_ashrrev_i32_e32 v8, 31, v8
	s_wait_alu 0xf1ff
	v_xor_b32_e32 v7, s18, v7
	v_cmp_gt_i32_e64 s18, 0, v11
	v_and_b32_e32 v5, v5, v6
	v_not_b32_e32 v6, v36
	v_ashrrev_i32_e32 v10, 31, v10
	s_wait_alu 0xfffd
	v_xor_b32_e32 v8, vcc_lo, v8
	v_cmp_gt_i32_e32 vcc_lo, 0, v36
	v_and_b32_e32 v5, v5, v7
	v_not_b32_e32 v7, v9
	v_ashrrev_i32_e32 v6, 31, v6
	s_wait_alu 0xf1ff
	v_xor_b32_e32 v10, s18, v10
	v_lshlrev_b32_e32 v4, 6, v4
	v_and_b32_e32 v5, v5, v8
	v_cmp_gt_i32_e64 s18, 0, v9
	v_ashrrev_i32_e32 v7, 31, v7
	s_wait_alu 0xfffd
	v_xor_b32_e32 v6, vcc_lo, v6
	v_add_nc_u32_e32 v38, v52, v4
	v_and_b32_e32 v5, v5, v10
	s_wait_alu 0xf1ff
	v_xor_b32_e32 v4, s18, v7
	ds_load_b32 v36, v38 offset:64
	v_and_b32_e32 v5, v5, v6
	; wave barrier
	s_delay_alu instid0(VALU_DEP_1) | instskip(NEXT) | instid1(VALU_DEP_1)
	v_and_b32_e32 v4, v5, v4
	v_mbcnt_lo_u32_b32 v37, v4, 0
	v_cmp_ne_u32_e64 s18, 0, v4
	s_delay_alu instid0(VALU_DEP_2)
	v_cmp_eq_u32_e32 vcc_lo, 0, v37
	s_and_b32 s23, s18, vcc_lo
	s_wait_alu 0xfffe
	s_and_saveexec_b32 s18, s23
	s_cbranch_execz .LBB205_75
; %bb.74:                               ;   in Loop: Header=BB205_67 Depth=1
	s_wait_dscnt 0x0
	v_bcnt_u32_b32 v4, v4, v36
	ds_store_b32 v38, v4 offset:64
.LBB205_75:                             ;   in Loop: Header=BB205_67 Depth=1
	s_wait_alu 0xfffe
	s_or_b32 exec_lo, exec_lo, s18
	v_cmp_ne_u32_e32 vcc_lo, 0x80000000, v58
	; wave barrier
	s_wait_alu 0xfffd
	v_cndmask_b32_e32 v4, 0x7fffffff, v58, vcc_lo
	s_delay_alu instid0(VALU_DEP_1) | instskip(NEXT) | instid1(VALU_DEP_1)
	v_lshrrev_b32_e32 v4, s20, v4
	v_and_b32_e32 v4, s22, v4
	s_delay_alu instid0(VALU_DEP_1)
	v_and_b32_e32 v5, 1, v4
	v_lshlrev_b32_e32 v6, 30, v4
	v_lshlrev_b32_e32 v7, 29, v4
	;; [unrolled: 1-line block ×4, first 2 shown]
	v_add_co_u32 v5, s18, v5, -1
	s_wait_alu 0xf1ff
	v_cndmask_b32_e64 v9, 0, 1, s18
	v_not_b32_e32 v41, v6
	v_cmp_gt_i32_e64 s18, 0, v6
	v_not_b32_e32 v6, v7
	v_lshlrev_b32_e32 v11, 26, v4
	v_cmp_ne_u32_e32 vcc_lo, 0, v9
	v_ashrrev_i32_e32 v41, 31, v41
	v_lshlrev_b32_e32 v39, 25, v4
	v_ashrrev_i32_e32 v6, 31, v6
	v_lshlrev_b32_e32 v9, 24, v4
	s_wait_alu 0xfffd
	v_xor_b32_e32 v5, vcc_lo, v5
	v_cmp_gt_i32_e32 vcc_lo, 0, v7
	v_not_b32_e32 v7, v8
	s_wait_alu 0xf1ff
	v_xor_b32_e32 v41, s18, v41
	v_cmp_gt_i32_e64 s18, 0, v8
	v_and_b32_e32 v5, exec_lo, v5
	v_not_b32_e32 v8, v10
	v_ashrrev_i32_e32 v7, 31, v7
	s_wait_alu 0xfffd
	v_xor_b32_e32 v6, vcc_lo, v6
	v_cmp_gt_i32_e32 vcc_lo, 0, v10
	v_and_b32_e32 v5, v5, v41
	v_not_b32_e32 v10, v11
	v_ashrrev_i32_e32 v8, 31, v8
	s_wait_alu 0xf1ff
	v_xor_b32_e32 v7, s18, v7
	v_cmp_gt_i32_e64 s18, 0, v11
	v_and_b32_e32 v5, v5, v6
	v_not_b32_e32 v6, v39
	v_ashrrev_i32_e32 v10, 31, v10
	s_wait_alu 0xfffd
	v_xor_b32_e32 v8, vcc_lo, v8
	v_cmp_gt_i32_e32 vcc_lo, 0, v39
	v_and_b32_e32 v5, v5, v7
	v_not_b32_e32 v7, v9
	v_ashrrev_i32_e32 v6, 31, v6
	s_wait_alu 0xf1ff
	v_xor_b32_e32 v10, s18, v10
	v_lshlrev_b32_e32 v4, 6, v4
	v_and_b32_e32 v5, v5, v8
	v_cmp_gt_i32_e64 s18, 0, v9
	v_ashrrev_i32_e32 v7, 31, v7
	s_wait_alu 0xfffd
	v_xor_b32_e32 v6, vcc_lo, v6
	v_add_nc_u32_e32 v42, v52, v4
	v_and_b32_e32 v5, v5, v10
	s_wait_alu 0xf1ff
	v_xor_b32_e32 v4, s18, v7
	ds_load_b32 v39, v42 offset:64
	v_and_b32_e32 v5, v5, v6
	; wave barrier
	s_delay_alu instid0(VALU_DEP_1) | instskip(NEXT) | instid1(VALU_DEP_1)
	v_and_b32_e32 v4, v5, v4
	v_mbcnt_lo_u32_b32 v41, v4, 0
	v_cmp_ne_u32_e64 s18, 0, v4
	s_delay_alu instid0(VALU_DEP_2)
	v_cmp_eq_u32_e32 vcc_lo, 0, v41
	s_and_b32 s23, s18, vcc_lo
	s_wait_alu 0xfffe
	s_and_saveexec_b32 s18, s23
	s_cbranch_execz .LBB205_77
; %bb.76:                               ;   in Loop: Header=BB205_67 Depth=1
	s_wait_dscnt 0x0
	v_bcnt_u32_b32 v4, v4, v39
	ds_store_b32 v42, v4 offset:64
.LBB205_77:                             ;   in Loop: Header=BB205_67 Depth=1
	s_wait_alu 0xfffe
	s_or_b32 exec_lo, exec_lo, s18
	v_cmp_ne_u32_e32 vcc_lo, 0x80000000, v57
	; wave barrier
	s_wait_alu 0xfffd
	v_cndmask_b32_e32 v4, 0x7fffffff, v57, vcc_lo
	s_delay_alu instid0(VALU_DEP_1) | instskip(NEXT) | instid1(VALU_DEP_1)
	v_lshrrev_b32_e32 v4, s20, v4
	v_and_b32_e32 v4, s22, v4
	s_delay_alu instid0(VALU_DEP_1)
	v_and_b32_e32 v5, 1, v4
	v_lshlrev_b32_e32 v6, 30, v4
	v_lshlrev_b32_e32 v7, 29, v4
	;; [unrolled: 1-line block ×4, first 2 shown]
	v_add_co_u32 v5, s18, v5, -1
	s_wait_alu 0xf1ff
	v_cndmask_b32_e64 v9, 0, 1, s18
	v_not_b32_e32 v47, v6
	v_cmp_gt_i32_e64 s18, 0, v6
	v_not_b32_e32 v6, v7
	v_lshlrev_b32_e32 v11, 26, v4
	v_cmp_ne_u32_e32 vcc_lo, 0, v9
	v_ashrrev_i32_e32 v47, 31, v47
	v_lshlrev_b32_e32 v46, 25, v4
	v_ashrrev_i32_e32 v6, 31, v6
	v_lshlrev_b32_e32 v9, 24, v4
	s_wait_alu 0xfffd
	v_xor_b32_e32 v5, vcc_lo, v5
	v_cmp_gt_i32_e32 vcc_lo, 0, v7
	v_not_b32_e32 v7, v8
	s_wait_alu 0xf1ff
	v_xor_b32_e32 v47, s18, v47
	v_cmp_gt_i32_e64 s18, 0, v8
	v_and_b32_e32 v5, exec_lo, v5
	v_not_b32_e32 v8, v10
	v_ashrrev_i32_e32 v7, 31, v7
	s_wait_alu 0xfffd
	v_xor_b32_e32 v6, vcc_lo, v6
	v_cmp_gt_i32_e32 vcc_lo, 0, v10
	v_and_b32_e32 v5, v5, v47
	v_not_b32_e32 v10, v11
	v_ashrrev_i32_e32 v8, 31, v8
	s_wait_alu 0xf1ff
	v_xor_b32_e32 v7, s18, v7
	v_cmp_gt_i32_e64 s18, 0, v11
	v_and_b32_e32 v5, v5, v6
	v_not_b32_e32 v6, v46
	v_ashrrev_i32_e32 v10, 31, v10
	s_wait_alu 0xfffd
	v_xor_b32_e32 v8, vcc_lo, v8
	v_cmp_gt_i32_e32 vcc_lo, 0, v46
	v_and_b32_e32 v5, v5, v7
	v_not_b32_e32 v7, v9
	v_ashrrev_i32_e32 v6, 31, v6
	s_wait_alu 0xf1ff
	v_xor_b32_e32 v10, s18, v10
	v_lshlrev_b32_e32 v4, 6, v4
	v_and_b32_e32 v5, v5, v8
	v_cmp_gt_i32_e64 s18, 0, v9
	v_ashrrev_i32_e32 v7, 31, v7
	s_wait_alu 0xfffd
	v_xor_b32_e32 v6, vcc_lo, v6
	v_add_nc_u32_e32 v47, v52, v4
	v_and_b32_e32 v5, v5, v10
	s_wait_alu 0xf1ff
	v_xor_b32_e32 v4, s18, v7
	ds_load_b32 v46, v47 offset:64
	v_and_b32_e32 v5, v5, v6
	; wave barrier
	s_delay_alu instid0(VALU_DEP_1) | instskip(NEXT) | instid1(VALU_DEP_1)
	v_and_b32_e32 v4, v5, v4
	v_mbcnt_lo_u32_b32 v62, v4, 0
	v_cmp_ne_u32_e64 s18, 0, v4
	s_delay_alu instid0(VALU_DEP_2)
	v_cmp_eq_u32_e32 vcc_lo, 0, v62
	s_and_b32 s23, s18, vcc_lo
	s_wait_alu 0xfffe
	s_and_saveexec_b32 s18, s23
	s_cbranch_execz .LBB205_79
; %bb.78:                               ;   in Loop: Header=BB205_67 Depth=1
	s_wait_dscnt 0x0
	v_bcnt_u32_b32 v4, v4, v46
	ds_store_b32 v47, v4 offset:64
.LBB205_79:                             ;   in Loop: Header=BB205_67 Depth=1
	s_wait_alu 0xfffe
	s_or_b32 exec_lo, exec_lo, s18
	v_cmp_ne_u32_e32 vcc_lo, 0x80000000, v56
	; wave barrier
	s_wait_alu 0xfffd
	v_cndmask_b32_e32 v4, 0x7fffffff, v56, vcc_lo
	s_delay_alu instid0(VALU_DEP_1) | instskip(NEXT) | instid1(VALU_DEP_1)
	v_lshrrev_b32_e32 v4, s20, v4
	v_and_b32_e32 v4, s22, v4
	s_delay_alu instid0(VALU_DEP_1)
	v_and_b32_e32 v5, 1, v4
	v_lshlrev_b32_e32 v6, 30, v4
	v_lshlrev_b32_e32 v7, 29, v4
	;; [unrolled: 1-line block ×4, first 2 shown]
	v_add_co_u32 v5, s18, v5, -1
	s_wait_alu 0xf1ff
	v_cndmask_b32_e64 v9, 0, 1, s18
	v_not_b32_e32 v64, v6
	v_cmp_gt_i32_e64 s18, 0, v6
	v_not_b32_e32 v6, v7
	v_lshlrev_b32_e32 v11, 26, v4
	v_cmp_ne_u32_e32 vcc_lo, 0, v9
	v_ashrrev_i32_e32 v64, 31, v64
	v_lshlrev_b32_e32 v63, 25, v4
	v_ashrrev_i32_e32 v6, 31, v6
	v_lshlrev_b32_e32 v9, 24, v4
	s_wait_alu 0xfffd
	v_xor_b32_e32 v5, vcc_lo, v5
	v_cmp_gt_i32_e32 vcc_lo, 0, v7
	v_not_b32_e32 v7, v8
	s_wait_alu 0xf1ff
	v_xor_b32_e32 v64, s18, v64
	v_cmp_gt_i32_e64 s18, 0, v8
	v_and_b32_e32 v5, exec_lo, v5
	v_not_b32_e32 v8, v10
	v_ashrrev_i32_e32 v7, 31, v7
	s_wait_alu 0xfffd
	v_xor_b32_e32 v6, vcc_lo, v6
	v_cmp_gt_i32_e32 vcc_lo, 0, v10
	v_and_b32_e32 v5, v5, v64
	v_not_b32_e32 v10, v11
	v_ashrrev_i32_e32 v8, 31, v8
	s_wait_alu 0xf1ff
	v_xor_b32_e32 v7, s18, v7
	v_cmp_gt_i32_e64 s18, 0, v11
	v_and_b32_e32 v5, v5, v6
	v_not_b32_e32 v6, v63
	v_ashrrev_i32_e32 v10, 31, v10
	s_wait_alu 0xfffd
	v_xor_b32_e32 v8, vcc_lo, v8
	v_cmp_gt_i32_e32 vcc_lo, 0, v63
	v_and_b32_e32 v5, v5, v7
	v_not_b32_e32 v7, v9
	v_ashrrev_i32_e32 v6, 31, v6
	s_wait_alu 0xf1ff
	v_xor_b32_e32 v10, s18, v10
	v_lshlrev_b32_e32 v4, 6, v4
	v_and_b32_e32 v5, v5, v8
	v_cmp_gt_i32_e64 s18, 0, v9
	v_ashrrev_i32_e32 v7, 31, v7
	s_wait_alu 0xfffd
	v_xor_b32_e32 v6, vcc_lo, v6
	v_add_nc_u32_e32 v64, v52, v4
	v_and_b32_e32 v5, v5, v10
	s_wait_alu 0xf1ff
	v_xor_b32_e32 v4, s18, v7
	ds_load_b32 v63, v64 offset:64
	v_and_b32_e32 v5, v5, v6
	; wave barrier
	s_delay_alu instid0(VALU_DEP_1) | instskip(NEXT) | instid1(VALU_DEP_1)
	v_and_b32_e32 v4, v5, v4
	v_mbcnt_lo_u32_b32 v65, v4, 0
	v_cmp_ne_u32_e64 s18, 0, v4
	s_delay_alu instid0(VALU_DEP_2)
	v_cmp_eq_u32_e32 vcc_lo, 0, v65
	s_and_b32 s23, s18, vcc_lo
	s_wait_alu 0xfffe
	s_and_saveexec_b32 s18, s23
	s_cbranch_execz .LBB205_81
; %bb.80:                               ;   in Loop: Header=BB205_67 Depth=1
	s_wait_dscnt 0x0
	v_bcnt_u32_b32 v4, v4, v63
	ds_store_b32 v64, v4 offset:64
.LBB205_81:                             ;   in Loop: Header=BB205_67 Depth=1
	s_wait_alu 0xfffe
	s_or_b32 exec_lo, exec_lo, s18
	v_cmp_ne_u32_e32 vcc_lo, 0x80000000, v55
	; wave barrier
	s_wait_alu 0xfffd
	v_cndmask_b32_e32 v4, 0x7fffffff, v55, vcc_lo
	s_delay_alu instid0(VALU_DEP_1) | instskip(NEXT) | instid1(VALU_DEP_1)
	v_lshrrev_b32_e32 v4, s20, v4
	v_and_b32_e32 v4, s22, v4
	s_delay_alu instid0(VALU_DEP_1)
	v_and_b32_e32 v5, 1, v4
	v_lshlrev_b32_e32 v6, 30, v4
	v_lshlrev_b32_e32 v7, 29, v4
	;; [unrolled: 1-line block ×4, first 2 shown]
	v_add_co_u32 v5, s18, v5, -1
	s_wait_alu 0xf1ff
	v_cndmask_b32_e64 v9, 0, 1, s18
	v_not_b32_e32 v67, v6
	v_cmp_gt_i32_e64 s18, 0, v6
	v_not_b32_e32 v6, v7
	v_lshlrev_b32_e32 v11, 26, v4
	v_cmp_ne_u32_e32 vcc_lo, 0, v9
	v_ashrrev_i32_e32 v67, 31, v67
	v_lshlrev_b32_e32 v66, 25, v4
	v_ashrrev_i32_e32 v6, 31, v6
	v_lshlrev_b32_e32 v9, 24, v4
	s_wait_alu 0xfffd
	v_xor_b32_e32 v5, vcc_lo, v5
	v_cmp_gt_i32_e32 vcc_lo, 0, v7
	v_not_b32_e32 v7, v8
	s_wait_alu 0xf1ff
	v_xor_b32_e32 v67, s18, v67
	v_cmp_gt_i32_e64 s18, 0, v8
	v_and_b32_e32 v5, exec_lo, v5
	v_not_b32_e32 v8, v10
	v_ashrrev_i32_e32 v7, 31, v7
	s_wait_alu 0xfffd
	v_xor_b32_e32 v6, vcc_lo, v6
	v_cmp_gt_i32_e32 vcc_lo, 0, v10
	v_and_b32_e32 v5, v5, v67
	v_not_b32_e32 v10, v11
	v_ashrrev_i32_e32 v8, 31, v8
	s_wait_alu 0xf1ff
	v_xor_b32_e32 v7, s18, v7
	v_cmp_gt_i32_e64 s18, 0, v11
	v_and_b32_e32 v5, v5, v6
	v_not_b32_e32 v6, v66
	v_ashrrev_i32_e32 v10, 31, v10
	s_wait_alu 0xfffd
	v_xor_b32_e32 v8, vcc_lo, v8
	v_cmp_gt_i32_e32 vcc_lo, 0, v66
	v_and_b32_e32 v5, v5, v7
	v_not_b32_e32 v7, v9
	v_ashrrev_i32_e32 v6, 31, v6
	s_wait_alu 0xf1ff
	v_xor_b32_e32 v10, s18, v10
	v_lshlrev_b32_e32 v4, 6, v4
	v_and_b32_e32 v5, v5, v8
	v_cmp_gt_i32_e64 s18, 0, v9
	v_ashrrev_i32_e32 v7, 31, v7
	s_wait_alu 0xfffd
	v_xor_b32_e32 v6, vcc_lo, v6
	v_add_nc_u32_e32 v66, v52, v4
	v_and_b32_e32 v5, v5, v10
	s_wait_alu 0xf1ff
	v_xor_b32_e32 v4, s18, v7
	ds_load_b32 v71, v66 offset:64
	v_and_b32_e32 v5, v5, v6
	; wave barrier
	s_delay_alu instid0(VALU_DEP_1) | instskip(NEXT) | instid1(VALU_DEP_1)
	v_and_b32_e32 v4, v5, v4
	v_mbcnt_lo_u32_b32 v91, v4, 0
	v_cmp_ne_u32_e64 s18, 0, v4
	s_delay_alu instid0(VALU_DEP_2)
	v_cmp_eq_u32_e32 vcc_lo, 0, v91
	s_and_b32 s22, s18, vcc_lo
	s_wait_alu 0xfffe
	s_and_saveexec_b32 s18, s22
	s_cbranch_execz .LBB205_83
; %bb.82:                               ;   in Loop: Header=BB205_67 Depth=1
	s_wait_dscnt 0x0
	v_bcnt_u32_b32 v4, v4, v71
	ds_store_b32 v66, v4 offset:64
.LBB205_83:                             ;   in Loop: Header=BB205_67 Depth=1
	s_wait_alu 0xfffe
	s_or_b32 exec_lo, exec_lo, s18
	; wave barrier
	s_wait_loadcnt_dscnt 0x0
	s_barrier_signal -1
	s_barrier_wait -1
	global_inv scope:SCOPE_SE
	ds_load_b128 v[8:11], v89 offset:64
	ds_load_b128 v[4:7], v89 offset:80
	s_wait_dscnt 0x1
	v_add_nc_u32_e32 v67, v9, v8
	s_delay_alu instid0(VALU_DEP_1) | instskip(SKIP_1) | instid1(VALU_DEP_1)
	v_add3_u32 v67, v67, v10, v11
	s_wait_dscnt 0x0
	v_add3_u32 v67, v67, v4, v5
	s_delay_alu instid0(VALU_DEP_1) | instskip(NEXT) | instid1(VALU_DEP_1)
	v_add3_u32 v7, v67, v6, v7
	v_mov_b32_dpp v67, v7 row_shr:1 row_mask:0xf bank_mask:0xf
	s_delay_alu instid0(VALU_DEP_1) | instskip(NEXT) | instid1(VALU_DEP_1)
	v_cndmask_b32_e64 v67, v67, 0, s8
	v_add_nc_u32_e32 v7, v67, v7
	s_delay_alu instid0(VALU_DEP_1) | instskip(NEXT) | instid1(VALU_DEP_1)
	v_mov_b32_dpp v67, v7 row_shr:2 row_mask:0xf bank_mask:0xf
	v_cndmask_b32_e64 v67, 0, v67, s9
	s_delay_alu instid0(VALU_DEP_1) | instskip(NEXT) | instid1(VALU_DEP_1)
	v_add_nc_u32_e32 v7, v7, v67
	v_mov_b32_dpp v67, v7 row_shr:4 row_mask:0xf bank_mask:0xf
	s_delay_alu instid0(VALU_DEP_1) | instskip(NEXT) | instid1(VALU_DEP_1)
	v_cndmask_b32_e64 v67, 0, v67, s11
	v_add_nc_u32_e32 v7, v7, v67
	s_delay_alu instid0(VALU_DEP_1) | instskip(NEXT) | instid1(VALU_DEP_1)
	v_mov_b32_dpp v67, v7 row_shr:8 row_mask:0xf bank_mask:0xf
	v_cndmask_b32_e64 v67, 0, v67, s12
	s_delay_alu instid0(VALU_DEP_1) | instskip(SKIP_3) | instid1(VALU_DEP_1)
	v_add_nc_u32_e32 v7, v7, v67
	ds_swizzle_b32 v67, v7 offset:swizzle(BROADCAST,32,15)
	s_wait_dscnt 0x0
	v_cndmask_b32_e64 v67, v67, 0, s13
	v_add_nc_u32_e32 v7, v7, v67
	s_and_saveexec_b32 s18, s14
; %bb.84:                               ;   in Loop: Header=BB205_67 Depth=1
	ds_store_b32 v90, v7
; %bb.85:                               ;   in Loop: Header=BB205_67 Depth=1
	s_wait_alu 0xfffe
	s_or_b32 exec_lo, exec_lo, s18
	s_wait_loadcnt_dscnt 0x0
	s_barrier_signal -1
	s_barrier_wait -1
	global_inv scope:SCOPE_SE
	s_and_saveexec_b32 s18, s15
	s_cbranch_execz .LBB205_87
; %bb.86:                               ;   in Loop: Header=BB205_67 Depth=1
	ds_load_b32 v67, v53
	s_wait_dscnt 0x0
	v_mov_b32_dpp v68, v67 row_shr:1 row_mask:0xf bank_mask:0xf
	s_delay_alu instid0(VALU_DEP_1) | instskip(NEXT) | instid1(VALU_DEP_1)
	v_cndmask_b32_e64 v68, v68, 0, s8
	v_add_nc_u32_e32 v67, v68, v67
	s_delay_alu instid0(VALU_DEP_1) | instskip(NEXT) | instid1(VALU_DEP_1)
	v_mov_b32_dpp v68, v67 row_shr:2 row_mask:0xf bank_mask:0xf
	v_cndmask_b32_e64 v68, 0, v68, s9
	s_delay_alu instid0(VALU_DEP_1) | instskip(NEXT) | instid1(VALU_DEP_1)
	v_add_nc_u32_e32 v67, v67, v68
	v_mov_b32_dpp v68, v67 row_shr:4 row_mask:0xf bank_mask:0xf
	s_delay_alu instid0(VALU_DEP_1) | instskip(NEXT) | instid1(VALU_DEP_1)
	v_cndmask_b32_e64 v68, 0, v68, s11
	v_add_nc_u32_e32 v67, v67, v68
	s_delay_alu instid0(VALU_DEP_1) | instskip(NEXT) | instid1(VALU_DEP_1)
	v_mov_b32_dpp v68, v67 row_shr:8 row_mask:0xf bank_mask:0xf
	v_cndmask_b32_e64 v68, 0, v68, s12
	s_delay_alu instid0(VALU_DEP_1)
	v_add_nc_u32_e32 v67, v67, v68
	ds_store_b32 v53, v67
.LBB205_87:                             ;   in Loop: Header=BB205_67 Depth=1
	s_wait_alu 0xfffe
	s_or_b32 exec_lo, exec_lo, s18
	v_mov_b32_e32 v67, 0
	s_wait_loadcnt_dscnt 0x0
	s_barrier_signal -1
	s_barrier_wait -1
	global_inv scope:SCOPE_SE
	s_and_saveexec_b32 s18, s16
; %bb.88:                               ;   in Loop: Header=BB205_67 Depth=1
	ds_load_b32 v67, v51
; %bb.89:                               ;   in Loop: Header=BB205_67 Depth=1
	s_wait_alu 0xfffe
	s_or_b32 exec_lo, exec_lo, s18
	s_wait_dscnt 0x0
	v_add_nc_u32_e32 v7, v67, v7
	s_cmp_gt_u32 s20, 23
	s_mov_b32 s18, -1
	ds_bpermute_b32 v7, v50, v7
	s_wait_dscnt 0x0
	v_cndmask_b32_e64 v7, v7, v67, s10
	s_delay_alu instid0(VALU_DEP_1) | instskip(NEXT) | instid1(VALU_DEP_1)
	v_cndmask_b32_e64 v7, v7, 0, s17
	v_add_nc_u32_e32 v8, v7, v8
	s_delay_alu instid0(VALU_DEP_1) | instskip(NEXT) | instid1(VALU_DEP_1)
	v_add_nc_u32_e32 v9, v8, v9
	v_add_nc_u32_e32 v10, v9, v10
	s_delay_alu instid0(VALU_DEP_1) | instskip(NEXT) | instid1(VALU_DEP_1)
	v_add_nc_u32_e32 v67, v10, v11
	;; [unrolled: 3-line block ×3, first 2 shown]
	v_add_nc_u32_e32 v70, v69, v6
	ds_store_b128 v89, v[7:10] offset:64
	ds_store_b128 v89, v[67:70] offset:80
	s_wait_loadcnt_dscnt 0x0
	s_barrier_signal -1
	s_barrier_wait -1
	global_inv scope:SCOPE_SE
	ds_load_b32 v4, v13 offset:64
	ds_load_b32 v5, v16 offset:64
	;; [unrolled: 1-line block ×8, first 2 shown]
	s_wait_dscnt 0x7
	v_add_nc_u32_e32 v70, v4, v12
	s_wait_dscnt 0x6
	v_add3_u32 v69, v15, v14, v5
	s_wait_dscnt 0x5
	v_add3_u32 v68, v18, v17, v6
	;; [unrolled: 2-line block ×7, first 2 shown]
                                        ; implicit-def: $vgpr47
                                        ; implicit-def: $vgpr42
                                        ; implicit-def: $vgpr39
                                        ; implicit-def: $vgpr37
                                        ; implicit-def: $vgpr18_vgpr19
                                        ; implicit-def: $vgpr14_vgpr15
                                        ; implicit-def: $vgpr10_vgpr11
                                        ; implicit-def: $vgpr6_vgpr7
	s_cbranch_scc1 .LBB205_66
; %bb.90:                               ;   in Loop: Header=BB205_67 Depth=1
	v_lshlrev_b32_e32 v4, 2, v70
	v_lshlrev_b32_e32 v5, 2, v69
	;; [unrolled: 1-line block ×3, first 2 shown]
	s_wait_loadcnt 0x0
	s_barrier_signal -1
	s_barrier_wait -1
	global_inv scope:SCOPE_SE
	ds_store_b32 v4, v54
	ds_store_b32 v5, v61
	ds_store_b32 v6, v60
	v_lshlrev_b32_e32 v7, 2, v67
	v_add_nc_u32_e32 v4, v4, v4
	v_lshlrev_b32_e32 v8, 2, v66
	v_add_nc_u32_e32 v5, v5, v5
	;; [unrolled: 2-line block ×3, first 2 shown]
	v_lshlrev_b32_e32 v10, 2, v63
	v_lshlrev_b32_e32 v11, 2, v62
	ds_store_b32 v7, v59
	ds_store_b32 v8, v58
	;; [unrolled: 1-line block ×5, first 2 shown]
	s_wait_loadcnt_dscnt 0x0
	s_barrier_signal -1
	s_barrier_wait -1
	global_inv scope:SCOPE_SE
	ds_load_2addr_b32 v[36:37], v48 offset1:32
	ds_load_2addr_b32 v[38:39], v48 offset0:64 offset1:96
	ds_load_2addr_b32 v[41:42], v48 offset0:128 offset1:160
	;; [unrolled: 1-line block ×3, first 2 shown]
	s_wait_loadcnt_dscnt 0x0
	s_barrier_signal -1
	s_barrier_wait -1
	global_inv scope:SCOPE_SE
	ds_store_b64 v4, v[34:35]
	ds_store_b64 v5, v[32:33]
	;; [unrolled: 1-line block ×3, first 2 shown]
	v_add_nc_u32_e32 v4, v7, v7
	v_add_nc_u32_e32 v5, v8, v8
	;; [unrolled: 1-line block ×5, first 2 shown]
	ds_store_b64 v4, v[28:29]
	ds_store_b64 v5, v[26:27]
	;; [unrolled: 1-line block ×5, first 2 shown]
	s_wait_loadcnt_dscnt 0x0
	s_barrier_signal -1
	s_barrier_wait -1
	global_inv scope:SCOPE_SE
	ds_load_2addr_b64 v[4:7], v49 offset1:32
	ds_load_2addr_b64 v[8:11], v49 offset0:64 offset1:96
	ds_load_2addr_b64 v[12:15], v49 offset0:128 offset1:160
	;; [unrolled: 1-line block ×3, first 2 shown]
	s_add_co_i32 s20, s20, 8
	s_add_co_i32 s21, s21, -8
	s_mov_b32 s18, 0
	s_wait_loadcnt_dscnt 0x0
	s_barrier_signal -1
	s_barrier_wait -1
	global_inv scope:SCOPE_SE
	s_branch .LBB205_66
.LBB205_91:
	v_lshlrev_b32_e32 v8, 2, v70
	v_lshlrev_b32_e32 v11, 2, v67
	;; [unrolled: 1-line block ×8, first 2 shown]
	s_wait_loadcnt 0x0
	s_barrier_signal -1
	s_barrier_wait -1
	global_inv scope:SCOPE_SE
	ds_store_b32 v8, v54
	ds_store_b32 v9, v61
	;; [unrolled: 1-line block ×8, first 2 shown]
	s_wait_loadcnt_dscnt 0x0
	s_barrier_signal -1
	s_barrier_wait -1
	global_inv scope:SCOPE_SE
	ds_load_b128 v[0:3], v89
	ds_load_b128 v[4:7], v89 offset:16
	v_add_nc_u32_e32 v8, v8, v8
	v_add_nc_u32_e32 v9, v9, v9
	;; [unrolled: 1-line block ×3, first 2 shown]
	s_wait_loadcnt_dscnt 0x0
	s_barrier_signal -1
	s_barrier_wait -1
	global_inv scope:SCOPE_SE
	ds_store_b64 v8, v[34:35]
	ds_store_b64 v9, v[32:33]
	;; [unrolled: 1-line block ×3, first 2 shown]
	v_add_nc_u32_e32 v8, v11, v11
	v_add_nc_u32_e32 v9, v12, v12
	;; [unrolled: 1-line block ×5, first 2 shown]
	ds_store_b64 v8, v[28:29]
	ds_store_b64 v9, v[26:27]
	;; [unrolled: 1-line block ×5, first 2 shown]
	v_lshl_add_u32 v8, v45, 5, v89
	s_wait_loadcnt_dscnt 0x0
	s_barrier_signal -1
	s_barrier_wait -1
	v_cmp_gt_i32_e32 vcc_lo, 0, v0
	global_inv scope:SCOPE_SE
	ds_load_b128 v[28:31], v8
	ds_load_b128 v[24:27], v8 offset:16
	ds_load_b128 v[36:39], v8 offset:32
	ds_load_b128 v[32:35], v8 offset:48
	s_wait_alu 0xfffd
	v_cndmask_b32_e64 v9, 0x7fffffff, 0, vcc_lo
	v_cmp_gt_i32_e32 vcc_lo, 0, v1
	s_delay_alu instid0(VALU_DEP_2) | instskip(SKIP_3) | instid1(VALU_DEP_2)
	v_xor_b32_e32 v0, v9, v0
	s_wait_alu 0xfffd
	v_cndmask_b32_e64 v10, 0x7fffffff, 0, vcc_lo
	v_cmp_gt_i32_e32 vcc_lo, 0, v2
	v_xor_b32_e32 v1, v10, v1
	s_wait_alu 0xfffd
	v_cndmask_b32_e64 v11, 0x7fffffff, 0, vcc_lo
	v_cmp_gt_i32_e32 vcc_lo, 0, v3
	s_delay_alu instid0(VALU_DEP_2) | instskip(SKIP_3) | instid1(VALU_DEP_2)
	v_xor_b32_e32 v2, v11, v2
	s_wait_alu 0xfffd
	v_cndmask_b32_e64 v8, 0x7fffffff, 0, vcc_lo
	v_cmp_gt_i32_e32 vcc_lo, 0, v4
	v_xor_b32_e32 v3, v8, v3
	;; [unrolled: 9-line block ×3, first 2 shown]
	s_wait_alu 0xfffd
	v_cndmask_b32_e64 v11, 0x7fffffff, 0, vcc_lo
	v_cmp_gt_i32_e32 vcc_lo, 0, v7
	s_delay_alu instid0(VALU_DEP_2) | instskip(SKIP_2) | instid1(VALU_DEP_1)
	v_xor_b32_e32 v6, v11, v6
	s_wait_alu 0xfffd
	v_cndmask_b32_e64 v12, 0x7fffffff, 0, vcc_lo
	v_xor_b32_e32 v7, v12, v7
.LBB205_92:
	s_wait_loadcnt_dscnt 0x0
	s_barrier_signal -1
	s_barrier_wait -1
	global_inv scope:SCOPE_SE
	ds_store_2addr_b32 v79, v0, v1 offset1:1
	ds_store_2addr_b32 v79, v2, v3 offset0:2 offset1:3
	ds_store_2addr_b32 v79, v4, v5 offset0:4 offset1:5
	;; [unrolled: 1-line block ×3, first 2 shown]
	s_wait_loadcnt_dscnt 0x0
	s_barrier_signal -1
	s_barrier_wait -1
	global_inv scope:SCOPE_SE
	ds_load_b32 v8, v44 offset:2048
	ds_load_b32 v7, v73 offset:4096
	;; [unrolled: 1-line block ×7, first 2 shown]
	v_mov_b32_e32 v44, 0
	s_delay_alu instid0(VALU_DEP_1) | instskip(NEXT) | instid1(VALU_DEP_1)
	v_lshlrev_b64_e32 v[0:1], 2, v[43:44]
	v_add_co_u32 v0, vcc_lo, s30, v0
	s_wait_alu 0xfffd
	s_delay_alu instid0(VALU_DEP_2)
	v_add_co_ci_u32_e64 v1, null, s31, v1, vcc_lo
	s_and_saveexec_b32 s8, s0
	s_cbranch_execnz .LBB205_111
; %bb.93:
	s_wait_alu 0xfffe
	s_or_b32 exec_lo, exec_lo, s8
	s_and_saveexec_b32 s8, s1
	s_cbranch_execnz .LBB205_112
.LBB205_94:
	s_wait_alu 0xfffe
	s_or_b32 exec_lo, exec_lo, s8
	s_and_saveexec_b32 s8, s2
	s_cbranch_execnz .LBB205_113
.LBB205_95:
	s_wait_alu 0xfffe
	s_or_b32 exec_lo, exec_lo, s8
	s_and_saveexec_b32 s8, s3
	s_cbranch_execnz .LBB205_114
.LBB205_96:
	s_wait_alu 0xfffe
	s_or_b32 exec_lo, exec_lo, s8
	s_and_saveexec_b32 s8, s4
	s_cbranch_execnz .LBB205_115
.LBB205_97:
	s_wait_alu 0xfffe
	s_or_b32 exec_lo, exec_lo, s8
	s_and_saveexec_b32 s8, s5
	s_cbranch_execnz .LBB205_116
.LBB205_98:
	s_wait_alu 0xfffe
	s_or_b32 exec_lo, exec_lo, s8
	s_and_saveexec_b32 s8, s6
	s_cbranch_execnz .LBB205_117
.LBB205_99:
	s_wait_alu 0xfffe
	s_or_b32 exec_lo, exec_lo, s8
	s_and_saveexec_b32 s8, s7
	s_cbranch_execz .LBB205_101
.LBB205_100:
	s_mul_i32 s10, s26, 0xe00
	s_mov_b32 s11, 0
	s_wait_alu 0xfffe
	s_lshl_b64 s[10:11], s[10:11], 2
	s_wait_alu 0xfffe
	v_add_co_u32 v0, vcc_lo, v0, s10
	s_wait_alu 0xfffd
	v_add_co_ci_u32_e64 v1, null, s11, v1, vcc_lo
	s_wait_dscnt 0x0
	global_store_b32 v[0:1], v2, off
.LBB205_101:
	s_wait_alu 0xfffe
	s_or_b32 exec_lo, exec_lo, s8
	s_wait_storecnt 0x0
	s_wait_loadcnt_dscnt 0x0
	s_barrier_signal -1
	s_barrier_wait -1
	global_inv scope:SCOPE_SE
	ds_store_2addr_b64 v88, v[28:29], v[30:31] offset1:1
	ds_store_2addr_b64 v88, v[24:25], v[26:27] offset0:2 offset1:3
	ds_store_2addr_b64 v88, v[36:37], v[38:39] offset0:4 offset1:5
	;; [unrolled: 1-line block ×3, first 2 shown]
	s_wait_loadcnt_dscnt 0x0
	s_barrier_signal -1
	s_barrier_wait -1
	global_inv scope:SCOPE_SE
	ds_load_b64 v[14:15], v81 offset:4096
	ds_load_b64 v[12:13], v82 offset:8192
	;; [unrolled: 1-line block ×7, first 2 shown]
	v_mov_b32_e32 v41, 0
	s_delay_alu instid0(VALU_DEP_1) | instskip(NEXT) | instid1(VALU_DEP_1)
	v_lshlrev_b64_e32 v[2:3], 3, v[40:41]
	v_add_co_u32 v2, vcc_lo, s24, v2
	s_wait_alu 0xfffd
	s_delay_alu instid0(VALU_DEP_2)
	v_add_co_ci_u32_e64 v3, null, s25, v3, vcc_lo
	s_and_saveexec_b32 s8, s0
	s_cbranch_execnz .LBB205_118
; %bb.102:
	s_wait_alu 0xfffe
	s_or_b32 exec_lo, exec_lo, s8
	s_and_saveexec_b32 s0, s1
	s_cbranch_execnz .LBB205_119
.LBB205_103:
	s_or_b32 exec_lo, exec_lo, s0
	s_and_saveexec_b32 s0, s2
	s_cbranch_execnz .LBB205_120
.LBB205_104:
	s_or_b32 exec_lo, exec_lo, s0
	s_and_saveexec_b32 s0, s3
	s_cbranch_execnz .LBB205_121
.LBB205_105:
	s_or_b32 exec_lo, exec_lo, s0
	s_and_saveexec_b32 s0, s4
	s_cbranch_execnz .LBB205_122
.LBB205_106:
	s_or_b32 exec_lo, exec_lo, s0
	s_and_saveexec_b32 s0, s5
	s_cbranch_execnz .LBB205_123
.LBB205_107:
	s_or_b32 exec_lo, exec_lo, s0
	s_and_saveexec_b32 s0, s6
	s_cbranch_execnz .LBB205_124
.LBB205_108:
	s_or_b32 exec_lo, exec_lo, s0
	s_and_saveexec_b32 s0, s7
	s_cbranch_execz .LBB205_110
.LBB205_109:
	s_mul_i32 s0, s28, 0xe00
	s_mov_b32 s1, 0
	s_delay_alu instid0(SALU_CYCLE_1) | instskip(NEXT) | instid1(SALU_CYCLE_1)
	s_lshl_b64 s[0:1], s[0:1], 3
	v_add_co_u32 v2, vcc_lo, v2, s0
	s_wait_alu 0xfffd
	v_add_co_ci_u32_e64 v3, null, s1, v3, vcc_lo
	s_wait_dscnt 0x0
	global_store_b64 v[2:3], v[0:1], off
.LBB205_110:
	s_nop 0
	s_sendmsg sendmsg(MSG_DEALLOC_VGPRS)
	s_endpgm
.LBB205_111:
	ds_load_b32 v9, v72
	s_wait_dscnt 0x0
	global_store_b32 v[0:1], v9, off
	s_wait_alu 0xfffe
	s_or_b32 exec_lo, exec_lo, s8
	s_and_saveexec_b32 s8, s1
	s_cbranch_execz .LBB205_94
.LBB205_112:
	s_lshl_b32 s10, s26, 9
	s_mov_b32 s11, 0
	s_wait_alu 0xfffe
	s_lshl_b64 s[10:11], s[10:11], 2
	s_wait_alu 0xfffe
	v_add_co_u32 v9, vcc_lo, v0, s10
	s_wait_alu 0xfffd
	v_add_co_ci_u32_e64 v10, null, s11, v1, vcc_lo
	s_wait_dscnt 0x6
	global_store_b32 v[9:10], v8, off
	s_or_b32 exec_lo, exec_lo, s8
	s_and_saveexec_b32 s8, s2
	s_cbranch_execz .LBB205_95
.LBB205_113:
	s_lshl_b32 s10, s26, 10
	s_mov_b32 s11, 0
	s_wait_alu 0xfffe
	s_lshl_b64 s[10:11], s[10:11], 2
	s_wait_dscnt 0x6
	s_wait_alu 0xfffe
	v_add_co_u32 v8, vcc_lo, v0, s10
	s_wait_alu 0xfffd
	v_add_co_ci_u32_e64 v9, null, s11, v1, vcc_lo
	s_wait_dscnt 0x5
	global_store_b32 v[8:9], v7, off
	s_or_b32 exec_lo, exec_lo, s8
	s_and_saveexec_b32 s8, s3
	s_cbranch_execz .LBB205_96
.LBB205_114:
	s_mul_i32 s10, s26, 0x600
	s_mov_b32 s11, 0
	s_wait_alu 0xfffe
	s_lshl_b64 s[10:11], s[10:11], 2
	s_wait_dscnt 0x5
	s_wait_alu 0xfffe
	v_add_co_u32 v7, vcc_lo, v0, s10
	s_wait_alu 0xfffd
	v_add_co_ci_u32_e64 v8, null, s11, v1, vcc_lo
	s_wait_dscnt 0x4
	global_store_b32 v[7:8], v6, off
	s_or_b32 exec_lo, exec_lo, s8
	s_and_saveexec_b32 s8, s4
	s_cbranch_execz .LBB205_97
.LBB205_115:
	s_lshl_b32 s10, s26, 11
	s_mov_b32 s11, 0
	s_wait_alu 0xfffe
	s_lshl_b64 s[10:11], s[10:11], 2
	s_wait_dscnt 0x4
	s_wait_alu 0xfffe
	v_add_co_u32 v6, vcc_lo, v0, s10
	s_wait_alu 0xfffd
	v_add_co_ci_u32_e64 v7, null, s11, v1, vcc_lo
	s_wait_dscnt 0x3
	global_store_b32 v[6:7], v5, off
	s_or_b32 exec_lo, exec_lo, s8
	s_and_saveexec_b32 s8, s5
	s_cbranch_execz .LBB205_98
.LBB205_116:
	s_mul_i32 s10, s26, 0xa00
	s_mov_b32 s11, 0
	s_wait_alu 0xfffe
	s_lshl_b64 s[10:11], s[10:11], 2
	s_wait_dscnt 0x3
	s_wait_alu 0xfffe
	v_add_co_u32 v5, vcc_lo, v0, s10
	s_wait_alu 0xfffd
	v_add_co_ci_u32_e64 v6, null, s11, v1, vcc_lo
	s_wait_dscnt 0x2
	global_store_b32 v[5:6], v4, off
	s_or_b32 exec_lo, exec_lo, s8
	s_and_saveexec_b32 s8, s6
	s_cbranch_execz .LBB205_99
.LBB205_117:
	s_mul_i32 s10, s26, 0xc00
	s_mov_b32 s11, 0
	s_wait_alu 0xfffe
	s_lshl_b64 s[10:11], s[10:11], 2
	s_wait_dscnt 0x2
	s_wait_alu 0xfffe
	v_add_co_u32 v4, vcc_lo, v0, s10
	s_wait_alu 0xfffd
	v_add_co_ci_u32_e64 v5, null, s11, v1, vcc_lo
	s_wait_dscnt 0x1
	global_store_b32 v[4:5], v3, off
	s_or_b32 exec_lo, exec_lo, s8
	s_and_saveexec_b32 s8, s7
	s_cbranch_execnz .LBB205_100
	s_branch .LBB205_101
.LBB205_118:
	ds_load_b64 v[16:17], v80
	s_wait_dscnt 0x0
	global_store_b64 v[2:3], v[16:17], off
	s_wait_alu 0xfffe
	s_or_b32 exec_lo, exec_lo, s8
	s_and_saveexec_b32 s0, s1
	s_cbranch_execz .LBB205_103
.LBB205_119:
	s_lshl_b32 s8, s28, 9
	s_mov_b32 s9, 0
	s_wait_alu 0xfffe
	s_lshl_b64 s[8:9], s[8:9], 3
	s_wait_alu 0xfffe
	v_add_co_u32 v16, vcc_lo, v2, s8
	s_wait_alu 0xfffd
	v_add_co_ci_u32_e64 v17, null, s9, v3, vcc_lo
	s_wait_dscnt 0x6
	global_store_b64 v[16:17], v[14:15], off
	s_or_b32 exec_lo, exec_lo, s0
	s_and_saveexec_b32 s0, s2
	s_cbranch_execz .LBB205_104
.LBB205_120:
	s_lshl_b32 s8, s28, 10
	s_mov_b32 s9, 0
	s_wait_alu 0xfffe
	s_lshl_b64 s[8:9], s[8:9], 3
	s_wait_dscnt 0x6
	s_wait_alu 0xfffe
	v_add_co_u32 v14, vcc_lo, v2, s8
	s_wait_alu 0xfffd
	v_add_co_ci_u32_e64 v15, null, s9, v3, vcc_lo
	s_wait_dscnt 0x5
	global_store_b64 v[14:15], v[12:13], off
	s_or_b32 exec_lo, exec_lo, s0
	s_and_saveexec_b32 s0, s3
	s_cbranch_execz .LBB205_105
.LBB205_121:
	s_mul_i32 s2, s28, 0x600
	s_mov_b32 s3, 0
	s_wait_alu 0xfffe
	s_lshl_b64 s[2:3], s[2:3], 3
	s_wait_dscnt 0x5
	s_wait_alu 0xfffe
	v_add_co_u32 v12, vcc_lo, v2, s2
	s_wait_alu 0xfffd
	v_add_co_ci_u32_e64 v13, null, s3, v3, vcc_lo
	s_wait_dscnt 0x4
	global_store_b64 v[12:13], v[10:11], off
	s_or_b32 exec_lo, exec_lo, s0
	s_and_saveexec_b32 s0, s4
	s_cbranch_execz .LBB205_106
.LBB205_122:
	s_lshl_b32 s2, s28, 11
	s_mov_b32 s3, 0
	s_wait_alu 0xfffe
	s_lshl_b64 s[2:3], s[2:3], 3
	s_wait_dscnt 0x4
	s_wait_alu 0xfffe
	v_add_co_u32 v10, vcc_lo, v2, s2
	s_wait_alu 0xfffd
	v_add_co_ci_u32_e64 v11, null, s3, v3, vcc_lo
	s_wait_dscnt 0x3
	global_store_b64 v[10:11], v[8:9], off
	s_or_b32 exec_lo, exec_lo, s0
	s_and_saveexec_b32 s0, s5
	s_cbranch_execz .LBB205_107
.LBB205_123:
	s_mul_i32 s2, s28, 0xa00
	s_mov_b32 s3, 0
	s_wait_alu 0xfffe
	s_lshl_b64 s[2:3], s[2:3], 3
	s_wait_dscnt 0x3
	s_wait_alu 0xfffe
	v_add_co_u32 v8, vcc_lo, v2, s2
	s_wait_alu 0xfffd
	v_add_co_ci_u32_e64 v9, null, s3, v3, vcc_lo
	s_wait_dscnt 0x2
	global_store_b64 v[8:9], v[6:7], off
	s_or_b32 exec_lo, exec_lo, s0
	s_and_saveexec_b32 s0, s6
	s_cbranch_execz .LBB205_108
.LBB205_124:
	s_mul_i32 s2, s28, 0xc00
	s_mov_b32 s3, 0
	s_wait_alu 0xfffe
	s_lshl_b64 s[2:3], s[2:3], 3
	s_wait_dscnt 0x2
	s_wait_alu 0xfffe
	v_add_co_u32 v6, vcc_lo, v2, s2
	s_wait_alu 0xfffd
	v_add_co_ci_u32_e64 v7, null, s3, v3, vcc_lo
	s_wait_dscnt 0x1
	global_store_b64 v[6:7], v[4:5], off
	s_or_b32 exec_lo, exec_lo, s0
	s_and_saveexec_b32 s0, s7
	s_cbranch_execnz .LBB205_109
	s_branch .LBB205_110
	.section	.rodata,"a",@progbits
	.p2align	6, 0x0
	.amdhsa_kernel _ZN2at6native18radixSortKVInPlaceILi2ELin1ELi512ELi8EfljEEvNS_4cuda6detail10TensorInfoIT3_T5_EES6_S6_S6_NS4_IT4_S6_EES6_b
		.amdhsa_group_segment_fixed_size 33792
		.amdhsa_private_segment_fixed_size 0
		.amdhsa_kernarg_size 712
		.amdhsa_user_sgpr_count 2
		.amdhsa_user_sgpr_dispatch_ptr 0
		.amdhsa_user_sgpr_queue_ptr 0
		.amdhsa_user_sgpr_kernarg_segment_ptr 1
		.amdhsa_user_sgpr_dispatch_id 0
		.amdhsa_user_sgpr_private_segment_size 0
		.amdhsa_wavefront_size32 1
		.amdhsa_uses_dynamic_stack 0
		.amdhsa_enable_private_segment 0
		.amdhsa_system_sgpr_workgroup_id_x 1
		.amdhsa_system_sgpr_workgroup_id_y 1
		.amdhsa_system_sgpr_workgroup_id_z 1
		.amdhsa_system_sgpr_workgroup_info 0
		.amdhsa_system_vgpr_workitem_id 2
		.amdhsa_next_free_vgpr 121
		.amdhsa_next_free_sgpr 36
		.amdhsa_reserve_vcc 1
		.amdhsa_float_round_mode_32 0
		.amdhsa_float_round_mode_16_64 0
		.amdhsa_float_denorm_mode_32 3
		.amdhsa_float_denorm_mode_16_64 3
		.amdhsa_fp16_overflow 0
		.amdhsa_workgroup_processor_mode 1
		.amdhsa_memory_ordered 1
		.amdhsa_forward_progress 1
		.amdhsa_inst_pref_size 122
		.amdhsa_round_robin_scheduling 0
		.amdhsa_exception_fp_ieee_invalid_op 0
		.amdhsa_exception_fp_denorm_src 0
		.amdhsa_exception_fp_ieee_div_zero 0
		.amdhsa_exception_fp_ieee_overflow 0
		.amdhsa_exception_fp_ieee_underflow 0
		.amdhsa_exception_fp_ieee_inexact 0
		.amdhsa_exception_int_div_zero 0
	.end_amdhsa_kernel
	.section	.text._ZN2at6native18radixSortKVInPlaceILi2ELin1ELi512ELi8EfljEEvNS_4cuda6detail10TensorInfoIT3_T5_EES6_S6_S6_NS4_IT4_S6_EES6_b,"axG",@progbits,_ZN2at6native18radixSortKVInPlaceILi2ELin1ELi512ELi8EfljEEvNS_4cuda6detail10TensorInfoIT3_T5_EES6_S6_S6_NS4_IT4_S6_EES6_b,comdat
.Lfunc_end205:
	.size	_ZN2at6native18radixSortKVInPlaceILi2ELin1ELi512ELi8EfljEEvNS_4cuda6detail10TensorInfoIT3_T5_EES6_S6_S6_NS4_IT4_S6_EES6_b, .Lfunc_end205-_ZN2at6native18radixSortKVInPlaceILi2ELin1ELi512ELi8EfljEEvNS_4cuda6detail10TensorInfoIT3_T5_EES6_S6_S6_NS4_IT4_S6_EES6_b
                                        ; -- End function
	.set _ZN2at6native18radixSortKVInPlaceILi2ELin1ELi512ELi8EfljEEvNS_4cuda6detail10TensorInfoIT3_T5_EES6_S6_S6_NS4_IT4_S6_EES6_b.num_vgpr, 121
	.set _ZN2at6native18radixSortKVInPlaceILi2ELin1ELi512ELi8EfljEEvNS_4cuda6detail10TensorInfoIT3_T5_EES6_S6_S6_NS4_IT4_S6_EES6_b.num_agpr, 0
	.set _ZN2at6native18radixSortKVInPlaceILi2ELin1ELi512ELi8EfljEEvNS_4cuda6detail10TensorInfoIT3_T5_EES6_S6_S6_NS4_IT4_S6_EES6_b.numbered_sgpr, 36
	.set _ZN2at6native18radixSortKVInPlaceILi2ELin1ELi512ELi8EfljEEvNS_4cuda6detail10TensorInfoIT3_T5_EES6_S6_S6_NS4_IT4_S6_EES6_b.num_named_barrier, 0
	.set _ZN2at6native18radixSortKVInPlaceILi2ELin1ELi512ELi8EfljEEvNS_4cuda6detail10TensorInfoIT3_T5_EES6_S6_S6_NS4_IT4_S6_EES6_b.private_seg_size, 0
	.set _ZN2at6native18radixSortKVInPlaceILi2ELin1ELi512ELi8EfljEEvNS_4cuda6detail10TensorInfoIT3_T5_EES6_S6_S6_NS4_IT4_S6_EES6_b.uses_vcc, 1
	.set _ZN2at6native18radixSortKVInPlaceILi2ELin1ELi512ELi8EfljEEvNS_4cuda6detail10TensorInfoIT3_T5_EES6_S6_S6_NS4_IT4_S6_EES6_b.uses_flat_scratch, 0
	.set _ZN2at6native18radixSortKVInPlaceILi2ELin1ELi512ELi8EfljEEvNS_4cuda6detail10TensorInfoIT3_T5_EES6_S6_S6_NS4_IT4_S6_EES6_b.has_dyn_sized_stack, 0
	.set _ZN2at6native18radixSortKVInPlaceILi2ELin1ELi512ELi8EfljEEvNS_4cuda6detail10TensorInfoIT3_T5_EES6_S6_S6_NS4_IT4_S6_EES6_b.has_recursion, 0
	.set _ZN2at6native18radixSortKVInPlaceILi2ELin1ELi512ELi8EfljEEvNS_4cuda6detail10TensorInfoIT3_T5_EES6_S6_S6_NS4_IT4_S6_EES6_b.has_indirect_call, 0
	.section	.AMDGPU.csdata,"",@progbits
; Kernel info:
; codeLenInByte = 15492
; TotalNumSgprs: 38
; NumVgprs: 121
; ScratchSize: 0
; MemoryBound: 0
; FloatMode: 240
; IeeeMode: 1
; LDSByteSize: 33792 bytes/workgroup (compile time only)
; SGPRBlocks: 0
; VGPRBlocks: 15
; NumSGPRsForWavesPerEU: 38
; NumVGPRsForWavesPerEU: 121
; Occupancy: 10
; WaveLimiterHint : 1
; COMPUTE_PGM_RSRC2:SCRATCH_EN: 0
; COMPUTE_PGM_RSRC2:USER_SGPR: 2
; COMPUTE_PGM_RSRC2:TRAP_HANDLER: 0
; COMPUTE_PGM_RSRC2:TGID_X_EN: 1
; COMPUTE_PGM_RSRC2:TGID_Y_EN: 1
; COMPUTE_PGM_RSRC2:TGID_Z_EN: 1
; COMPUTE_PGM_RSRC2:TIDIG_COMP_CNT: 2
	.section	.text._ZN2at6native18radixSortKVInPlaceILi2ELin1ELi256ELi8EfljEEvNS_4cuda6detail10TensorInfoIT3_T5_EES6_S6_S6_NS4_IT4_S6_EES6_b,"axG",@progbits,_ZN2at6native18radixSortKVInPlaceILi2ELin1ELi256ELi8EfljEEvNS_4cuda6detail10TensorInfoIT3_T5_EES6_S6_S6_NS4_IT4_S6_EES6_b,comdat
	.protected	_ZN2at6native18radixSortKVInPlaceILi2ELin1ELi256ELi8EfljEEvNS_4cuda6detail10TensorInfoIT3_T5_EES6_S6_S6_NS4_IT4_S6_EES6_b ; -- Begin function _ZN2at6native18radixSortKVInPlaceILi2ELin1ELi256ELi8EfljEEvNS_4cuda6detail10TensorInfoIT3_T5_EES6_S6_S6_NS4_IT4_S6_EES6_b
	.globl	_ZN2at6native18radixSortKVInPlaceILi2ELin1ELi256ELi8EfljEEvNS_4cuda6detail10TensorInfoIT3_T5_EES6_S6_S6_NS4_IT4_S6_EES6_b
	.p2align	8
	.type	_ZN2at6native18radixSortKVInPlaceILi2ELin1ELi256ELi8EfljEEvNS_4cuda6detail10TensorInfoIT3_T5_EES6_S6_S6_NS4_IT4_S6_EES6_b,@function
_ZN2at6native18radixSortKVInPlaceILi2ELin1ELi256ELi8EfljEEvNS_4cuda6detail10TensorInfoIT3_T5_EES6_S6_S6_NS4_IT4_S6_EES6_b: ; @_ZN2at6native18radixSortKVInPlaceILi2ELin1ELi256ELi8EfljEEvNS_4cuda6detail10TensorInfoIT3_T5_EES6_S6_S6_NS4_IT4_S6_EES6_b
; %bb.0:
	s_clause 0x1
	s_load_b64 s[2:3], s[0:1], 0x1c8
	s_load_b96 s[20:22], s[0:1], 0xd8
	s_lshr_b32 s4, ttmp7, 16
	s_wait_kmcnt 0x0
	s_mul_i32 s3, s3, s4
	s_and_b32 s4, ttmp7, 0xffff
	s_delay_alu instid0(SALU_CYCLE_1) | instskip(NEXT) | instid1(SALU_CYCLE_1)
	s_add_co_i32 s3, s3, s4
	s_mul_i32 s2, s3, s2
	s_delay_alu instid0(SALU_CYCLE_1) | instskip(NEXT) | instid1(SALU_CYCLE_1)
	s_add_co_i32 s2, s2, ttmp9
	s_cmp_ge_u32 s2, s20
	s_cbranch_scc1 .LBB206_110
; %bb.1:
	s_clause 0x2
	s_load_b32 s10, s[0:1], 0xc
	s_load_b64 s[4:5], s[0:1], 0x6c
	s_load_b32 s8, s[0:1], 0x1b8
	s_add_nc_u64 s[14:15], s[0:1], 0xe8
	s_mov_b32 s18, s2
	s_wait_kmcnt 0x0
	s_cvt_f32_u32 s3, s10
	s_delay_alu instid0(SALU_CYCLE_3) | instskip(NEXT) | instid1(TRANS32_DEP_1)
	v_rcp_iflag_f32_e32 v1, s3
	v_readfirstlane_b32 s3, v1
	s_mul_f32 s3, s3, 0x4f7ffffe
	s_wait_alu 0xfffe
	s_delay_alu instid0(SALU_CYCLE_2) | instskip(SKIP_2) | instid1(SALU_CYCLE_1)
	s_cvt_u32_f32 s6, s3
	s_sub_co_i32 s3, 0, s10
	s_wait_alu 0xfffe
	s_mul_i32 s7, s3, s6
	s_mov_b32 s3, 0
	s_mul_hi_u32 s9, s6, s7
	s_wait_alu 0xfffe
	s_mov_b32 s7, s3
	s_add_co_i32 s6, s6, s9
	s_cmp_lt_i32 s8, 2
	s_mov_b32 s13, s3
	s_cbranch_scc1 .LBB206_4
; %bb.2:
	s_add_co_i32 s12, s8, -1
	s_mov_b32 s13, 0
	s_add_co_i32 s11, s8, 1
	s_lshl_b64 s[16:17], s[12:13], 2
	s_mov_b32 s18, s2
	s_add_nc_u64 s[16:17], s[14:15], s[16:17]
	s_delay_alu instid0(SALU_CYCLE_1)
	s_add_nc_u64 s[8:9], s[16:17], 8
.LBB206_3:                              ; =>This Inner Loop Header: Depth=1
	s_clause 0x1
	s_load_b32 s12, s[8:9], 0x0
	s_load_b32 s16, s[8:9], 0x64
	s_mov_b32 s20, s18
	s_add_nc_u64 s[8:9], s[8:9], -4
	s_wait_kmcnt 0x0
	s_cvt_f32_u32 s17, s12
	s_sub_co_i32 s19, 0, s12
	s_wait_alu 0xfffe
	s_delay_alu instid0(SALU_CYCLE_1) | instskip(NEXT) | instid1(TRANS32_DEP_1)
	v_rcp_iflag_f32_e32 v1, s17
	v_readfirstlane_b32 s17, v1
	s_mul_f32 s17, s17, 0x4f7ffffe
	s_wait_alu 0xfffe
	s_delay_alu instid0(SALU_CYCLE_2) | instskip(SKIP_1) | instid1(SALU_CYCLE_2)
	s_cvt_u32_f32 s17, s17
	s_wait_alu 0xfffe
	s_mul_i32 s19, s19, s17
	s_delay_alu instid0(SALU_CYCLE_1) | instskip(NEXT) | instid1(SALU_CYCLE_1)
	s_mul_hi_u32 s19, s17, s19
	s_add_co_i32 s17, s17, s19
	s_wait_alu 0xfffe
	s_mul_hi_u32 s17, s18, s17
	s_wait_alu 0xfffe
	s_mul_i32 s18, s17, s12
	s_add_co_i32 s19, s17, 1
	s_sub_co_i32 s18, s20, s18
	s_delay_alu instid0(SALU_CYCLE_1)
	s_sub_co_i32 s23, s18, s12
	s_cmp_ge_u32 s18, s12
	s_cselect_b32 s17, s19, s17
	s_cselect_b32 s18, s23, s18
	s_wait_alu 0xfffe
	s_add_co_i32 s19, s17, 1
	s_cmp_ge_u32 s18, s12
	s_cselect_b32 s18, s19, s17
	s_add_co_i32 s11, s11, -1
	s_mul_i32 s12, s18, s12
	s_delay_alu instid0(SALU_CYCLE_1) | instskip(NEXT) | instid1(SALU_CYCLE_1)
	s_sub_co_i32 s12, s20, s12
	s_mul_i32 s12, s16, s12
	s_delay_alu instid0(SALU_CYCLE_1)
	s_add_co_i32 s13, s12, s13
	s_cmp_gt_u32 s11, 2
	s_cbranch_scc1 .LBB206_3
.LBB206_4:
	s_mul_u64 s[6:7], s[2:3], s[6:7]
	s_clause 0x1
	s_load_b64 s[16:17], s[0:1], 0x0
	s_load_b64 s[28:29], s[0:1], 0x1c0
	s_mul_i32 s3, s7, s10
	s_add_nc_u64 s[36:37], s[0:1], 0x1c8
	s_wait_alu 0xfffe
	s_sub_co_i32 s0, s2, s3
	s_add_co_i32 s1, s7, 1
	s_sub_co_i32 s3, s0, s10
	s_cmp_ge_u32 s0, s10
	s_cselect_b32 s1, s1, s7
	s_wait_alu 0xfffe
	s_cselect_b32 s0, s3, s0
	s_add_co_i32 s3, s1, 1
	s_cmp_ge_u32 s0, s10
	s_wait_alu 0xfffe
	s_cselect_b32 s0, s3, s1
	s_mov_b32 s3, 0
	s_mul_i32 s1, s0, s10
	s_mul_i32 s0, s0, s4
	s_sub_co_i32 s1, s2, s1
	s_delay_alu instid0(SALU_CYCLE_1) | instskip(NEXT) | instid1(SALU_CYCLE_1)
	s_mul_i32 s1, s1, s5
	s_add_co_i32 s2, s0, s1
	s_wait_kmcnt 0x0
	s_bitcmp1_b32 s29, 0
	s_cselect_b32 s12, -1, 0
	s_delay_alu instid0(SALU_CYCLE_1)
	s_and_b32 s0, s12, exec_lo
	s_cselect_b32 s4, -1, 0x7fffffff
	s_wait_alu 0xfffe
	s_lshl_b64 s[2:3], s[2:3], 2
	s_mov_b32 s5, s4
	s_mov_b32 s6, s4
	;; [unrolled: 1-line block ×7, first 2 shown]
	v_and_b32_e32 v45, 0x3ff, v0
	v_dual_mov_b32 v1, s4 :: v_dual_mov_b32 v4, s7
	v_dual_mov_b32 v2, s5 :: v_dual_mov_b32 v3, s6
	v_mov_b32_e32 v6, s9
	s_delay_alu instid0(VALU_DEP_4)
	v_mul_lo_u32 v43, s22, v45
	v_cmp_gt_u32_e64 s0, s21, v45
	v_dual_mov_b32 v5, s8 :: v_dual_mov_b32 v8, s11
	v_mov_b32_e32 v7, s10
	v_mov_b32_e32 v9, s4
	s_wait_alu 0xfffe
	s_add_nc_u64 s[30:31], s[16:17], s[2:3]
	s_and_saveexec_b32 s1, s0
	s_cbranch_execz .LBB206_6
; %bb.5:
	v_mov_b32_e32 v44, 0
	s_delay_alu instid0(VALU_DEP_1) | instskip(NEXT) | instid1(VALU_DEP_1)
	v_lshlrev_b64_e32 v[1:2], 2, v[43:44]
	v_add_co_u32 v1, vcc_lo, s30, v1
	s_delay_alu instid0(VALU_DEP_1)
	v_add_co_ci_u32_e64 v2, null, s31, v2, vcc_lo
	global_load_b32 v9, v[1:2], off
	v_dual_mov_b32 v1, s4 :: v_dual_mov_b32 v2, s5
	v_dual_mov_b32 v3, s6 :: v_dual_mov_b32 v4, s7
	;; [unrolled: 1-line block ×4, first 2 shown]
.LBB206_6:
	s_or_b32 exec_lo, exec_lo, s1
	v_add_nc_u32_e32 v15, 0x100, v45
	s_delay_alu instid0(VALU_DEP_1)
	v_cmp_gt_u32_e64 s1, s21, v15
	s_and_saveexec_b32 s2, s1
	s_cbranch_execz .LBB206_8
; %bb.7:
	v_mul_lo_u32 v1, s22, v15
	v_mov_b32_e32 v2, 0
	s_delay_alu instid0(VALU_DEP_1) | instskip(NEXT) | instid1(VALU_DEP_1)
	v_lshlrev_b64_e32 v[1:2], 2, v[1:2]
	v_add_co_u32 v1, vcc_lo, s30, v1
	s_wait_alu 0xfffd
	s_delay_alu instid0(VALU_DEP_2)
	v_add_co_ci_u32_e64 v2, null, s31, v2, vcc_lo
	global_load_b32 v2, v[1:2], off
.LBB206_8:
	s_wait_alu 0xfffe
	s_or_b32 exec_lo, exec_lo, s2
	v_add_nc_u32_e32 v16, 0x200, v45
	s_delay_alu instid0(VALU_DEP_1)
	v_cmp_gt_u32_e64 s2, s21, v16
	s_and_saveexec_b32 s3, s2
	s_cbranch_execz .LBB206_10
; %bb.9:
	v_mul_lo_u32 v10, s22, v16
	v_mov_b32_e32 v11, 0
	s_delay_alu instid0(VALU_DEP_1) | instskip(NEXT) | instid1(VALU_DEP_1)
	v_lshlrev_b64_e32 v[10:11], 2, v[10:11]
	v_add_co_u32 v10, vcc_lo, s30, v10
	s_wait_alu 0xfffd
	s_delay_alu instid0(VALU_DEP_2)
	v_add_co_ci_u32_e64 v11, null, s31, v11, vcc_lo
	global_load_b32 v3, v[10:11], off
.LBB206_10:
	s_wait_alu 0xfffe
	;; [unrolled: 18-line block ×3, first 2 shown]
	s_or_b32 exec_lo, exec_lo, s4
	v_or_b32_e32 v18, 0x400, v45
	s_delay_alu instid0(VALU_DEP_1)
	v_cmp_gt_u32_e64 s4, s21, v18
	s_and_saveexec_b32 s5, s4
	s_cbranch_execz .LBB206_14
; %bb.13:
	v_mul_lo_u32 v10, s22, v18
	v_mov_b32_e32 v11, 0
	s_delay_alu instid0(VALU_DEP_1) | instskip(NEXT) | instid1(VALU_DEP_1)
	v_lshlrev_b64_e32 v[10:11], 2, v[10:11]
	v_add_co_u32 v10, vcc_lo, s30, v10
	s_wait_alu 0xfffd
	s_delay_alu instid0(VALU_DEP_2)
	v_add_co_ci_u32_e64 v11, null, s31, v11, vcc_lo
	global_load_b32 v5, v[10:11], off
.LBB206_14:
	s_wait_alu 0xfffe
	s_or_b32 exec_lo, exec_lo, s5
	v_add_nc_u32_e32 v19, 0x500, v45
	s_delay_alu instid0(VALU_DEP_1)
	v_cmp_gt_u32_e64 s5, s21, v19
	s_and_saveexec_b32 s6, s5
	s_cbranch_execz .LBB206_16
; %bb.15:
	v_mul_lo_u32 v10, s22, v19
	v_mov_b32_e32 v11, 0
	s_delay_alu instid0(VALU_DEP_1) | instskip(NEXT) | instid1(VALU_DEP_1)
	v_lshlrev_b64_e32 v[10:11], 2, v[10:11]
	v_add_co_u32 v10, vcc_lo, s30, v10
	s_wait_alu 0xfffd
	s_delay_alu instid0(VALU_DEP_2)
	v_add_co_ci_u32_e64 v11, null, s31, v11, vcc_lo
	global_load_b32 v6, v[10:11], off
.LBB206_16:
	s_wait_alu 0xfffe
	s_or_b32 exec_lo, exec_lo, s6
	v_add_nc_u32_e32 v20, 0x600, v45
	s_delay_alu instid0(VALU_DEP_1)
	v_cmp_gt_u32_e64 s6, s21, v20
	s_and_saveexec_b32 s7, s6
	s_cbranch_execz .LBB206_18
; %bb.17:
	v_mul_lo_u32 v10, s22, v20
	v_mov_b32_e32 v11, 0
	s_delay_alu instid0(VALU_DEP_1) | instskip(NEXT) | instid1(VALU_DEP_1)
	v_lshlrev_b64_e32 v[10:11], 2, v[10:11]
	v_add_co_u32 v10, vcc_lo, s30, v10
	s_wait_alu 0xfffd
	s_delay_alu instid0(VALU_DEP_2)
	v_add_co_ci_u32_e64 v11, null, s31, v11, vcc_lo
	global_load_b32 v7, v[10:11], off
.LBB206_18:
	s_wait_alu 0xfffe
	s_or_b32 exec_lo, exec_lo, s7
	s_clause 0x1
	s_load_b32 s10, s[14:15], 0x6c
	s_load_b64 s[8:9], s[14:15], 0x0
	v_add_nc_u32_e32 v21, 0x700, v45
	s_delay_alu instid0(VALU_DEP_1)
	v_cmp_gt_u32_e64 s7, s21, v21
	s_and_saveexec_b32 s11, s7
	s_cbranch_execz .LBB206_20
; %bb.19:
	v_mul_lo_u32 v10, s22, v21
	v_mov_b32_e32 v11, 0
	s_delay_alu instid0(VALU_DEP_1) | instskip(NEXT) | instid1(VALU_DEP_1)
	v_lshlrev_b64_e32 v[10:11], 2, v[10:11]
	v_add_co_u32 v10, vcc_lo, s30, v10
	s_wait_alu 0xfffd
	s_delay_alu instid0(VALU_DEP_2)
	v_add_co_ci_u32_e64 v11, null, s31, v11, vcc_lo
	global_load_b32 v8, v[10:11], off
.LBB206_20:
	s_wait_alu 0xfffe
	s_or_b32 exec_lo, exec_lo, s11
	v_lshrrev_b32_e32 v1, 5, v15
	v_lshrrev_b32_e32 v24, 5, v45
	;; [unrolled: 1-line block ×3, first 2 shown]
	s_wait_kmcnt 0x0
	s_mul_i32 s10, s10, s18
	v_mul_lo_u32 v40, s28, v45
	v_add_nc_u32_e32 v25, v1, v45
	v_lshrrev_b32_e32 v1, 5, v17
	v_dual_mov_b32 v41, 0 :: v_dual_add_nc_u32 v26, v24, v45
	v_lshlrev_b32_e32 v91, 3, v45
	v_add_nc_u32_e32 v22, v10, v45
	s_delay_alu instid0(VALU_DEP_4) | instskip(SKIP_2) | instid1(VALU_DEP_4)
	v_add_nc_u32_e32 v23, v1, v45
	v_lshrrev_b32_e32 v1, 5, v18
	v_lshlrev_b32_e32 v72, 2, v26
	v_dual_mov_b32 v42, v41 :: v_dual_lshlrev_b32 v73, 2, v22
	s_delay_alu instid0(VALU_DEP_4) | instskip(NEXT) | instid1(VALU_DEP_4)
	v_lshlrev_b32_e32 v74, 2, v23
	v_add_nc_u32_e32 v27, v1, v45
	v_lshrrev_b32_e32 v1, 5, v19
	s_mov_b32 s11, 0
	v_mov_b32_e32 v10, v41
	s_wait_alu 0xfffe
	s_add_co_i32 s10, s10, s13
	v_lshlrev_b32_e32 v75, 2, v27
	v_add_nc_u32_e32 v31, v1, v45
	v_lshrrev_b32_e32 v1, 2, v45
	v_mov_b32_e32 v13, 0
	v_mov_b32_e32 v14, 0
	v_lshlrev_b32_e32 v44, 2, v25
	v_dual_mov_b32 v11, v41 :: v_dual_lshlrev_b32 v76, 2, v31
	v_add_nc_u32_e32 v30, v1, v91
	v_mov_b32_e32 v1, v41
	s_wait_loadcnt 0x0
	ds_store_b32 v72, v9
	ds_store_b32 v44, v2 offset:1024
	ds_store_b32 v73, v3 offset:2048
	v_lshrrev_b32_e32 v2, 5, v20
	v_lshrrev_b32_e32 v3, 5, v21
	v_lshlrev_b32_e32 v79, 2, v30
	ds_store_b32 v74, v4 offset:3072
	ds_store_b32 v75, v5 offset:4096
	v_dual_mov_b32 v2, v41 :: v_dual_add_nc_u32 v29, v2, v45
	v_dual_mov_b32 v9, v41 :: v_dual_add_nc_u32 v28, v3, v45
	v_mov_b32_e32 v3, v41
	s_delay_alu instid0(VALU_DEP_3) | instskip(NEXT) | instid1(VALU_DEP_3)
	v_dual_mov_b32 v4, v41 :: v_dual_lshlrev_b32 v77, 2, v29
	v_lshlrev_b32_e32 v78, 2, v28
	ds_store_b32 v76, v6 offset:5120
	ds_store_b32 v77, v7 offset:6144
	;; [unrolled: 1-line block ×3, first 2 shown]
	s_wait_dscnt 0x0
	s_barrier_signal -1
	s_barrier_wait -1
	global_inv scope:SCOPE_SE
	v_mov_b32_e32 v8, v41
	ds_load_2addr_b32 v[52:53], v79 offset1:1
	ds_load_2addr_b32 v[50:51], v79 offset0:2 offset1:3
	ds_load_2addr_b32 v[48:49], v79 offset0:4 offset1:5
	;; [unrolled: 1-line block ×3, first 2 shown]
	v_dual_mov_b32 v5, v41 :: v_dual_mov_b32 v6, v41
	v_dual_mov_b32 v7, v41 :: v_dual_mov_b32 v12, v41
	s_wait_alu 0xfffe
	s_lshl_b64 s[10:11], s[10:11], 3
	s_wait_loadcnt_dscnt 0x0
	s_wait_alu 0xfffe
	s_add_nc_u64 s[34:35], s[8:9], s[10:11]
	s_barrier_signal -1
	s_barrier_wait -1
	global_inv scope:SCOPE_SE
	s_and_saveexec_b32 s8, s0
	s_cbranch_execnz .LBB206_56
; %bb.21:
	s_wait_alu 0xfffe
	s_or_b32 exec_lo, exec_lo, s8
	s_and_saveexec_b32 s8, s1
	s_cbranch_execnz .LBB206_57
.LBB206_22:
	s_wait_alu 0xfffe
	s_or_b32 exec_lo, exec_lo, s8
	s_and_saveexec_b32 s8, s2
	s_cbranch_execnz .LBB206_58
.LBB206_23:
	s_wait_alu 0xfffe
	s_or_b32 exec_lo, exec_lo, s8
	s_and_saveexec_b32 s8, s3
	s_cbranch_execnz .LBB206_59
.LBB206_24:
	s_wait_alu 0xfffe
	s_or_b32 exec_lo, exec_lo, s8
	s_and_saveexec_b32 s8, s4
	s_cbranch_execnz .LBB206_60
.LBB206_25:
	s_wait_alu 0xfffe
	s_or_b32 exec_lo, exec_lo, s8
	s_and_saveexec_b32 s8, s5
	s_cbranch_execnz .LBB206_61
.LBB206_26:
	s_wait_alu 0xfffe
	s_or_b32 exec_lo, exec_lo, s8
	s_and_saveexec_b32 s8, s6
	s_cbranch_execnz .LBB206_62
.LBB206_27:
	s_wait_alu 0xfffe
	s_or_b32 exec_lo, exec_lo, s8
	s_xor_b32 s8, s12, -1
	s_and_saveexec_b32 s9, s7
	s_cbranch_execz .LBB206_29
.LBB206_28:
	v_mul_lo_u32 v11, s28, v21
	v_mov_b32_e32 v12, 0
	s_delay_alu instid0(VALU_DEP_1) | instskip(NEXT) | instid1(VALU_DEP_1)
	v_lshlrev_b64_e32 v[11:12], 3, v[11:12]
	v_add_co_u32 v11, vcc_lo, s34, v11
	s_wait_alu 0xfffd
	s_delay_alu instid0(VALU_DEP_2)
	v_add_co_ci_u32_e64 v12, null, s35, v12, vcc_lo
	global_load_b64 v[11:12], v[11:12], off
.LBB206_29:
	s_wait_alu 0xfffe
	s_or_b32 exec_lo, exec_lo, s9
	v_lshlrev_b32_e32 v80, 3, v26
	v_lshlrev_b32_e32 v83, 3, v23
	;; [unrolled: 1-line block ×9, first 2 shown]
	s_wait_loadcnt 0x0
	ds_store_b64 v80, v[13:14]
	ds_store_b64 v81, v[41:42] offset:2048
	ds_store_b64 v82, v[9:10] offset:4096
	;; [unrolled: 1-line block ×7, first 2 shown]
	s_wait_dscnt 0x0
	s_barrier_signal -1
	s_barrier_wait -1
	global_inv scope:SCOPE_SE
	ds_load_2addr_b64 v[20:23], v88 offset1:1
	ds_load_2addr_b64 v[16:19], v88 offset0:2 offset1:3
	ds_load_2addr_b64 v[12:15], v88 offset0:4 offset1:5
	;; [unrolled: 1-line block ×3, first 2 shown]
	s_and_b32 vcc_lo, exec_lo, s8
	v_bfe_u32 v95, v0, 10, 10
	v_bfe_u32 v96, v0, 20, 10
	v_mbcnt_lo_u32_b32 v93, -1, 0
	v_and_b32_e32 v94, 0x3e0, v45
	v_lshlrev_b32_e32 v89, 2, v91
	v_cmp_gt_u32_e64 s8, 8, v45
	v_cmp_lt_u32_e64 s9, 31, v45
	v_cmp_eq_u32_e64 s10, 0, v45
	v_lshlrev_b32_e32 v90, 2, v24
	v_mul_i32_i24_e32 v92, 0xffffffe4, v45
	s_wait_loadcnt_dscnt 0x0
	s_barrier_signal -1
	s_barrier_wait -1
	global_inv scope:SCOPE_SE
	s_wait_alu 0xfffe
	s_cbranch_vccz .LBB206_63
; %bb.30:
	v_cmp_lt_i32_e32 vcc_lo, -1, v52
	v_or_b32_e32 v7, v93, v94
	s_getpc_b64 s[12:13]
	s_sext_i32_i16 s13, s13
	s_add_co_u32 s12, s12, _ZN7rocprim17ROCPRIM_400000_NS16block_radix_sortIfLj256ELj8ElLj1ELj1ELj0ELNS0_26block_radix_rank_algorithmE1ELNS0_18block_padding_hintE2ELNS0_4arch9wavefront6targetE0EE19radix_bits_per_passE@rel32@lo+8
	s_add_co_ci_u32 s13, s13, _ZN7rocprim17ROCPRIM_400000_NS16block_radix_sortIfLj256ELj8ElLj1ELj1ELj0ELNS0_26block_radix_rank_algorithmE1ELNS0_18block_padding_hintE2ELNS0_4arch9wavefront6targetE0EE19radix_bits_per_passE@rel32@hi+16
	v_and_or_b32 v25, 0x1f00, v91, v93
	s_load_b32 s23, s[12:13], 0x0
	v_cndmask_b32_e64 v0, -1, 0x80000000, vcc_lo
	v_cmp_lt_i32_e32 vcc_lo, -1, v53
	v_lshlrev_b32_e32 v26, 5, v7
	s_mov_b32 s24, 0
	v_and_b32_e32 v36, 16, v93
	v_xor_b32_e32 v0, v0, v52
	s_wait_alu 0xfffd
	v_cndmask_b32_e64 v1, -1, 0x80000000, vcc_lo
	v_cmp_lt_i32_e32 vcc_lo, -1, v50
	s_mov_b32 s25, s24
	s_mov_b32 s26, s24
	;; [unrolled: 1-line block ×3, first 2 shown]
	v_xor_b32_e32 v1, v1, v53
	s_wait_alu 0xfffd
	v_cndmask_b32_e64 v2, -1, 0x80000000, vcc_lo
	v_cmp_lt_i32_e32 vcc_lo, -1, v51
	v_lshlrev_b32_e32 v97, 2, v25
	v_and_b32_e32 v37, 7, v93
	v_cmp_eq_u32_e64 s16, 0, v36
	v_xor_b32_e32 v2, v2, v50
	s_wait_alu 0xfffd
	v_cndmask_b32_e64 v3, -1, 0x80000000, vcc_lo
	v_cmp_lt_i32_e32 vcc_lo, -1, v48
	v_add_nc_u32_e32 v98, v97, v97
	v_add_nc_u32_e32 v101, v89, v92
	s_delay_alu instid0(VALU_DEP_4) | instskip(SKIP_3) | instid1(VALU_DEP_2)
	v_xor_b32_e32 v3, v3, v51
	s_wait_alu 0xfffd
	v_cndmask_b32_e64 v4, -1, 0x80000000, vcc_lo
	v_cmp_lt_i32_e32 vcc_lo, -1, v49
	v_xor_b32_e32 v4, v4, v48
	s_wait_alu 0xfffd
	v_cndmask_b32_e64 v5, -1, 0x80000000, vcc_lo
	v_cmp_lt_i32_e32 vcc_lo, -1, v46
	s_delay_alu instid0(VALU_DEP_2) | instskip(SKIP_3) | instid1(VALU_DEP_2)
	v_xor_b32_e32 v5, v5, v49
	s_wait_alu 0xfffd
	v_cndmask_b32_e64 v6, -1, 0x80000000, vcc_lo
	v_cmp_lt_i32_e32 vcc_lo, -1, v47
	v_xor_b32_e32 v6, v6, v46
	s_wait_alu 0xfffd
	v_cndmask_b32_e64 v24, -1, 0x80000000, vcc_lo
	s_delay_alu instid0(VALU_DEP_1)
	v_xor_b32_e32 v7, v24, v47
	ds_store_b128 v26, v[0:3]
	ds_store_b128 v26, v[4:7] offset:16
	v_sub_co_u32 v3, s12, v93, 1
	; wave barrier
	ds_load_2addr_b32 v[64:65], v97 offset1:32
	ds_load_2addr_b32 v[66:67], v97 offset0:64 offset1:96
	ds_load_2addr_b32 v[68:69], v97 offset0:128 offset1:160
	;; [unrolled: 1-line block ×3, first 2 shown]
	v_cmp_gt_i32_e32 vcc_lo, 0, v3
	s_wait_loadcnt_dscnt 0x0
	s_barrier_signal -1
	s_barrier_wait -1
	global_inv scope:SCOPE_SE
	s_wait_alu 0xfffd
	v_dual_cndmask_b32 v3, v3, v93 :: v_dual_add_nc_u32 v0, v26, v26
	ds_store_b128 v0, v[20:23]
	ds_store_b128 v0, v[16:19] offset:16
	ds_store_b128 v0, v[12:15] offset:32
	;; [unrolled: 1-line block ×3, first 2 shown]
	; wave barrier
	ds_load_2addr_b64 v[4:7], v98 offset1:32
	ds_load_2addr_b64 v[24:27], v98 offset0:64 offset1:96
	ds_load_2addr_b64 v[28:31], v98 offset0:128 offset1:160
	;; [unrolled: 1-line block ×3, first 2 shown]
	s_wait_loadcnt_dscnt 0x0
	s_barrier_signal -1
	s_barrier_wait -1
	global_inv scope:SCOPE_SE
	s_load_b32 s11, s[36:37], 0xc
	v_and_b32_e32 v2, 15, v93
	v_lshlrev_b32_e32 v99, 2, v3
	s_delay_alu instid0(VALU_DEP_2)
	v_cmp_lt_u32_e64 s13, 1, v2
	v_cmp_lt_u32_e64 s15, 7, v2
	s_wait_kmcnt 0x0
	s_lshr_b32 s14, s11, 16
	s_and_b32 s11, s11, 0xffff
	v_mad_u32_u24 v0, v96, s14, v95
	v_cmp_lt_u32_e64 s14, 3, v2
	s_wait_alu 0xfffe
	s_delay_alu instid0(VALU_DEP_2) | instskip(SKIP_2) | instid1(VALU_DEP_2)
	v_mad_co_u64_u32 v[0:1], null, v0, s11, v[45:46]
	v_min_u32_e32 v1, 0xe0, v94
	v_cmp_eq_u32_e64 s11, 0, v2
	v_or_b32_e32 v1, 31, v1
	s_delay_alu instid0(VALU_DEP_4) | instskip(NEXT) | instid1(VALU_DEP_2)
	v_lshrrev_b32_e32 v0, 3, v0
	v_cmp_eq_u32_e64 s17, v45, v1
	s_delay_alu instid0(VALU_DEP_2)
	v_and_b32_e32 v100, 0x1ffffffc, v0
	v_dual_mov_b32 v0, s24 :: v_dual_mov_b32 v1, s25
	v_mov_b32_e32 v2, s26
	v_cmp_eq_u32_e64 s18, 0, v37
	v_cmp_lt_u32_e64 s19, 1, v37
	v_cmp_lt_u32_e64 s20, 3, v37
	v_mov_b32_e32 v3, s27
	s_mov_b32 s25, 32
	s_branch .LBB206_32
.LBB206_31:                             ;   in Loop: Header=BB206_32 Depth=1
	s_wait_alu 0xfffe
	s_and_not1_b32 vcc_lo, exec_lo, s21
	s_wait_alu 0xfffe
	s_cbranch_vccz .LBB206_64
.LBB206_32:                             ; =>This Inner Loop Header: Depth=1
	v_dual_mov_b32 v102, v64 :: v_dual_mov_b32 v103, v71
	s_wait_alu 0xfffe
	s_min_u32 s21, s23, s25
	ds_store_b128 v89, v[0:3] offset:32
	ds_store_b128 v89, v[0:3] offset:48
	s_wait_alu 0xfffe
	s_lshl_b32 s21, -1, s21
	v_cmp_ne_u32_e32 vcc_lo, 0x7fffffff, v102
	s_wait_alu 0xfffe
	s_not_b32 s26, s21
	s_wait_loadcnt_dscnt 0x0
	s_barrier_signal -1
	s_barrier_wait -1
	s_wait_alu 0xfffd
	v_dual_cndmask_b32 v36, 0x80000000, v102 :: v_dual_mov_b32 v105, v69
	global_inv scope:SCOPE_SE
	; wave barrier
	v_lshrrev_b32_e32 v36, s24, v36
	v_mov_b32_e32 v107, v67
	v_dual_mov_b32 v109, v65 :: v_dual_mov_b32 v106, v68
	v_mov_b32_e32 v108, v66
	s_wait_alu 0xfffe
	v_and_b32_e32 v64, s26, v36
	v_dual_mov_b32 v104, v70 :: v_dual_mov_b32 v59, v25
	v_dual_mov_b32 v58, v24 :: v_dual_mov_b32 v61, v7
	s_delay_alu instid0(VALU_DEP_3)
	v_and_b32_e32 v36, 1, v64
	v_lshlrev_b32_e32 v37, 30, v64
	v_lshlrev_b32_e32 v38, 29, v64
	;; [unrolled: 1-line block ×4, first 2 shown]
	v_add_co_u32 v36, s21, v36, -1
	s_wait_alu 0xf1ff
	v_cndmask_b32_e64 v41, 0, 1, s21
	v_not_b32_e32 v56, v37
	v_cmp_gt_i32_e64 s21, 0, v37
	v_not_b32_e32 v37, v38
	v_lshlrev_b32_e32 v54, 26, v64
	v_cmp_ne_u32_e32 vcc_lo, 0, v41
	v_ashrrev_i32_e32 v56, 31, v56
	v_lshlrev_b32_e32 v55, 25, v64
	v_ashrrev_i32_e32 v37, 31, v37
	v_lshlrev_b32_e32 v41, 24, v64
	s_wait_alu 0xfffd
	v_xor_b32_e32 v36, vcc_lo, v36
	v_cmp_gt_i32_e32 vcc_lo, 0, v38
	v_not_b32_e32 v38, v39
	s_wait_alu 0xf1ff
	v_xor_b32_e32 v56, s21, v56
	v_cmp_gt_i32_e64 s21, 0, v39
	v_and_b32_e32 v36, exec_lo, v36
	v_not_b32_e32 v39, v42
	v_ashrrev_i32_e32 v38, 31, v38
	s_wait_alu 0xfffd
	v_xor_b32_e32 v37, vcc_lo, v37
	v_cmp_gt_i32_e32 vcc_lo, 0, v42
	v_and_b32_e32 v36, v36, v56
	v_not_b32_e32 v42, v54
	v_ashrrev_i32_e32 v39, 31, v39
	s_wait_alu 0xf1ff
	v_xor_b32_e32 v38, s21, v38
	v_cmp_gt_i32_e64 s21, 0, v54
	v_and_b32_e32 v36, v36, v37
	v_not_b32_e32 v37, v55
	v_ashrrev_i32_e32 v42, 31, v42
	s_wait_alu 0xfffd
	v_xor_b32_e32 v39, vcc_lo, v39
	v_cmp_gt_i32_e32 vcc_lo, 0, v55
	v_and_b32_e32 v36, v36, v38
	v_ashrrev_i32_e32 v37, 31, v37
	s_wait_alu 0xf1ff
	v_xor_b32_e32 v42, s21, v42
	v_dual_mov_b32 v55, v29 :: v_dual_mov_b32 v54, v28
	v_dual_mov_b32 v63, v5 :: v_dual_and_b32 v36, v36, v39
	s_wait_alu 0xfffd
	v_xor_b32_e32 v37, vcc_lo, v37
	v_mov_b32_e32 v62, v4
	v_lshlrev_b32_e32 v4, 5, v64
	v_and_b32_e32 v36, v36, v42
	s_delay_alu instid0(VALU_DEP_2) | instskip(NEXT) | instid1(VALU_DEP_2)
	v_dual_mov_b32 v60, v6 :: v_dual_add_nc_u32 v29, v100, v4
	v_and_b32_e32 v57, v36, v37
	v_dual_mov_b32 v37, v35 :: v_dual_mov_b32 v36, v34
	v_not_b32_e32 v38, v41
	v_cmp_gt_i32_e64 s21, 0, v41
	v_dual_mov_b32 v42, v31 :: v_dual_mov_b32 v41, v30
	s_delay_alu instid0(VALU_DEP_3) | instskip(SKIP_1) | instid1(VALU_DEP_1)
	v_ashrrev_i32_e32 v38, 31, v38
	s_wait_alu 0xf1ff
	v_xor_b32_e32 v56, s21, v38
	v_dual_mov_b32 v39, v33 :: v_dual_mov_b32 v38, v32
	s_delay_alu instid0(VALU_DEP_2) | instskip(SKIP_1) | instid1(VALU_DEP_2)
	v_dual_mov_b32 v57, v27 :: v_dual_and_b32 v30, v57, v56
	v_mov_b32_e32 v56, v26
	v_mbcnt_lo_u32_b32 v28, v30, 0
	v_cmp_ne_u32_e64 s21, 0, v30
	s_delay_alu instid0(VALU_DEP_2)
	v_cmp_eq_u32_e32 vcc_lo, 0, v28
	s_and_b32 s27, s21, vcc_lo
	s_wait_alu 0xfffe
	s_and_saveexec_b32 s21, s27
; %bb.33:                               ;   in Loop: Header=BB206_32 Depth=1
	v_bcnt_u32_b32 v4, v30, 0
	ds_store_b32 v29, v4 offset:32
; %bb.34:                               ;   in Loop: Header=BB206_32 Depth=1
	s_wait_alu 0xfffe
	s_or_b32 exec_lo, exec_lo, s21
	v_cmp_ne_u32_e32 vcc_lo, 0x7fffffff, v109
	; wave barrier
	s_wait_alu 0xfffd
	v_cndmask_b32_e32 v4, 0x80000000, v109, vcc_lo
	s_delay_alu instid0(VALU_DEP_1) | instskip(NEXT) | instid1(VALU_DEP_1)
	v_lshrrev_b32_e32 v4, s24, v4
	v_and_b32_e32 v4, s26, v4
	s_delay_alu instid0(VALU_DEP_1)
	v_and_b32_e32 v5, 1, v4
	v_lshlrev_b32_e32 v6, 30, v4
	v_lshlrev_b32_e32 v7, 29, v4
	;; [unrolled: 1-line block ×4, first 2 shown]
	v_add_co_u32 v5, s21, v5, -1
	s_wait_alu 0xf1ff
	v_cndmask_b32_e64 v25, 0, 1, s21
	v_not_b32_e32 v31, v6
	v_cmp_gt_i32_e64 s21, 0, v6
	v_not_b32_e32 v6, v7
	v_lshlrev_b32_e32 v27, 26, v4
	v_cmp_ne_u32_e32 vcc_lo, 0, v25
	v_ashrrev_i32_e32 v31, 31, v31
	v_lshlrev_b32_e32 v30, 25, v4
	v_ashrrev_i32_e32 v6, 31, v6
	v_lshlrev_b32_e32 v25, 24, v4
	s_wait_alu 0xfffd
	v_xor_b32_e32 v5, vcc_lo, v5
	v_cmp_gt_i32_e32 vcc_lo, 0, v7
	v_not_b32_e32 v7, v24
	s_wait_alu 0xf1ff
	v_xor_b32_e32 v31, s21, v31
	v_cmp_gt_i32_e64 s21, 0, v24
	v_and_b32_e32 v5, exec_lo, v5
	v_not_b32_e32 v24, v26
	v_ashrrev_i32_e32 v7, 31, v7
	s_wait_alu 0xfffd
	v_xor_b32_e32 v6, vcc_lo, v6
	v_cmp_gt_i32_e32 vcc_lo, 0, v26
	v_and_b32_e32 v5, v5, v31
	v_not_b32_e32 v26, v27
	v_ashrrev_i32_e32 v24, 31, v24
	s_wait_alu 0xf1ff
	v_xor_b32_e32 v7, s21, v7
	v_cmp_gt_i32_e64 s21, 0, v27
	v_and_b32_e32 v5, v5, v6
	v_not_b32_e32 v6, v30
	v_ashrrev_i32_e32 v26, 31, v26
	s_wait_alu 0xfffd
	v_xor_b32_e32 v24, vcc_lo, v24
	v_cmp_gt_i32_e32 vcc_lo, 0, v30
	v_and_b32_e32 v5, v5, v7
	v_not_b32_e32 v7, v25
	v_ashrrev_i32_e32 v6, 31, v6
	s_wait_alu 0xf1ff
	v_xor_b32_e32 v26, s21, v26
	v_lshlrev_b32_e32 v4, 5, v4
	v_and_b32_e32 v5, v5, v24
	v_cmp_gt_i32_e64 s21, 0, v25
	v_ashrrev_i32_e32 v7, 31, v7
	s_wait_alu 0xfffd
	v_xor_b32_e32 v6, vcc_lo, v6
	v_add_nc_u32_e32 v32, v100, v4
	v_and_b32_e32 v5, v5, v26
	s_wait_alu 0xf1ff
	v_xor_b32_e32 v4, s21, v7
	ds_load_b32 v30, v32 offset:32
	v_and_b32_e32 v5, v5, v6
	; wave barrier
	s_delay_alu instid0(VALU_DEP_1) | instskip(NEXT) | instid1(VALU_DEP_1)
	v_and_b32_e32 v4, v5, v4
	v_mbcnt_lo_u32_b32 v31, v4, 0
	v_cmp_ne_u32_e64 s21, 0, v4
	s_delay_alu instid0(VALU_DEP_2)
	v_cmp_eq_u32_e32 vcc_lo, 0, v31
	s_and_b32 s27, s21, vcc_lo
	s_wait_alu 0xfffe
	s_and_saveexec_b32 s21, s27
	s_cbranch_execz .LBB206_36
; %bb.35:                               ;   in Loop: Header=BB206_32 Depth=1
	s_wait_dscnt 0x0
	v_bcnt_u32_b32 v4, v4, v30
	ds_store_b32 v32, v4 offset:32
.LBB206_36:                             ;   in Loop: Header=BB206_32 Depth=1
	s_wait_alu 0xfffe
	s_or_b32 exec_lo, exec_lo, s21
	v_cmp_ne_u32_e32 vcc_lo, 0x7fffffff, v108
	; wave barrier
	s_wait_alu 0xfffd
	v_cndmask_b32_e32 v4, 0x80000000, v108, vcc_lo
	s_delay_alu instid0(VALU_DEP_1) | instskip(NEXT) | instid1(VALU_DEP_1)
	v_lshrrev_b32_e32 v4, s24, v4
	v_and_b32_e32 v4, s26, v4
	s_delay_alu instid0(VALU_DEP_1)
	v_and_b32_e32 v5, 1, v4
	v_lshlrev_b32_e32 v6, 30, v4
	v_lshlrev_b32_e32 v7, 29, v4
	v_lshlrev_b32_e32 v24, 28, v4
	v_lshlrev_b32_e32 v26, 27, v4
	v_add_co_u32 v5, s21, v5, -1
	s_wait_alu 0xf1ff
	v_cndmask_b32_e64 v25, 0, 1, s21
	v_not_b32_e32 v34, v6
	v_cmp_gt_i32_e64 s21, 0, v6
	v_not_b32_e32 v6, v7
	v_lshlrev_b32_e32 v27, 26, v4
	v_cmp_ne_u32_e32 vcc_lo, 0, v25
	v_ashrrev_i32_e32 v34, 31, v34
	v_lshlrev_b32_e32 v33, 25, v4
	v_ashrrev_i32_e32 v6, 31, v6
	v_lshlrev_b32_e32 v25, 24, v4
	s_wait_alu 0xfffd
	v_xor_b32_e32 v5, vcc_lo, v5
	v_cmp_gt_i32_e32 vcc_lo, 0, v7
	v_not_b32_e32 v7, v24
	s_wait_alu 0xf1ff
	v_xor_b32_e32 v34, s21, v34
	v_cmp_gt_i32_e64 s21, 0, v24
	v_and_b32_e32 v5, exec_lo, v5
	v_not_b32_e32 v24, v26
	v_ashrrev_i32_e32 v7, 31, v7
	s_wait_alu 0xfffd
	v_xor_b32_e32 v6, vcc_lo, v6
	v_cmp_gt_i32_e32 vcc_lo, 0, v26
	v_and_b32_e32 v5, v5, v34
	v_not_b32_e32 v26, v27
	v_ashrrev_i32_e32 v24, 31, v24
	s_wait_alu 0xf1ff
	v_xor_b32_e32 v7, s21, v7
	v_cmp_gt_i32_e64 s21, 0, v27
	v_and_b32_e32 v5, v5, v6
	v_not_b32_e32 v6, v33
	v_ashrrev_i32_e32 v26, 31, v26
	s_wait_alu 0xfffd
	v_xor_b32_e32 v24, vcc_lo, v24
	v_cmp_gt_i32_e32 vcc_lo, 0, v33
	v_and_b32_e32 v5, v5, v7
	v_not_b32_e32 v7, v25
	v_ashrrev_i32_e32 v6, 31, v6
	s_wait_alu 0xf1ff
	v_xor_b32_e32 v26, s21, v26
	v_lshlrev_b32_e32 v4, 5, v4
	v_and_b32_e32 v5, v5, v24
	v_cmp_gt_i32_e64 s21, 0, v25
	v_ashrrev_i32_e32 v7, 31, v7
	s_wait_alu 0xfffd
	v_xor_b32_e32 v6, vcc_lo, v6
	v_add_nc_u32_e32 v35, v100, v4
	v_and_b32_e32 v5, v5, v26
	s_wait_alu 0xf1ff
	v_xor_b32_e32 v4, s21, v7
	ds_load_b32 v33, v35 offset:32
	v_and_b32_e32 v5, v5, v6
	; wave barrier
	s_delay_alu instid0(VALU_DEP_1) | instskip(NEXT) | instid1(VALU_DEP_1)
	v_and_b32_e32 v4, v5, v4
	v_mbcnt_lo_u32_b32 v34, v4, 0
	v_cmp_ne_u32_e64 s21, 0, v4
	s_delay_alu instid0(VALU_DEP_2)
	v_cmp_eq_u32_e32 vcc_lo, 0, v34
	s_and_b32 s27, s21, vcc_lo
	s_wait_alu 0xfffe
	s_and_saveexec_b32 s21, s27
	s_cbranch_execz .LBB206_38
; %bb.37:                               ;   in Loop: Header=BB206_32 Depth=1
	s_wait_dscnt 0x0
	v_bcnt_u32_b32 v4, v4, v33
	ds_store_b32 v35, v4 offset:32
.LBB206_38:                             ;   in Loop: Header=BB206_32 Depth=1
	s_wait_alu 0xfffe
	s_or_b32 exec_lo, exec_lo, s21
	v_cmp_ne_u32_e32 vcc_lo, 0x7fffffff, v107
	; wave barrier
	s_wait_alu 0xfffd
	v_cndmask_b32_e32 v4, 0x80000000, v107, vcc_lo
	s_delay_alu instid0(VALU_DEP_1) | instskip(NEXT) | instid1(VALU_DEP_1)
	v_lshrrev_b32_e32 v4, s24, v4
	v_and_b32_e32 v4, s26, v4
	s_delay_alu instid0(VALU_DEP_1)
	v_and_b32_e32 v5, 1, v4
	v_lshlrev_b32_e32 v6, 30, v4
	v_lshlrev_b32_e32 v7, 29, v4
	;; [unrolled: 1-line block ×4, first 2 shown]
	v_add_co_u32 v5, s21, v5, -1
	s_wait_alu 0xf1ff
	v_cndmask_b32_e64 v25, 0, 1, s21
	v_not_b32_e32 v65, v6
	v_cmp_gt_i32_e64 s21, 0, v6
	v_not_b32_e32 v6, v7
	v_lshlrev_b32_e32 v27, 26, v4
	v_cmp_ne_u32_e32 vcc_lo, 0, v25
	v_ashrrev_i32_e32 v65, 31, v65
	v_lshlrev_b32_e32 v64, 25, v4
	v_ashrrev_i32_e32 v6, 31, v6
	v_lshlrev_b32_e32 v25, 24, v4
	s_wait_alu 0xfffd
	v_xor_b32_e32 v5, vcc_lo, v5
	v_cmp_gt_i32_e32 vcc_lo, 0, v7
	v_not_b32_e32 v7, v24
	s_wait_alu 0xf1ff
	v_xor_b32_e32 v65, s21, v65
	v_cmp_gt_i32_e64 s21, 0, v24
	v_and_b32_e32 v5, exec_lo, v5
	v_not_b32_e32 v24, v26
	v_ashrrev_i32_e32 v7, 31, v7
	s_wait_alu 0xfffd
	v_xor_b32_e32 v6, vcc_lo, v6
	v_cmp_gt_i32_e32 vcc_lo, 0, v26
	v_and_b32_e32 v5, v5, v65
	v_not_b32_e32 v26, v27
	v_ashrrev_i32_e32 v24, 31, v24
	s_wait_alu 0xf1ff
	v_xor_b32_e32 v7, s21, v7
	v_cmp_gt_i32_e64 s21, 0, v27
	v_and_b32_e32 v5, v5, v6
	v_not_b32_e32 v6, v64
	v_ashrrev_i32_e32 v26, 31, v26
	s_wait_alu 0xfffd
	v_xor_b32_e32 v24, vcc_lo, v24
	v_cmp_gt_i32_e32 vcc_lo, 0, v64
	v_and_b32_e32 v5, v5, v7
	v_not_b32_e32 v7, v25
	v_ashrrev_i32_e32 v6, 31, v6
	s_wait_alu 0xf1ff
	v_xor_b32_e32 v26, s21, v26
	v_lshlrev_b32_e32 v4, 5, v4
	v_and_b32_e32 v5, v5, v24
	v_cmp_gt_i32_e64 s21, 0, v25
	v_ashrrev_i32_e32 v7, 31, v7
	s_wait_alu 0xfffd
	v_xor_b32_e32 v6, vcc_lo, v6
	v_add_nc_u32_e32 v66, v100, v4
	v_and_b32_e32 v5, v5, v26
	s_wait_alu 0xf1ff
	v_xor_b32_e32 v4, s21, v7
	ds_load_b32 v64, v66 offset:32
	v_and_b32_e32 v5, v5, v6
	; wave barrier
	s_delay_alu instid0(VALU_DEP_1) | instskip(NEXT) | instid1(VALU_DEP_1)
	v_and_b32_e32 v4, v5, v4
	v_mbcnt_lo_u32_b32 v65, v4, 0
	v_cmp_ne_u32_e64 s21, 0, v4
	s_delay_alu instid0(VALU_DEP_2)
	v_cmp_eq_u32_e32 vcc_lo, 0, v65
	s_and_b32 s27, s21, vcc_lo
	s_wait_alu 0xfffe
	s_and_saveexec_b32 s21, s27
	s_cbranch_execz .LBB206_40
; %bb.39:                               ;   in Loop: Header=BB206_32 Depth=1
	s_wait_dscnt 0x0
	v_bcnt_u32_b32 v4, v4, v64
	ds_store_b32 v66, v4 offset:32
.LBB206_40:                             ;   in Loop: Header=BB206_32 Depth=1
	s_wait_alu 0xfffe
	s_or_b32 exec_lo, exec_lo, s21
	v_cmp_ne_u32_e32 vcc_lo, 0x7fffffff, v106
	; wave barrier
	s_wait_alu 0xfffd
	v_cndmask_b32_e32 v4, 0x80000000, v106, vcc_lo
	s_delay_alu instid0(VALU_DEP_1) | instskip(NEXT) | instid1(VALU_DEP_1)
	v_lshrrev_b32_e32 v4, s24, v4
	v_and_b32_e32 v4, s26, v4
	s_delay_alu instid0(VALU_DEP_1)
	v_and_b32_e32 v5, 1, v4
	v_lshlrev_b32_e32 v6, 30, v4
	v_lshlrev_b32_e32 v7, 29, v4
	;; [unrolled: 1-line block ×4, first 2 shown]
	v_add_co_u32 v5, s21, v5, -1
	s_wait_alu 0xf1ff
	v_cndmask_b32_e64 v25, 0, 1, s21
	v_not_b32_e32 v68, v6
	v_cmp_gt_i32_e64 s21, 0, v6
	v_not_b32_e32 v6, v7
	v_lshlrev_b32_e32 v27, 26, v4
	v_cmp_ne_u32_e32 vcc_lo, 0, v25
	v_ashrrev_i32_e32 v68, 31, v68
	v_lshlrev_b32_e32 v67, 25, v4
	v_ashrrev_i32_e32 v6, 31, v6
	v_lshlrev_b32_e32 v25, 24, v4
	s_wait_alu 0xfffd
	v_xor_b32_e32 v5, vcc_lo, v5
	v_cmp_gt_i32_e32 vcc_lo, 0, v7
	v_not_b32_e32 v7, v24
	s_wait_alu 0xf1ff
	v_xor_b32_e32 v68, s21, v68
	v_cmp_gt_i32_e64 s21, 0, v24
	v_and_b32_e32 v5, exec_lo, v5
	v_not_b32_e32 v24, v26
	v_ashrrev_i32_e32 v7, 31, v7
	s_wait_alu 0xfffd
	v_xor_b32_e32 v6, vcc_lo, v6
	v_cmp_gt_i32_e32 vcc_lo, 0, v26
	v_and_b32_e32 v5, v5, v68
	v_not_b32_e32 v26, v27
	v_ashrrev_i32_e32 v24, 31, v24
	s_wait_alu 0xf1ff
	v_xor_b32_e32 v7, s21, v7
	v_cmp_gt_i32_e64 s21, 0, v27
	v_and_b32_e32 v5, v5, v6
	v_not_b32_e32 v6, v67
	v_ashrrev_i32_e32 v26, 31, v26
	s_wait_alu 0xfffd
	v_xor_b32_e32 v24, vcc_lo, v24
	v_cmp_gt_i32_e32 vcc_lo, 0, v67
	v_and_b32_e32 v5, v5, v7
	v_not_b32_e32 v7, v25
	v_ashrrev_i32_e32 v6, 31, v6
	s_wait_alu 0xf1ff
	v_xor_b32_e32 v26, s21, v26
	v_lshlrev_b32_e32 v4, 5, v4
	v_and_b32_e32 v5, v5, v24
	v_cmp_gt_i32_e64 s21, 0, v25
	v_ashrrev_i32_e32 v7, 31, v7
	s_wait_alu 0xfffd
	v_xor_b32_e32 v6, vcc_lo, v6
	v_add_nc_u32_e32 v69, v100, v4
	v_and_b32_e32 v5, v5, v26
	s_wait_alu 0xf1ff
	v_xor_b32_e32 v4, s21, v7
	ds_load_b32 v67, v69 offset:32
	v_and_b32_e32 v5, v5, v6
	; wave barrier
	s_delay_alu instid0(VALU_DEP_1) | instskip(NEXT) | instid1(VALU_DEP_1)
	v_and_b32_e32 v4, v5, v4
	v_mbcnt_lo_u32_b32 v68, v4, 0
	v_cmp_ne_u32_e64 s21, 0, v4
	s_delay_alu instid0(VALU_DEP_2)
	v_cmp_eq_u32_e32 vcc_lo, 0, v68
	s_and_b32 s27, s21, vcc_lo
	s_wait_alu 0xfffe
	s_and_saveexec_b32 s21, s27
	s_cbranch_execz .LBB206_42
; %bb.41:                               ;   in Loop: Header=BB206_32 Depth=1
	s_wait_dscnt 0x0
	v_bcnt_u32_b32 v4, v4, v67
	ds_store_b32 v69, v4 offset:32
.LBB206_42:                             ;   in Loop: Header=BB206_32 Depth=1
	s_wait_alu 0xfffe
	s_or_b32 exec_lo, exec_lo, s21
	v_cmp_ne_u32_e32 vcc_lo, 0x7fffffff, v105
	; wave barrier
	s_wait_alu 0xfffd
	v_cndmask_b32_e32 v4, 0x80000000, v105, vcc_lo
	s_delay_alu instid0(VALU_DEP_1) | instskip(NEXT) | instid1(VALU_DEP_1)
	v_lshrrev_b32_e32 v4, s24, v4
	v_and_b32_e32 v4, s26, v4
	s_delay_alu instid0(VALU_DEP_1)
	v_and_b32_e32 v5, 1, v4
	v_lshlrev_b32_e32 v6, 30, v4
	v_lshlrev_b32_e32 v7, 29, v4
	v_lshlrev_b32_e32 v24, 28, v4
	v_lshlrev_b32_e32 v26, 27, v4
	v_add_co_u32 v5, s21, v5, -1
	s_wait_alu 0xf1ff
	v_cndmask_b32_e64 v25, 0, 1, s21
	v_not_b32_e32 v71, v6
	v_cmp_gt_i32_e64 s21, 0, v6
	v_not_b32_e32 v6, v7
	v_lshlrev_b32_e32 v27, 26, v4
	v_cmp_ne_u32_e32 vcc_lo, 0, v25
	v_ashrrev_i32_e32 v71, 31, v71
	v_lshlrev_b32_e32 v70, 25, v4
	v_ashrrev_i32_e32 v6, 31, v6
	v_lshlrev_b32_e32 v25, 24, v4
	s_wait_alu 0xfffd
	v_xor_b32_e32 v5, vcc_lo, v5
	v_cmp_gt_i32_e32 vcc_lo, 0, v7
	v_not_b32_e32 v7, v24
	s_wait_alu 0xf1ff
	v_xor_b32_e32 v71, s21, v71
	v_cmp_gt_i32_e64 s21, 0, v24
	v_and_b32_e32 v5, exec_lo, v5
	v_not_b32_e32 v24, v26
	v_ashrrev_i32_e32 v7, 31, v7
	s_wait_alu 0xfffd
	v_xor_b32_e32 v6, vcc_lo, v6
	v_cmp_gt_i32_e32 vcc_lo, 0, v26
	v_and_b32_e32 v5, v5, v71
	v_not_b32_e32 v26, v27
	v_ashrrev_i32_e32 v24, 31, v24
	s_wait_alu 0xf1ff
	v_xor_b32_e32 v7, s21, v7
	v_cmp_gt_i32_e64 s21, 0, v27
	v_and_b32_e32 v5, v5, v6
	v_not_b32_e32 v6, v70
	v_ashrrev_i32_e32 v26, 31, v26
	s_wait_alu 0xfffd
	v_xor_b32_e32 v24, vcc_lo, v24
	v_cmp_gt_i32_e32 vcc_lo, 0, v70
	v_and_b32_e32 v5, v5, v7
	v_not_b32_e32 v7, v25
	v_ashrrev_i32_e32 v6, 31, v6
	s_wait_alu 0xf1ff
	v_xor_b32_e32 v26, s21, v26
	v_lshlrev_b32_e32 v4, 5, v4
	v_and_b32_e32 v5, v5, v24
	v_cmp_gt_i32_e64 s21, 0, v25
	v_ashrrev_i32_e32 v7, 31, v7
	s_wait_alu 0xfffd
	v_xor_b32_e32 v6, vcc_lo, v6
	v_add_nc_u32_e32 v71, v100, v4
	v_and_b32_e32 v5, v5, v26
	s_wait_alu 0xf1ff
	v_xor_b32_e32 v4, s21, v7
	ds_load_b32 v70, v71 offset:32
	v_and_b32_e32 v5, v5, v6
	; wave barrier
	s_delay_alu instid0(VALU_DEP_1) | instskip(NEXT) | instid1(VALU_DEP_1)
	v_and_b32_e32 v4, v5, v4
	v_mbcnt_lo_u32_b32 v110, v4, 0
	v_cmp_ne_u32_e64 s21, 0, v4
	s_delay_alu instid0(VALU_DEP_2)
	v_cmp_eq_u32_e32 vcc_lo, 0, v110
	s_and_b32 s27, s21, vcc_lo
	s_wait_alu 0xfffe
	s_and_saveexec_b32 s21, s27
	s_cbranch_execz .LBB206_44
; %bb.43:                               ;   in Loop: Header=BB206_32 Depth=1
	s_wait_dscnt 0x0
	v_bcnt_u32_b32 v4, v4, v70
	ds_store_b32 v71, v4 offset:32
.LBB206_44:                             ;   in Loop: Header=BB206_32 Depth=1
	s_wait_alu 0xfffe
	s_or_b32 exec_lo, exec_lo, s21
	v_cmp_ne_u32_e32 vcc_lo, 0x7fffffff, v104
	; wave barrier
	s_wait_alu 0xfffd
	v_cndmask_b32_e32 v4, 0x80000000, v104, vcc_lo
	s_delay_alu instid0(VALU_DEP_1) | instskip(NEXT) | instid1(VALU_DEP_1)
	v_lshrrev_b32_e32 v4, s24, v4
	v_and_b32_e32 v4, s26, v4
	s_delay_alu instid0(VALU_DEP_1)
	v_and_b32_e32 v5, 1, v4
	v_lshlrev_b32_e32 v6, 30, v4
	v_lshlrev_b32_e32 v7, 29, v4
	;; [unrolled: 1-line block ×4, first 2 shown]
	v_add_co_u32 v5, s21, v5, -1
	s_wait_alu 0xf1ff
	v_cndmask_b32_e64 v25, 0, 1, s21
	v_not_b32_e32 v112, v6
	v_cmp_gt_i32_e64 s21, 0, v6
	v_not_b32_e32 v6, v7
	v_lshlrev_b32_e32 v27, 26, v4
	v_cmp_ne_u32_e32 vcc_lo, 0, v25
	v_ashrrev_i32_e32 v112, 31, v112
	v_lshlrev_b32_e32 v111, 25, v4
	v_ashrrev_i32_e32 v6, 31, v6
	v_lshlrev_b32_e32 v25, 24, v4
	s_wait_alu 0xfffd
	v_xor_b32_e32 v5, vcc_lo, v5
	v_cmp_gt_i32_e32 vcc_lo, 0, v7
	v_not_b32_e32 v7, v24
	s_wait_alu 0xf1ff
	v_xor_b32_e32 v112, s21, v112
	v_cmp_gt_i32_e64 s21, 0, v24
	v_and_b32_e32 v5, exec_lo, v5
	v_not_b32_e32 v24, v26
	v_ashrrev_i32_e32 v7, 31, v7
	s_wait_alu 0xfffd
	v_xor_b32_e32 v6, vcc_lo, v6
	v_cmp_gt_i32_e32 vcc_lo, 0, v26
	v_and_b32_e32 v5, v5, v112
	v_not_b32_e32 v26, v27
	v_ashrrev_i32_e32 v24, 31, v24
	s_wait_alu 0xf1ff
	v_xor_b32_e32 v7, s21, v7
	v_cmp_gt_i32_e64 s21, 0, v27
	v_and_b32_e32 v5, v5, v6
	v_not_b32_e32 v6, v111
	v_ashrrev_i32_e32 v26, 31, v26
	s_wait_alu 0xfffd
	v_xor_b32_e32 v24, vcc_lo, v24
	v_cmp_gt_i32_e32 vcc_lo, 0, v111
	v_and_b32_e32 v5, v5, v7
	v_not_b32_e32 v7, v25
	v_ashrrev_i32_e32 v6, 31, v6
	s_wait_alu 0xf1ff
	v_xor_b32_e32 v26, s21, v26
	v_lshlrev_b32_e32 v4, 5, v4
	v_and_b32_e32 v5, v5, v24
	v_cmp_gt_i32_e64 s21, 0, v25
	v_ashrrev_i32_e32 v7, 31, v7
	s_wait_alu 0xfffd
	v_xor_b32_e32 v6, vcc_lo, v6
	v_add_nc_u32_e32 v112, v100, v4
	v_and_b32_e32 v5, v5, v26
	s_wait_alu 0xf1ff
	v_xor_b32_e32 v4, s21, v7
	ds_load_b32 v111, v112 offset:32
	v_and_b32_e32 v5, v5, v6
	; wave barrier
	s_delay_alu instid0(VALU_DEP_1) | instskip(NEXT) | instid1(VALU_DEP_1)
	v_and_b32_e32 v4, v5, v4
	v_mbcnt_lo_u32_b32 v113, v4, 0
	v_cmp_ne_u32_e64 s21, 0, v4
	s_delay_alu instid0(VALU_DEP_2)
	v_cmp_eq_u32_e32 vcc_lo, 0, v113
	s_and_b32 s27, s21, vcc_lo
	s_wait_alu 0xfffe
	s_and_saveexec_b32 s21, s27
	s_cbranch_execz .LBB206_46
; %bb.45:                               ;   in Loop: Header=BB206_32 Depth=1
	s_wait_dscnt 0x0
	v_bcnt_u32_b32 v4, v4, v111
	ds_store_b32 v112, v4 offset:32
.LBB206_46:                             ;   in Loop: Header=BB206_32 Depth=1
	s_wait_alu 0xfffe
	s_or_b32 exec_lo, exec_lo, s21
	v_cmp_ne_u32_e32 vcc_lo, 0x7fffffff, v103
	; wave barrier
	s_wait_alu 0xfffd
	v_cndmask_b32_e32 v4, 0x80000000, v103, vcc_lo
	s_delay_alu instid0(VALU_DEP_1) | instskip(NEXT) | instid1(VALU_DEP_1)
	v_lshrrev_b32_e32 v4, s24, v4
	v_and_b32_e32 v4, s26, v4
	s_delay_alu instid0(VALU_DEP_1)
	v_and_b32_e32 v5, 1, v4
	v_lshlrev_b32_e32 v6, 30, v4
	v_lshlrev_b32_e32 v7, 29, v4
	v_lshlrev_b32_e32 v24, 28, v4
	v_lshlrev_b32_e32 v26, 27, v4
	v_add_co_u32 v5, s21, v5, -1
	s_wait_alu 0xf1ff
	v_cndmask_b32_e64 v25, 0, 1, s21
	v_not_b32_e32 v115, v6
	v_cmp_gt_i32_e64 s21, 0, v6
	v_not_b32_e32 v6, v7
	v_lshlrev_b32_e32 v27, 26, v4
	v_cmp_ne_u32_e32 vcc_lo, 0, v25
	v_ashrrev_i32_e32 v115, 31, v115
	v_lshlrev_b32_e32 v114, 25, v4
	v_ashrrev_i32_e32 v6, 31, v6
	v_lshlrev_b32_e32 v25, 24, v4
	s_wait_alu 0xfffd
	v_xor_b32_e32 v5, vcc_lo, v5
	v_cmp_gt_i32_e32 vcc_lo, 0, v7
	v_not_b32_e32 v7, v24
	s_wait_alu 0xf1ff
	v_xor_b32_e32 v115, s21, v115
	v_cmp_gt_i32_e64 s21, 0, v24
	v_and_b32_e32 v5, exec_lo, v5
	v_not_b32_e32 v24, v26
	v_ashrrev_i32_e32 v7, 31, v7
	s_wait_alu 0xfffd
	v_xor_b32_e32 v6, vcc_lo, v6
	v_cmp_gt_i32_e32 vcc_lo, 0, v26
	v_and_b32_e32 v5, v5, v115
	v_not_b32_e32 v26, v27
	v_ashrrev_i32_e32 v24, 31, v24
	s_wait_alu 0xf1ff
	v_xor_b32_e32 v7, s21, v7
	v_cmp_gt_i32_e64 s21, 0, v27
	v_and_b32_e32 v5, v5, v6
	v_not_b32_e32 v6, v114
	v_ashrrev_i32_e32 v26, 31, v26
	s_wait_alu 0xfffd
	v_xor_b32_e32 v24, vcc_lo, v24
	v_cmp_gt_i32_e32 vcc_lo, 0, v114
	v_and_b32_e32 v5, v5, v7
	v_not_b32_e32 v7, v25
	v_ashrrev_i32_e32 v6, 31, v6
	s_wait_alu 0xf1ff
	v_xor_b32_e32 v26, s21, v26
	v_lshlrev_b32_e32 v4, 5, v4
	v_and_b32_e32 v5, v5, v24
	v_cmp_gt_i32_e64 s21, 0, v25
	v_ashrrev_i32_e32 v7, 31, v7
	s_wait_alu 0xfffd
	v_xor_b32_e32 v6, vcc_lo, v6
	v_add_nc_u32_e32 v114, v100, v4
	v_and_b32_e32 v5, v5, v26
	s_wait_alu 0xf1ff
	v_xor_b32_e32 v4, s21, v7
	ds_load_b32 v119, v114 offset:32
	v_and_b32_e32 v5, v5, v6
	; wave barrier
	s_delay_alu instid0(VALU_DEP_1) | instskip(NEXT) | instid1(VALU_DEP_1)
	v_and_b32_e32 v4, v5, v4
	v_mbcnt_lo_u32_b32 v120, v4, 0
	v_cmp_ne_u32_e64 s21, 0, v4
	s_delay_alu instid0(VALU_DEP_2)
	v_cmp_eq_u32_e32 vcc_lo, 0, v120
	s_and_b32 s26, s21, vcc_lo
	s_wait_alu 0xfffe
	s_and_saveexec_b32 s21, s26
	s_cbranch_execz .LBB206_48
; %bb.47:                               ;   in Loop: Header=BB206_32 Depth=1
	s_wait_dscnt 0x0
	v_bcnt_u32_b32 v4, v4, v119
	ds_store_b32 v114, v4 offset:32
.LBB206_48:                             ;   in Loop: Header=BB206_32 Depth=1
	s_wait_alu 0xfffe
	s_or_b32 exec_lo, exec_lo, s21
	; wave barrier
	s_wait_loadcnt_dscnt 0x0
	s_barrier_signal -1
	s_barrier_wait -1
	global_inv scope:SCOPE_SE
	ds_load_b128 v[24:27], v89 offset:32
	ds_load_b128 v[4:7], v89 offset:48
	s_wait_dscnt 0x1
	v_add_nc_u32_e32 v115, v25, v24
	s_delay_alu instid0(VALU_DEP_1) | instskip(SKIP_1) | instid1(VALU_DEP_1)
	v_add3_u32 v115, v115, v26, v27
	s_wait_dscnt 0x0
	v_add3_u32 v115, v115, v4, v5
	s_delay_alu instid0(VALU_DEP_1) | instskip(NEXT) | instid1(VALU_DEP_1)
	v_add3_u32 v7, v115, v6, v7
	v_mov_b32_dpp v115, v7 row_shr:1 row_mask:0xf bank_mask:0xf
	s_delay_alu instid0(VALU_DEP_1) | instskip(NEXT) | instid1(VALU_DEP_1)
	v_cndmask_b32_e64 v115, v115, 0, s11
	v_add_nc_u32_e32 v7, v115, v7
	s_delay_alu instid0(VALU_DEP_1) | instskip(NEXT) | instid1(VALU_DEP_1)
	v_mov_b32_dpp v115, v7 row_shr:2 row_mask:0xf bank_mask:0xf
	v_cndmask_b32_e64 v115, 0, v115, s13
	s_delay_alu instid0(VALU_DEP_1) | instskip(NEXT) | instid1(VALU_DEP_1)
	v_add_nc_u32_e32 v7, v7, v115
	v_mov_b32_dpp v115, v7 row_shr:4 row_mask:0xf bank_mask:0xf
	s_delay_alu instid0(VALU_DEP_1) | instskip(NEXT) | instid1(VALU_DEP_1)
	v_cndmask_b32_e64 v115, 0, v115, s14
	v_add_nc_u32_e32 v7, v7, v115
	s_delay_alu instid0(VALU_DEP_1) | instskip(NEXT) | instid1(VALU_DEP_1)
	v_mov_b32_dpp v115, v7 row_shr:8 row_mask:0xf bank_mask:0xf
	v_cndmask_b32_e64 v115, 0, v115, s15
	s_delay_alu instid0(VALU_DEP_1) | instskip(SKIP_3) | instid1(VALU_DEP_1)
	v_add_nc_u32_e32 v7, v7, v115
	ds_swizzle_b32 v115, v7 offset:swizzle(BROADCAST,32,15)
	s_wait_dscnt 0x0
	v_cndmask_b32_e64 v115, v115, 0, s16
	v_add_nc_u32_e32 v7, v7, v115
	s_and_saveexec_b32 s21, s17
; %bb.49:                               ;   in Loop: Header=BB206_32 Depth=1
	ds_store_b32 v90, v7
; %bb.50:                               ;   in Loop: Header=BB206_32 Depth=1
	s_wait_alu 0xfffe
	s_or_b32 exec_lo, exec_lo, s21
	s_wait_loadcnt_dscnt 0x0
	s_barrier_signal -1
	s_barrier_wait -1
	global_inv scope:SCOPE_SE
	s_and_saveexec_b32 s21, s8
	s_cbranch_execz .LBB206_52
; %bb.51:                               ;   in Loop: Header=BB206_32 Depth=1
	ds_load_b32 v115, v101
	s_wait_dscnt 0x0
	v_mov_b32_dpp v116, v115 row_shr:1 row_mask:0xf bank_mask:0xf
	s_delay_alu instid0(VALU_DEP_1) | instskip(NEXT) | instid1(VALU_DEP_1)
	v_cndmask_b32_e64 v116, v116, 0, s18
	v_add_nc_u32_e32 v115, v116, v115
	s_delay_alu instid0(VALU_DEP_1) | instskip(NEXT) | instid1(VALU_DEP_1)
	v_mov_b32_dpp v116, v115 row_shr:2 row_mask:0xf bank_mask:0xf
	v_cndmask_b32_e64 v116, 0, v116, s19
	s_delay_alu instid0(VALU_DEP_1) | instskip(NEXT) | instid1(VALU_DEP_1)
	v_add_nc_u32_e32 v115, v115, v116
	v_mov_b32_dpp v116, v115 row_shr:4 row_mask:0xf bank_mask:0xf
	s_delay_alu instid0(VALU_DEP_1) | instskip(NEXT) | instid1(VALU_DEP_1)
	v_cndmask_b32_e64 v116, 0, v116, s20
	v_add_nc_u32_e32 v115, v115, v116
	ds_store_b32 v101, v115
.LBB206_52:                             ;   in Loop: Header=BB206_32 Depth=1
	s_wait_alu 0xfffe
	s_or_b32 exec_lo, exec_lo, s21
	v_mov_b32_e32 v115, 0
	s_wait_loadcnt_dscnt 0x0
	s_barrier_signal -1
	s_barrier_wait -1
	global_inv scope:SCOPE_SE
	s_and_saveexec_b32 s21, s9
; %bb.53:                               ;   in Loop: Header=BB206_32 Depth=1
	v_add_nc_u32_e32 v115, -4, v90
	ds_load_b32 v115, v115
; %bb.54:                               ;   in Loop: Header=BB206_32 Depth=1
	s_wait_alu 0xfffe
	s_or_b32 exec_lo, exec_lo, s21
	s_wait_dscnt 0x0
	v_add_nc_u32_e32 v7, v115, v7
	s_cmp_gt_u32 s24, 23
	s_mov_b32 s21, -1
	ds_bpermute_b32 v7, v99, v7
	s_wait_dscnt 0x0
	v_cndmask_b32_e64 v7, v7, v115, s12
	s_delay_alu instid0(VALU_DEP_1) | instskip(NEXT) | instid1(VALU_DEP_1)
	v_cndmask_b32_e64 v115, v7, 0, s10
	v_add_nc_u32_e32 v116, v115, v24
	s_delay_alu instid0(VALU_DEP_1) | instskip(NEXT) | instid1(VALU_DEP_1)
	v_add_nc_u32_e32 v117, v116, v25
	v_add_nc_u32_e32 v118, v117, v26
	s_delay_alu instid0(VALU_DEP_1) | instskip(NEXT) | instid1(VALU_DEP_1)
	v_add_nc_u32_e32 v24, v118, v27
	;; [unrolled: 3-line block ×3, first 2 shown]
	v_add_nc_u32_e32 v27, v26, v6
	ds_store_b128 v89, v[115:118] offset:32
	ds_store_b128 v89, v[24:27] offset:48
	s_wait_loadcnt_dscnt 0x0
	s_barrier_signal -1
	s_barrier_wait -1
	global_inv scope:SCOPE_SE
	ds_load_b32 v4, v29 offset:32
	ds_load_b32 v5, v32 offset:32
	;; [unrolled: 1-line block ×8, first 2 shown]
	s_wait_dscnt 0x7
	v_add_nc_u32_e32 v118, v4, v28
	s_wait_dscnt 0x6
	v_add3_u32 v117, v31, v30, v5
	s_wait_dscnt 0x5
	v_add3_u32 v116, v34, v33, v6
	;; [unrolled: 2-line block ×7, first 2 shown]
                                        ; implicit-def: $vgpr71
                                        ; implicit-def: $vgpr69
                                        ; implicit-def: $vgpr67
                                        ; implicit-def: $vgpr65
                                        ; implicit-def: $vgpr34_vgpr35
                                        ; implicit-def: $vgpr30_vgpr31
                                        ; implicit-def: $vgpr26_vgpr27
                                        ; implicit-def: $vgpr6_vgpr7
	s_cbranch_scc1 .LBB206_31
; %bb.55:                               ;   in Loop: Header=BB206_32 Depth=1
	v_lshlrev_b32_e32 v4, 2, v118
	v_lshlrev_b32_e32 v5, 2, v117
	;; [unrolled: 1-line block ×3, first 2 shown]
	s_wait_loadcnt 0x0
	s_barrier_signal -1
	s_barrier_wait -1
	global_inv scope:SCOPE_SE
	ds_store_b32 v4, v102
	ds_store_b32 v5, v109
	;; [unrolled: 1-line block ×3, first 2 shown]
	v_lshlrev_b32_e32 v7, 2, v115
	v_add_nc_u32_e32 v4, v4, v4
	v_lshlrev_b32_e32 v24, 2, v114
	v_add_nc_u32_e32 v5, v5, v5
	;; [unrolled: 2-line block ×3, first 2 shown]
	v_lshlrev_b32_e32 v26, 2, v111
	v_lshlrev_b32_e32 v27, 2, v110
	ds_store_b32 v7, v107
	ds_store_b32 v24, v106
	;; [unrolled: 1-line block ×5, first 2 shown]
	s_wait_loadcnt_dscnt 0x0
	s_barrier_signal -1
	s_barrier_wait -1
	global_inv scope:SCOPE_SE
	ds_load_2addr_b32 v[64:65], v97 offset1:32
	ds_load_2addr_b32 v[66:67], v97 offset0:64 offset1:96
	ds_load_2addr_b32 v[68:69], v97 offset0:128 offset1:160
	;; [unrolled: 1-line block ×3, first 2 shown]
	s_wait_loadcnt_dscnt 0x0
	s_barrier_signal -1
	s_barrier_wait -1
	global_inv scope:SCOPE_SE
	ds_store_b64 v4, v[62:63]
	ds_store_b64 v5, v[60:61]
	;; [unrolled: 1-line block ×3, first 2 shown]
	v_add_nc_u32_e32 v4, v7, v7
	v_add_nc_u32_e32 v5, v24, v24
	;; [unrolled: 1-line block ×5, first 2 shown]
	ds_store_b64 v4, v[56:57]
	ds_store_b64 v5, v[54:55]
	ds_store_b64 v6, v[41:42]
	ds_store_b64 v7, v[38:39]
	ds_store_b64 v24, v[36:37]
	s_wait_loadcnt_dscnt 0x0
	s_barrier_signal -1
	s_barrier_wait -1
	global_inv scope:SCOPE_SE
	ds_load_2addr_b64 v[4:7], v98 offset1:32
	ds_load_2addr_b64 v[24:27], v98 offset0:64 offset1:96
	ds_load_2addr_b64 v[28:31], v98 offset0:128 offset1:160
	;; [unrolled: 1-line block ×3, first 2 shown]
	s_add_co_i32 s24, s24, 8
	s_add_co_i32 s25, s25, -8
	s_mov_b32 s21, 0
	s_wait_loadcnt_dscnt 0x0
	s_barrier_signal -1
	s_barrier_wait -1
	global_inv scope:SCOPE_SE
	s_branch .LBB206_31
.LBB206_56:
	v_lshlrev_b64_e32 v[1:2], 3, v[40:41]
	v_dual_mov_b32 v42, v41 :: v_dual_mov_b32 v9, v41
	v_mov_b32_e32 v10, v41
	v_dual_mov_b32 v4, v41 :: v_dual_mov_b32 v5, v41
	s_delay_alu instid0(VALU_DEP_4)
	v_add_co_u32 v1, vcc_lo, s34, v1
	s_wait_alu 0xfffd
	v_add_co_ci_u32_e64 v2, null, s35, v2, vcc_lo
	v_dual_mov_b32 v6, v41 :: v_dual_mov_b32 v7, v41
	v_dual_mov_b32 v8, v41 :: v_dual_mov_b32 v11, v41
	global_load_b64 v[13:14], v[1:2], off
	v_dual_mov_b32 v1, v41 :: v_dual_mov_b32 v2, v41
	v_dual_mov_b32 v3, v41 :: v_dual_mov_b32 v12, v41
	s_wait_alu 0xfffe
	s_or_b32 exec_lo, exec_lo, s8
	s_and_saveexec_b32 s8, s1
	s_cbranch_execz .LBB206_22
.LBB206_57:
	v_mul_lo_u32 v32, s28, v15
	v_mov_b32_e32 v33, 0
	s_delay_alu instid0(VALU_DEP_1) | instskip(NEXT) | instid1(VALU_DEP_1)
	v_lshlrev_b64_e32 v[32:33], 3, v[32:33]
	v_add_co_u32 v32, vcc_lo, s34, v32
	s_wait_alu 0xfffd
	s_delay_alu instid0(VALU_DEP_2)
	v_add_co_ci_u32_e64 v33, null, s35, v33, vcc_lo
	global_load_b64 v[41:42], v[32:33], off
	s_wait_alu 0xfffe
	s_or_b32 exec_lo, exec_lo, s8
	s_and_saveexec_b32 s8, s2
	s_cbranch_execz .LBB206_23
.LBB206_58:
	v_mul_lo_u32 v9, s28, v16
	v_mov_b32_e32 v10, 0
	s_delay_alu instid0(VALU_DEP_1) | instskip(NEXT) | instid1(VALU_DEP_1)
	v_lshlrev_b64_e32 v[9:10], 3, v[9:10]
	v_add_co_u32 v9, vcc_lo, s34, v9
	s_wait_alu 0xfffd
	s_delay_alu instid0(VALU_DEP_2)
	v_add_co_ci_u32_e64 v10, null, s35, v10, vcc_lo
	global_load_b64 v[9:10], v[9:10], off
	s_wait_alu 0xfffe
	s_or_b32 exec_lo, exec_lo, s8
	s_and_saveexec_b32 s8, s3
	s_cbranch_execz .LBB206_24
.LBB206_59:
	v_mul_lo_u32 v1, s28, v17
	v_mov_b32_e32 v2, 0
	s_delay_alu instid0(VALU_DEP_1) | instskip(NEXT) | instid1(VALU_DEP_1)
	v_lshlrev_b64_e32 v[1:2], 3, v[1:2]
	v_add_co_u32 v1, vcc_lo, s34, v1
	s_wait_alu 0xfffd
	s_delay_alu instid0(VALU_DEP_2)
	v_add_co_ci_u32_e64 v2, null, s35, v2, vcc_lo
	global_load_b64 v[1:2], v[1:2], off
	s_wait_alu 0xfffe
	s_or_b32 exec_lo, exec_lo, s8
	s_and_saveexec_b32 s8, s4
	s_cbranch_execz .LBB206_25
.LBB206_60:
	v_mul_lo_u32 v3, s28, v18
	v_mov_b32_e32 v4, 0
	s_delay_alu instid0(VALU_DEP_1) | instskip(NEXT) | instid1(VALU_DEP_1)
	v_lshlrev_b64_e32 v[3:4], 3, v[3:4]
	v_add_co_u32 v3, vcc_lo, s34, v3
	s_wait_alu 0xfffd
	s_delay_alu instid0(VALU_DEP_2)
	v_add_co_ci_u32_e64 v4, null, s35, v4, vcc_lo
	global_load_b64 v[3:4], v[3:4], off
	s_wait_alu 0xfffe
	s_or_b32 exec_lo, exec_lo, s8
	s_and_saveexec_b32 s8, s5
	s_cbranch_execz .LBB206_26
.LBB206_61:
	v_mul_lo_u32 v5, s28, v19
	v_mov_b32_e32 v6, 0
	s_delay_alu instid0(VALU_DEP_1) | instskip(NEXT) | instid1(VALU_DEP_1)
	v_lshlrev_b64_e32 v[5:6], 3, v[5:6]
	v_add_co_u32 v5, vcc_lo, s34, v5
	s_wait_alu 0xfffd
	s_delay_alu instid0(VALU_DEP_2)
	v_add_co_ci_u32_e64 v6, null, s35, v6, vcc_lo
	global_load_b64 v[5:6], v[5:6], off
	s_wait_alu 0xfffe
	s_or_b32 exec_lo, exec_lo, s8
	s_and_saveexec_b32 s8, s6
	s_cbranch_execz .LBB206_27
.LBB206_62:
	v_mul_lo_u32 v7, s28, v20
	v_mov_b32_e32 v8, 0
	s_delay_alu instid0(VALU_DEP_1) | instskip(NEXT) | instid1(VALU_DEP_1)
	v_lshlrev_b64_e32 v[7:8], 3, v[7:8]
	v_add_co_u32 v7, vcc_lo, s34, v7
	s_wait_alu 0xfffd
	s_delay_alu instid0(VALU_DEP_2)
	v_add_co_ci_u32_e64 v8, null, s35, v8, vcc_lo
	global_load_b64 v[7:8], v[7:8], off
	s_wait_alu 0xfffe
	s_or_b32 exec_lo, exec_lo, s8
	s_xor_b32 s8, s12, -1
	s_and_saveexec_b32 s9, s7
	s_cbranch_execnz .LBB206_28
	s_branch .LBB206_29
.LBB206_63:
                                        ; implicit-def: $vgpr34_vgpr35
                                        ; implicit-def: $vgpr38_vgpr39
                                        ; implicit-def: $vgpr26_vgpr27
                                        ; implicit-def: $vgpr30_vgpr31
                                        ; implicit-def: $vgpr0_vgpr1_vgpr2_vgpr3_vgpr4_vgpr5_vgpr6_vgpr7
	s_cbranch_execnz .LBB206_65
	s_branch .LBB206_92
.LBB206_64:
	v_lshlrev_b32_e32 v24, 2, v118
	v_lshlrev_b32_e32 v27, 2, v115
	;; [unrolled: 1-line block ×8, first 2 shown]
	s_wait_loadcnt 0x0
	s_barrier_signal -1
	s_barrier_wait -1
	global_inv scope:SCOPE_SE
	ds_store_b32 v24, v102
	ds_store_b32 v25, v109
	;; [unrolled: 1-line block ×8, first 2 shown]
	s_wait_loadcnt_dscnt 0x0
	s_barrier_signal -1
	s_barrier_wait -1
	global_inv scope:SCOPE_SE
	ds_load_b128 v[0:3], v89
	ds_load_b128 v[4:7], v89 offset:16
	v_add_nc_u32_e32 v24, v24, v24
	v_add_nc_u32_e32 v25, v25, v25
	;; [unrolled: 1-line block ×3, first 2 shown]
	s_wait_loadcnt_dscnt 0x0
	s_barrier_signal -1
	s_barrier_wait -1
	global_inv scope:SCOPE_SE
	ds_store_b64 v24, v[62:63]
	ds_store_b64 v25, v[60:61]
	;; [unrolled: 1-line block ×3, first 2 shown]
	v_add_nc_u32_e32 v24, v27, v27
	v_add_nc_u32_e32 v25, v28, v28
	;; [unrolled: 1-line block ×5, first 2 shown]
	ds_store_b64 v24, v[56:57]
	ds_store_b64 v25, v[54:55]
	;; [unrolled: 1-line block ×5, first 2 shown]
	v_lshl_add_u32 v32, v45, 5, v89
	s_wait_loadcnt_dscnt 0x0
	s_barrier_signal -1
	s_barrier_wait -1
	v_cmp_lt_i32_e32 vcc_lo, -1, v0
	global_inv scope:SCOPE_SE
	ds_load_b128 v[28:31], v32
	ds_load_b128 v[24:27], v32 offset:16
	ds_load_b128 v[36:39], v32 offset:32
	ds_load_b128 v[32:35], v32 offset:48
	s_wait_alu 0xfffd
	v_cndmask_b32_e64 v41, 0x80000000, -1, vcc_lo
	v_cmp_lt_i32_e32 vcc_lo, -1, v1
	s_delay_alu instid0(VALU_DEP_2) | instskip(SKIP_3) | instid1(VALU_DEP_2)
	v_xor_b32_e32 v0, v41, v0
	s_wait_alu 0xfffd
	v_cndmask_b32_e64 v42, 0x80000000, -1, vcc_lo
	v_cmp_lt_i32_e32 vcc_lo, -1, v2
	v_xor_b32_e32 v1, v42, v1
	s_wait_alu 0xfffd
	v_cndmask_b32_e64 v54, 0x80000000, -1, vcc_lo
	v_cmp_lt_i32_e32 vcc_lo, -1, v3
	s_delay_alu instid0(VALU_DEP_2) | instskip(SKIP_3) | instid1(VALU_DEP_2)
	v_xor_b32_e32 v2, v54, v2
	s_wait_alu 0xfffd
	v_cndmask_b32_e64 v41, 0x80000000, -1, vcc_lo
	v_cmp_lt_i32_e32 vcc_lo, -1, v4
	v_xor_b32_e32 v3, v41, v3
	;; [unrolled: 9-line block ×3, first 2 shown]
	s_wait_alu 0xfffd
	v_cndmask_b32_e64 v55, 0x80000000, -1, vcc_lo
	v_cmp_lt_i32_e32 vcc_lo, -1, v7
	s_delay_alu instid0(VALU_DEP_2) | instskip(SKIP_2) | instid1(VALU_DEP_1)
	v_xor_b32_e32 v6, v55, v6
	s_wait_alu 0xfffd
	v_cndmask_b32_e64 v56, 0x80000000, -1, vcc_lo
	v_xor_b32_e32 v7, v56, v7
	s_branch .LBB206_92
.LBB206_65:
	v_cmp_gt_i32_e32 vcc_lo, 0, v52
	v_or_b32_e32 v7, v93, v94
	s_wait_dscnt 0x2
	v_and_or_b32 v25, 0x1f00, v91, v93
	s_mov_b32 s24, 0
	s_getpc_b64 s[8:9]
	s_wait_alu 0xfffe
	s_sext_i32_i16 s9, s9
	s_add_co_u32 s8, s8, _ZN7rocprim17ROCPRIM_400000_NS16block_radix_sortIfLj256ELj8ElLj1ELj1ELj0ELNS0_26block_radix_rank_algorithmE1ELNS0_18block_padding_hintE2ELNS0_4arch9wavefront6targetE0EE19radix_bits_per_passE@rel32@lo+12
	s_wait_alu 0xfffe
	s_add_co_ci_u32 s9, s9, _ZN7rocprim17ROCPRIM_400000_NS16block_radix_sortIfLj256ELj8ElLj1ELj1ELj0ELNS0_26block_radix_rank_algorithmE1ELNS0_18block_padding_hintE2ELNS0_4arch9wavefront6targetE0EE19radix_bits_per_passE@rel32@hi+24
	s_wait_alu 0xfffd
	v_cndmask_b32_e64 v0, 0x7fffffff, 0, vcc_lo
	v_cmp_gt_i32_e32 vcc_lo, 0, v53
	s_mov_b32 s25, s24
	s_mov_b32 s26, s24
	;; [unrolled: 1-line block ×3, first 2 shown]
	v_xor_b32_e32 v0, v0, v52
	s_wait_alu 0xfffd
	v_cndmask_b32_e64 v1, 0x7fffffff, 0, vcc_lo
	v_cmp_gt_i32_e32 vcc_lo, 0, v50
	v_lshlrev_b32_e32 v26, 5, v7
	s_load_b32 s23, s[8:9], 0x0
	v_cmp_gt_u32_e64 s15, 8, v45
	v_xor_b32_e32 v1, v1, v53
	v_cndmask_b32_e64 v2, 0x7fffffff, 0, vcc_lo
	v_cmp_gt_i32_e32 vcc_lo, 0, v51
	v_cmp_lt_u32_e64 s16, 31, v45
	v_cmp_eq_u32_e64 s17, 0, v45
	v_add_nc_u32_e32 v53, v89, v92
	v_xor_b32_e32 v2, v2, v50
	s_wait_alu 0xfffd
	v_cndmask_b32_e64 v3, 0x7fffffff, 0, vcc_lo
	v_cmp_gt_i32_e32 vcc_lo, 0, v48
	s_delay_alu instid0(VALU_DEP_2) | instskip(SKIP_4) | instid1(VALU_DEP_3)
	v_xor_b32_e32 v3, v3, v51
	s_wait_alu 0xfffd
	v_cndmask_b32_e64 v4, 0x7fffffff, 0, vcc_lo
	v_cmp_gt_i32_e32 vcc_lo, 0, v49
	v_add_nc_u32_e32 v51, -4, v90
	v_xor_b32_e32 v4, v4, v48
	s_wait_alu 0xfffd
	v_cndmask_b32_e64 v5, 0x7fffffff, 0, vcc_lo
	v_cmp_gt_i32_e32 vcc_lo, 0, v46
	v_lshlrev_b32_e32 v48, 2, v25
	s_delay_alu instid0(VALU_DEP_3) | instskip(SKIP_4) | instid1(VALU_DEP_3)
	v_xor_b32_e32 v5, v5, v49
	s_wait_alu 0xfffd
	v_cndmask_b32_e64 v6, 0x7fffffff, 0, vcc_lo
	v_cmp_gt_i32_e32 vcc_lo, 0, v47
	v_add_nc_u32_e32 v49, v48, v48
	v_xor_b32_e32 v6, v6, v46
	s_wait_alu 0xfffd
	v_cndmask_b32_e64 v24, 0x7fffffff, 0, vcc_lo
	s_delay_alu instid0(VALU_DEP_1)
	v_xor_b32_e32 v7, v24, v47
	ds_store_b128 v26, v[0:3]
	ds_store_b128 v26, v[4:7] offset:16
	v_add_nc_u32_e32 v0, v26, v26
	; wave barrier
	s_wait_dscnt 0x3
	ds_load_2addr_b32 v[36:37], v48 offset1:32
	ds_load_2addr_b32 v[38:39], v48 offset0:64 offset1:96
	ds_load_2addr_b32 v[41:42], v48 offset0:128 offset1:160
	;; [unrolled: 1-line block ×3, first 2 shown]
	s_wait_loadcnt_dscnt 0x0
	s_barrier_signal -1
	s_barrier_wait -1
	global_inv scope:SCOPE_SE
	ds_store_b128 v0, v[20:23]
	ds_store_b128 v0, v[16:19] offset:16
	ds_store_b128 v0, v[12:15] offset:32
	;; [unrolled: 1-line block ×3, first 2 shown]
	; wave barrier
	ds_load_2addr_b64 v[4:7], v49 offset1:32
	ds_load_2addr_b64 v[8:11], v49 offset0:64 offset1:96
	ds_load_2addr_b64 v[12:15], v49 offset0:128 offset1:160
	;; [unrolled: 1-line block ×3, first 2 shown]
	s_wait_loadcnt_dscnt 0x0
	s_barrier_signal -1
	s_barrier_wait -1
	global_inv scope:SCOPE_SE
	s_load_b32 s10, s[36:37], 0xc
	v_and_b32_e32 v2, 15, v93
	v_and_b32_e32 v3, 16, v93
	s_delay_alu instid0(VALU_DEP_2) | instskip(SKIP_1) | instid1(VALU_DEP_3)
	v_cmp_lt_u32_e64 s9, 1, v2
	v_cmp_lt_u32_e64 s12, 7, v2
	v_cmp_eq_u32_e64 s13, 0, v3
	s_wait_kmcnt 0x0
	s_lshr_b32 s11, s10, 16
	s_and_b32 s8, s10, 0xffff
	s_wait_alu 0xfffe
	v_mad_u32_u24 v0, v96, s11, v95
	v_sub_co_u32 v20, s10, v93, 1
	v_cmp_lt_u32_e64 s11, 3, v2
	s_delay_alu instid0(VALU_DEP_3) | instskip(SKIP_1) | instid1(VALU_DEP_4)
	v_mad_co_u64_u32 v[0:1], null, v0, s8, v[45:46]
	v_min_u32_e32 v1, 0xe0, v94
	v_cmp_gt_i32_e32 vcc_lo, 0, v20
	v_cmp_eq_u32_e64 s8, 0, v2
	s_delay_alu instid0(VALU_DEP_3) | instskip(SKIP_3) | instid1(VALU_DEP_3)
	v_or_b32_e32 v1, 31, v1
	s_wait_alu 0xfffd
	v_cndmask_b32_e32 v2, v20, v93, vcc_lo
	v_lshrrev_b32_e32 v0, 3, v0
	v_cmp_eq_u32_e64 s14, v45, v1
	v_and_b32_e32 v1, 7, v93
	s_delay_alu instid0(VALU_DEP_4) | instskip(NEXT) | instid1(VALU_DEP_4)
	v_lshlrev_b32_e32 v50, 2, v2
	v_and_b32_e32 v52, 0x1ffffffc, v0
	s_delay_alu instid0(VALU_DEP_3)
	v_cmp_eq_u32_e64 s18, 0, v1
	v_cmp_lt_u32_e64 s19, 1, v1
	v_cmp_lt_u32_e64 s20, 3, v1
	v_dual_mov_b32 v0, s24 :: v_dual_mov_b32 v1, s25
	v_dual_mov_b32 v2, s26 :: v_dual_mov_b32 v3, s27
	s_mov_b32 s25, 32
	s_branch .LBB206_67
.LBB206_66:                             ;   in Loop: Header=BB206_67 Depth=1
	s_wait_alu 0xfffe
	s_and_not1_b32 vcc_lo, exec_lo, s21
	s_wait_alu 0xfffe
	s_cbranch_vccz .LBB206_91
.LBB206_67:                             ; =>This Inner Loop Header: Depth=1
	v_dual_mov_b32 v54, v36 :: v_dual_mov_b32 v55, v47
	s_wait_alu 0xfffe
	s_min_u32 s21, s23, s25
	ds_store_b128 v89, v[0:3] offset:32
	ds_store_b128 v89, v[0:3] offset:48
	s_wait_alu 0xfffe
	s_lshl_b32 s21, -1, s21
	v_cmp_ne_u32_e32 vcc_lo, 0x80000000, v54
	s_wait_alu 0xfffe
	s_not_b32 s26, s21
	s_wait_loadcnt_dscnt 0x0
	s_barrier_signal -1
	s_barrier_wait -1
	s_wait_alu 0xfffd
	v_dual_cndmask_b32 v20, 0x7fffffff, v54 :: v_dual_mov_b32 v57, v42
	global_inv scope:SCOPE_SE
	; wave barrier
	v_lshrrev_b32_e32 v20, s24, v20
	v_mov_b32_e32 v59, v39
	v_dual_mov_b32 v61, v37 :: v_dual_mov_b32 v58, v41
	v_mov_b32_e32 v60, v38
	s_wait_alu 0xfffe
	v_and_b32_e32 v36, s26, v20
	v_dual_mov_b32 v56, v46 :: v_dual_mov_b32 v31, v9
	v_dual_mov_b32 v30, v8 :: v_dual_mov_b32 v33, v7
	s_delay_alu instid0(VALU_DEP_3)
	v_and_b32_e32 v20, 1, v36
	v_lshlrev_b32_e32 v21, 30, v36
	v_lshlrev_b32_e32 v22, 29, v36
	;; [unrolled: 1-line block ×4, first 2 shown]
	v_add_co_u32 v20, s21, v20, -1
	s_wait_alu 0xf1ff
	v_cndmask_b32_e64 v24, 0, 1, s21
	v_not_b32_e32 v28, v21
	v_cmp_gt_i32_e64 s21, 0, v21
	v_not_b32_e32 v21, v22
	v_lshlrev_b32_e32 v26, 26, v36
	v_cmp_ne_u32_e32 vcc_lo, 0, v24
	v_ashrrev_i32_e32 v28, 31, v28
	v_lshlrev_b32_e32 v27, 25, v36
	v_ashrrev_i32_e32 v21, 31, v21
	v_lshlrev_b32_e32 v24, 24, v36
	s_wait_alu 0xfffd
	v_xor_b32_e32 v20, vcc_lo, v20
	v_cmp_gt_i32_e32 vcc_lo, 0, v22
	v_not_b32_e32 v22, v23
	s_wait_alu 0xf1ff
	v_xor_b32_e32 v28, s21, v28
	v_cmp_gt_i32_e64 s21, 0, v23
	v_and_b32_e32 v20, exec_lo, v20
	v_not_b32_e32 v23, v25
	v_ashrrev_i32_e32 v22, 31, v22
	s_wait_alu 0xfffd
	v_xor_b32_e32 v21, vcc_lo, v21
	v_cmp_gt_i32_e32 vcc_lo, 0, v25
	v_and_b32_e32 v20, v20, v28
	v_not_b32_e32 v25, v26
	v_ashrrev_i32_e32 v23, 31, v23
	s_wait_alu 0xf1ff
	v_xor_b32_e32 v22, s21, v22
	v_cmp_gt_i32_e64 s21, 0, v26
	v_and_b32_e32 v20, v20, v21
	v_not_b32_e32 v21, v27
	v_ashrrev_i32_e32 v25, 31, v25
	s_wait_alu 0xfffd
	v_xor_b32_e32 v23, vcc_lo, v23
	v_cmp_gt_i32_e32 vcc_lo, 0, v27
	v_and_b32_e32 v20, v20, v22
	v_ashrrev_i32_e32 v21, 31, v21
	s_wait_alu 0xf1ff
	v_xor_b32_e32 v25, s21, v25
	v_mov_b32_e32 v27, v13
	v_not_b32_e32 v22, v24
	v_dual_mov_b32 v35, v5 :: v_dual_and_b32 v20, v20, v23
	v_cmp_gt_i32_e64 s21, 0, v24
	s_wait_alu 0xfffd
	v_xor_b32_e32 v21, vcc_lo, v21
	v_ashrrev_i32_e32 v22, 31, v22
	v_dual_mov_b32 v25, v15 :: v_dual_and_b32 v20, v20, v25
	v_mov_b32_e32 v26, v12
	v_mov_b32_e32 v34, v4
	s_wait_alu 0xf1ff
	v_xor_b32_e32 v28, s21, v22
	v_dual_mov_b32 v24, v14 :: v_dual_and_b32 v29, v20, v21
	v_dual_mov_b32 v21, v19 :: v_dual_lshlrev_b32 v4, 5, v36
	v_mov_b32_e32 v23, v17
	s_delay_alu instid0(VALU_DEP_3) | instskip(SKIP_3) | instid1(VALU_DEP_4)
	v_dual_mov_b32 v29, v11 :: v_dual_and_b32 v14, v29, v28
	v_mov_b32_e32 v20, v18
	v_mov_b32_e32 v22, v16
	v_dual_mov_b32 v28, v10 :: v_dual_add_nc_u32 v13, v52, v4
	v_mbcnt_lo_u32_b32 v12, v14, 0
	v_cmp_ne_u32_e64 s21, 0, v14
	v_mov_b32_e32 v32, v6
	s_delay_alu instid0(VALU_DEP_3)
	v_cmp_eq_u32_e32 vcc_lo, 0, v12
	s_and_b32 s27, s21, vcc_lo
	s_wait_alu 0xfffe
	s_and_saveexec_b32 s21, s27
; %bb.68:                               ;   in Loop: Header=BB206_67 Depth=1
	v_bcnt_u32_b32 v4, v14, 0
	ds_store_b32 v13, v4 offset:32
; %bb.69:                               ;   in Loop: Header=BB206_67 Depth=1
	s_wait_alu 0xfffe
	s_or_b32 exec_lo, exec_lo, s21
	v_cmp_ne_u32_e32 vcc_lo, 0x80000000, v61
	; wave barrier
	s_wait_alu 0xfffd
	v_cndmask_b32_e32 v4, 0x7fffffff, v61, vcc_lo
	s_delay_alu instid0(VALU_DEP_1) | instskip(NEXT) | instid1(VALU_DEP_1)
	v_lshrrev_b32_e32 v4, s24, v4
	v_and_b32_e32 v4, s26, v4
	s_delay_alu instid0(VALU_DEP_1)
	v_and_b32_e32 v5, 1, v4
	v_lshlrev_b32_e32 v6, 30, v4
	v_lshlrev_b32_e32 v7, 29, v4
	;; [unrolled: 1-line block ×4, first 2 shown]
	v_add_co_u32 v5, s21, v5, -1
	s_wait_alu 0xf1ff
	v_cndmask_b32_e64 v9, 0, 1, s21
	v_not_b32_e32 v15, v6
	v_cmp_gt_i32_e64 s21, 0, v6
	v_not_b32_e32 v6, v7
	v_lshlrev_b32_e32 v11, 26, v4
	v_cmp_ne_u32_e32 vcc_lo, 0, v9
	v_ashrrev_i32_e32 v15, 31, v15
	v_lshlrev_b32_e32 v14, 25, v4
	v_ashrrev_i32_e32 v6, 31, v6
	v_lshlrev_b32_e32 v9, 24, v4
	s_wait_alu 0xfffd
	v_xor_b32_e32 v5, vcc_lo, v5
	v_cmp_gt_i32_e32 vcc_lo, 0, v7
	v_not_b32_e32 v7, v8
	s_wait_alu 0xf1ff
	v_xor_b32_e32 v15, s21, v15
	v_cmp_gt_i32_e64 s21, 0, v8
	v_and_b32_e32 v5, exec_lo, v5
	v_not_b32_e32 v8, v10
	v_ashrrev_i32_e32 v7, 31, v7
	s_wait_alu 0xfffd
	v_xor_b32_e32 v6, vcc_lo, v6
	v_cmp_gt_i32_e32 vcc_lo, 0, v10
	v_and_b32_e32 v5, v5, v15
	v_not_b32_e32 v10, v11
	v_ashrrev_i32_e32 v8, 31, v8
	s_wait_alu 0xf1ff
	v_xor_b32_e32 v7, s21, v7
	v_cmp_gt_i32_e64 s21, 0, v11
	v_and_b32_e32 v5, v5, v6
	v_not_b32_e32 v6, v14
	v_ashrrev_i32_e32 v10, 31, v10
	s_wait_alu 0xfffd
	v_xor_b32_e32 v8, vcc_lo, v8
	v_cmp_gt_i32_e32 vcc_lo, 0, v14
	v_and_b32_e32 v5, v5, v7
	v_not_b32_e32 v7, v9
	v_ashrrev_i32_e32 v6, 31, v6
	s_wait_alu 0xf1ff
	v_xor_b32_e32 v10, s21, v10
	v_lshlrev_b32_e32 v4, 5, v4
	v_and_b32_e32 v5, v5, v8
	v_cmp_gt_i32_e64 s21, 0, v9
	v_ashrrev_i32_e32 v7, 31, v7
	s_wait_alu 0xfffd
	v_xor_b32_e32 v6, vcc_lo, v6
	v_add_nc_u32_e32 v16, v52, v4
	v_and_b32_e32 v5, v5, v10
	s_wait_alu 0xf1ff
	v_xor_b32_e32 v4, s21, v7
	ds_load_b32 v14, v16 offset:32
	v_and_b32_e32 v5, v5, v6
	; wave barrier
	s_delay_alu instid0(VALU_DEP_1) | instskip(NEXT) | instid1(VALU_DEP_1)
	v_and_b32_e32 v4, v5, v4
	v_mbcnt_lo_u32_b32 v15, v4, 0
	v_cmp_ne_u32_e64 s21, 0, v4
	s_delay_alu instid0(VALU_DEP_2)
	v_cmp_eq_u32_e32 vcc_lo, 0, v15
	s_and_b32 s27, s21, vcc_lo
	s_wait_alu 0xfffe
	s_and_saveexec_b32 s21, s27
	s_cbranch_execz .LBB206_71
; %bb.70:                               ;   in Loop: Header=BB206_67 Depth=1
	s_wait_dscnt 0x0
	v_bcnt_u32_b32 v4, v4, v14
	ds_store_b32 v16, v4 offset:32
.LBB206_71:                             ;   in Loop: Header=BB206_67 Depth=1
	s_wait_alu 0xfffe
	s_or_b32 exec_lo, exec_lo, s21
	v_cmp_ne_u32_e32 vcc_lo, 0x80000000, v60
	; wave barrier
	s_wait_alu 0xfffd
	v_cndmask_b32_e32 v4, 0x7fffffff, v60, vcc_lo
	s_delay_alu instid0(VALU_DEP_1) | instskip(NEXT) | instid1(VALU_DEP_1)
	v_lshrrev_b32_e32 v4, s24, v4
	v_and_b32_e32 v4, s26, v4
	s_delay_alu instid0(VALU_DEP_1)
	v_and_b32_e32 v5, 1, v4
	v_lshlrev_b32_e32 v6, 30, v4
	v_lshlrev_b32_e32 v7, 29, v4
	;; [unrolled: 1-line block ×4, first 2 shown]
	v_add_co_u32 v5, s21, v5, -1
	s_wait_alu 0xf1ff
	v_cndmask_b32_e64 v9, 0, 1, s21
	v_not_b32_e32 v18, v6
	v_cmp_gt_i32_e64 s21, 0, v6
	v_not_b32_e32 v6, v7
	v_lshlrev_b32_e32 v11, 26, v4
	v_cmp_ne_u32_e32 vcc_lo, 0, v9
	v_ashrrev_i32_e32 v18, 31, v18
	v_lshlrev_b32_e32 v17, 25, v4
	v_ashrrev_i32_e32 v6, 31, v6
	v_lshlrev_b32_e32 v9, 24, v4
	s_wait_alu 0xfffd
	v_xor_b32_e32 v5, vcc_lo, v5
	v_cmp_gt_i32_e32 vcc_lo, 0, v7
	v_not_b32_e32 v7, v8
	s_wait_alu 0xf1ff
	v_xor_b32_e32 v18, s21, v18
	v_cmp_gt_i32_e64 s21, 0, v8
	v_and_b32_e32 v5, exec_lo, v5
	v_not_b32_e32 v8, v10
	v_ashrrev_i32_e32 v7, 31, v7
	s_wait_alu 0xfffd
	v_xor_b32_e32 v6, vcc_lo, v6
	v_cmp_gt_i32_e32 vcc_lo, 0, v10
	v_and_b32_e32 v5, v5, v18
	v_not_b32_e32 v10, v11
	v_ashrrev_i32_e32 v8, 31, v8
	s_wait_alu 0xf1ff
	v_xor_b32_e32 v7, s21, v7
	v_cmp_gt_i32_e64 s21, 0, v11
	v_and_b32_e32 v5, v5, v6
	v_not_b32_e32 v6, v17
	v_ashrrev_i32_e32 v10, 31, v10
	s_wait_alu 0xfffd
	v_xor_b32_e32 v8, vcc_lo, v8
	v_cmp_gt_i32_e32 vcc_lo, 0, v17
	v_and_b32_e32 v5, v5, v7
	v_not_b32_e32 v7, v9
	v_ashrrev_i32_e32 v6, 31, v6
	s_wait_alu 0xf1ff
	v_xor_b32_e32 v10, s21, v10
	v_lshlrev_b32_e32 v4, 5, v4
	v_and_b32_e32 v5, v5, v8
	v_cmp_gt_i32_e64 s21, 0, v9
	v_ashrrev_i32_e32 v7, 31, v7
	s_wait_alu 0xfffd
	v_xor_b32_e32 v6, vcc_lo, v6
	v_add_nc_u32_e32 v19, v52, v4
	v_and_b32_e32 v5, v5, v10
	s_wait_alu 0xf1ff
	v_xor_b32_e32 v4, s21, v7
	ds_load_b32 v17, v19 offset:32
	v_and_b32_e32 v5, v5, v6
	; wave barrier
	s_delay_alu instid0(VALU_DEP_1) | instskip(NEXT) | instid1(VALU_DEP_1)
	v_and_b32_e32 v4, v5, v4
	v_mbcnt_lo_u32_b32 v18, v4, 0
	v_cmp_ne_u32_e64 s21, 0, v4
	s_delay_alu instid0(VALU_DEP_2)
	v_cmp_eq_u32_e32 vcc_lo, 0, v18
	s_and_b32 s27, s21, vcc_lo
	s_wait_alu 0xfffe
	s_and_saveexec_b32 s21, s27
	s_cbranch_execz .LBB206_73
; %bb.72:                               ;   in Loop: Header=BB206_67 Depth=1
	s_wait_dscnt 0x0
	v_bcnt_u32_b32 v4, v4, v17
	ds_store_b32 v19, v4 offset:32
.LBB206_73:                             ;   in Loop: Header=BB206_67 Depth=1
	s_wait_alu 0xfffe
	s_or_b32 exec_lo, exec_lo, s21
	v_cmp_ne_u32_e32 vcc_lo, 0x80000000, v59
	; wave barrier
	s_wait_alu 0xfffd
	v_cndmask_b32_e32 v4, 0x7fffffff, v59, vcc_lo
	s_delay_alu instid0(VALU_DEP_1) | instskip(NEXT) | instid1(VALU_DEP_1)
	v_lshrrev_b32_e32 v4, s24, v4
	v_and_b32_e32 v4, s26, v4
	s_delay_alu instid0(VALU_DEP_1)
	v_and_b32_e32 v5, 1, v4
	v_lshlrev_b32_e32 v6, 30, v4
	v_lshlrev_b32_e32 v7, 29, v4
	;; [unrolled: 1-line block ×4, first 2 shown]
	v_add_co_u32 v5, s21, v5, -1
	s_wait_alu 0xf1ff
	v_cndmask_b32_e64 v9, 0, 1, s21
	v_not_b32_e32 v37, v6
	v_cmp_gt_i32_e64 s21, 0, v6
	v_not_b32_e32 v6, v7
	v_lshlrev_b32_e32 v11, 26, v4
	v_cmp_ne_u32_e32 vcc_lo, 0, v9
	v_ashrrev_i32_e32 v37, 31, v37
	v_lshlrev_b32_e32 v36, 25, v4
	v_ashrrev_i32_e32 v6, 31, v6
	v_lshlrev_b32_e32 v9, 24, v4
	s_wait_alu 0xfffd
	v_xor_b32_e32 v5, vcc_lo, v5
	v_cmp_gt_i32_e32 vcc_lo, 0, v7
	v_not_b32_e32 v7, v8
	s_wait_alu 0xf1ff
	v_xor_b32_e32 v37, s21, v37
	v_cmp_gt_i32_e64 s21, 0, v8
	v_and_b32_e32 v5, exec_lo, v5
	v_not_b32_e32 v8, v10
	v_ashrrev_i32_e32 v7, 31, v7
	s_wait_alu 0xfffd
	v_xor_b32_e32 v6, vcc_lo, v6
	v_cmp_gt_i32_e32 vcc_lo, 0, v10
	v_and_b32_e32 v5, v5, v37
	v_not_b32_e32 v10, v11
	v_ashrrev_i32_e32 v8, 31, v8
	s_wait_alu 0xf1ff
	v_xor_b32_e32 v7, s21, v7
	v_cmp_gt_i32_e64 s21, 0, v11
	v_and_b32_e32 v5, v5, v6
	v_not_b32_e32 v6, v36
	v_ashrrev_i32_e32 v10, 31, v10
	s_wait_alu 0xfffd
	v_xor_b32_e32 v8, vcc_lo, v8
	v_cmp_gt_i32_e32 vcc_lo, 0, v36
	v_and_b32_e32 v5, v5, v7
	v_not_b32_e32 v7, v9
	v_ashrrev_i32_e32 v6, 31, v6
	s_wait_alu 0xf1ff
	v_xor_b32_e32 v10, s21, v10
	v_lshlrev_b32_e32 v4, 5, v4
	v_and_b32_e32 v5, v5, v8
	v_cmp_gt_i32_e64 s21, 0, v9
	v_ashrrev_i32_e32 v7, 31, v7
	s_wait_alu 0xfffd
	v_xor_b32_e32 v6, vcc_lo, v6
	v_add_nc_u32_e32 v38, v52, v4
	v_and_b32_e32 v5, v5, v10
	s_wait_alu 0xf1ff
	v_xor_b32_e32 v4, s21, v7
	ds_load_b32 v36, v38 offset:32
	v_and_b32_e32 v5, v5, v6
	; wave barrier
	s_delay_alu instid0(VALU_DEP_1) | instskip(NEXT) | instid1(VALU_DEP_1)
	v_and_b32_e32 v4, v5, v4
	v_mbcnt_lo_u32_b32 v37, v4, 0
	v_cmp_ne_u32_e64 s21, 0, v4
	s_delay_alu instid0(VALU_DEP_2)
	v_cmp_eq_u32_e32 vcc_lo, 0, v37
	s_and_b32 s27, s21, vcc_lo
	s_wait_alu 0xfffe
	s_and_saveexec_b32 s21, s27
	s_cbranch_execz .LBB206_75
; %bb.74:                               ;   in Loop: Header=BB206_67 Depth=1
	s_wait_dscnt 0x0
	v_bcnt_u32_b32 v4, v4, v36
	ds_store_b32 v38, v4 offset:32
.LBB206_75:                             ;   in Loop: Header=BB206_67 Depth=1
	s_wait_alu 0xfffe
	s_or_b32 exec_lo, exec_lo, s21
	v_cmp_ne_u32_e32 vcc_lo, 0x80000000, v58
	; wave barrier
	s_wait_alu 0xfffd
	v_cndmask_b32_e32 v4, 0x7fffffff, v58, vcc_lo
	s_delay_alu instid0(VALU_DEP_1) | instskip(NEXT) | instid1(VALU_DEP_1)
	v_lshrrev_b32_e32 v4, s24, v4
	v_and_b32_e32 v4, s26, v4
	s_delay_alu instid0(VALU_DEP_1)
	v_and_b32_e32 v5, 1, v4
	v_lshlrev_b32_e32 v6, 30, v4
	v_lshlrev_b32_e32 v7, 29, v4
	;; [unrolled: 1-line block ×4, first 2 shown]
	v_add_co_u32 v5, s21, v5, -1
	s_wait_alu 0xf1ff
	v_cndmask_b32_e64 v9, 0, 1, s21
	v_not_b32_e32 v41, v6
	v_cmp_gt_i32_e64 s21, 0, v6
	v_not_b32_e32 v6, v7
	v_lshlrev_b32_e32 v11, 26, v4
	v_cmp_ne_u32_e32 vcc_lo, 0, v9
	v_ashrrev_i32_e32 v41, 31, v41
	v_lshlrev_b32_e32 v39, 25, v4
	v_ashrrev_i32_e32 v6, 31, v6
	v_lshlrev_b32_e32 v9, 24, v4
	s_wait_alu 0xfffd
	v_xor_b32_e32 v5, vcc_lo, v5
	v_cmp_gt_i32_e32 vcc_lo, 0, v7
	v_not_b32_e32 v7, v8
	s_wait_alu 0xf1ff
	v_xor_b32_e32 v41, s21, v41
	v_cmp_gt_i32_e64 s21, 0, v8
	v_and_b32_e32 v5, exec_lo, v5
	v_not_b32_e32 v8, v10
	v_ashrrev_i32_e32 v7, 31, v7
	s_wait_alu 0xfffd
	v_xor_b32_e32 v6, vcc_lo, v6
	v_cmp_gt_i32_e32 vcc_lo, 0, v10
	v_and_b32_e32 v5, v5, v41
	v_not_b32_e32 v10, v11
	v_ashrrev_i32_e32 v8, 31, v8
	s_wait_alu 0xf1ff
	v_xor_b32_e32 v7, s21, v7
	v_cmp_gt_i32_e64 s21, 0, v11
	v_and_b32_e32 v5, v5, v6
	v_not_b32_e32 v6, v39
	v_ashrrev_i32_e32 v10, 31, v10
	s_wait_alu 0xfffd
	v_xor_b32_e32 v8, vcc_lo, v8
	v_cmp_gt_i32_e32 vcc_lo, 0, v39
	v_and_b32_e32 v5, v5, v7
	v_not_b32_e32 v7, v9
	v_ashrrev_i32_e32 v6, 31, v6
	s_wait_alu 0xf1ff
	v_xor_b32_e32 v10, s21, v10
	v_lshlrev_b32_e32 v4, 5, v4
	v_and_b32_e32 v5, v5, v8
	v_cmp_gt_i32_e64 s21, 0, v9
	v_ashrrev_i32_e32 v7, 31, v7
	s_wait_alu 0xfffd
	v_xor_b32_e32 v6, vcc_lo, v6
	v_add_nc_u32_e32 v42, v52, v4
	v_and_b32_e32 v5, v5, v10
	s_wait_alu 0xf1ff
	v_xor_b32_e32 v4, s21, v7
	ds_load_b32 v39, v42 offset:32
	v_and_b32_e32 v5, v5, v6
	; wave barrier
	s_delay_alu instid0(VALU_DEP_1) | instskip(NEXT) | instid1(VALU_DEP_1)
	v_and_b32_e32 v4, v5, v4
	v_mbcnt_lo_u32_b32 v41, v4, 0
	v_cmp_ne_u32_e64 s21, 0, v4
	s_delay_alu instid0(VALU_DEP_2)
	v_cmp_eq_u32_e32 vcc_lo, 0, v41
	s_and_b32 s27, s21, vcc_lo
	s_wait_alu 0xfffe
	s_and_saveexec_b32 s21, s27
	s_cbranch_execz .LBB206_77
; %bb.76:                               ;   in Loop: Header=BB206_67 Depth=1
	s_wait_dscnt 0x0
	v_bcnt_u32_b32 v4, v4, v39
	ds_store_b32 v42, v4 offset:32
.LBB206_77:                             ;   in Loop: Header=BB206_67 Depth=1
	s_wait_alu 0xfffe
	s_or_b32 exec_lo, exec_lo, s21
	v_cmp_ne_u32_e32 vcc_lo, 0x80000000, v57
	; wave barrier
	s_wait_alu 0xfffd
	v_cndmask_b32_e32 v4, 0x7fffffff, v57, vcc_lo
	s_delay_alu instid0(VALU_DEP_1) | instskip(NEXT) | instid1(VALU_DEP_1)
	v_lshrrev_b32_e32 v4, s24, v4
	v_and_b32_e32 v4, s26, v4
	s_delay_alu instid0(VALU_DEP_1)
	v_and_b32_e32 v5, 1, v4
	v_lshlrev_b32_e32 v6, 30, v4
	v_lshlrev_b32_e32 v7, 29, v4
	;; [unrolled: 1-line block ×4, first 2 shown]
	v_add_co_u32 v5, s21, v5, -1
	s_wait_alu 0xf1ff
	v_cndmask_b32_e64 v9, 0, 1, s21
	v_not_b32_e32 v47, v6
	v_cmp_gt_i32_e64 s21, 0, v6
	v_not_b32_e32 v6, v7
	v_lshlrev_b32_e32 v11, 26, v4
	v_cmp_ne_u32_e32 vcc_lo, 0, v9
	v_ashrrev_i32_e32 v47, 31, v47
	v_lshlrev_b32_e32 v46, 25, v4
	v_ashrrev_i32_e32 v6, 31, v6
	v_lshlrev_b32_e32 v9, 24, v4
	s_wait_alu 0xfffd
	v_xor_b32_e32 v5, vcc_lo, v5
	v_cmp_gt_i32_e32 vcc_lo, 0, v7
	v_not_b32_e32 v7, v8
	s_wait_alu 0xf1ff
	v_xor_b32_e32 v47, s21, v47
	v_cmp_gt_i32_e64 s21, 0, v8
	v_and_b32_e32 v5, exec_lo, v5
	v_not_b32_e32 v8, v10
	v_ashrrev_i32_e32 v7, 31, v7
	s_wait_alu 0xfffd
	v_xor_b32_e32 v6, vcc_lo, v6
	v_cmp_gt_i32_e32 vcc_lo, 0, v10
	v_and_b32_e32 v5, v5, v47
	v_not_b32_e32 v10, v11
	v_ashrrev_i32_e32 v8, 31, v8
	s_wait_alu 0xf1ff
	v_xor_b32_e32 v7, s21, v7
	v_cmp_gt_i32_e64 s21, 0, v11
	v_and_b32_e32 v5, v5, v6
	v_not_b32_e32 v6, v46
	v_ashrrev_i32_e32 v10, 31, v10
	s_wait_alu 0xfffd
	v_xor_b32_e32 v8, vcc_lo, v8
	v_cmp_gt_i32_e32 vcc_lo, 0, v46
	v_and_b32_e32 v5, v5, v7
	v_not_b32_e32 v7, v9
	v_ashrrev_i32_e32 v6, 31, v6
	s_wait_alu 0xf1ff
	v_xor_b32_e32 v10, s21, v10
	v_lshlrev_b32_e32 v4, 5, v4
	v_and_b32_e32 v5, v5, v8
	v_cmp_gt_i32_e64 s21, 0, v9
	v_ashrrev_i32_e32 v7, 31, v7
	s_wait_alu 0xfffd
	v_xor_b32_e32 v6, vcc_lo, v6
	v_add_nc_u32_e32 v47, v52, v4
	v_and_b32_e32 v5, v5, v10
	s_wait_alu 0xf1ff
	v_xor_b32_e32 v4, s21, v7
	ds_load_b32 v46, v47 offset:32
	v_and_b32_e32 v5, v5, v6
	; wave barrier
	s_delay_alu instid0(VALU_DEP_1) | instskip(NEXT) | instid1(VALU_DEP_1)
	v_and_b32_e32 v4, v5, v4
	v_mbcnt_lo_u32_b32 v62, v4, 0
	v_cmp_ne_u32_e64 s21, 0, v4
	s_delay_alu instid0(VALU_DEP_2)
	v_cmp_eq_u32_e32 vcc_lo, 0, v62
	s_and_b32 s27, s21, vcc_lo
	s_wait_alu 0xfffe
	s_and_saveexec_b32 s21, s27
	s_cbranch_execz .LBB206_79
; %bb.78:                               ;   in Loop: Header=BB206_67 Depth=1
	s_wait_dscnt 0x0
	v_bcnt_u32_b32 v4, v4, v46
	ds_store_b32 v47, v4 offset:32
.LBB206_79:                             ;   in Loop: Header=BB206_67 Depth=1
	s_wait_alu 0xfffe
	s_or_b32 exec_lo, exec_lo, s21
	v_cmp_ne_u32_e32 vcc_lo, 0x80000000, v56
	; wave barrier
	s_wait_alu 0xfffd
	v_cndmask_b32_e32 v4, 0x7fffffff, v56, vcc_lo
	s_delay_alu instid0(VALU_DEP_1) | instskip(NEXT) | instid1(VALU_DEP_1)
	v_lshrrev_b32_e32 v4, s24, v4
	v_and_b32_e32 v4, s26, v4
	s_delay_alu instid0(VALU_DEP_1)
	v_and_b32_e32 v5, 1, v4
	v_lshlrev_b32_e32 v6, 30, v4
	v_lshlrev_b32_e32 v7, 29, v4
	;; [unrolled: 1-line block ×4, first 2 shown]
	v_add_co_u32 v5, s21, v5, -1
	s_wait_alu 0xf1ff
	v_cndmask_b32_e64 v9, 0, 1, s21
	v_not_b32_e32 v64, v6
	v_cmp_gt_i32_e64 s21, 0, v6
	v_not_b32_e32 v6, v7
	v_lshlrev_b32_e32 v11, 26, v4
	v_cmp_ne_u32_e32 vcc_lo, 0, v9
	v_ashrrev_i32_e32 v64, 31, v64
	v_lshlrev_b32_e32 v63, 25, v4
	v_ashrrev_i32_e32 v6, 31, v6
	v_lshlrev_b32_e32 v9, 24, v4
	s_wait_alu 0xfffd
	v_xor_b32_e32 v5, vcc_lo, v5
	v_cmp_gt_i32_e32 vcc_lo, 0, v7
	v_not_b32_e32 v7, v8
	s_wait_alu 0xf1ff
	v_xor_b32_e32 v64, s21, v64
	v_cmp_gt_i32_e64 s21, 0, v8
	v_and_b32_e32 v5, exec_lo, v5
	v_not_b32_e32 v8, v10
	v_ashrrev_i32_e32 v7, 31, v7
	s_wait_alu 0xfffd
	v_xor_b32_e32 v6, vcc_lo, v6
	v_cmp_gt_i32_e32 vcc_lo, 0, v10
	v_and_b32_e32 v5, v5, v64
	v_not_b32_e32 v10, v11
	v_ashrrev_i32_e32 v8, 31, v8
	s_wait_alu 0xf1ff
	v_xor_b32_e32 v7, s21, v7
	v_cmp_gt_i32_e64 s21, 0, v11
	v_and_b32_e32 v5, v5, v6
	v_not_b32_e32 v6, v63
	v_ashrrev_i32_e32 v10, 31, v10
	s_wait_alu 0xfffd
	v_xor_b32_e32 v8, vcc_lo, v8
	v_cmp_gt_i32_e32 vcc_lo, 0, v63
	v_and_b32_e32 v5, v5, v7
	v_not_b32_e32 v7, v9
	v_ashrrev_i32_e32 v6, 31, v6
	s_wait_alu 0xf1ff
	v_xor_b32_e32 v10, s21, v10
	v_lshlrev_b32_e32 v4, 5, v4
	v_and_b32_e32 v5, v5, v8
	v_cmp_gt_i32_e64 s21, 0, v9
	v_ashrrev_i32_e32 v7, 31, v7
	s_wait_alu 0xfffd
	v_xor_b32_e32 v6, vcc_lo, v6
	v_add_nc_u32_e32 v64, v52, v4
	v_and_b32_e32 v5, v5, v10
	s_wait_alu 0xf1ff
	v_xor_b32_e32 v4, s21, v7
	ds_load_b32 v63, v64 offset:32
	v_and_b32_e32 v5, v5, v6
	; wave barrier
	s_delay_alu instid0(VALU_DEP_1) | instskip(NEXT) | instid1(VALU_DEP_1)
	v_and_b32_e32 v4, v5, v4
	v_mbcnt_lo_u32_b32 v65, v4, 0
	v_cmp_ne_u32_e64 s21, 0, v4
	s_delay_alu instid0(VALU_DEP_2)
	v_cmp_eq_u32_e32 vcc_lo, 0, v65
	s_and_b32 s27, s21, vcc_lo
	s_wait_alu 0xfffe
	s_and_saveexec_b32 s21, s27
	s_cbranch_execz .LBB206_81
; %bb.80:                               ;   in Loop: Header=BB206_67 Depth=1
	s_wait_dscnt 0x0
	v_bcnt_u32_b32 v4, v4, v63
	ds_store_b32 v64, v4 offset:32
.LBB206_81:                             ;   in Loop: Header=BB206_67 Depth=1
	s_wait_alu 0xfffe
	s_or_b32 exec_lo, exec_lo, s21
	v_cmp_ne_u32_e32 vcc_lo, 0x80000000, v55
	; wave barrier
	s_wait_alu 0xfffd
	v_cndmask_b32_e32 v4, 0x7fffffff, v55, vcc_lo
	s_delay_alu instid0(VALU_DEP_1) | instskip(NEXT) | instid1(VALU_DEP_1)
	v_lshrrev_b32_e32 v4, s24, v4
	v_and_b32_e32 v4, s26, v4
	s_delay_alu instid0(VALU_DEP_1)
	v_and_b32_e32 v5, 1, v4
	v_lshlrev_b32_e32 v6, 30, v4
	v_lshlrev_b32_e32 v7, 29, v4
	;; [unrolled: 1-line block ×4, first 2 shown]
	v_add_co_u32 v5, s21, v5, -1
	s_wait_alu 0xf1ff
	v_cndmask_b32_e64 v9, 0, 1, s21
	v_not_b32_e32 v67, v6
	v_cmp_gt_i32_e64 s21, 0, v6
	v_not_b32_e32 v6, v7
	v_lshlrev_b32_e32 v11, 26, v4
	v_cmp_ne_u32_e32 vcc_lo, 0, v9
	v_ashrrev_i32_e32 v67, 31, v67
	v_lshlrev_b32_e32 v66, 25, v4
	v_ashrrev_i32_e32 v6, 31, v6
	v_lshlrev_b32_e32 v9, 24, v4
	s_wait_alu 0xfffd
	v_xor_b32_e32 v5, vcc_lo, v5
	v_cmp_gt_i32_e32 vcc_lo, 0, v7
	v_not_b32_e32 v7, v8
	s_wait_alu 0xf1ff
	v_xor_b32_e32 v67, s21, v67
	v_cmp_gt_i32_e64 s21, 0, v8
	v_and_b32_e32 v5, exec_lo, v5
	v_not_b32_e32 v8, v10
	v_ashrrev_i32_e32 v7, 31, v7
	s_wait_alu 0xfffd
	v_xor_b32_e32 v6, vcc_lo, v6
	v_cmp_gt_i32_e32 vcc_lo, 0, v10
	v_and_b32_e32 v5, v5, v67
	v_not_b32_e32 v10, v11
	v_ashrrev_i32_e32 v8, 31, v8
	s_wait_alu 0xf1ff
	v_xor_b32_e32 v7, s21, v7
	v_cmp_gt_i32_e64 s21, 0, v11
	v_and_b32_e32 v5, v5, v6
	v_not_b32_e32 v6, v66
	v_ashrrev_i32_e32 v10, 31, v10
	s_wait_alu 0xfffd
	v_xor_b32_e32 v8, vcc_lo, v8
	v_cmp_gt_i32_e32 vcc_lo, 0, v66
	v_and_b32_e32 v5, v5, v7
	v_not_b32_e32 v7, v9
	v_ashrrev_i32_e32 v6, 31, v6
	s_wait_alu 0xf1ff
	v_xor_b32_e32 v10, s21, v10
	v_lshlrev_b32_e32 v4, 5, v4
	v_and_b32_e32 v5, v5, v8
	v_cmp_gt_i32_e64 s21, 0, v9
	v_ashrrev_i32_e32 v7, 31, v7
	s_wait_alu 0xfffd
	v_xor_b32_e32 v6, vcc_lo, v6
	v_add_nc_u32_e32 v66, v52, v4
	v_and_b32_e32 v5, v5, v10
	s_wait_alu 0xf1ff
	v_xor_b32_e32 v4, s21, v7
	ds_load_b32 v71, v66 offset:32
	v_and_b32_e32 v5, v5, v6
	; wave barrier
	s_delay_alu instid0(VALU_DEP_1) | instskip(NEXT) | instid1(VALU_DEP_1)
	v_and_b32_e32 v4, v5, v4
	v_mbcnt_lo_u32_b32 v91, v4, 0
	v_cmp_ne_u32_e64 s21, 0, v4
	s_delay_alu instid0(VALU_DEP_2)
	v_cmp_eq_u32_e32 vcc_lo, 0, v91
	s_and_b32 s26, s21, vcc_lo
	s_wait_alu 0xfffe
	s_and_saveexec_b32 s21, s26
	s_cbranch_execz .LBB206_83
; %bb.82:                               ;   in Loop: Header=BB206_67 Depth=1
	s_wait_dscnt 0x0
	v_bcnt_u32_b32 v4, v4, v71
	ds_store_b32 v66, v4 offset:32
.LBB206_83:                             ;   in Loop: Header=BB206_67 Depth=1
	s_wait_alu 0xfffe
	s_or_b32 exec_lo, exec_lo, s21
	; wave barrier
	s_wait_loadcnt_dscnt 0x0
	s_barrier_signal -1
	s_barrier_wait -1
	global_inv scope:SCOPE_SE
	ds_load_b128 v[8:11], v89 offset:32
	ds_load_b128 v[4:7], v89 offset:48
	s_wait_dscnt 0x1
	v_add_nc_u32_e32 v67, v9, v8
	s_delay_alu instid0(VALU_DEP_1) | instskip(SKIP_1) | instid1(VALU_DEP_1)
	v_add3_u32 v67, v67, v10, v11
	s_wait_dscnt 0x0
	v_add3_u32 v67, v67, v4, v5
	s_delay_alu instid0(VALU_DEP_1) | instskip(NEXT) | instid1(VALU_DEP_1)
	v_add3_u32 v7, v67, v6, v7
	v_mov_b32_dpp v67, v7 row_shr:1 row_mask:0xf bank_mask:0xf
	s_delay_alu instid0(VALU_DEP_1) | instskip(NEXT) | instid1(VALU_DEP_1)
	v_cndmask_b32_e64 v67, v67, 0, s8
	v_add_nc_u32_e32 v7, v67, v7
	s_delay_alu instid0(VALU_DEP_1) | instskip(NEXT) | instid1(VALU_DEP_1)
	v_mov_b32_dpp v67, v7 row_shr:2 row_mask:0xf bank_mask:0xf
	v_cndmask_b32_e64 v67, 0, v67, s9
	s_delay_alu instid0(VALU_DEP_1) | instskip(NEXT) | instid1(VALU_DEP_1)
	v_add_nc_u32_e32 v7, v7, v67
	v_mov_b32_dpp v67, v7 row_shr:4 row_mask:0xf bank_mask:0xf
	s_delay_alu instid0(VALU_DEP_1) | instskip(NEXT) | instid1(VALU_DEP_1)
	v_cndmask_b32_e64 v67, 0, v67, s11
	v_add_nc_u32_e32 v7, v7, v67
	s_delay_alu instid0(VALU_DEP_1) | instskip(NEXT) | instid1(VALU_DEP_1)
	v_mov_b32_dpp v67, v7 row_shr:8 row_mask:0xf bank_mask:0xf
	v_cndmask_b32_e64 v67, 0, v67, s12
	s_delay_alu instid0(VALU_DEP_1) | instskip(SKIP_3) | instid1(VALU_DEP_1)
	v_add_nc_u32_e32 v7, v7, v67
	ds_swizzle_b32 v67, v7 offset:swizzle(BROADCAST,32,15)
	s_wait_dscnt 0x0
	v_cndmask_b32_e64 v67, v67, 0, s13
	v_add_nc_u32_e32 v7, v7, v67
	s_and_saveexec_b32 s21, s14
; %bb.84:                               ;   in Loop: Header=BB206_67 Depth=1
	ds_store_b32 v90, v7
; %bb.85:                               ;   in Loop: Header=BB206_67 Depth=1
	s_wait_alu 0xfffe
	s_or_b32 exec_lo, exec_lo, s21
	s_wait_loadcnt_dscnt 0x0
	s_barrier_signal -1
	s_barrier_wait -1
	global_inv scope:SCOPE_SE
	s_and_saveexec_b32 s21, s15
	s_cbranch_execz .LBB206_87
; %bb.86:                               ;   in Loop: Header=BB206_67 Depth=1
	ds_load_b32 v67, v53
	s_wait_dscnt 0x0
	v_mov_b32_dpp v68, v67 row_shr:1 row_mask:0xf bank_mask:0xf
	s_delay_alu instid0(VALU_DEP_1) | instskip(NEXT) | instid1(VALU_DEP_1)
	v_cndmask_b32_e64 v68, v68, 0, s18
	v_add_nc_u32_e32 v67, v68, v67
	s_delay_alu instid0(VALU_DEP_1) | instskip(NEXT) | instid1(VALU_DEP_1)
	v_mov_b32_dpp v68, v67 row_shr:2 row_mask:0xf bank_mask:0xf
	v_cndmask_b32_e64 v68, 0, v68, s19
	s_delay_alu instid0(VALU_DEP_1) | instskip(NEXT) | instid1(VALU_DEP_1)
	v_add_nc_u32_e32 v67, v67, v68
	v_mov_b32_dpp v68, v67 row_shr:4 row_mask:0xf bank_mask:0xf
	s_delay_alu instid0(VALU_DEP_1) | instskip(NEXT) | instid1(VALU_DEP_1)
	v_cndmask_b32_e64 v68, 0, v68, s20
	v_add_nc_u32_e32 v67, v67, v68
	ds_store_b32 v53, v67
.LBB206_87:                             ;   in Loop: Header=BB206_67 Depth=1
	s_wait_alu 0xfffe
	s_or_b32 exec_lo, exec_lo, s21
	v_mov_b32_e32 v67, 0
	s_wait_loadcnt_dscnt 0x0
	s_barrier_signal -1
	s_barrier_wait -1
	global_inv scope:SCOPE_SE
	s_and_saveexec_b32 s21, s16
; %bb.88:                               ;   in Loop: Header=BB206_67 Depth=1
	ds_load_b32 v67, v51
; %bb.89:                               ;   in Loop: Header=BB206_67 Depth=1
	s_wait_alu 0xfffe
	s_or_b32 exec_lo, exec_lo, s21
	s_wait_dscnt 0x0
	v_add_nc_u32_e32 v7, v67, v7
	s_cmp_gt_u32 s24, 23
	s_mov_b32 s21, -1
	ds_bpermute_b32 v7, v50, v7
	s_wait_dscnt 0x0
	v_cndmask_b32_e64 v7, v7, v67, s10
	s_delay_alu instid0(VALU_DEP_1) | instskip(NEXT) | instid1(VALU_DEP_1)
	v_cndmask_b32_e64 v7, v7, 0, s17
	v_add_nc_u32_e32 v8, v7, v8
	s_delay_alu instid0(VALU_DEP_1) | instskip(NEXT) | instid1(VALU_DEP_1)
	v_add_nc_u32_e32 v9, v8, v9
	v_add_nc_u32_e32 v10, v9, v10
	s_delay_alu instid0(VALU_DEP_1) | instskip(NEXT) | instid1(VALU_DEP_1)
	v_add_nc_u32_e32 v67, v10, v11
	;; [unrolled: 3-line block ×3, first 2 shown]
	v_add_nc_u32_e32 v70, v69, v6
	ds_store_b128 v89, v[7:10] offset:32
	ds_store_b128 v89, v[67:70] offset:48
	s_wait_loadcnt_dscnt 0x0
	s_barrier_signal -1
	s_barrier_wait -1
	global_inv scope:SCOPE_SE
	ds_load_b32 v4, v13 offset:32
	ds_load_b32 v5, v16 offset:32
	;; [unrolled: 1-line block ×8, first 2 shown]
	s_wait_dscnt 0x7
	v_add_nc_u32_e32 v70, v4, v12
	s_wait_dscnt 0x6
	v_add3_u32 v69, v15, v14, v5
	s_wait_dscnt 0x5
	v_add3_u32 v68, v18, v17, v6
	s_wait_dscnt 0x4
	v_add3_u32 v67, v37, v36, v7
	s_wait_dscnt 0x3
	v_add3_u32 v66, v41, v39, v8
	s_wait_dscnt 0x2
	v_add3_u32 v64, v62, v46, v9
	s_wait_dscnt 0x1
	v_add3_u32 v63, v65, v63, v10
	s_wait_dscnt 0x0
	v_add3_u32 v62, v91, v71, v11
                                        ; implicit-def: $vgpr47
                                        ; implicit-def: $vgpr42
                                        ; implicit-def: $vgpr39
                                        ; implicit-def: $vgpr37
                                        ; implicit-def: $vgpr18_vgpr19
                                        ; implicit-def: $vgpr14_vgpr15
                                        ; implicit-def: $vgpr10_vgpr11
                                        ; implicit-def: $vgpr6_vgpr7
	s_cbranch_scc1 .LBB206_66
; %bb.90:                               ;   in Loop: Header=BB206_67 Depth=1
	v_lshlrev_b32_e32 v4, 2, v70
	v_lshlrev_b32_e32 v5, 2, v69
	;; [unrolled: 1-line block ×3, first 2 shown]
	s_wait_loadcnt 0x0
	s_barrier_signal -1
	s_barrier_wait -1
	global_inv scope:SCOPE_SE
	ds_store_b32 v4, v54
	ds_store_b32 v5, v61
	;; [unrolled: 1-line block ×3, first 2 shown]
	v_lshlrev_b32_e32 v7, 2, v67
	v_add_nc_u32_e32 v4, v4, v4
	v_lshlrev_b32_e32 v8, 2, v66
	v_add_nc_u32_e32 v5, v5, v5
	;; [unrolled: 2-line block ×3, first 2 shown]
	v_lshlrev_b32_e32 v10, 2, v63
	v_lshlrev_b32_e32 v11, 2, v62
	ds_store_b32 v7, v59
	ds_store_b32 v8, v58
	;; [unrolled: 1-line block ×5, first 2 shown]
	s_wait_loadcnt_dscnt 0x0
	s_barrier_signal -1
	s_barrier_wait -1
	global_inv scope:SCOPE_SE
	ds_load_2addr_b32 v[36:37], v48 offset1:32
	ds_load_2addr_b32 v[38:39], v48 offset0:64 offset1:96
	ds_load_2addr_b32 v[41:42], v48 offset0:128 offset1:160
	;; [unrolled: 1-line block ×3, first 2 shown]
	s_wait_loadcnt_dscnt 0x0
	s_barrier_signal -1
	s_barrier_wait -1
	global_inv scope:SCOPE_SE
	ds_store_b64 v4, v[34:35]
	ds_store_b64 v5, v[32:33]
	;; [unrolled: 1-line block ×3, first 2 shown]
	v_add_nc_u32_e32 v4, v7, v7
	v_add_nc_u32_e32 v5, v8, v8
	;; [unrolled: 1-line block ×5, first 2 shown]
	ds_store_b64 v4, v[28:29]
	ds_store_b64 v5, v[26:27]
	;; [unrolled: 1-line block ×5, first 2 shown]
	s_wait_loadcnt_dscnt 0x0
	s_barrier_signal -1
	s_barrier_wait -1
	global_inv scope:SCOPE_SE
	ds_load_2addr_b64 v[4:7], v49 offset1:32
	ds_load_2addr_b64 v[8:11], v49 offset0:64 offset1:96
	ds_load_2addr_b64 v[12:15], v49 offset0:128 offset1:160
	;; [unrolled: 1-line block ×3, first 2 shown]
	s_add_co_i32 s24, s24, 8
	s_add_co_i32 s25, s25, -8
	s_mov_b32 s21, 0
	s_wait_loadcnt_dscnt 0x0
	s_barrier_signal -1
	s_barrier_wait -1
	global_inv scope:SCOPE_SE
	s_branch .LBB206_66
.LBB206_91:
	v_lshlrev_b32_e32 v8, 2, v70
	v_lshlrev_b32_e32 v11, 2, v67
	;; [unrolled: 1-line block ×8, first 2 shown]
	s_wait_loadcnt 0x0
	s_barrier_signal -1
	s_barrier_wait -1
	global_inv scope:SCOPE_SE
	ds_store_b32 v8, v54
	ds_store_b32 v9, v61
	;; [unrolled: 1-line block ×8, first 2 shown]
	s_wait_loadcnt_dscnt 0x0
	s_barrier_signal -1
	s_barrier_wait -1
	global_inv scope:SCOPE_SE
	ds_load_b128 v[0:3], v89
	ds_load_b128 v[4:7], v89 offset:16
	v_add_nc_u32_e32 v8, v8, v8
	v_add_nc_u32_e32 v9, v9, v9
	;; [unrolled: 1-line block ×3, first 2 shown]
	s_wait_loadcnt_dscnt 0x0
	s_barrier_signal -1
	s_barrier_wait -1
	global_inv scope:SCOPE_SE
	ds_store_b64 v8, v[34:35]
	ds_store_b64 v9, v[32:33]
	;; [unrolled: 1-line block ×3, first 2 shown]
	v_add_nc_u32_e32 v8, v11, v11
	v_add_nc_u32_e32 v9, v12, v12
	;; [unrolled: 1-line block ×5, first 2 shown]
	ds_store_b64 v8, v[28:29]
	ds_store_b64 v9, v[26:27]
	;; [unrolled: 1-line block ×5, first 2 shown]
	v_lshl_add_u32 v8, v45, 5, v89
	s_wait_loadcnt_dscnt 0x0
	s_barrier_signal -1
	s_barrier_wait -1
	v_cmp_gt_i32_e32 vcc_lo, 0, v0
	global_inv scope:SCOPE_SE
	ds_load_b128 v[28:31], v8
	ds_load_b128 v[24:27], v8 offset:16
	ds_load_b128 v[36:39], v8 offset:32
	;; [unrolled: 1-line block ×3, first 2 shown]
	s_wait_alu 0xfffd
	v_cndmask_b32_e64 v9, 0x7fffffff, 0, vcc_lo
	v_cmp_gt_i32_e32 vcc_lo, 0, v1
	s_delay_alu instid0(VALU_DEP_2) | instskip(SKIP_3) | instid1(VALU_DEP_2)
	v_xor_b32_e32 v0, v9, v0
	s_wait_alu 0xfffd
	v_cndmask_b32_e64 v10, 0x7fffffff, 0, vcc_lo
	v_cmp_gt_i32_e32 vcc_lo, 0, v2
	v_xor_b32_e32 v1, v10, v1
	s_wait_alu 0xfffd
	v_cndmask_b32_e64 v11, 0x7fffffff, 0, vcc_lo
	v_cmp_gt_i32_e32 vcc_lo, 0, v3
	s_delay_alu instid0(VALU_DEP_2) | instskip(SKIP_3) | instid1(VALU_DEP_2)
	v_xor_b32_e32 v2, v11, v2
	s_wait_alu 0xfffd
	v_cndmask_b32_e64 v8, 0x7fffffff, 0, vcc_lo
	v_cmp_gt_i32_e32 vcc_lo, 0, v4
	v_xor_b32_e32 v3, v8, v3
	;; [unrolled: 9-line block ×3, first 2 shown]
	s_wait_alu 0xfffd
	v_cndmask_b32_e64 v11, 0x7fffffff, 0, vcc_lo
	v_cmp_gt_i32_e32 vcc_lo, 0, v7
	s_delay_alu instid0(VALU_DEP_2) | instskip(SKIP_2) | instid1(VALU_DEP_1)
	v_xor_b32_e32 v6, v11, v6
	s_wait_alu 0xfffd
	v_cndmask_b32_e64 v12, 0x7fffffff, 0, vcc_lo
	v_xor_b32_e32 v7, v12, v7
.LBB206_92:
	s_wait_loadcnt_dscnt 0x0
	s_barrier_signal -1
	s_barrier_wait -1
	global_inv scope:SCOPE_SE
	ds_store_2addr_b32 v79, v0, v1 offset1:1
	ds_store_2addr_b32 v79, v2, v3 offset0:2 offset1:3
	ds_store_2addr_b32 v79, v4, v5 offset0:4 offset1:5
	;; [unrolled: 1-line block ×3, first 2 shown]
	s_wait_loadcnt_dscnt 0x0
	s_barrier_signal -1
	s_barrier_wait -1
	global_inv scope:SCOPE_SE
	ds_load_b32 v8, v44 offset:1024
	ds_load_b32 v7, v73 offset:2048
	;; [unrolled: 1-line block ×7, first 2 shown]
	v_mov_b32_e32 v44, 0
	s_delay_alu instid0(VALU_DEP_1) | instskip(NEXT) | instid1(VALU_DEP_1)
	v_lshlrev_b64_e32 v[0:1], 2, v[43:44]
	v_add_co_u32 v0, vcc_lo, s30, v0
	s_wait_alu 0xfffd
	s_delay_alu instid0(VALU_DEP_2)
	v_add_co_ci_u32_e64 v1, null, s31, v1, vcc_lo
	s_and_saveexec_b32 s8, s0
	s_cbranch_execnz .LBB206_111
; %bb.93:
	s_wait_alu 0xfffe
	s_or_b32 exec_lo, exec_lo, s8
	s_and_saveexec_b32 s8, s1
	s_cbranch_execnz .LBB206_112
.LBB206_94:
	s_wait_alu 0xfffe
	s_or_b32 exec_lo, exec_lo, s8
	s_and_saveexec_b32 s8, s2
	s_cbranch_execnz .LBB206_113
.LBB206_95:
	s_wait_alu 0xfffe
	s_or_b32 exec_lo, exec_lo, s8
	s_and_saveexec_b32 s8, s3
	s_cbranch_execnz .LBB206_114
.LBB206_96:
	s_wait_alu 0xfffe
	s_or_b32 exec_lo, exec_lo, s8
	s_and_saveexec_b32 s8, s4
	s_cbranch_execnz .LBB206_115
.LBB206_97:
	s_wait_alu 0xfffe
	s_or_b32 exec_lo, exec_lo, s8
	s_and_saveexec_b32 s8, s5
	s_cbranch_execnz .LBB206_116
.LBB206_98:
	s_wait_alu 0xfffe
	s_or_b32 exec_lo, exec_lo, s8
	s_and_saveexec_b32 s8, s6
	s_cbranch_execnz .LBB206_117
.LBB206_99:
	s_wait_alu 0xfffe
	s_or_b32 exec_lo, exec_lo, s8
	s_and_saveexec_b32 s8, s7
	s_cbranch_execz .LBB206_101
.LBB206_100:
	s_mul_i32 s10, s22, 0x700
	s_mov_b32 s11, 0
	s_wait_alu 0xfffe
	s_lshl_b64 s[10:11], s[10:11], 2
	s_wait_alu 0xfffe
	v_add_co_u32 v0, vcc_lo, v0, s10
	s_wait_alu 0xfffd
	v_add_co_ci_u32_e64 v1, null, s11, v1, vcc_lo
	s_wait_dscnt 0x0
	global_store_b32 v[0:1], v2, off
.LBB206_101:
	s_wait_alu 0xfffe
	s_or_b32 exec_lo, exec_lo, s8
	s_wait_storecnt 0x0
	s_wait_loadcnt_dscnt 0x0
	s_barrier_signal -1
	s_barrier_wait -1
	global_inv scope:SCOPE_SE
	ds_store_2addr_b64 v88, v[28:29], v[30:31] offset1:1
	ds_store_2addr_b64 v88, v[24:25], v[26:27] offset0:2 offset1:3
	ds_store_2addr_b64 v88, v[36:37], v[38:39] offset0:4 offset1:5
	;; [unrolled: 1-line block ×3, first 2 shown]
	s_wait_loadcnt_dscnt 0x0
	s_barrier_signal -1
	s_barrier_wait -1
	global_inv scope:SCOPE_SE
	ds_load_b64 v[14:15], v81 offset:2048
	ds_load_b64 v[12:13], v82 offset:4096
	;; [unrolled: 1-line block ×7, first 2 shown]
	v_mov_b32_e32 v41, 0
	s_delay_alu instid0(VALU_DEP_1) | instskip(NEXT) | instid1(VALU_DEP_1)
	v_lshlrev_b64_e32 v[2:3], 3, v[40:41]
	v_add_co_u32 v2, vcc_lo, s34, v2
	s_wait_alu 0xfffd
	s_delay_alu instid0(VALU_DEP_2)
	v_add_co_ci_u32_e64 v3, null, s35, v3, vcc_lo
	s_and_saveexec_b32 s8, s0
	s_cbranch_execnz .LBB206_118
; %bb.102:
	s_wait_alu 0xfffe
	s_or_b32 exec_lo, exec_lo, s8
	s_and_saveexec_b32 s0, s1
	s_cbranch_execnz .LBB206_119
.LBB206_103:
	s_or_b32 exec_lo, exec_lo, s0
	s_and_saveexec_b32 s0, s2
	s_cbranch_execnz .LBB206_120
.LBB206_104:
	s_or_b32 exec_lo, exec_lo, s0
	s_and_saveexec_b32 s0, s3
	s_cbranch_execnz .LBB206_121
.LBB206_105:
	s_or_b32 exec_lo, exec_lo, s0
	s_and_saveexec_b32 s0, s4
	s_cbranch_execnz .LBB206_122
.LBB206_106:
	s_or_b32 exec_lo, exec_lo, s0
	s_and_saveexec_b32 s0, s5
	s_cbranch_execnz .LBB206_123
.LBB206_107:
	s_or_b32 exec_lo, exec_lo, s0
	s_and_saveexec_b32 s0, s6
	s_cbranch_execnz .LBB206_124
.LBB206_108:
	s_or_b32 exec_lo, exec_lo, s0
	s_and_saveexec_b32 s0, s7
	s_cbranch_execz .LBB206_110
.LBB206_109:
	s_mul_i32 s0, s28, 0x700
	s_mov_b32 s1, 0
	s_delay_alu instid0(SALU_CYCLE_1) | instskip(NEXT) | instid1(SALU_CYCLE_1)
	s_lshl_b64 s[0:1], s[0:1], 3
	v_add_co_u32 v2, vcc_lo, v2, s0
	s_wait_alu 0xfffd
	v_add_co_ci_u32_e64 v3, null, s1, v3, vcc_lo
	s_wait_dscnt 0x0
	global_store_b64 v[2:3], v[0:1], off
.LBB206_110:
	s_nop 0
	s_sendmsg sendmsg(MSG_DEALLOC_VGPRS)
	s_endpgm
.LBB206_111:
	ds_load_b32 v9, v72
	s_wait_dscnt 0x0
	global_store_b32 v[0:1], v9, off
	s_wait_alu 0xfffe
	s_or_b32 exec_lo, exec_lo, s8
	s_and_saveexec_b32 s8, s1
	s_cbranch_execz .LBB206_94
.LBB206_112:
	s_lshl_b32 s10, s22, 8
	s_mov_b32 s11, 0
	s_wait_alu 0xfffe
	s_lshl_b64 s[10:11], s[10:11], 2
	s_wait_alu 0xfffe
	v_add_co_u32 v9, vcc_lo, v0, s10
	s_wait_alu 0xfffd
	v_add_co_ci_u32_e64 v10, null, s11, v1, vcc_lo
	s_wait_dscnt 0x6
	global_store_b32 v[9:10], v8, off
	s_or_b32 exec_lo, exec_lo, s8
	s_and_saveexec_b32 s8, s2
	s_cbranch_execz .LBB206_95
.LBB206_113:
	s_lshl_b32 s10, s22, 9
	s_mov_b32 s11, 0
	s_wait_alu 0xfffe
	s_lshl_b64 s[10:11], s[10:11], 2
	s_wait_dscnt 0x6
	s_wait_alu 0xfffe
	v_add_co_u32 v8, vcc_lo, v0, s10
	s_wait_alu 0xfffd
	v_add_co_ci_u32_e64 v9, null, s11, v1, vcc_lo
	s_wait_dscnt 0x5
	global_store_b32 v[8:9], v7, off
	s_or_b32 exec_lo, exec_lo, s8
	s_and_saveexec_b32 s8, s3
	s_cbranch_execz .LBB206_96
.LBB206_114:
	s_mul_i32 s10, s22, 0x300
	s_mov_b32 s11, 0
	s_wait_alu 0xfffe
	s_lshl_b64 s[10:11], s[10:11], 2
	s_wait_dscnt 0x5
	s_wait_alu 0xfffe
	v_add_co_u32 v7, vcc_lo, v0, s10
	s_wait_alu 0xfffd
	v_add_co_ci_u32_e64 v8, null, s11, v1, vcc_lo
	s_wait_dscnt 0x4
	global_store_b32 v[7:8], v6, off
	s_or_b32 exec_lo, exec_lo, s8
	s_and_saveexec_b32 s8, s4
	s_cbranch_execz .LBB206_97
.LBB206_115:
	s_lshl_b32 s10, s22, 10
	s_mov_b32 s11, 0
	s_wait_alu 0xfffe
	s_lshl_b64 s[10:11], s[10:11], 2
	s_wait_dscnt 0x4
	s_wait_alu 0xfffe
	v_add_co_u32 v6, vcc_lo, v0, s10
	s_wait_alu 0xfffd
	v_add_co_ci_u32_e64 v7, null, s11, v1, vcc_lo
	s_wait_dscnt 0x3
	global_store_b32 v[6:7], v5, off
	s_or_b32 exec_lo, exec_lo, s8
	s_and_saveexec_b32 s8, s5
	s_cbranch_execz .LBB206_98
.LBB206_116:
	s_mul_i32 s10, s22, 0x500
	s_mov_b32 s11, 0
	s_wait_alu 0xfffe
	s_lshl_b64 s[10:11], s[10:11], 2
	s_wait_dscnt 0x3
	s_wait_alu 0xfffe
	v_add_co_u32 v5, vcc_lo, v0, s10
	s_wait_alu 0xfffd
	v_add_co_ci_u32_e64 v6, null, s11, v1, vcc_lo
	s_wait_dscnt 0x2
	global_store_b32 v[5:6], v4, off
	s_or_b32 exec_lo, exec_lo, s8
	s_and_saveexec_b32 s8, s6
	s_cbranch_execz .LBB206_99
.LBB206_117:
	s_mul_i32 s10, s22, 0x600
	s_mov_b32 s11, 0
	s_wait_alu 0xfffe
	s_lshl_b64 s[10:11], s[10:11], 2
	s_wait_dscnt 0x2
	s_wait_alu 0xfffe
	v_add_co_u32 v4, vcc_lo, v0, s10
	s_wait_alu 0xfffd
	v_add_co_ci_u32_e64 v5, null, s11, v1, vcc_lo
	s_wait_dscnt 0x1
	global_store_b32 v[4:5], v3, off
	s_or_b32 exec_lo, exec_lo, s8
	s_and_saveexec_b32 s8, s7
	s_cbranch_execnz .LBB206_100
	s_branch .LBB206_101
.LBB206_118:
	ds_load_b64 v[16:17], v80
	s_wait_dscnt 0x0
	global_store_b64 v[2:3], v[16:17], off
	s_wait_alu 0xfffe
	s_or_b32 exec_lo, exec_lo, s8
	s_and_saveexec_b32 s0, s1
	s_cbranch_execz .LBB206_103
.LBB206_119:
	s_lshl_b32 s8, s28, 8
	s_mov_b32 s9, 0
	s_wait_alu 0xfffe
	s_lshl_b64 s[8:9], s[8:9], 3
	s_wait_alu 0xfffe
	v_add_co_u32 v16, vcc_lo, v2, s8
	s_wait_alu 0xfffd
	v_add_co_ci_u32_e64 v17, null, s9, v3, vcc_lo
	s_wait_dscnt 0x6
	global_store_b64 v[16:17], v[14:15], off
	s_or_b32 exec_lo, exec_lo, s0
	s_and_saveexec_b32 s0, s2
	s_cbranch_execz .LBB206_104
.LBB206_120:
	s_lshl_b32 s8, s28, 9
	s_mov_b32 s9, 0
	s_wait_alu 0xfffe
	s_lshl_b64 s[8:9], s[8:9], 3
	s_wait_dscnt 0x6
	s_wait_alu 0xfffe
	v_add_co_u32 v14, vcc_lo, v2, s8
	s_wait_alu 0xfffd
	v_add_co_ci_u32_e64 v15, null, s9, v3, vcc_lo
	s_wait_dscnt 0x5
	global_store_b64 v[14:15], v[12:13], off
	s_or_b32 exec_lo, exec_lo, s0
	s_and_saveexec_b32 s0, s3
	s_cbranch_execz .LBB206_105
.LBB206_121:
	s_mul_i32 s2, s28, 0x300
	s_mov_b32 s3, 0
	s_wait_alu 0xfffe
	s_lshl_b64 s[2:3], s[2:3], 3
	s_wait_dscnt 0x5
	s_wait_alu 0xfffe
	v_add_co_u32 v12, vcc_lo, v2, s2
	s_wait_alu 0xfffd
	v_add_co_ci_u32_e64 v13, null, s3, v3, vcc_lo
	s_wait_dscnt 0x4
	global_store_b64 v[12:13], v[10:11], off
	s_or_b32 exec_lo, exec_lo, s0
	s_and_saveexec_b32 s0, s4
	s_cbranch_execz .LBB206_106
.LBB206_122:
	s_lshl_b32 s2, s28, 10
	s_mov_b32 s3, 0
	s_wait_alu 0xfffe
	s_lshl_b64 s[2:3], s[2:3], 3
	s_wait_dscnt 0x4
	s_wait_alu 0xfffe
	v_add_co_u32 v10, vcc_lo, v2, s2
	s_wait_alu 0xfffd
	v_add_co_ci_u32_e64 v11, null, s3, v3, vcc_lo
	s_wait_dscnt 0x3
	global_store_b64 v[10:11], v[8:9], off
	s_or_b32 exec_lo, exec_lo, s0
	s_and_saveexec_b32 s0, s5
	s_cbranch_execz .LBB206_107
.LBB206_123:
	s_mul_i32 s2, s28, 0x500
	s_mov_b32 s3, 0
	s_wait_alu 0xfffe
	s_lshl_b64 s[2:3], s[2:3], 3
	s_wait_dscnt 0x3
	s_wait_alu 0xfffe
	v_add_co_u32 v8, vcc_lo, v2, s2
	s_wait_alu 0xfffd
	v_add_co_ci_u32_e64 v9, null, s3, v3, vcc_lo
	s_wait_dscnt 0x2
	global_store_b64 v[8:9], v[6:7], off
	s_or_b32 exec_lo, exec_lo, s0
	s_and_saveexec_b32 s0, s6
	s_cbranch_execz .LBB206_108
.LBB206_124:
	s_mul_i32 s2, s28, 0x600
	s_mov_b32 s3, 0
	s_wait_alu 0xfffe
	s_lshl_b64 s[2:3], s[2:3], 3
	s_wait_dscnt 0x2
	s_wait_alu 0xfffe
	v_add_co_u32 v6, vcc_lo, v2, s2
	s_wait_alu 0xfffd
	v_add_co_ci_u32_e64 v7, null, s3, v3, vcc_lo
	s_wait_dscnt 0x1
	global_store_b64 v[6:7], v[4:5], off
	s_or_b32 exec_lo, exec_lo, s0
	s_and_saveexec_b32 s0, s7
	s_cbranch_execnz .LBB206_109
	s_branch .LBB206_110
	.section	.rodata,"a",@progbits
	.p2align	6, 0x0
	.amdhsa_kernel _ZN2at6native18radixSortKVInPlaceILi2ELin1ELi256ELi8EfljEEvNS_4cuda6detail10TensorInfoIT3_T5_EES6_S6_S6_NS4_IT4_S6_EES6_b
		.amdhsa_group_segment_fixed_size 16896
		.amdhsa_private_segment_fixed_size 0
		.amdhsa_kernarg_size 712
		.amdhsa_user_sgpr_count 2
		.amdhsa_user_sgpr_dispatch_ptr 0
		.amdhsa_user_sgpr_queue_ptr 0
		.amdhsa_user_sgpr_kernarg_segment_ptr 1
		.amdhsa_user_sgpr_dispatch_id 0
		.amdhsa_user_sgpr_private_segment_size 0
		.amdhsa_wavefront_size32 1
		.amdhsa_uses_dynamic_stack 0
		.amdhsa_enable_private_segment 0
		.amdhsa_system_sgpr_workgroup_id_x 1
		.amdhsa_system_sgpr_workgroup_id_y 1
		.amdhsa_system_sgpr_workgroup_id_z 1
		.amdhsa_system_sgpr_workgroup_info 0
		.amdhsa_system_vgpr_workitem_id 2
		.amdhsa_next_free_vgpr 121
		.amdhsa_next_free_sgpr 38
		.amdhsa_reserve_vcc 1
		.amdhsa_float_round_mode_32 0
		.amdhsa_float_round_mode_16_64 0
		.amdhsa_float_denorm_mode_32 3
		.amdhsa_float_denorm_mode_16_64 3
		.amdhsa_fp16_overflow 0
		.amdhsa_workgroup_processor_mode 1
		.amdhsa_memory_ordered 1
		.amdhsa_forward_progress 1
		.amdhsa_inst_pref_size 122
		.amdhsa_round_robin_scheduling 0
		.amdhsa_exception_fp_ieee_invalid_op 0
		.amdhsa_exception_fp_denorm_src 0
		.amdhsa_exception_fp_ieee_div_zero 0
		.amdhsa_exception_fp_ieee_overflow 0
		.amdhsa_exception_fp_ieee_underflow 0
		.amdhsa_exception_fp_ieee_inexact 0
		.amdhsa_exception_int_div_zero 0
	.end_amdhsa_kernel
	.section	.text._ZN2at6native18radixSortKVInPlaceILi2ELin1ELi256ELi8EfljEEvNS_4cuda6detail10TensorInfoIT3_T5_EES6_S6_S6_NS4_IT4_S6_EES6_b,"axG",@progbits,_ZN2at6native18radixSortKVInPlaceILi2ELin1ELi256ELi8EfljEEvNS_4cuda6detail10TensorInfoIT3_T5_EES6_S6_S6_NS4_IT4_S6_EES6_b,comdat
.Lfunc_end206:
	.size	_ZN2at6native18radixSortKVInPlaceILi2ELin1ELi256ELi8EfljEEvNS_4cuda6detail10TensorInfoIT3_T5_EES6_S6_S6_NS4_IT4_S6_EES6_b, .Lfunc_end206-_ZN2at6native18radixSortKVInPlaceILi2ELin1ELi256ELi8EfljEEvNS_4cuda6detail10TensorInfoIT3_T5_EES6_S6_S6_NS4_IT4_S6_EES6_b
                                        ; -- End function
	.set _ZN2at6native18radixSortKVInPlaceILi2ELin1ELi256ELi8EfljEEvNS_4cuda6detail10TensorInfoIT3_T5_EES6_S6_S6_NS4_IT4_S6_EES6_b.num_vgpr, 121
	.set _ZN2at6native18radixSortKVInPlaceILi2ELin1ELi256ELi8EfljEEvNS_4cuda6detail10TensorInfoIT3_T5_EES6_S6_S6_NS4_IT4_S6_EES6_b.num_agpr, 0
	.set _ZN2at6native18radixSortKVInPlaceILi2ELin1ELi256ELi8EfljEEvNS_4cuda6detail10TensorInfoIT3_T5_EES6_S6_S6_NS4_IT4_S6_EES6_b.numbered_sgpr, 38
	.set _ZN2at6native18radixSortKVInPlaceILi2ELin1ELi256ELi8EfljEEvNS_4cuda6detail10TensorInfoIT3_T5_EES6_S6_S6_NS4_IT4_S6_EES6_b.num_named_barrier, 0
	.set _ZN2at6native18radixSortKVInPlaceILi2ELin1ELi256ELi8EfljEEvNS_4cuda6detail10TensorInfoIT3_T5_EES6_S6_S6_NS4_IT4_S6_EES6_b.private_seg_size, 0
	.set _ZN2at6native18radixSortKVInPlaceILi2ELin1ELi256ELi8EfljEEvNS_4cuda6detail10TensorInfoIT3_T5_EES6_S6_S6_NS4_IT4_S6_EES6_b.uses_vcc, 1
	.set _ZN2at6native18radixSortKVInPlaceILi2ELin1ELi256ELi8EfljEEvNS_4cuda6detail10TensorInfoIT3_T5_EES6_S6_S6_NS4_IT4_S6_EES6_b.uses_flat_scratch, 0
	.set _ZN2at6native18radixSortKVInPlaceILi2ELin1ELi256ELi8EfljEEvNS_4cuda6detail10TensorInfoIT3_T5_EES6_S6_S6_NS4_IT4_S6_EES6_b.has_dyn_sized_stack, 0
	.set _ZN2at6native18radixSortKVInPlaceILi2ELin1ELi256ELi8EfljEEvNS_4cuda6detail10TensorInfoIT3_T5_EES6_S6_S6_NS4_IT4_S6_EES6_b.has_recursion, 0
	.set _ZN2at6native18radixSortKVInPlaceILi2ELin1ELi256ELi8EfljEEvNS_4cuda6detail10TensorInfoIT3_T5_EES6_S6_S6_NS4_IT4_S6_EES6_b.has_indirect_call, 0
	.section	.AMDGPU.csdata,"",@progbits
; Kernel info:
; codeLenInByte = 15492
; TotalNumSgprs: 40
; NumVgprs: 121
; ScratchSize: 0
; MemoryBound: 0
; FloatMode: 240
; IeeeMode: 1
; LDSByteSize: 16896 bytes/workgroup (compile time only)
; SGPRBlocks: 0
; VGPRBlocks: 15
; NumSGPRsForWavesPerEU: 40
; NumVGPRsForWavesPerEU: 121
; Occupancy: 10
; WaveLimiterHint : 1
; COMPUTE_PGM_RSRC2:SCRATCH_EN: 0
; COMPUTE_PGM_RSRC2:USER_SGPR: 2
; COMPUTE_PGM_RSRC2:TRAP_HANDLER: 0
; COMPUTE_PGM_RSRC2:TGID_X_EN: 1
; COMPUTE_PGM_RSRC2:TGID_Y_EN: 1
; COMPUTE_PGM_RSRC2:TGID_Z_EN: 1
; COMPUTE_PGM_RSRC2:TIDIG_COMP_CNT: 2
	.section	.text._ZN2at6native18radixSortKVInPlaceILi2ELin1ELi128ELi8EfljEEvNS_4cuda6detail10TensorInfoIT3_T5_EES6_S6_S6_NS4_IT4_S6_EES6_b,"axG",@progbits,_ZN2at6native18radixSortKVInPlaceILi2ELin1ELi128ELi8EfljEEvNS_4cuda6detail10TensorInfoIT3_T5_EES6_S6_S6_NS4_IT4_S6_EES6_b,comdat
	.protected	_ZN2at6native18radixSortKVInPlaceILi2ELin1ELi128ELi8EfljEEvNS_4cuda6detail10TensorInfoIT3_T5_EES6_S6_S6_NS4_IT4_S6_EES6_b ; -- Begin function _ZN2at6native18radixSortKVInPlaceILi2ELin1ELi128ELi8EfljEEvNS_4cuda6detail10TensorInfoIT3_T5_EES6_S6_S6_NS4_IT4_S6_EES6_b
	.globl	_ZN2at6native18radixSortKVInPlaceILi2ELin1ELi128ELi8EfljEEvNS_4cuda6detail10TensorInfoIT3_T5_EES6_S6_S6_NS4_IT4_S6_EES6_b
	.p2align	8
	.type	_ZN2at6native18radixSortKVInPlaceILi2ELin1ELi128ELi8EfljEEvNS_4cuda6detail10TensorInfoIT3_T5_EES6_S6_S6_NS4_IT4_S6_EES6_b,@function
_ZN2at6native18radixSortKVInPlaceILi2ELin1ELi128ELi8EfljEEvNS_4cuda6detail10TensorInfoIT3_T5_EES6_S6_S6_NS4_IT4_S6_EES6_b: ; @_ZN2at6native18radixSortKVInPlaceILi2ELin1ELi128ELi8EfljEEvNS_4cuda6detail10TensorInfoIT3_T5_EES6_S6_S6_NS4_IT4_S6_EES6_b
; %bb.0:
	s_clause 0x1
	s_load_b64 s[2:3], s[0:1], 0x1c8
	s_load_b96 s[20:22], s[0:1], 0xd8
	s_lshr_b32 s4, ttmp7, 16
	s_wait_kmcnt 0x0
	s_mul_i32 s3, s3, s4
	s_and_b32 s4, ttmp7, 0xffff
	s_delay_alu instid0(SALU_CYCLE_1) | instskip(NEXT) | instid1(SALU_CYCLE_1)
	s_add_co_i32 s3, s3, s4
	s_mul_i32 s2, s3, s2
	s_delay_alu instid0(SALU_CYCLE_1) | instskip(NEXT) | instid1(SALU_CYCLE_1)
	s_add_co_i32 s2, s2, ttmp9
	s_cmp_ge_u32 s2, s20
	s_cbranch_scc1 .LBB207_110
; %bb.1:
	s_clause 0x2
	s_load_b32 s10, s[0:1], 0xc
	s_load_b64 s[4:5], s[0:1], 0x6c
	s_load_b32 s8, s[0:1], 0x1b8
	s_add_nc_u64 s[14:15], s[0:1], 0xe8
	s_mov_b32 s18, s2
	s_wait_kmcnt 0x0
	s_cvt_f32_u32 s3, s10
	s_delay_alu instid0(SALU_CYCLE_3) | instskip(NEXT) | instid1(TRANS32_DEP_1)
	v_rcp_iflag_f32_e32 v1, s3
	v_readfirstlane_b32 s3, v1
	s_mul_f32 s3, s3, 0x4f7ffffe
	s_wait_alu 0xfffe
	s_delay_alu instid0(SALU_CYCLE_2) | instskip(SKIP_2) | instid1(SALU_CYCLE_1)
	s_cvt_u32_f32 s6, s3
	s_sub_co_i32 s3, 0, s10
	s_wait_alu 0xfffe
	s_mul_i32 s7, s3, s6
	s_mov_b32 s3, 0
	s_mul_hi_u32 s9, s6, s7
	s_wait_alu 0xfffe
	s_mov_b32 s7, s3
	s_add_co_i32 s6, s6, s9
	s_cmp_lt_i32 s8, 2
	s_mov_b32 s13, s3
	s_cbranch_scc1 .LBB207_4
; %bb.2:
	s_add_co_i32 s12, s8, -1
	s_mov_b32 s13, 0
	s_add_co_i32 s11, s8, 1
	s_lshl_b64 s[16:17], s[12:13], 2
	s_mov_b32 s18, s2
	s_add_nc_u64 s[16:17], s[14:15], s[16:17]
	s_delay_alu instid0(SALU_CYCLE_1)
	s_add_nc_u64 s[8:9], s[16:17], 8
.LBB207_3:                              ; =>This Inner Loop Header: Depth=1
	s_clause 0x1
	s_load_b32 s12, s[8:9], 0x0
	s_load_b32 s16, s[8:9], 0x64
	s_mov_b32 s20, s18
	s_add_nc_u64 s[8:9], s[8:9], -4
	s_wait_kmcnt 0x0
	s_cvt_f32_u32 s17, s12
	s_sub_co_i32 s19, 0, s12
	s_wait_alu 0xfffe
	s_delay_alu instid0(SALU_CYCLE_1) | instskip(NEXT) | instid1(TRANS32_DEP_1)
	v_rcp_iflag_f32_e32 v1, s17
	v_readfirstlane_b32 s17, v1
	s_mul_f32 s17, s17, 0x4f7ffffe
	s_wait_alu 0xfffe
	s_delay_alu instid0(SALU_CYCLE_2) | instskip(SKIP_1) | instid1(SALU_CYCLE_2)
	s_cvt_u32_f32 s17, s17
	s_wait_alu 0xfffe
	s_mul_i32 s19, s19, s17
	s_delay_alu instid0(SALU_CYCLE_1) | instskip(NEXT) | instid1(SALU_CYCLE_1)
	s_mul_hi_u32 s19, s17, s19
	s_add_co_i32 s17, s17, s19
	s_wait_alu 0xfffe
	s_mul_hi_u32 s17, s18, s17
	s_wait_alu 0xfffe
	s_mul_i32 s18, s17, s12
	s_add_co_i32 s19, s17, 1
	s_sub_co_i32 s18, s20, s18
	s_delay_alu instid0(SALU_CYCLE_1)
	s_sub_co_i32 s23, s18, s12
	s_cmp_ge_u32 s18, s12
	s_cselect_b32 s17, s19, s17
	s_cselect_b32 s18, s23, s18
	s_wait_alu 0xfffe
	s_add_co_i32 s19, s17, 1
	s_cmp_ge_u32 s18, s12
	s_cselect_b32 s18, s19, s17
	s_add_co_i32 s11, s11, -1
	s_mul_i32 s12, s18, s12
	s_delay_alu instid0(SALU_CYCLE_1) | instskip(NEXT) | instid1(SALU_CYCLE_1)
	s_sub_co_i32 s12, s20, s12
	s_mul_i32 s12, s16, s12
	s_delay_alu instid0(SALU_CYCLE_1)
	s_add_co_i32 s13, s12, s13
	s_cmp_gt_u32 s11, 2
	s_cbranch_scc1 .LBB207_3
.LBB207_4:
	s_mul_u64 s[6:7], s[2:3], s[6:7]
	s_clause 0x1
	s_load_b64 s[16:17], s[0:1], 0x0
	s_load_b64 s[28:29], s[0:1], 0x1c0
	s_mul_i32 s3, s7, s10
	s_add_nc_u64 s[36:37], s[0:1], 0x1c8
	s_wait_alu 0xfffe
	s_sub_co_i32 s0, s2, s3
	s_add_co_i32 s1, s7, 1
	s_sub_co_i32 s3, s0, s10
	s_cmp_ge_u32 s0, s10
	s_cselect_b32 s1, s1, s7
	s_wait_alu 0xfffe
	s_cselect_b32 s0, s3, s0
	s_add_co_i32 s3, s1, 1
	s_cmp_ge_u32 s0, s10
	s_wait_alu 0xfffe
	s_cselect_b32 s0, s3, s1
	s_mov_b32 s3, 0
	s_mul_i32 s1, s0, s10
	s_mul_i32 s0, s0, s4
	s_sub_co_i32 s1, s2, s1
	s_delay_alu instid0(SALU_CYCLE_1) | instskip(NEXT) | instid1(SALU_CYCLE_1)
	s_mul_i32 s1, s1, s5
	s_add_co_i32 s2, s0, s1
	s_wait_kmcnt 0x0
	s_bitcmp1_b32 s29, 0
	s_cselect_b32 s12, -1, 0
	s_delay_alu instid0(SALU_CYCLE_1)
	s_and_b32 s0, s12, exec_lo
	s_cselect_b32 s4, -1, 0x7fffffff
	s_wait_alu 0xfffe
	s_lshl_b64 s[2:3], s[2:3], 2
	s_mov_b32 s5, s4
	s_mov_b32 s6, s4
	;; [unrolled: 1-line block ×7, first 2 shown]
	v_and_b32_e32 v45, 0x3ff, v0
	v_dual_mov_b32 v1, s4 :: v_dual_mov_b32 v4, s7
	v_dual_mov_b32 v2, s5 :: v_dual_mov_b32 v3, s6
	v_mov_b32_e32 v6, s9
	s_delay_alu instid0(VALU_DEP_4)
	v_mul_lo_u32 v43, s22, v45
	v_cmp_gt_u32_e64 s0, s21, v45
	v_dual_mov_b32 v5, s8 :: v_dual_mov_b32 v8, s11
	v_mov_b32_e32 v7, s10
	v_mov_b32_e32 v9, s4
	s_wait_alu 0xfffe
	s_add_nc_u64 s[30:31], s[16:17], s[2:3]
	s_and_saveexec_b32 s1, s0
	s_cbranch_execz .LBB207_6
; %bb.5:
	v_mov_b32_e32 v44, 0
	s_delay_alu instid0(VALU_DEP_1) | instskip(NEXT) | instid1(VALU_DEP_1)
	v_lshlrev_b64_e32 v[1:2], 2, v[43:44]
	v_add_co_u32 v1, vcc_lo, s30, v1
	s_delay_alu instid0(VALU_DEP_1)
	v_add_co_ci_u32_e64 v2, null, s31, v2, vcc_lo
	global_load_b32 v9, v[1:2], off
	v_dual_mov_b32 v1, s4 :: v_dual_mov_b32 v2, s5
	v_dual_mov_b32 v3, s6 :: v_dual_mov_b32 v4, s7
	;; [unrolled: 1-line block ×4, first 2 shown]
.LBB207_6:
	s_or_b32 exec_lo, exec_lo, s1
	v_add_nc_u32_e32 v15, 0x80, v45
	s_delay_alu instid0(VALU_DEP_1)
	v_cmp_gt_u32_e64 s1, s21, v15
	s_and_saveexec_b32 s2, s1
	s_cbranch_execz .LBB207_8
; %bb.7:
	v_mul_lo_u32 v1, s22, v15
	v_mov_b32_e32 v2, 0
	s_delay_alu instid0(VALU_DEP_1) | instskip(NEXT) | instid1(VALU_DEP_1)
	v_lshlrev_b64_e32 v[1:2], 2, v[1:2]
	v_add_co_u32 v1, vcc_lo, s30, v1
	s_wait_alu 0xfffd
	s_delay_alu instid0(VALU_DEP_2)
	v_add_co_ci_u32_e64 v2, null, s31, v2, vcc_lo
	global_load_b32 v2, v[1:2], off
.LBB207_8:
	s_wait_alu 0xfffe
	s_or_b32 exec_lo, exec_lo, s2
	v_add_nc_u32_e32 v16, 0x100, v45
	s_delay_alu instid0(VALU_DEP_1)
	v_cmp_gt_u32_e64 s2, s21, v16
	s_and_saveexec_b32 s3, s2
	s_cbranch_execz .LBB207_10
; %bb.9:
	v_mul_lo_u32 v10, s22, v16
	v_mov_b32_e32 v11, 0
	s_delay_alu instid0(VALU_DEP_1) | instskip(NEXT) | instid1(VALU_DEP_1)
	v_lshlrev_b64_e32 v[10:11], 2, v[10:11]
	v_add_co_u32 v10, vcc_lo, s30, v10
	s_wait_alu 0xfffd
	s_delay_alu instid0(VALU_DEP_2)
	v_add_co_ci_u32_e64 v11, null, s31, v11, vcc_lo
	global_load_b32 v3, v[10:11], off
.LBB207_10:
	s_wait_alu 0xfffe
	s_or_b32 exec_lo, exec_lo, s3
	v_add_nc_u32_e32 v17, 0x180, v45
	s_delay_alu instid0(VALU_DEP_1)
	v_cmp_gt_u32_e64 s3, s21, v17
	s_and_saveexec_b32 s4, s3
	s_cbranch_execz .LBB207_12
; %bb.11:
	v_mul_lo_u32 v10, s22, v17
	v_mov_b32_e32 v11, 0
	s_delay_alu instid0(VALU_DEP_1) | instskip(NEXT) | instid1(VALU_DEP_1)
	v_lshlrev_b64_e32 v[10:11], 2, v[10:11]
	v_add_co_u32 v10, vcc_lo, s30, v10
	s_wait_alu 0xfffd
	s_delay_alu instid0(VALU_DEP_2)
	v_add_co_ci_u32_e64 v11, null, s31, v11, vcc_lo
	global_load_b32 v4, v[10:11], off
.LBB207_12:
	s_wait_alu 0xfffe
	s_or_b32 exec_lo, exec_lo, s4
	v_add_nc_u32_e32 v18, 0x200, v45
	s_delay_alu instid0(VALU_DEP_1)
	v_cmp_gt_u32_e64 s4, s21, v18
	s_and_saveexec_b32 s5, s4
	s_cbranch_execz .LBB207_14
; %bb.13:
	v_mul_lo_u32 v10, s22, v18
	v_mov_b32_e32 v11, 0
	s_delay_alu instid0(VALU_DEP_1) | instskip(NEXT) | instid1(VALU_DEP_1)
	v_lshlrev_b64_e32 v[10:11], 2, v[10:11]
	v_add_co_u32 v10, vcc_lo, s30, v10
	s_wait_alu 0xfffd
	s_delay_alu instid0(VALU_DEP_2)
	v_add_co_ci_u32_e64 v11, null, s31, v11, vcc_lo
	global_load_b32 v5, v[10:11], off
.LBB207_14:
	s_wait_alu 0xfffe
	s_or_b32 exec_lo, exec_lo, s5
	v_add_nc_u32_e32 v19, 0x280, v45
	s_delay_alu instid0(VALU_DEP_1)
	v_cmp_gt_u32_e64 s5, s21, v19
	s_and_saveexec_b32 s6, s5
	s_cbranch_execz .LBB207_16
; %bb.15:
	v_mul_lo_u32 v10, s22, v19
	v_mov_b32_e32 v11, 0
	s_delay_alu instid0(VALU_DEP_1) | instskip(NEXT) | instid1(VALU_DEP_1)
	v_lshlrev_b64_e32 v[10:11], 2, v[10:11]
	v_add_co_u32 v10, vcc_lo, s30, v10
	s_wait_alu 0xfffd
	s_delay_alu instid0(VALU_DEP_2)
	v_add_co_ci_u32_e64 v11, null, s31, v11, vcc_lo
	global_load_b32 v6, v[10:11], off
.LBB207_16:
	s_wait_alu 0xfffe
	s_or_b32 exec_lo, exec_lo, s6
	v_add_nc_u32_e32 v20, 0x300, v45
	s_delay_alu instid0(VALU_DEP_1)
	v_cmp_gt_u32_e64 s6, s21, v20
	s_and_saveexec_b32 s7, s6
	s_cbranch_execz .LBB207_18
; %bb.17:
	v_mul_lo_u32 v10, s22, v20
	v_mov_b32_e32 v11, 0
	s_delay_alu instid0(VALU_DEP_1) | instskip(NEXT) | instid1(VALU_DEP_1)
	v_lshlrev_b64_e32 v[10:11], 2, v[10:11]
	v_add_co_u32 v10, vcc_lo, s30, v10
	s_wait_alu 0xfffd
	s_delay_alu instid0(VALU_DEP_2)
	v_add_co_ci_u32_e64 v11, null, s31, v11, vcc_lo
	global_load_b32 v7, v[10:11], off
.LBB207_18:
	s_wait_alu 0xfffe
	s_or_b32 exec_lo, exec_lo, s7
	s_clause 0x1
	s_load_b32 s10, s[14:15], 0x6c
	s_load_b64 s[8:9], s[14:15], 0x0
	v_add_nc_u32_e32 v21, 0x380, v45
	s_delay_alu instid0(VALU_DEP_1)
	v_cmp_gt_u32_e64 s7, s21, v21
	s_and_saveexec_b32 s11, s7
	s_cbranch_execz .LBB207_20
; %bb.19:
	v_mul_lo_u32 v10, s22, v21
	v_mov_b32_e32 v11, 0
	s_delay_alu instid0(VALU_DEP_1) | instskip(NEXT) | instid1(VALU_DEP_1)
	v_lshlrev_b64_e32 v[10:11], 2, v[10:11]
	v_add_co_u32 v10, vcc_lo, s30, v10
	s_wait_alu 0xfffd
	s_delay_alu instid0(VALU_DEP_2)
	v_add_co_ci_u32_e64 v11, null, s31, v11, vcc_lo
	global_load_b32 v8, v[10:11], off
.LBB207_20:
	s_wait_alu 0xfffe
	s_or_b32 exec_lo, exec_lo, s11
	v_lshrrev_b32_e32 v1, 5, v15
	v_lshrrev_b32_e32 v24, 5, v45
	;; [unrolled: 1-line block ×3, first 2 shown]
	s_wait_kmcnt 0x0
	s_mul_i32 s10, s10, s18
	v_mul_lo_u32 v40, s28, v45
	v_add_nc_u32_e32 v25, v1, v45
	v_lshrrev_b32_e32 v1, 5, v17
	v_dual_mov_b32 v41, 0 :: v_dual_add_nc_u32 v26, v24, v45
	v_lshlrev_b32_e32 v91, 3, v45
	v_add_nc_u32_e32 v22, v10, v45
	s_delay_alu instid0(VALU_DEP_4) | instskip(SKIP_2) | instid1(VALU_DEP_4)
	v_add_nc_u32_e32 v23, v1, v45
	v_lshrrev_b32_e32 v1, 5, v18
	v_lshlrev_b32_e32 v72, 2, v26
	v_dual_mov_b32 v42, v41 :: v_dual_lshlrev_b32 v73, 2, v22
	s_delay_alu instid0(VALU_DEP_4) | instskip(NEXT) | instid1(VALU_DEP_4)
	v_lshlrev_b32_e32 v74, 2, v23
	v_add_nc_u32_e32 v27, v1, v45
	v_lshrrev_b32_e32 v1, 5, v19
	s_mov_b32 s11, 0
	v_mov_b32_e32 v10, v41
	s_wait_alu 0xfffe
	s_add_co_i32 s10, s10, s13
	v_lshlrev_b32_e32 v75, 2, v27
	v_add_nc_u32_e32 v31, v1, v45
	v_lshrrev_b32_e32 v1, 2, v45
	v_mov_b32_e32 v13, 0
	v_mov_b32_e32 v14, 0
	v_lshlrev_b32_e32 v44, 2, v25
	v_dual_mov_b32 v11, v41 :: v_dual_lshlrev_b32 v76, 2, v31
	v_add_nc_u32_e32 v30, v1, v91
	v_mov_b32_e32 v1, v41
	s_wait_loadcnt 0x0
	ds_store_b32 v72, v9
	ds_store_b32 v44, v2 offset:512
	ds_store_b32 v73, v3 offset:1024
	v_lshrrev_b32_e32 v2, 5, v20
	v_lshrrev_b32_e32 v3, 5, v21
	v_lshlrev_b32_e32 v79, 2, v30
	ds_store_b32 v74, v4 offset:1536
	ds_store_b32 v75, v5 offset:2048
	v_dual_mov_b32 v2, v41 :: v_dual_add_nc_u32 v29, v2, v45
	v_dual_mov_b32 v9, v41 :: v_dual_add_nc_u32 v28, v3, v45
	v_mov_b32_e32 v3, v41
	s_delay_alu instid0(VALU_DEP_3) | instskip(NEXT) | instid1(VALU_DEP_3)
	v_dual_mov_b32 v4, v41 :: v_dual_lshlrev_b32 v77, 2, v29
	v_lshlrev_b32_e32 v78, 2, v28
	ds_store_b32 v76, v6 offset:2560
	ds_store_b32 v77, v7 offset:3072
	;; [unrolled: 1-line block ×3, first 2 shown]
	s_wait_dscnt 0x0
	s_barrier_signal -1
	s_barrier_wait -1
	global_inv scope:SCOPE_SE
	v_mov_b32_e32 v8, v41
	ds_load_2addr_b32 v[52:53], v79 offset1:1
	ds_load_2addr_b32 v[50:51], v79 offset0:2 offset1:3
	ds_load_2addr_b32 v[48:49], v79 offset0:4 offset1:5
	;; [unrolled: 1-line block ×3, first 2 shown]
	v_dual_mov_b32 v5, v41 :: v_dual_mov_b32 v6, v41
	v_dual_mov_b32 v7, v41 :: v_dual_mov_b32 v12, v41
	s_wait_alu 0xfffe
	s_lshl_b64 s[10:11], s[10:11], 3
	s_wait_loadcnt_dscnt 0x0
	s_wait_alu 0xfffe
	s_add_nc_u64 s[34:35], s[8:9], s[10:11]
	s_barrier_signal -1
	s_barrier_wait -1
	global_inv scope:SCOPE_SE
	s_and_saveexec_b32 s8, s0
	s_cbranch_execnz .LBB207_56
; %bb.21:
	s_wait_alu 0xfffe
	s_or_b32 exec_lo, exec_lo, s8
	s_and_saveexec_b32 s8, s1
	s_cbranch_execnz .LBB207_57
.LBB207_22:
	s_wait_alu 0xfffe
	s_or_b32 exec_lo, exec_lo, s8
	s_and_saveexec_b32 s8, s2
	s_cbranch_execnz .LBB207_58
.LBB207_23:
	s_wait_alu 0xfffe
	s_or_b32 exec_lo, exec_lo, s8
	s_and_saveexec_b32 s8, s3
	s_cbranch_execnz .LBB207_59
.LBB207_24:
	s_wait_alu 0xfffe
	s_or_b32 exec_lo, exec_lo, s8
	s_and_saveexec_b32 s8, s4
	s_cbranch_execnz .LBB207_60
.LBB207_25:
	s_wait_alu 0xfffe
	s_or_b32 exec_lo, exec_lo, s8
	s_and_saveexec_b32 s8, s5
	s_cbranch_execnz .LBB207_61
.LBB207_26:
	s_wait_alu 0xfffe
	s_or_b32 exec_lo, exec_lo, s8
	s_and_saveexec_b32 s8, s6
	s_cbranch_execnz .LBB207_62
.LBB207_27:
	s_wait_alu 0xfffe
	s_or_b32 exec_lo, exec_lo, s8
	s_xor_b32 s8, s12, -1
	s_and_saveexec_b32 s9, s7
	s_cbranch_execz .LBB207_29
.LBB207_28:
	v_mul_lo_u32 v11, s28, v21
	v_mov_b32_e32 v12, 0
	s_delay_alu instid0(VALU_DEP_1) | instskip(NEXT) | instid1(VALU_DEP_1)
	v_lshlrev_b64_e32 v[11:12], 3, v[11:12]
	v_add_co_u32 v11, vcc_lo, s34, v11
	s_wait_alu 0xfffd
	s_delay_alu instid0(VALU_DEP_2)
	v_add_co_ci_u32_e64 v12, null, s35, v12, vcc_lo
	global_load_b64 v[11:12], v[11:12], off
.LBB207_29:
	s_wait_alu 0xfffe
	s_or_b32 exec_lo, exec_lo, s9
	v_lshlrev_b32_e32 v80, 3, v26
	v_lshlrev_b32_e32 v83, 3, v23
	;; [unrolled: 1-line block ×9, first 2 shown]
	s_wait_loadcnt 0x0
	ds_store_b64 v80, v[13:14]
	ds_store_b64 v81, v[41:42] offset:1024
	ds_store_b64 v82, v[9:10] offset:2048
	;; [unrolled: 1-line block ×7, first 2 shown]
	s_wait_dscnt 0x0
	s_barrier_signal -1
	s_barrier_wait -1
	global_inv scope:SCOPE_SE
	ds_load_2addr_b64 v[20:23], v88 offset1:1
	ds_load_2addr_b64 v[16:19], v88 offset0:2 offset1:3
	ds_load_2addr_b64 v[12:15], v88 offset0:4 offset1:5
	;; [unrolled: 1-line block ×3, first 2 shown]
	s_and_b32 vcc_lo, exec_lo, s8
	v_bfe_u32 v95, v0, 10, 10
	v_bfe_u32 v96, v0, 20, 10
	v_mbcnt_lo_u32_b32 v93, -1, 0
	v_and_b32_e32 v94, 0x3e0, v45
	v_lshlrev_b32_e32 v89, 2, v91
	v_cmp_gt_u32_e64 s8, 4, v45
	v_cmp_lt_u32_e64 s9, 31, v45
	v_cmp_eq_u32_e64 s10, 0, v45
	v_lshlrev_b32_e32 v90, 2, v24
	v_mul_i32_i24_e32 v92, 0xffffffe4, v45
	s_wait_loadcnt_dscnt 0x0
	s_barrier_signal -1
	s_barrier_wait -1
	global_inv scope:SCOPE_SE
	s_wait_alu 0xfffe
	s_cbranch_vccz .LBB207_63
; %bb.30:
	v_cmp_lt_i32_e32 vcc_lo, -1, v52
	v_or_b32_e32 v7, v93, v94
	s_getpc_b64 s[12:13]
	s_sext_i32_i16 s13, s13
	s_add_co_u32 s12, s12, _ZN7rocprim17ROCPRIM_400000_NS16block_radix_sortIfLj128ELj8ElLj1ELj1ELj0ELNS0_26block_radix_rank_algorithmE1ELNS0_18block_padding_hintE2ELNS0_4arch9wavefront6targetE0EE19radix_bits_per_passE@rel32@lo+8
	s_add_co_ci_u32 s13, s13, _ZN7rocprim17ROCPRIM_400000_NS16block_radix_sortIfLj128ELj8ElLj1ELj1ELj0ELNS0_26block_radix_rank_algorithmE1ELNS0_18block_padding_hintE2ELNS0_4arch9wavefront6targetE0EE19radix_bits_per_passE@rel32@hi+16
	v_and_or_b32 v25, 0x1f00, v91, v93
	s_load_b32 s21, s[12:13], 0x0
	v_cndmask_b32_e64 v0, -1, 0x80000000, vcc_lo
	v_cmp_lt_i32_e32 vcc_lo, -1, v53
	v_lshlrev_b32_e32 v26, 5, v7
	s_mov_b32 s24, 0
	v_and_b32_e32 v36, 16, v93
	v_xor_b32_e32 v0, v0, v52
	s_wait_alu 0xfffd
	v_cndmask_b32_e64 v1, -1, 0x80000000, vcc_lo
	v_cmp_lt_i32_e32 vcc_lo, -1, v50
	s_mov_b32 s25, s24
	s_mov_b32 s26, s24
	;; [unrolled: 1-line block ×3, first 2 shown]
	v_xor_b32_e32 v1, v1, v53
	s_wait_alu 0xfffd
	v_cndmask_b32_e64 v2, -1, 0x80000000, vcc_lo
	v_cmp_lt_i32_e32 vcc_lo, -1, v51
	v_lshlrev_b32_e32 v97, 2, v25
	v_and_b32_e32 v37, 3, v93
	v_cmp_eq_u32_e64 s16, 0, v36
	v_xor_b32_e32 v2, v2, v50
	s_wait_alu 0xfffd
	v_cndmask_b32_e64 v3, -1, 0x80000000, vcc_lo
	v_cmp_lt_i32_e32 vcc_lo, -1, v48
	v_add_nc_u32_e32 v98, v97, v97
	v_add_nc_u32_e32 v101, v89, v92
	s_mov_b32 s23, 32
	v_xor_b32_e32 v3, v3, v51
	s_wait_alu 0xfffd
	v_cndmask_b32_e64 v4, -1, 0x80000000, vcc_lo
	v_cmp_lt_i32_e32 vcc_lo, -1, v49
	s_delay_alu instid0(VALU_DEP_2) | instskip(SKIP_3) | instid1(VALU_DEP_2)
	v_xor_b32_e32 v4, v4, v48
	s_wait_alu 0xfffd
	v_cndmask_b32_e64 v5, -1, 0x80000000, vcc_lo
	v_cmp_lt_i32_e32 vcc_lo, -1, v46
	v_xor_b32_e32 v5, v5, v49
	s_wait_alu 0xfffd
	v_cndmask_b32_e64 v6, -1, 0x80000000, vcc_lo
	v_cmp_lt_i32_e32 vcc_lo, -1, v47
	s_delay_alu instid0(VALU_DEP_2) | instskip(SKIP_2) | instid1(VALU_DEP_1)
	v_xor_b32_e32 v6, v6, v46
	s_wait_alu 0xfffd
	v_cndmask_b32_e64 v24, -1, 0x80000000, vcc_lo
	v_xor_b32_e32 v7, v24, v47
	ds_store_b128 v26, v[0:3]
	ds_store_b128 v26, v[4:7] offset:16
	v_sub_co_u32 v3, s12, v93, 1
	; wave barrier
	ds_load_2addr_b32 v[64:65], v97 offset1:32
	ds_load_2addr_b32 v[66:67], v97 offset0:64 offset1:96
	ds_load_2addr_b32 v[68:69], v97 offset0:128 offset1:160
	;; [unrolled: 1-line block ×3, first 2 shown]
	v_cmp_gt_i32_e32 vcc_lo, 0, v3
	s_wait_loadcnt_dscnt 0x0
	s_barrier_signal -1
	s_barrier_wait -1
	global_inv scope:SCOPE_SE
	s_wait_alu 0xfffd
	v_dual_cndmask_b32 v3, v3, v93 :: v_dual_add_nc_u32 v0, v26, v26
	ds_store_b128 v0, v[20:23]
	ds_store_b128 v0, v[16:19] offset:16
	ds_store_b128 v0, v[12:15] offset:32
	;; [unrolled: 1-line block ×3, first 2 shown]
	; wave barrier
	ds_load_2addr_b64 v[4:7], v98 offset1:32
	ds_load_2addr_b64 v[24:27], v98 offset0:64 offset1:96
	ds_load_2addr_b64 v[28:31], v98 offset0:128 offset1:160
	;; [unrolled: 1-line block ×3, first 2 shown]
	s_wait_loadcnt_dscnt 0x0
	s_barrier_signal -1
	s_barrier_wait -1
	global_inv scope:SCOPE_SE
	s_load_b32 s11, s[36:37], 0xc
	v_and_b32_e32 v2, 15, v93
	v_lshlrev_b32_e32 v99, 2, v3
	s_delay_alu instid0(VALU_DEP_2)
	v_cmp_lt_u32_e64 s13, 1, v2
	v_cmp_lt_u32_e64 s15, 7, v2
	s_wait_kmcnt 0x0
	s_lshr_b32 s14, s11, 16
	s_and_b32 s11, s11, 0xffff
	v_mad_u32_u24 v0, v96, s14, v95
	v_cmp_lt_u32_e64 s14, 3, v2
	s_wait_alu 0xfffe
	s_delay_alu instid0(VALU_DEP_2) | instskip(SKIP_2) | instid1(VALU_DEP_2)
	v_mad_co_u64_u32 v[0:1], null, v0, s11, v[45:46]
	v_min_u32_e32 v1, 0x60, v94
	v_cmp_eq_u32_e64 s11, 0, v2
	v_or_b32_e32 v1, 31, v1
	s_delay_alu instid0(VALU_DEP_4) | instskip(NEXT) | instid1(VALU_DEP_2)
	v_lshrrev_b32_e32 v0, 3, v0
	v_cmp_eq_u32_e64 s17, v45, v1
	s_delay_alu instid0(VALU_DEP_2)
	v_and_b32_e32 v100, 0x1ffffffc, v0
	v_dual_mov_b32 v0, s24 :: v_dual_mov_b32 v1, s25
	v_mov_b32_e32 v2, s26
	v_cmp_eq_u32_e64 s18, 0, v37
	v_cmp_lt_u32_e64 s19, 1, v37
	v_mov_b32_e32 v3, s27
	s_branch .LBB207_32
.LBB207_31:                             ;   in Loop: Header=BB207_32 Depth=1
	s_wait_alu 0xfffe
	s_and_not1_b32 vcc_lo, exec_lo, s20
	s_wait_alu 0xfffe
	s_cbranch_vccz .LBB207_64
.LBB207_32:                             ; =>This Inner Loop Header: Depth=1
	v_dual_mov_b32 v102, v64 :: v_dual_mov_b32 v103, v71
	s_min_u32 s20, s21, s23
	ds_store_b128 v89, v[0:3] offset:16
	ds_store_b128 v89, v[0:3] offset:32
	s_wait_alu 0xfffe
	s_lshl_b32 s20, -1, s20
	v_cmp_ne_u32_e32 vcc_lo, 0x7fffffff, v102
	s_wait_alu 0xfffe
	s_not_b32 s25, s20
	s_wait_loadcnt_dscnt 0x0
	s_barrier_signal -1
	s_barrier_wait -1
	s_wait_alu 0xfffd
	v_dual_cndmask_b32 v36, 0x80000000, v102 :: v_dual_mov_b32 v105, v69
	global_inv scope:SCOPE_SE
	; wave barrier
	v_lshrrev_b32_e32 v36, s24, v36
	v_mov_b32_e32 v107, v67
	v_dual_mov_b32 v109, v65 :: v_dual_mov_b32 v106, v68
	v_mov_b32_e32 v108, v66
	s_wait_alu 0xfffe
	v_and_b32_e32 v64, s25, v36
	v_dual_mov_b32 v104, v70 :: v_dual_mov_b32 v59, v25
	v_dual_mov_b32 v58, v24 :: v_dual_mov_b32 v61, v7
	s_delay_alu instid0(VALU_DEP_3)
	v_and_b32_e32 v36, 1, v64
	v_lshlrev_b32_e32 v37, 30, v64
	v_lshlrev_b32_e32 v38, 29, v64
	;; [unrolled: 1-line block ×4, first 2 shown]
	v_add_co_u32 v36, s20, v36, -1
	s_wait_alu 0xf1ff
	v_cndmask_b32_e64 v41, 0, 1, s20
	v_not_b32_e32 v56, v37
	v_cmp_gt_i32_e64 s20, 0, v37
	v_not_b32_e32 v37, v38
	v_lshlrev_b32_e32 v54, 26, v64
	v_cmp_ne_u32_e32 vcc_lo, 0, v41
	v_ashrrev_i32_e32 v56, 31, v56
	v_lshlrev_b32_e32 v55, 25, v64
	v_ashrrev_i32_e32 v37, 31, v37
	v_lshlrev_b32_e32 v41, 24, v64
	s_wait_alu 0xfffd
	v_xor_b32_e32 v36, vcc_lo, v36
	v_cmp_gt_i32_e32 vcc_lo, 0, v38
	v_not_b32_e32 v38, v39
	s_wait_alu 0xf1ff
	v_xor_b32_e32 v56, s20, v56
	v_cmp_gt_i32_e64 s20, 0, v39
	v_and_b32_e32 v36, exec_lo, v36
	v_not_b32_e32 v39, v42
	v_ashrrev_i32_e32 v38, 31, v38
	s_wait_alu 0xfffd
	v_xor_b32_e32 v37, vcc_lo, v37
	v_cmp_gt_i32_e32 vcc_lo, 0, v42
	v_and_b32_e32 v36, v36, v56
	v_not_b32_e32 v42, v54
	v_ashrrev_i32_e32 v39, 31, v39
	s_wait_alu 0xf1ff
	v_xor_b32_e32 v38, s20, v38
	v_cmp_gt_i32_e64 s20, 0, v54
	v_and_b32_e32 v36, v36, v37
	v_not_b32_e32 v37, v55
	v_ashrrev_i32_e32 v42, 31, v42
	s_wait_alu 0xfffd
	v_xor_b32_e32 v39, vcc_lo, v39
	v_cmp_gt_i32_e32 vcc_lo, 0, v55
	v_and_b32_e32 v36, v36, v38
	v_ashrrev_i32_e32 v37, 31, v37
	s_wait_alu 0xf1ff
	v_xor_b32_e32 v42, s20, v42
	v_dual_mov_b32 v55, v29 :: v_dual_mov_b32 v54, v28
	v_dual_mov_b32 v63, v5 :: v_dual_and_b32 v36, v36, v39
	s_wait_alu 0xfffd
	v_xor_b32_e32 v37, vcc_lo, v37
	v_mov_b32_e32 v62, v4
	v_lshlrev_b32_e32 v4, 4, v64
	v_and_b32_e32 v36, v36, v42
	s_delay_alu instid0(VALU_DEP_2) | instskip(NEXT) | instid1(VALU_DEP_2)
	v_dual_mov_b32 v60, v6 :: v_dual_add_nc_u32 v29, v100, v4
	v_and_b32_e32 v57, v36, v37
	v_dual_mov_b32 v37, v35 :: v_dual_mov_b32 v36, v34
	v_not_b32_e32 v38, v41
	v_cmp_gt_i32_e64 s20, 0, v41
	v_dual_mov_b32 v42, v31 :: v_dual_mov_b32 v41, v30
	s_delay_alu instid0(VALU_DEP_3) | instskip(SKIP_1) | instid1(VALU_DEP_1)
	v_ashrrev_i32_e32 v38, 31, v38
	s_wait_alu 0xf1ff
	v_xor_b32_e32 v56, s20, v38
	v_dual_mov_b32 v39, v33 :: v_dual_mov_b32 v38, v32
	s_delay_alu instid0(VALU_DEP_2) | instskip(SKIP_1) | instid1(VALU_DEP_2)
	v_dual_mov_b32 v57, v27 :: v_dual_and_b32 v30, v57, v56
	v_mov_b32_e32 v56, v26
	v_mbcnt_lo_u32_b32 v28, v30, 0
	v_cmp_ne_u32_e64 s20, 0, v30
	s_delay_alu instid0(VALU_DEP_2)
	v_cmp_eq_u32_e32 vcc_lo, 0, v28
	s_and_b32 s26, s20, vcc_lo
	s_wait_alu 0xfffe
	s_and_saveexec_b32 s20, s26
; %bb.33:                               ;   in Loop: Header=BB207_32 Depth=1
	v_bcnt_u32_b32 v4, v30, 0
	ds_store_b32 v29, v4 offset:16
; %bb.34:                               ;   in Loop: Header=BB207_32 Depth=1
	s_wait_alu 0xfffe
	s_or_b32 exec_lo, exec_lo, s20
	v_cmp_ne_u32_e32 vcc_lo, 0x7fffffff, v109
	; wave barrier
	s_wait_alu 0xfffd
	v_cndmask_b32_e32 v4, 0x80000000, v109, vcc_lo
	s_delay_alu instid0(VALU_DEP_1) | instskip(NEXT) | instid1(VALU_DEP_1)
	v_lshrrev_b32_e32 v4, s24, v4
	v_and_b32_e32 v4, s25, v4
	s_delay_alu instid0(VALU_DEP_1)
	v_and_b32_e32 v5, 1, v4
	v_lshlrev_b32_e32 v6, 30, v4
	v_lshlrev_b32_e32 v7, 29, v4
	;; [unrolled: 1-line block ×4, first 2 shown]
	v_add_co_u32 v5, s20, v5, -1
	s_wait_alu 0xf1ff
	v_cndmask_b32_e64 v25, 0, 1, s20
	v_not_b32_e32 v31, v6
	v_cmp_gt_i32_e64 s20, 0, v6
	v_not_b32_e32 v6, v7
	v_lshlrev_b32_e32 v27, 26, v4
	v_cmp_ne_u32_e32 vcc_lo, 0, v25
	v_ashrrev_i32_e32 v31, 31, v31
	v_lshlrev_b32_e32 v30, 25, v4
	v_ashrrev_i32_e32 v6, 31, v6
	v_lshlrev_b32_e32 v25, 24, v4
	s_wait_alu 0xfffd
	v_xor_b32_e32 v5, vcc_lo, v5
	v_cmp_gt_i32_e32 vcc_lo, 0, v7
	v_not_b32_e32 v7, v24
	s_wait_alu 0xf1ff
	v_xor_b32_e32 v31, s20, v31
	v_cmp_gt_i32_e64 s20, 0, v24
	v_and_b32_e32 v5, exec_lo, v5
	v_not_b32_e32 v24, v26
	v_ashrrev_i32_e32 v7, 31, v7
	s_wait_alu 0xfffd
	v_xor_b32_e32 v6, vcc_lo, v6
	v_cmp_gt_i32_e32 vcc_lo, 0, v26
	v_and_b32_e32 v5, v5, v31
	v_not_b32_e32 v26, v27
	v_ashrrev_i32_e32 v24, 31, v24
	s_wait_alu 0xf1ff
	v_xor_b32_e32 v7, s20, v7
	v_cmp_gt_i32_e64 s20, 0, v27
	v_and_b32_e32 v5, v5, v6
	v_not_b32_e32 v6, v30
	v_ashrrev_i32_e32 v26, 31, v26
	s_wait_alu 0xfffd
	v_xor_b32_e32 v24, vcc_lo, v24
	v_cmp_gt_i32_e32 vcc_lo, 0, v30
	v_and_b32_e32 v5, v5, v7
	v_not_b32_e32 v7, v25
	v_ashrrev_i32_e32 v6, 31, v6
	s_wait_alu 0xf1ff
	v_xor_b32_e32 v26, s20, v26
	v_lshlrev_b32_e32 v4, 4, v4
	v_and_b32_e32 v5, v5, v24
	v_cmp_gt_i32_e64 s20, 0, v25
	v_ashrrev_i32_e32 v7, 31, v7
	s_wait_alu 0xfffd
	v_xor_b32_e32 v6, vcc_lo, v6
	v_add_nc_u32_e32 v32, v100, v4
	v_and_b32_e32 v5, v5, v26
	s_wait_alu 0xf1ff
	v_xor_b32_e32 v4, s20, v7
	ds_load_b32 v30, v32 offset:16
	v_and_b32_e32 v5, v5, v6
	; wave barrier
	s_delay_alu instid0(VALU_DEP_1) | instskip(NEXT) | instid1(VALU_DEP_1)
	v_and_b32_e32 v4, v5, v4
	v_mbcnt_lo_u32_b32 v31, v4, 0
	v_cmp_ne_u32_e64 s20, 0, v4
	s_delay_alu instid0(VALU_DEP_2)
	v_cmp_eq_u32_e32 vcc_lo, 0, v31
	s_and_b32 s26, s20, vcc_lo
	s_wait_alu 0xfffe
	s_and_saveexec_b32 s20, s26
	s_cbranch_execz .LBB207_36
; %bb.35:                               ;   in Loop: Header=BB207_32 Depth=1
	s_wait_dscnt 0x0
	v_bcnt_u32_b32 v4, v4, v30
	ds_store_b32 v32, v4 offset:16
.LBB207_36:                             ;   in Loop: Header=BB207_32 Depth=1
	s_wait_alu 0xfffe
	s_or_b32 exec_lo, exec_lo, s20
	v_cmp_ne_u32_e32 vcc_lo, 0x7fffffff, v108
	; wave barrier
	s_wait_alu 0xfffd
	v_cndmask_b32_e32 v4, 0x80000000, v108, vcc_lo
	s_delay_alu instid0(VALU_DEP_1) | instskip(NEXT) | instid1(VALU_DEP_1)
	v_lshrrev_b32_e32 v4, s24, v4
	v_and_b32_e32 v4, s25, v4
	s_delay_alu instid0(VALU_DEP_1)
	v_and_b32_e32 v5, 1, v4
	v_lshlrev_b32_e32 v6, 30, v4
	v_lshlrev_b32_e32 v7, 29, v4
	;; [unrolled: 1-line block ×4, first 2 shown]
	v_add_co_u32 v5, s20, v5, -1
	s_wait_alu 0xf1ff
	v_cndmask_b32_e64 v25, 0, 1, s20
	v_not_b32_e32 v34, v6
	v_cmp_gt_i32_e64 s20, 0, v6
	v_not_b32_e32 v6, v7
	v_lshlrev_b32_e32 v27, 26, v4
	v_cmp_ne_u32_e32 vcc_lo, 0, v25
	v_ashrrev_i32_e32 v34, 31, v34
	v_lshlrev_b32_e32 v33, 25, v4
	v_ashrrev_i32_e32 v6, 31, v6
	v_lshlrev_b32_e32 v25, 24, v4
	s_wait_alu 0xfffd
	v_xor_b32_e32 v5, vcc_lo, v5
	v_cmp_gt_i32_e32 vcc_lo, 0, v7
	v_not_b32_e32 v7, v24
	s_wait_alu 0xf1ff
	v_xor_b32_e32 v34, s20, v34
	v_cmp_gt_i32_e64 s20, 0, v24
	v_and_b32_e32 v5, exec_lo, v5
	v_not_b32_e32 v24, v26
	v_ashrrev_i32_e32 v7, 31, v7
	s_wait_alu 0xfffd
	v_xor_b32_e32 v6, vcc_lo, v6
	v_cmp_gt_i32_e32 vcc_lo, 0, v26
	v_and_b32_e32 v5, v5, v34
	v_not_b32_e32 v26, v27
	v_ashrrev_i32_e32 v24, 31, v24
	s_wait_alu 0xf1ff
	v_xor_b32_e32 v7, s20, v7
	v_cmp_gt_i32_e64 s20, 0, v27
	v_and_b32_e32 v5, v5, v6
	v_not_b32_e32 v6, v33
	v_ashrrev_i32_e32 v26, 31, v26
	s_wait_alu 0xfffd
	v_xor_b32_e32 v24, vcc_lo, v24
	v_cmp_gt_i32_e32 vcc_lo, 0, v33
	v_and_b32_e32 v5, v5, v7
	v_not_b32_e32 v7, v25
	v_ashrrev_i32_e32 v6, 31, v6
	s_wait_alu 0xf1ff
	v_xor_b32_e32 v26, s20, v26
	v_lshlrev_b32_e32 v4, 4, v4
	v_and_b32_e32 v5, v5, v24
	v_cmp_gt_i32_e64 s20, 0, v25
	v_ashrrev_i32_e32 v7, 31, v7
	s_wait_alu 0xfffd
	v_xor_b32_e32 v6, vcc_lo, v6
	v_add_nc_u32_e32 v35, v100, v4
	v_and_b32_e32 v5, v5, v26
	s_wait_alu 0xf1ff
	v_xor_b32_e32 v4, s20, v7
	ds_load_b32 v33, v35 offset:16
	v_and_b32_e32 v5, v5, v6
	; wave barrier
	s_delay_alu instid0(VALU_DEP_1) | instskip(NEXT) | instid1(VALU_DEP_1)
	v_and_b32_e32 v4, v5, v4
	v_mbcnt_lo_u32_b32 v34, v4, 0
	v_cmp_ne_u32_e64 s20, 0, v4
	s_delay_alu instid0(VALU_DEP_2)
	v_cmp_eq_u32_e32 vcc_lo, 0, v34
	s_and_b32 s26, s20, vcc_lo
	s_wait_alu 0xfffe
	s_and_saveexec_b32 s20, s26
	s_cbranch_execz .LBB207_38
; %bb.37:                               ;   in Loop: Header=BB207_32 Depth=1
	s_wait_dscnt 0x0
	v_bcnt_u32_b32 v4, v4, v33
	ds_store_b32 v35, v4 offset:16
.LBB207_38:                             ;   in Loop: Header=BB207_32 Depth=1
	s_wait_alu 0xfffe
	s_or_b32 exec_lo, exec_lo, s20
	v_cmp_ne_u32_e32 vcc_lo, 0x7fffffff, v107
	; wave barrier
	s_wait_alu 0xfffd
	v_cndmask_b32_e32 v4, 0x80000000, v107, vcc_lo
	s_delay_alu instid0(VALU_DEP_1) | instskip(NEXT) | instid1(VALU_DEP_1)
	v_lshrrev_b32_e32 v4, s24, v4
	v_and_b32_e32 v4, s25, v4
	s_delay_alu instid0(VALU_DEP_1)
	v_and_b32_e32 v5, 1, v4
	v_lshlrev_b32_e32 v6, 30, v4
	v_lshlrev_b32_e32 v7, 29, v4
	;; [unrolled: 1-line block ×4, first 2 shown]
	v_add_co_u32 v5, s20, v5, -1
	s_wait_alu 0xf1ff
	v_cndmask_b32_e64 v25, 0, 1, s20
	v_not_b32_e32 v65, v6
	v_cmp_gt_i32_e64 s20, 0, v6
	v_not_b32_e32 v6, v7
	v_lshlrev_b32_e32 v27, 26, v4
	v_cmp_ne_u32_e32 vcc_lo, 0, v25
	v_ashrrev_i32_e32 v65, 31, v65
	v_lshlrev_b32_e32 v64, 25, v4
	v_ashrrev_i32_e32 v6, 31, v6
	v_lshlrev_b32_e32 v25, 24, v4
	s_wait_alu 0xfffd
	v_xor_b32_e32 v5, vcc_lo, v5
	v_cmp_gt_i32_e32 vcc_lo, 0, v7
	v_not_b32_e32 v7, v24
	s_wait_alu 0xf1ff
	v_xor_b32_e32 v65, s20, v65
	v_cmp_gt_i32_e64 s20, 0, v24
	v_and_b32_e32 v5, exec_lo, v5
	v_not_b32_e32 v24, v26
	v_ashrrev_i32_e32 v7, 31, v7
	s_wait_alu 0xfffd
	v_xor_b32_e32 v6, vcc_lo, v6
	v_cmp_gt_i32_e32 vcc_lo, 0, v26
	v_and_b32_e32 v5, v5, v65
	v_not_b32_e32 v26, v27
	v_ashrrev_i32_e32 v24, 31, v24
	s_wait_alu 0xf1ff
	v_xor_b32_e32 v7, s20, v7
	v_cmp_gt_i32_e64 s20, 0, v27
	v_and_b32_e32 v5, v5, v6
	v_not_b32_e32 v6, v64
	v_ashrrev_i32_e32 v26, 31, v26
	s_wait_alu 0xfffd
	v_xor_b32_e32 v24, vcc_lo, v24
	v_cmp_gt_i32_e32 vcc_lo, 0, v64
	v_and_b32_e32 v5, v5, v7
	v_not_b32_e32 v7, v25
	v_ashrrev_i32_e32 v6, 31, v6
	s_wait_alu 0xf1ff
	v_xor_b32_e32 v26, s20, v26
	v_lshlrev_b32_e32 v4, 4, v4
	v_and_b32_e32 v5, v5, v24
	v_cmp_gt_i32_e64 s20, 0, v25
	v_ashrrev_i32_e32 v7, 31, v7
	s_wait_alu 0xfffd
	v_xor_b32_e32 v6, vcc_lo, v6
	v_add_nc_u32_e32 v66, v100, v4
	v_and_b32_e32 v5, v5, v26
	s_wait_alu 0xf1ff
	v_xor_b32_e32 v4, s20, v7
	ds_load_b32 v64, v66 offset:16
	v_and_b32_e32 v5, v5, v6
	; wave barrier
	s_delay_alu instid0(VALU_DEP_1) | instskip(NEXT) | instid1(VALU_DEP_1)
	v_and_b32_e32 v4, v5, v4
	v_mbcnt_lo_u32_b32 v65, v4, 0
	v_cmp_ne_u32_e64 s20, 0, v4
	s_delay_alu instid0(VALU_DEP_2)
	v_cmp_eq_u32_e32 vcc_lo, 0, v65
	s_and_b32 s26, s20, vcc_lo
	s_wait_alu 0xfffe
	s_and_saveexec_b32 s20, s26
	s_cbranch_execz .LBB207_40
; %bb.39:                               ;   in Loop: Header=BB207_32 Depth=1
	s_wait_dscnt 0x0
	v_bcnt_u32_b32 v4, v4, v64
	ds_store_b32 v66, v4 offset:16
.LBB207_40:                             ;   in Loop: Header=BB207_32 Depth=1
	s_wait_alu 0xfffe
	s_or_b32 exec_lo, exec_lo, s20
	v_cmp_ne_u32_e32 vcc_lo, 0x7fffffff, v106
	; wave barrier
	s_wait_alu 0xfffd
	v_cndmask_b32_e32 v4, 0x80000000, v106, vcc_lo
	s_delay_alu instid0(VALU_DEP_1) | instskip(NEXT) | instid1(VALU_DEP_1)
	v_lshrrev_b32_e32 v4, s24, v4
	v_and_b32_e32 v4, s25, v4
	s_delay_alu instid0(VALU_DEP_1)
	v_and_b32_e32 v5, 1, v4
	v_lshlrev_b32_e32 v6, 30, v4
	v_lshlrev_b32_e32 v7, 29, v4
	;; [unrolled: 1-line block ×4, first 2 shown]
	v_add_co_u32 v5, s20, v5, -1
	s_wait_alu 0xf1ff
	v_cndmask_b32_e64 v25, 0, 1, s20
	v_not_b32_e32 v68, v6
	v_cmp_gt_i32_e64 s20, 0, v6
	v_not_b32_e32 v6, v7
	v_lshlrev_b32_e32 v27, 26, v4
	v_cmp_ne_u32_e32 vcc_lo, 0, v25
	v_ashrrev_i32_e32 v68, 31, v68
	v_lshlrev_b32_e32 v67, 25, v4
	v_ashrrev_i32_e32 v6, 31, v6
	v_lshlrev_b32_e32 v25, 24, v4
	s_wait_alu 0xfffd
	v_xor_b32_e32 v5, vcc_lo, v5
	v_cmp_gt_i32_e32 vcc_lo, 0, v7
	v_not_b32_e32 v7, v24
	s_wait_alu 0xf1ff
	v_xor_b32_e32 v68, s20, v68
	v_cmp_gt_i32_e64 s20, 0, v24
	v_and_b32_e32 v5, exec_lo, v5
	v_not_b32_e32 v24, v26
	v_ashrrev_i32_e32 v7, 31, v7
	s_wait_alu 0xfffd
	v_xor_b32_e32 v6, vcc_lo, v6
	v_cmp_gt_i32_e32 vcc_lo, 0, v26
	v_and_b32_e32 v5, v5, v68
	v_not_b32_e32 v26, v27
	v_ashrrev_i32_e32 v24, 31, v24
	s_wait_alu 0xf1ff
	v_xor_b32_e32 v7, s20, v7
	v_cmp_gt_i32_e64 s20, 0, v27
	v_and_b32_e32 v5, v5, v6
	v_not_b32_e32 v6, v67
	v_ashrrev_i32_e32 v26, 31, v26
	s_wait_alu 0xfffd
	v_xor_b32_e32 v24, vcc_lo, v24
	v_cmp_gt_i32_e32 vcc_lo, 0, v67
	v_and_b32_e32 v5, v5, v7
	v_not_b32_e32 v7, v25
	v_ashrrev_i32_e32 v6, 31, v6
	s_wait_alu 0xf1ff
	v_xor_b32_e32 v26, s20, v26
	v_lshlrev_b32_e32 v4, 4, v4
	v_and_b32_e32 v5, v5, v24
	v_cmp_gt_i32_e64 s20, 0, v25
	v_ashrrev_i32_e32 v7, 31, v7
	s_wait_alu 0xfffd
	v_xor_b32_e32 v6, vcc_lo, v6
	v_add_nc_u32_e32 v69, v100, v4
	v_and_b32_e32 v5, v5, v26
	s_wait_alu 0xf1ff
	v_xor_b32_e32 v4, s20, v7
	ds_load_b32 v67, v69 offset:16
	v_and_b32_e32 v5, v5, v6
	; wave barrier
	s_delay_alu instid0(VALU_DEP_1) | instskip(NEXT) | instid1(VALU_DEP_1)
	v_and_b32_e32 v4, v5, v4
	v_mbcnt_lo_u32_b32 v68, v4, 0
	v_cmp_ne_u32_e64 s20, 0, v4
	s_delay_alu instid0(VALU_DEP_2)
	v_cmp_eq_u32_e32 vcc_lo, 0, v68
	s_and_b32 s26, s20, vcc_lo
	s_wait_alu 0xfffe
	s_and_saveexec_b32 s20, s26
	s_cbranch_execz .LBB207_42
; %bb.41:                               ;   in Loop: Header=BB207_32 Depth=1
	s_wait_dscnt 0x0
	v_bcnt_u32_b32 v4, v4, v67
	ds_store_b32 v69, v4 offset:16
.LBB207_42:                             ;   in Loop: Header=BB207_32 Depth=1
	s_wait_alu 0xfffe
	s_or_b32 exec_lo, exec_lo, s20
	v_cmp_ne_u32_e32 vcc_lo, 0x7fffffff, v105
	; wave barrier
	s_wait_alu 0xfffd
	v_cndmask_b32_e32 v4, 0x80000000, v105, vcc_lo
	s_delay_alu instid0(VALU_DEP_1) | instskip(NEXT) | instid1(VALU_DEP_1)
	v_lshrrev_b32_e32 v4, s24, v4
	v_and_b32_e32 v4, s25, v4
	s_delay_alu instid0(VALU_DEP_1)
	v_and_b32_e32 v5, 1, v4
	v_lshlrev_b32_e32 v6, 30, v4
	v_lshlrev_b32_e32 v7, 29, v4
	;; [unrolled: 1-line block ×4, first 2 shown]
	v_add_co_u32 v5, s20, v5, -1
	s_wait_alu 0xf1ff
	v_cndmask_b32_e64 v25, 0, 1, s20
	v_not_b32_e32 v71, v6
	v_cmp_gt_i32_e64 s20, 0, v6
	v_not_b32_e32 v6, v7
	v_lshlrev_b32_e32 v27, 26, v4
	v_cmp_ne_u32_e32 vcc_lo, 0, v25
	v_ashrrev_i32_e32 v71, 31, v71
	v_lshlrev_b32_e32 v70, 25, v4
	v_ashrrev_i32_e32 v6, 31, v6
	v_lshlrev_b32_e32 v25, 24, v4
	s_wait_alu 0xfffd
	v_xor_b32_e32 v5, vcc_lo, v5
	v_cmp_gt_i32_e32 vcc_lo, 0, v7
	v_not_b32_e32 v7, v24
	s_wait_alu 0xf1ff
	v_xor_b32_e32 v71, s20, v71
	v_cmp_gt_i32_e64 s20, 0, v24
	v_and_b32_e32 v5, exec_lo, v5
	v_not_b32_e32 v24, v26
	v_ashrrev_i32_e32 v7, 31, v7
	s_wait_alu 0xfffd
	v_xor_b32_e32 v6, vcc_lo, v6
	v_cmp_gt_i32_e32 vcc_lo, 0, v26
	v_and_b32_e32 v5, v5, v71
	v_not_b32_e32 v26, v27
	v_ashrrev_i32_e32 v24, 31, v24
	s_wait_alu 0xf1ff
	v_xor_b32_e32 v7, s20, v7
	v_cmp_gt_i32_e64 s20, 0, v27
	v_and_b32_e32 v5, v5, v6
	v_not_b32_e32 v6, v70
	v_ashrrev_i32_e32 v26, 31, v26
	s_wait_alu 0xfffd
	v_xor_b32_e32 v24, vcc_lo, v24
	v_cmp_gt_i32_e32 vcc_lo, 0, v70
	v_and_b32_e32 v5, v5, v7
	v_not_b32_e32 v7, v25
	v_ashrrev_i32_e32 v6, 31, v6
	s_wait_alu 0xf1ff
	v_xor_b32_e32 v26, s20, v26
	v_lshlrev_b32_e32 v4, 4, v4
	v_and_b32_e32 v5, v5, v24
	v_cmp_gt_i32_e64 s20, 0, v25
	v_ashrrev_i32_e32 v7, 31, v7
	s_wait_alu 0xfffd
	v_xor_b32_e32 v6, vcc_lo, v6
	v_add_nc_u32_e32 v71, v100, v4
	v_and_b32_e32 v5, v5, v26
	s_wait_alu 0xf1ff
	v_xor_b32_e32 v4, s20, v7
	ds_load_b32 v70, v71 offset:16
	v_and_b32_e32 v5, v5, v6
	; wave barrier
	s_delay_alu instid0(VALU_DEP_1) | instskip(NEXT) | instid1(VALU_DEP_1)
	v_and_b32_e32 v4, v5, v4
	v_mbcnt_lo_u32_b32 v110, v4, 0
	v_cmp_ne_u32_e64 s20, 0, v4
	s_delay_alu instid0(VALU_DEP_2)
	v_cmp_eq_u32_e32 vcc_lo, 0, v110
	s_and_b32 s26, s20, vcc_lo
	s_wait_alu 0xfffe
	s_and_saveexec_b32 s20, s26
	s_cbranch_execz .LBB207_44
; %bb.43:                               ;   in Loop: Header=BB207_32 Depth=1
	s_wait_dscnt 0x0
	v_bcnt_u32_b32 v4, v4, v70
	ds_store_b32 v71, v4 offset:16
.LBB207_44:                             ;   in Loop: Header=BB207_32 Depth=1
	s_wait_alu 0xfffe
	s_or_b32 exec_lo, exec_lo, s20
	v_cmp_ne_u32_e32 vcc_lo, 0x7fffffff, v104
	; wave barrier
	s_wait_alu 0xfffd
	v_cndmask_b32_e32 v4, 0x80000000, v104, vcc_lo
	s_delay_alu instid0(VALU_DEP_1) | instskip(NEXT) | instid1(VALU_DEP_1)
	v_lshrrev_b32_e32 v4, s24, v4
	v_and_b32_e32 v4, s25, v4
	s_delay_alu instid0(VALU_DEP_1)
	v_and_b32_e32 v5, 1, v4
	v_lshlrev_b32_e32 v6, 30, v4
	v_lshlrev_b32_e32 v7, 29, v4
	;; [unrolled: 1-line block ×4, first 2 shown]
	v_add_co_u32 v5, s20, v5, -1
	s_wait_alu 0xf1ff
	v_cndmask_b32_e64 v25, 0, 1, s20
	v_not_b32_e32 v112, v6
	v_cmp_gt_i32_e64 s20, 0, v6
	v_not_b32_e32 v6, v7
	v_lshlrev_b32_e32 v27, 26, v4
	v_cmp_ne_u32_e32 vcc_lo, 0, v25
	v_ashrrev_i32_e32 v112, 31, v112
	v_lshlrev_b32_e32 v111, 25, v4
	v_ashrrev_i32_e32 v6, 31, v6
	v_lshlrev_b32_e32 v25, 24, v4
	s_wait_alu 0xfffd
	v_xor_b32_e32 v5, vcc_lo, v5
	v_cmp_gt_i32_e32 vcc_lo, 0, v7
	v_not_b32_e32 v7, v24
	s_wait_alu 0xf1ff
	v_xor_b32_e32 v112, s20, v112
	v_cmp_gt_i32_e64 s20, 0, v24
	v_and_b32_e32 v5, exec_lo, v5
	v_not_b32_e32 v24, v26
	v_ashrrev_i32_e32 v7, 31, v7
	s_wait_alu 0xfffd
	v_xor_b32_e32 v6, vcc_lo, v6
	v_cmp_gt_i32_e32 vcc_lo, 0, v26
	v_and_b32_e32 v5, v5, v112
	v_not_b32_e32 v26, v27
	v_ashrrev_i32_e32 v24, 31, v24
	s_wait_alu 0xf1ff
	v_xor_b32_e32 v7, s20, v7
	v_cmp_gt_i32_e64 s20, 0, v27
	v_and_b32_e32 v5, v5, v6
	v_not_b32_e32 v6, v111
	v_ashrrev_i32_e32 v26, 31, v26
	s_wait_alu 0xfffd
	v_xor_b32_e32 v24, vcc_lo, v24
	v_cmp_gt_i32_e32 vcc_lo, 0, v111
	v_and_b32_e32 v5, v5, v7
	v_not_b32_e32 v7, v25
	v_ashrrev_i32_e32 v6, 31, v6
	s_wait_alu 0xf1ff
	v_xor_b32_e32 v26, s20, v26
	v_lshlrev_b32_e32 v4, 4, v4
	v_and_b32_e32 v5, v5, v24
	v_cmp_gt_i32_e64 s20, 0, v25
	v_ashrrev_i32_e32 v7, 31, v7
	s_wait_alu 0xfffd
	v_xor_b32_e32 v6, vcc_lo, v6
	v_add_nc_u32_e32 v112, v100, v4
	v_and_b32_e32 v5, v5, v26
	s_wait_alu 0xf1ff
	v_xor_b32_e32 v4, s20, v7
	ds_load_b32 v111, v112 offset:16
	v_and_b32_e32 v5, v5, v6
	; wave barrier
	s_delay_alu instid0(VALU_DEP_1) | instskip(NEXT) | instid1(VALU_DEP_1)
	v_and_b32_e32 v4, v5, v4
	v_mbcnt_lo_u32_b32 v113, v4, 0
	v_cmp_ne_u32_e64 s20, 0, v4
	s_delay_alu instid0(VALU_DEP_2)
	v_cmp_eq_u32_e32 vcc_lo, 0, v113
	s_and_b32 s26, s20, vcc_lo
	s_wait_alu 0xfffe
	s_and_saveexec_b32 s20, s26
	s_cbranch_execz .LBB207_46
; %bb.45:                               ;   in Loop: Header=BB207_32 Depth=1
	s_wait_dscnt 0x0
	v_bcnt_u32_b32 v4, v4, v111
	ds_store_b32 v112, v4 offset:16
.LBB207_46:                             ;   in Loop: Header=BB207_32 Depth=1
	s_wait_alu 0xfffe
	s_or_b32 exec_lo, exec_lo, s20
	v_cmp_ne_u32_e32 vcc_lo, 0x7fffffff, v103
	; wave barrier
	s_wait_alu 0xfffd
	v_cndmask_b32_e32 v4, 0x80000000, v103, vcc_lo
	s_delay_alu instid0(VALU_DEP_1) | instskip(NEXT) | instid1(VALU_DEP_1)
	v_lshrrev_b32_e32 v4, s24, v4
	v_and_b32_e32 v4, s25, v4
	s_delay_alu instid0(VALU_DEP_1)
	v_and_b32_e32 v5, 1, v4
	v_lshlrev_b32_e32 v6, 30, v4
	v_lshlrev_b32_e32 v7, 29, v4
	;; [unrolled: 1-line block ×4, first 2 shown]
	v_add_co_u32 v5, s20, v5, -1
	s_wait_alu 0xf1ff
	v_cndmask_b32_e64 v25, 0, 1, s20
	v_not_b32_e32 v115, v6
	v_cmp_gt_i32_e64 s20, 0, v6
	v_not_b32_e32 v6, v7
	v_lshlrev_b32_e32 v27, 26, v4
	v_cmp_ne_u32_e32 vcc_lo, 0, v25
	v_ashrrev_i32_e32 v115, 31, v115
	v_lshlrev_b32_e32 v114, 25, v4
	v_ashrrev_i32_e32 v6, 31, v6
	v_lshlrev_b32_e32 v25, 24, v4
	s_wait_alu 0xfffd
	v_xor_b32_e32 v5, vcc_lo, v5
	v_cmp_gt_i32_e32 vcc_lo, 0, v7
	v_not_b32_e32 v7, v24
	s_wait_alu 0xf1ff
	v_xor_b32_e32 v115, s20, v115
	v_cmp_gt_i32_e64 s20, 0, v24
	v_and_b32_e32 v5, exec_lo, v5
	v_not_b32_e32 v24, v26
	v_ashrrev_i32_e32 v7, 31, v7
	s_wait_alu 0xfffd
	v_xor_b32_e32 v6, vcc_lo, v6
	v_cmp_gt_i32_e32 vcc_lo, 0, v26
	v_and_b32_e32 v5, v5, v115
	v_not_b32_e32 v26, v27
	v_ashrrev_i32_e32 v24, 31, v24
	s_wait_alu 0xf1ff
	v_xor_b32_e32 v7, s20, v7
	v_cmp_gt_i32_e64 s20, 0, v27
	v_and_b32_e32 v5, v5, v6
	v_not_b32_e32 v6, v114
	v_ashrrev_i32_e32 v26, 31, v26
	s_wait_alu 0xfffd
	v_xor_b32_e32 v24, vcc_lo, v24
	v_cmp_gt_i32_e32 vcc_lo, 0, v114
	v_and_b32_e32 v5, v5, v7
	v_not_b32_e32 v7, v25
	v_ashrrev_i32_e32 v6, 31, v6
	s_wait_alu 0xf1ff
	v_xor_b32_e32 v26, s20, v26
	v_lshlrev_b32_e32 v4, 4, v4
	v_and_b32_e32 v5, v5, v24
	v_cmp_gt_i32_e64 s20, 0, v25
	v_ashrrev_i32_e32 v7, 31, v7
	s_wait_alu 0xfffd
	v_xor_b32_e32 v6, vcc_lo, v6
	v_add_nc_u32_e32 v114, v100, v4
	v_and_b32_e32 v5, v5, v26
	s_wait_alu 0xf1ff
	v_xor_b32_e32 v4, s20, v7
	ds_load_b32 v119, v114 offset:16
	v_and_b32_e32 v5, v5, v6
	; wave barrier
	s_delay_alu instid0(VALU_DEP_1) | instskip(NEXT) | instid1(VALU_DEP_1)
	v_and_b32_e32 v4, v5, v4
	v_mbcnt_lo_u32_b32 v120, v4, 0
	v_cmp_ne_u32_e64 s20, 0, v4
	s_delay_alu instid0(VALU_DEP_2)
	v_cmp_eq_u32_e32 vcc_lo, 0, v120
	s_and_b32 s25, s20, vcc_lo
	s_wait_alu 0xfffe
	s_and_saveexec_b32 s20, s25
	s_cbranch_execz .LBB207_48
; %bb.47:                               ;   in Loop: Header=BB207_32 Depth=1
	s_wait_dscnt 0x0
	v_bcnt_u32_b32 v4, v4, v119
	ds_store_b32 v114, v4 offset:16
.LBB207_48:                             ;   in Loop: Header=BB207_32 Depth=1
	s_wait_alu 0xfffe
	s_or_b32 exec_lo, exec_lo, s20
	; wave barrier
	s_wait_loadcnt_dscnt 0x0
	s_barrier_signal -1
	s_barrier_wait -1
	global_inv scope:SCOPE_SE
	ds_load_b128 v[24:27], v89 offset:16
	ds_load_b128 v[4:7], v89 offset:32
	s_wait_dscnt 0x1
	v_add_nc_u32_e32 v115, v25, v24
	s_delay_alu instid0(VALU_DEP_1) | instskip(SKIP_1) | instid1(VALU_DEP_1)
	v_add3_u32 v115, v115, v26, v27
	s_wait_dscnt 0x0
	v_add3_u32 v115, v115, v4, v5
	s_delay_alu instid0(VALU_DEP_1) | instskip(NEXT) | instid1(VALU_DEP_1)
	v_add3_u32 v7, v115, v6, v7
	v_mov_b32_dpp v115, v7 row_shr:1 row_mask:0xf bank_mask:0xf
	s_delay_alu instid0(VALU_DEP_1) | instskip(NEXT) | instid1(VALU_DEP_1)
	v_cndmask_b32_e64 v115, v115, 0, s11
	v_add_nc_u32_e32 v7, v115, v7
	s_delay_alu instid0(VALU_DEP_1) | instskip(NEXT) | instid1(VALU_DEP_1)
	v_mov_b32_dpp v115, v7 row_shr:2 row_mask:0xf bank_mask:0xf
	v_cndmask_b32_e64 v115, 0, v115, s13
	s_delay_alu instid0(VALU_DEP_1) | instskip(NEXT) | instid1(VALU_DEP_1)
	v_add_nc_u32_e32 v7, v7, v115
	v_mov_b32_dpp v115, v7 row_shr:4 row_mask:0xf bank_mask:0xf
	s_delay_alu instid0(VALU_DEP_1) | instskip(NEXT) | instid1(VALU_DEP_1)
	v_cndmask_b32_e64 v115, 0, v115, s14
	v_add_nc_u32_e32 v7, v7, v115
	s_delay_alu instid0(VALU_DEP_1) | instskip(NEXT) | instid1(VALU_DEP_1)
	v_mov_b32_dpp v115, v7 row_shr:8 row_mask:0xf bank_mask:0xf
	v_cndmask_b32_e64 v115, 0, v115, s15
	s_delay_alu instid0(VALU_DEP_1) | instskip(SKIP_3) | instid1(VALU_DEP_1)
	v_add_nc_u32_e32 v7, v7, v115
	ds_swizzle_b32 v115, v7 offset:swizzle(BROADCAST,32,15)
	s_wait_dscnt 0x0
	v_cndmask_b32_e64 v115, v115, 0, s16
	v_add_nc_u32_e32 v7, v7, v115
	s_and_saveexec_b32 s20, s17
; %bb.49:                               ;   in Loop: Header=BB207_32 Depth=1
	ds_store_b32 v90, v7
; %bb.50:                               ;   in Loop: Header=BB207_32 Depth=1
	s_wait_alu 0xfffe
	s_or_b32 exec_lo, exec_lo, s20
	s_wait_loadcnt_dscnt 0x0
	s_barrier_signal -1
	s_barrier_wait -1
	global_inv scope:SCOPE_SE
	s_and_saveexec_b32 s20, s8
	s_cbranch_execz .LBB207_52
; %bb.51:                               ;   in Loop: Header=BB207_32 Depth=1
	ds_load_b32 v115, v101
	s_wait_dscnt 0x0
	v_mov_b32_dpp v116, v115 row_shr:1 row_mask:0xf bank_mask:0xf
	s_delay_alu instid0(VALU_DEP_1) | instskip(NEXT) | instid1(VALU_DEP_1)
	v_cndmask_b32_e64 v116, v116, 0, s18
	v_add_nc_u32_e32 v115, v116, v115
	s_delay_alu instid0(VALU_DEP_1) | instskip(NEXT) | instid1(VALU_DEP_1)
	v_mov_b32_dpp v116, v115 row_shr:2 row_mask:0xf bank_mask:0xf
	v_cndmask_b32_e64 v116, 0, v116, s19
	s_delay_alu instid0(VALU_DEP_1)
	v_add_nc_u32_e32 v115, v115, v116
	ds_store_b32 v101, v115
.LBB207_52:                             ;   in Loop: Header=BB207_32 Depth=1
	s_wait_alu 0xfffe
	s_or_b32 exec_lo, exec_lo, s20
	v_mov_b32_e32 v115, 0
	s_wait_loadcnt_dscnt 0x0
	s_barrier_signal -1
	s_barrier_wait -1
	global_inv scope:SCOPE_SE
	s_and_saveexec_b32 s20, s9
; %bb.53:                               ;   in Loop: Header=BB207_32 Depth=1
	v_add_nc_u32_e32 v115, -4, v90
	ds_load_b32 v115, v115
; %bb.54:                               ;   in Loop: Header=BB207_32 Depth=1
	s_wait_alu 0xfffe
	s_or_b32 exec_lo, exec_lo, s20
	s_wait_dscnt 0x0
	v_add_nc_u32_e32 v7, v115, v7
	s_cmp_gt_u32 s24, 23
	s_mov_b32 s20, -1
	ds_bpermute_b32 v7, v99, v7
	s_wait_dscnt 0x0
	v_cndmask_b32_e64 v7, v7, v115, s12
	s_delay_alu instid0(VALU_DEP_1) | instskip(NEXT) | instid1(VALU_DEP_1)
	v_cndmask_b32_e64 v115, v7, 0, s10
	v_add_nc_u32_e32 v116, v115, v24
	s_delay_alu instid0(VALU_DEP_1) | instskip(NEXT) | instid1(VALU_DEP_1)
	v_add_nc_u32_e32 v117, v116, v25
	v_add_nc_u32_e32 v118, v117, v26
	s_delay_alu instid0(VALU_DEP_1) | instskip(NEXT) | instid1(VALU_DEP_1)
	v_add_nc_u32_e32 v24, v118, v27
	;; [unrolled: 3-line block ×3, first 2 shown]
	v_add_nc_u32_e32 v27, v26, v6
	ds_store_b128 v89, v[115:118] offset:16
	ds_store_b128 v89, v[24:27] offset:32
	s_wait_loadcnt_dscnt 0x0
	s_barrier_signal -1
	s_barrier_wait -1
	global_inv scope:SCOPE_SE
	ds_load_b32 v4, v29 offset:16
	ds_load_b32 v5, v32 offset:16
	;; [unrolled: 1-line block ×8, first 2 shown]
	s_wait_dscnt 0x7
	v_add_nc_u32_e32 v118, v4, v28
	s_wait_dscnt 0x6
	v_add3_u32 v117, v31, v30, v5
	s_wait_dscnt 0x5
	v_add3_u32 v116, v34, v33, v6
	;; [unrolled: 2-line block ×7, first 2 shown]
                                        ; implicit-def: $vgpr71
                                        ; implicit-def: $vgpr69
                                        ; implicit-def: $vgpr67
                                        ; implicit-def: $vgpr65
                                        ; implicit-def: $vgpr34_vgpr35
                                        ; implicit-def: $vgpr30_vgpr31
                                        ; implicit-def: $vgpr26_vgpr27
                                        ; implicit-def: $vgpr6_vgpr7
	s_cbranch_scc1 .LBB207_31
; %bb.55:                               ;   in Loop: Header=BB207_32 Depth=1
	v_lshlrev_b32_e32 v4, 2, v118
	v_lshlrev_b32_e32 v5, 2, v117
	;; [unrolled: 1-line block ×3, first 2 shown]
	s_wait_loadcnt 0x0
	s_barrier_signal -1
	s_barrier_wait -1
	global_inv scope:SCOPE_SE
	ds_store_b32 v4, v102
	ds_store_b32 v5, v109
	;; [unrolled: 1-line block ×3, first 2 shown]
	v_lshlrev_b32_e32 v7, 2, v115
	v_add_nc_u32_e32 v4, v4, v4
	v_lshlrev_b32_e32 v24, 2, v114
	v_add_nc_u32_e32 v5, v5, v5
	;; [unrolled: 2-line block ×3, first 2 shown]
	v_lshlrev_b32_e32 v26, 2, v111
	v_lshlrev_b32_e32 v27, 2, v110
	ds_store_b32 v7, v107
	ds_store_b32 v24, v106
	ds_store_b32 v25, v105
	ds_store_b32 v26, v104
	ds_store_b32 v27, v103
	s_wait_loadcnt_dscnt 0x0
	s_barrier_signal -1
	s_barrier_wait -1
	global_inv scope:SCOPE_SE
	ds_load_2addr_b32 v[64:65], v97 offset1:32
	ds_load_2addr_b32 v[66:67], v97 offset0:64 offset1:96
	ds_load_2addr_b32 v[68:69], v97 offset0:128 offset1:160
	;; [unrolled: 1-line block ×3, first 2 shown]
	s_wait_loadcnt_dscnt 0x0
	s_barrier_signal -1
	s_barrier_wait -1
	global_inv scope:SCOPE_SE
	ds_store_b64 v4, v[62:63]
	ds_store_b64 v5, v[60:61]
	;; [unrolled: 1-line block ×3, first 2 shown]
	v_add_nc_u32_e32 v4, v7, v7
	v_add_nc_u32_e32 v5, v24, v24
	;; [unrolled: 1-line block ×5, first 2 shown]
	ds_store_b64 v4, v[56:57]
	ds_store_b64 v5, v[54:55]
	;; [unrolled: 1-line block ×5, first 2 shown]
	s_wait_loadcnt_dscnt 0x0
	s_barrier_signal -1
	s_barrier_wait -1
	global_inv scope:SCOPE_SE
	ds_load_2addr_b64 v[4:7], v98 offset1:32
	ds_load_2addr_b64 v[24:27], v98 offset0:64 offset1:96
	ds_load_2addr_b64 v[28:31], v98 offset0:128 offset1:160
	;; [unrolled: 1-line block ×3, first 2 shown]
	s_add_co_i32 s24, s24, 8
	s_add_co_i32 s23, s23, -8
	s_mov_b32 s20, 0
	s_wait_loadcnt_dscnt 0x0
	s_barrier_signal -1
	s_barrier_wait -1
	global_inv scope:SCOPE_SE
	s_branch .LBB207_31
.LBB207_56:
	v_lshlrev_b64_e32 v[1:2], 3, v[40:41]
	v_dual_mov_b32 v42, v41 :: v_dual_mov_b32 v9, v41
	v_mov_b32_e32 v10, v41
	v_dual_mov_b32 v4, v41 :: v_dual_mov_b32 v5, v41
	s_delay_alu instid0(VALU_DEP_4)
	v_add_co_u32 v1, vcc_lo, s34, v1
	s_wait_alu 0xfffd
	v_add_co_ci_u32_e64 v2, null, s35, v2, vcc_lo
	v_dual_mov_b32 v6, v41 :: v_dual_mov_b32 v7, v41
	v_dual_mov_b32 v8, v41 :: v_dual_mov_b32 v11, v41
	global_load_b64 v[13:14], v[1:2], off
	v_dual_mov_b32 v1, v41 :: v_dual_mov_b32 v2, v41
	v_dual_mov_b32 v3, v41 :: v_dual_mov_b32 v12, v41
	s_wait_alu 0xfffe
	s_or_b32 exec_lo, exec_lo, s8
	s_and_saveexec_b32 s8, s1
	s_cbranch_execz .LBB207_22
.LBB207_57:
	v_mul_lo_u32 v32, s28, v15
	v_mov_b32_e32 v33, 0
	s_delay_alu instid0(VALU_DEP_1) | instskip(NEXT) | instid1(VALU_DEP_1)
	v_lshlrev_b64_e32 v[32:33], 3, v[32:33]
	v_add_co_u32 v32, vcc_lo, s34, v32
	s_wait_alu 0xfffd
	s_delay_alu instid0(VALU_DEP_2)
	v_add_co_ci_u32_e64 v33, null, s35, v33, vcc_lo
	global_load_b64 v[41:42], v[32:33], off
	s_wait_alu 0xfffe
	s_or_b32 exec_lo, exec_lo, s8
	s_and_saveexec_b32 s8, s2
	s_cbranch_execz .LBB207_23
.LBB207_58:
	v_mul_lo_u32 v9, s28, v16
	v_mov_b32_e32 v10, 0
	s_delay_alu instid0(VALU_DEP_1) | instskip(NEXT) | instid1(VALU_DEP_1)
	v_lshlrev_b64_e32 v[9:10], 3, v[9:10]
	v_add_co_u32 v9, vcc_lo, s34, v9
	s_wait_alu 0xfffd
	s_delay_alu instid0(VALU_DEP_2)
	v_add_co_ci_u32_e64 v10, null, s35, v10, vcc_lo
	global_load_b64 v[9:10], v[9:10], off
	s_wait_alu 0xfffe
	s_or_b32 exec_lo, exec_lo, s8
	s_and_saveexec_b32 s8, s3
	s_cbranch_execz .LBB207_24
.LBB207_59:
	v_mul_lo_u32 v1, s28, v17
	v_mov_b32_e32 v2, 0
	s_delay_alu instid0(VALU_DEP_1) | instskip(NEXT) | instid1(VALU_DEP_1)
	v_lshlrev_b64_e32 v[1:2], 3, v[1:2]
	v_add_co_u32 v1, vcc_lo, s34, v1
	s_wait_alu 0xfffd
	s_delay_alu instid0(VALU_DEP_2)
	v_add_co_ci_u32_e64 v2, null, s35, v2, vcc_lo
	global_load_b64 v[1:2], v[1:2], off
	s_wait_alu 0xfffe
	s_or_b32 exec_lo, exec_lo, s8
	s_and_saveexec_b32 s8, s4
	s_cbranch_execz .LBB207_25
.LBB207_60:
	v_mul_lo_u32 v3, s28, v18
	v_mov_b32_e32 v4, 0
	s_delay_alu instid0(VALU_DEP_1) | instskip(NEXT) | instid1(VALU_DEP_1)
	v_lshlrev_b64_e32 v[3:4], 3, v[3:4]
	v_add_co_u32 v3, vcc_lo, s34, v3
	s_wait_alu 0xfffd
	s_delay_alu instid0(VALU_DEP_2)
	v_add_co_ci_u32_e64 v4, null, s35, v4, vcc_lo
	global_load_b64 v[3:4], v[3:4], off
	s_wait_alu 0xfffe
	s_or_b32 exec_lo, exec_lo, s8
	s_and_saveexec_b32 s8, s5
	s_cbranch_execz .LBB207_26
.LBB207_61:
	v_mul_lo_u32 v5, s28, v19
	v_mov_b32_e32 v6, 0
	s_delay_alu instid0(VALU_DEP_1) | instskip(NEXT) | instid1(VALU_DEP_1)
	v_lshlrev_b64_e32 v[5:6], 3, v[5:6]
	v_add_co_u32 v5, vcc_lo, s34, v5
	s_wait_alu 0xfffd
	s_delay_alu instid0(VALU_DEP_2)
	v_add_co_ci_u32_e64 v6, null, s35, v6, vcc_lo
	global_load_b64 v[5:6], v[5:6], off
	s_wait_alu 0xfffe
	s_or_b32 exec_lo, exec_lo, s8
	s_and_saveexec_b32 s8, s6
	s_cbranch_execz .LBB207_27
.LBB207_62:
	v_mul_lo_u32 v7, s28, v20
	v_mov_b32_e32 v8, 0
	s_delay_alu instid0(VALU_DEP_1) | instskip(NEXT) | instid1(VALU_DEP_1)
	v_lshlrev_b64_e32 v[7:8], 3, v[7:8]
	v_add_co_u32 v7, vcc_lo, s34, v7
	s_wait_alu 0xfffd
	s_delay_alu instid0(VALU_DEP_2)
	v_add_co_ci_u32_e64 v8, null, s35, v8, vcc_lo
	global_load_b64 v[7:8], v[7:8], off
	s_wait_alu 0xfffe
	s_or_b32 exec_lo, exec_lo, s8
	s_xor_b32 s8, s12, -1
	s_and_saveexec_b32 s9, s7
	s_cbranch_execnz .LBB207_28
	s_branch .LBB207_29
.LBB207_63:
                                        ; implicit-def: $vgpr34_vgpr35
                                        ; implicit-def: $vgpr38_vgpr39
                                        ; implicit-def: $vgpr26_vgpr27
                                        ; implicit-def: $vgpr30_vgpr31
                                        ; implicit-def: $vgpr0_vgpr1_vgpr2_vgpr3_vgpr4_vgpr5_vgpr6_vgpr7
	s_cbranch_execnz .LBB207_65
	s_branch .LBB207_92
.LBB207_64:
	v_lshlrev_b32_e32 v24, 2, v118
	v_lshlrev_b32_e32 v27, 2, v115
	;; [unrolled: 1-line block ×8, first 2 shown]
	s_wait_loadcnt 0x0
	s_barrier_signal -1
	s_barrier_wait -1
	global_inv scope:SCOPE_SE
	ds_store_b32 v24, v102
	ds_store_b32 v25, v109
	ds_store_b32 v26, v108
	ds_store_b32 v27, v107
	ds_store_b32 v28, v106
	ds_store_b32 v29, v105
	ds_store_b32 v30, v104
	ds_store_b32 v31, v103
	s_wait_loadcnt_dscnt 0x0
	s_barrier_signal -1
	s_barrier_wait -1
	global_inv scope:SCOPE_SE
	ds_load_b128 v[0:3], v89
	ds_load_b128 v[4:7], v89 offset:16
	v_add_nc_u32_e32 v24, v24, v24
	v_add_nc_u32_e32 v25, v25, v25
	;; [unrolled: 1-line block ×3, first 2 shown]
	s_wait_loadcnt_dscnt 0x0
	s_barrier_signal -1
	s_barrier_wait -1
	global_inv scope:SCOPE_SE
	ds_store_b64 v24, v[62:63]
	ds_store_b64 v25, v[60:61]
	;; [unrolled: 1-line block ×3, first 2 shown]
	v_add_nc_u32_e32 v24, v27, v27
	v_add_nc_u32_e32 v25, v28, v28
	;; [unrolled: 1-line block ×5, first 2 shown]
	ds_store_b64 v24, v[56:57]
	ds_store_b64 v25, v[54:55]
	;; [unrolled: 1-line block ×5, first 2 shown]
	v_lshl_add_u32 v32, v45, 5, v89
	s_wait_loadcnt_dscnt 0x0
	s_barrier_signal -1
	s_barrier_wait -1
	v_cmp_lt_i32_e32 vcc_lo, -1, v0
	global_inv scope:SCOPE_SE
	ds_load_b128 v[28:31], v32
	ds_load_b128 v[24:27], v32 offset:16
	ds_load_b128 v[36:39], v32 offset:32
	;; [unrolled: 1-line block ×3, first 2 shown]
	s_wait_alu 0xfffd
	v_cndmask_b32_e64 v41, 0x80000000, -1, vcc_lo
	v_cmp_lt_i32_e32 vcc_lo, -1, v1
	s_delay_alu instid0(VALU_DEP_2) | instskip(SKIP_3) | instid1(VALU_DEP_2)
	v_xor_b32_e32 v0, v41, v0
	s_wait_alu 0xfffd
	v_cndmask_b32_e64 v42, 0x80000000, -1, vcc_lo
	v_cmp_lt_i32_e32 vcc_lo, -1, v2
	v_xor_b32_e32 v1, v42, v1
	s_wait_alu 0xfffd
	v_cndmask_b32_e64 v54, 0x80000000, -1, vcc_lo
	v_cmp_lt_i32_e32 vcc_lo, -1, v3
	s_delay_alu instid0(VALU_DEP_2) | instskip(SKIP_3) | instid1(VALU_DEP_2)
	v_xor_b32_e32 v2, v54, v2
	s_wait_alu 0xfffd
	v_cndmask_b32_e64 v41, 0x80000000, -1, vcc_lo
	v_cmp_lt_i32_e32 vcc_lo, -1, v4
	v_xor_b32_e32 v3, v41, v3
	;; [unrolled: 9-line block ×3, first 2 shown]
	s_wait_alu 0xfffd
	v_cndmask_b32_e64 v55, 0x80000000, -1, vcc_lo
	v_cmp_lt_i32_e32 vcc_lo, -1, v7
	s_delay_alu instid0(VALU_DEP_2) | instskip(SKIP_2) | instid1(VALU_DEP_1)
	v_xor_b32_e32 v6, v55, v6
	s_wait_alu 0xfffd
	v_cndmask_b32_e64 v56, 0x80000000, -1, vcc_lo
	v_xor_b32_e32 v7, v56, v7
	s_branch .LBB207_92
.LBB207_65:
	v_cmp_gt_i32_e32 vcc_lo, 0, v52
	v_or_b32_e32 v7, v93, v94
	s_wait_dscnt 0x2
	v_and_or_b32 v25, 0x1f00, v91, v93
	s_mov_b32 s24, 0
	s_getpc_b64 s[8:9]
	s_wait_alu 0xfffe
	s_sext_i32_i16 s9, s9
	s_add_co_u32 s8, s8, _ZN7rocprim17ROCPRIM_400000_NS16block_radix_sortIfLj128ELj8ElLj1ELj1ELj0ELNS0_26block_radix_rank_algorithmE1ELNS0_18block_padding_hintE2ELNS0_4arch9wavefront6targetE0EE19radix_bits_per_passE@rel32@lo+12
	s_wait_alu 0xfffe
	s_add_co_ci_u32 s9, s9, _ZN7rocprim17ROCPRIM_400000_NS16block_radix_sortIfLj128ELj8ElLj1ELj1ELj0ELNS0_26block_radix_rank_algorithmE1ELNS0_18block_padding_hintE2ELNS0_4arch9wavefront6targetE0EE19radix_bits_per_passE@rel32@hi+24
	s_wait_alu 0xfffd
	v_cndmask_b32_e64 v0, 0x7fffffff, 0, vcc_lo
	v_cmp_gt_i32_e32 vcc_lo, 0, v53
	s_mov_b32 s25, s24
	s_mov_b32 s26, s24
	s_mov_b32 s27, s24
	v_xor_b32_e32 v0, v0, v52
	s_wait_alu 0xfffd
	v_cndmask_b32_e64 v1, 0x7fffffff, 0, vcc_lo
	v_cmp_gt_i32_e32 vcc_lo, 0, v50
	v_lshlrev_b32_e32 v26, 5, v7
	s_load_b32 s21, s[8:9], 0x0
	v_cmp_gt_u32_e64 s15, 4, v45
	v_xor_b32_e32 v1, v1, v53
	v_cndmask_b32_e64 v2, 0x7fffffff, 0, vcc_lo
	v_cmp_gt_i32_e32 vcc_lo, 0, v51
	v_cmp_lt_u32_e64 s16, 31, v45
	v_cmp_eq_u32_e64 s17, 0, v45
	v_add_nc_u32_e32 v53, v89, v92
	v_xor_b32_e32 v2, v2, v50
	s_wait_alu 0xfffd
	v_cndmask_b32_e64 v3, 0x7fffffff, 0, vcc_lo
	v_cmp_gt_i32_e32 vcc_lo, 0, v48
	s_mov_b32 s23, 32
	s_delay_alu instid0(VALU_DEP_2) | instskip(SKIP_4) | instid1(VALU_DEP_3)
	v_xor_b32_e32 v3, v3, v51
	s_wait_alu 0xfffd
	v_cndmask_b32_e64 v4, 0x7fffffff, 0, vcc_lo
	v_cmp_gt_i32_e32 vcc_lo, 0, v49
	v_add_nc_u32_e32 v51, -4, v90
	v_xor_b32_e32 v4, v4, v48
	s_wait_alu 0xfffd
	v_cndmask_b32_e64 v5, 0x7fffffff, 0, vcc_lo
	v_cmp_gt_i32_e32 vcc_lo, 0, v46
	v_lshlrev_b32_e32 v48, 2, v25
	s_delay_alu instid0(VALU_DEP_3) | instskip(SKIP_4) | instid1(VALU_DEP_3)
	v_xor_b32_e32 v5, v5, v49
	s_wait_alu 0xfffd
	v_cndmask_b32_e64 v6, 0x7fffffff, 0, vcc_lo
	v_cmp_gt_i32_e32 vcc_lo, 0, v47
	v_add_nc_u32_e32 v49, v48, v48
	v_xor_b32_e32 v6, v6, v46
	s_wait_alu 0xfffd
	v_cndmask_b32_e64 v24, 0x7fffffff, 0, vcc_lo
	s_delay_alu instid0(VALU_DEP_1)
	v_xor_b32_e32 v7, v24, v47
	ds_store_b128 v26, v[0:3]
	ds_store_b128 v26, v[4:7] offset:16
	v_add_nc_u32_e32 v0, v26, v26
	; wave barrier
	s_wait_dscnt 0x3
	ds_load_2addr_b32 v[36:37], v48 offset1:32
	ds_load_2addr_b32 v[38:39], v48 offset0:64 offset1:96
	ds_load_2addr_b32 v[41:42], v48 offset0:128 offset1:160
	;; [unrolled: 1-line block ×3, first 2 shown]
	s_wait_loadcnt_dscnt 0x0
	s_barrier_signal -1
	s_barrier_wait -1
	global_inv scope:SCOPE_SE
	ds_store_b128 v0, v[20:23]
	ds_store_b128 v0, v[16:19] offset:16
	ds_store_b128 v0, v[12:15] offset:32
	;; [unrolled: 1-line block ×3, first 2 shown]
	; wave barrier
	ds_load_2addr_b64 v[4:7], v49 offset1:32
	ds_load_2addr_b64 v[8:11], v49 offset0:64 offset1:96
	ds_load_2addr_b64 v[12:15], v49 offset0:128 offset1:160
	;; [unrolled: 1-line block ×3, first 2 shown]
	s_wait_loadcnt_dscnt 0x0
	s_barrier_signal -1
	s_barrier_wait -1
	global_inv scope:SCOPE_SE
	s_load_b32 s10, s[36:37], 0xc
	v_and_b32_e32 v2, 15, v93
	v_and_b32_e32 v3, 16, v93
	s_delay_alu instid0(VALU_DEP_2) | instskip(SKIP_1) | instid1(VALU_DEP_3)
	v_cmp_lt_u32_e64 s9, 1, v2
	v_cmp_lt_u32_e64 s12, 7, v2
	v_cmp_eq_u32_e64 s13, 0, v3
	s_wait_kmcnt 0x0
	s_lshr_b32 s11, s10, 16
	s_and_b32 s8, s10, 0xffff
	s_wait_alu 0xfffe
	v_mad_u32_u24 v0, v96, s11, v95
	v_sub_co_u32 v20, s10, v93, 1
	v_cmp_lt_u32_e64 s11, 3, v2
	s_delay_alu instid0(VALU_DEP_3) | instskip(SKIP_1) | instid1(VALU_DEP_4)
	v_mad_co_u64_u32 v[0:1], null, v0, s8, v[45:46]
	v_min_u32_e32 v1, 0x60, v94
	v_cmp_gt_i32_e32 vcc_lo, 0, v20
	v_cmp_eq_u32_e64 s8, 0, v2
	s_delay_alu instid0(VALU_DEP_3) | instskip(SKIP_3) | instid1(VALU_DEP_3)
	v_or_b32_e32 v1, 31, v1
	s_wait_alu 0xfffd
	v_cndmask_b32_e32 v2, v20, v93, vcc_lo
	v_lshrrev_b32_e32 v0, 3, v0
	v_cmp_eq_u32_e64 s14, v45, v1
	v_and_b32_e32 v1, 3, v93
	s_delay_alu instid0(VALU_DEP_4) | instskip(NEXT) | instid1(VALU_DEP_4)
	v_lshlrev_b32_e32 v50, 2, v2
	v_and_b32_e32 v52, 0x1ffffffc, v0
	s_delay_alu instid0(VALU_DEP_3)
	v_cmp_eq_u32_e64 s18, 0, v1
	v_cmp_lt_u32_e64 s19, 1, v1
	v_dual_mov_b32 v0, s24 :: v_dual_mov_b32 v1, s25
	v_dual_mov_b32 v2, s26 :: v_dual_mov_b32 v3, s27
	s_branch .LBB207_67
.LBB207_66:                             ;   in Loop: Header=BB207_67 Depth=1
	s_wait_alu 0xfffe
	s_and_not1_b32 vcc_lo, exec_lo, s20
	s_wait_alu 0xfffe
	s_cbranch_vccz .LBB207_91
.LBB207_67:                             ; =>This Inner Loop Header: Depth=1
	v_dual_mov_b32 v54, v36 :: v_dual_mov_b32 v55, v47
	s_min_u32 s20, s21, s23
	ds_store_b128 v89, v[0:3] offset:16
	ds_store_b128 v89, v[0:3] offset:32
	s_wait_alu 0xfffe
	s_lshl_b32 s20, -1, s20
	v_cmp_ne_u32_e32 vcc_lo, 0x80000000, v54
	s_wait_alu 0xfffe
	s_not_b32 s25, s20
	s_wait_loadcnt_dscnt 0x0
	s_barrier_signal -1
	s_barrier_wait -1
	s_wait_alu 0xfffd
	v_dual_cndmask_b32 v20, 0x7fffffff, v54 :: v_dual_mov_b32 v57, v42
	global_inv scope:SCOPE_SE
	; wave barrier
	v_lshrrev_b32_e32 v20, s24, v20
	v_mov_b32_e32 v59, v39
	v_dual_mov_b32 v61, v37 :: v_dual_mov_b32 v58, v41
	v_mov_b32_e32 v60, v38
	s_wait_alu 0xfffe
	v_and_b32_e32 v36, s25, v20
	v_dual_mov_b32 v56, v46 :: v_dual_mov_b32 v31, v9
	v_dual_mov_b32 v30, v8 :: v_dual_mov_b32 v33, v7
	s_delay_alu instid0(VALU_DEP_3)
	v_and_b32_e32 v20, 1, v36
	v_lshlrev_b32_e32 v21, 30, v36
	v_lshlrev_b32_e32 v22, 29, v36
	v_lshlrev_b32_e32 v23, 28, v36
	v_lshlrev_b32_e32 v25, 27, v36
	v_add_co_u32 v20, s20, v20, -1
	s_wait_alu 0xf1ff
	v_cndmask_b32_e64 v24, 0, 1, s20
	v_not_b32_e32 v28, v21
	v_cmp_gt_i32_e64 s20, 0, v21
	v_not_b32_e32 v21, v22
	v_lshlrev_b32_e32 v26, 26, v36
	v_cmp_ne_u32_e32 vcc_lo, 0, v24
	v_ashrrev_i32_e32 v28, 31, v28
	v_lshlrev_b32_e32 v27, 25, v36
	v_ashrrev_i32_e32 v21, 31, v21
	v_lshlrev_b32_e32 v24, 24, v36
	s_wait_alu 0xfffd
	v_xor_b32_e32 v20, vcc_lo, v20
	v_cmp_gt_i32_e32 vcc_lo, 0, v22
	v_not_b32_e32 v22, v23
	s_wait_alu 0xf1ff
	v_xor_b32_e32 v28, s20, v28
	v_cmp_gt_i32_e64 s20, 0, v23
	v_and_b32_e32 v20, exec_lo, v20
	v_not_b32_e32 v23, v25
	v_ashrrev_i32_e32 v22, 31, v22
	s_wait_alu 0xfffd
	v_xor_b32_e32 v21, vcc_lo, v21
	v_cmp_gt_i32_e32 vcc_lo, 0, v25
	v_and_b32_e32 v20, v20, v28
	v_not_b32_e32 v25, v26
	v_ashrrev_i32_e32 v23, 31, v23
	s_wait_alu 0xf1ff
	v_xor_b32_e32 v22, s20, v22
	v_cmp_gt_i32_e64 s20, 0, v26
	v_and_b32_e32 v20, v20, v21
	v_not_b32_e32 v21, v27
	v_ashrrev_i32_e32 v25, 31, v25
	s_wait_alu 0xfffd
	v_xor_b32_e32 v23, vcc_lo, v23
	v_cmp_gt_i32_e32 vcc_lo, 0, v27
	v_and_b32_e32 v20, v20, v22
	v_ashrrev_i32_e32 v21, 31, v21
	s_wait_alu 0xf1ff
	v_xor_b32_e32 v25, s20, v25
	v_mov_b32_e32 v27, v13
	v_not_b32_e32 v22, v24
	v_dual_mov_b32 v35, v5 :: v_dual_and_b32 v20, v20, v23
	v_cmp_gt_i32_e64 s20, 0, v24
	s_wait_alu 0xfffd
	v_xor_b32_e32 v21, vcc_lo, v21
	v_ashrrev_i32_e32 v22, 31, v22
	v_dual_mov_b32 v25, v15 :: v_dual_and_b32 v20, v20, v25
	v_mov_b32_e32 v26, v12
	v_mov_b32_e32 v34, v4
	s_wait_alu 0xf1ff
	v_xor_b32_e32 v28, s20, v22
	v_dual_mov_b32 v24, v14 :: v_dual_and_b32 v29, v20, v21
	v_dual_mov_b32 v21, v19 :: v_dual_lshlrev_b32 v4, 4, v36
	v_mov_b32_e32 v23, v17
	s_delay_alu instid0(VALU_DEP_3) | instskip(SKIP_3) | instid1(VALU_DEP_4)
	v_dual_mov_b32 v29, v11 :: v_dual_and_b32 v14, v29, v28
	v_mov_b32_e32 v20, v18
	v_mov_b32_e32 v22, v16
	v_dual_mov_b32 v28, v10 :: v_dual_add_nc_u32 v13, v52, v4
	v_mbcnt_lo_u32_b32 v12, v14, 0
	v_cmp_ne_u32_e64 s20, 0, v14
	v_mov_b32_e32 v32, v6
	s_delay_alu instid0(VALU_DEP_3)
	v_cmp_eq_u32_e32 vcc_lo, 0, v12
	s_and_b32 s26, s20, vcc_lo
	s_wait_alu 0xfffe
	s_and_saveexec_b32 s20, s26
; %bb.68:                               ;   in Loop: Header=BB207_67 Depth=1
	v_bcnt_u32_b32 v4, v14, 0
	ds_store_b32 v13, v4 offset:16
; %bb.69:                               ;   in Loop: Header=BB207_67 Depth=1
	s_wait_alu 0xfffe
	s_or_b32 exec_lo, exec_lo, s20
	v_cmp_ne_u32_e32 vcc_lo, 0x80000000, v61
	; wave barrier
	s_wait_alu 0xfffd
	v_cndmask_b32_e32 v4, 0x7fffffff, v61, vcc_lo
	s_delay_alu instid0(VALU_DEP_1) | instskip(NEXT) | instid1(VALU_DEP_1)
	v_lshrrev_b32_e32 v4, s24, v4
	v_and_b32_e32 v4, s25, v4
	s_delay_alu instid0(VALU_DEP_1)
	v_and_b32_e32 v5, 1, v4
	v_lshlrev_b32_e32 v6, 30, v4
	v_lshlrev_b32_e32 v7, 29, v4
	;; [unrolled: 1-line block ×4, first 2 shown]
	v_add_co_u32 v5, s20, v5, -1
	s_wait_alu 0xf1ff
	v_cndmask_b32_e64 v9, 0, 1, s20
	v_not_b32_e32 v15, v6
	v_cmp_gt_i32_e64 s20, 0, v6
	v_not_b32_e32 v6, v7
	v_lshlrev_b32_e32 v11, 26, v4
	v_cmp_ne_u32_e32 vcc_lo, 0, v9
	v_ashrrev_i32_e32 v15, 31, v15
	v_lshlrev_b32_e32 v14, 25, v4
	v_ashrrev_i32_e32 v6, 31, v6
	v_lshlrev_b32_e32 v9, 24, v4
	s_wait_alu 0xfffd
	v_xor_b32_e32 v5, vcc_lo, v5
	v_cmp_gt_i32_e32 vcc_lo, 0, v7
	v_not_b32_e32 v7, v8
	s_wait_alu 0xf1ff
	v_xor_b32_e32 v15, s20, v15
	v_cmp_gt_i32_e64 s20, 0, v8
	v_and_b32_e32 v5, exec_lo, v5
	v_not_b32_e32 v8, v10
	v_ashrrev_i32_e32 v7, 31, v7
	s_wait_alu 0xfffd
	v_xor_b32_e32 v6, vcc_lo, v6
	v_cmp_gt_i32_e32 vcc_lo, 0, v10
	v_and_b32_e32 v5, v5, v15
	v_not_b32_e32 v10, v11
	v_ashrrev_i32_e32 v8, 31, v8
	s_wait_alu 0xf1ff
	v_xor_b32_e32 v7, s20, v7
	v_cmp_gt_i32_e64 s20, 0, v11
	v_and_b32_e32 v5, v5, v6
	v_not_b32_e32 v6, v14
	v_ashrrev_i32_e32 v10, 31, v10
	s_wait_alu 0xfffd
	v_xor_b32_e32 v8, vcc_lo, v8
	v_cmp_gt_i32_e32 vcc_lo, 0, v14
	v_and_b32_e32 v5, v5, v7
	v_not_b32_e32 v7, v9
	v_ashrrev_i32_e32 v6, 31, v6
	s_wait_alu 0xf1ff
	v_xor_b32_e32 v10, s20, v10
	v_lshlrev_b32_e32 v4, 4, v4
	v_and_b32_e32 v5, v5, v8
	v_cmp_gt_i32_e64 s20, 0, v9
	v_ashrrev_i32_e32 v7, 31, v7
	s_wait_alu 0xfffd
	v_xor_b32_e32 v6, vcc_lo, v6
	v_add_nc_u32_e32 v16, v52, v4
	v_and_b32_e32 v5, v5, v10
	s_wait_alu 0xf1ff
	v_xor_b32_e32 v4, s20, v7
	ds_load_b32 v14, v16 offset:16
	v_and_b32_e32 v5, v5, v6
	; wave barrier
	s_delay_alu instid0(VALU_DEP_1) | instskip(NEXT) | instid1(VALU_DEP_1)
	v_and_b32_e32 v4, v5, v4
	v_mbcnt_lo_u32_b32 v15, v4, 0
	v_cmp_ne_u32_e64 s20, 0, v4
	s_delay_alu instid0(VALU_DEP_2)
	v_cmp_eq_u32_e32 vcc_lo, 0, v15
	s_and_b32 s26, s20, vcc_lo
	s_wait_alu 0xfffe
	s_and_saveexec_b32 s20, s26
	s_cbranch_execz .LBB207_71
; %bb.70:                               ;   in Loop: Header=BB207_67 Depth=1
	s_wait_dscnt 0x0
	v_bcnt_u32_b32 v4, v4, v14
	ds_store_b32 v16, v4 offset:16
.LBB207_71:                             ;   in Loop: Header=BB207_67 Depth=1
	s_wait_alu 0xfffe
	s_or_b32 exec_lo, exec_lo, s20
	v_cmp_ne_u32_e32 vcc_lo, 0x80000000, v60
	; wave barrier
	s_wait_alu 0xfffd
	v_cndmask_b32_e32 v4, 0x7fffffff, v60, vcc_lo
	s_delay_alu instid0(VALU_DEP_1) | instskip(NEXT) | instid1(VALU_DEP_1)
	v_lshrrev_b32_e32 v4, s24, v4
	v_and_b32_e32 v4, s25, v4
	s_delay_alu instid0(VALU_DEP_1)
	v_and_b32_e32 v5, 1, v4
	v_lshlrev_b32_e32 v6, 30, v4
	v_lshlrev_b32_e32 v7, 29, v4
	v_lshlrev_b32_e32 v8, 28, v4
	v_lshlrev_b32_e32 v10, 27, v4
	v_add_co_u32 v5, s20, v5, -1
	s_wait_alu 0xf1ff
	v_cndmask_b32_e64 v9, 0, 1, s20
	v_not_b32_e32 v18, v6
	v_cmp_gt_i32_e64 s20, 0, v6
	v_not_b32_e32 v6, v7
	v_lshlrev_b32_e32 v11, 26, v4
	v_cmp_ne_u32_e32 vcc_lo, 0, v9
	v_ashrrev_i32_e32 v18, 31, v18
	v_lshlrev_b32_e32 v17, 25, v4
	v_ashrrev_i32_e32 v6, 31, v6
	v_lshlrev_b32_e32 v9, 24, v4
	s_wait_alu 0xfffd
	v_xor_b32_e32 v5, vcc_lo, v5
	v_cmp_gt_i32_e32 vcc_lo, 0, v7
	v_not_b32_e32 v7, v8
	s_wait_alu 0xf1ff
	v_xor_b32_e32 v18, s20, v18
	v_cmp_gt_i32_e64 s20, 0, v8
	v_and_b32_e32 v5, exec_lo, v5
	v_not_b32_e32 v8, v10
	v_ashrrev_i32_e32 v7, 31, v7
	s_wait_alu 0xfffd
	v_xor_b32_e32 v6, vcc_lo, v6
	v_cmp_gt_i32_e32 vcc_lo, 0, v10
	v_and_b32_e32 v5, v5, v18
	v_not_b32_e32 v10, v11
	v_ashrrev_i32_e32 v8, 31, v8
	s_wait_alu 0xf1ff
	v_xor_b32_e32 v7, s20, v7
	v_cmp_gt_i32_e64 s20, 0, v11
	v_and_b32_e32 v5, v5, v6
	v_not_b32_e32 v6, v17
	v_ashrrev_i32_e32 v10, 31, v10
	s_wait_alu 0xfffd
	v_xor_b32_e32 v8, vcc_lo, v8
	v_cmp_gt_i32_e32 vcc_lo, 0, v17
	v_and_b32_e32 v5, v5, v7
	v_not_b32_e32 v7, v9
	v_ashrrev_i32_e32 v6, 31, v6
	s_wait_alu 0xf1ff
	v_xor_b32_e32 v10, s20, v10
	v_lshlrev_b32_e32 v4, 4, v4
	v_and_b32_e32 v5, v5, v8
	v_cmp_gt_i32_e64 s20, 0, v9
	v_ashrrev_i32_e32 v7, 31, v7
	s_wait_alu 0xfffd
	v_xor_b32_e32 v6, vcc_lo, v6
	v_add_nc_u32_e32 v19, v52, v4
	v_and_b32_e32 v5, v5, v10
	s_wait_alu 0xf1ff
	v_xor_b32_e32 v4, s20, v7
	ds_load_b32 v17, v19 offset:16
	v_and_b32_e32 v5, v5, v6
	; wave barrier
	s_delay_alu instid0(VALU_DEP_1) | instskip(NEXT) | instid1(VALU_DEP_1)
	v_and_b32_e32 v4, v5, v4
	v_mbcnt_lo_u32_b32 v18, v4, 0
	v_cmp_ne_u32_e64 s20, 0, v4
	s_delay_alu instid0(VALU_DEP_2)
	v_cmp_eq_u32_e32 vcc_lo, 0, v18
	s_and_b32 s26, s20, vcc_lo
	s_wait_alu 0xfffe
	s_and_saveexec_b32 s20, s26
	s_cbranch_execz .LBB207_73
; %bb.72:                               ;   in Loop: Header=BB207_67 Depth=1
	s_wait_dscnt 0x0
	v_bcnt_u32_b32 v4, v4, v17
	ds_store_b32 v19, v4 offset:16
.LBB207_73:                             ;   in Loop: Header=BB207_67 Depth=1
	s_wait_alu 0xfffe
	s_or_b32 exec_lo, exec_lo, s20
	v_cmp_ne_u32_e32 vcc_lo, 0x80000000, v59
	; wave barrier
	s_wait_alu 0xfffd
	v_cndmask_b32_e32 v4, 0x7fffffff, v59, vcc_lo
	s_delay_alu instid0(VALU_DEP_1) | instskip(NEXT) | instid1(VALU_DEP_1)
	v_lshrrev_b32_e32 v4, s24, v4
	v_and_b32_e32 v4, s25, v4
	s_delay_alu instid0(VALU_DEP_1)
	v_and_b32_e32 v5, 1, v4
	v_lshlrev_b32_e32 v6, 30, v4
	v_lshlrev_b32_e32 v7, 29, v4
	;; [unrolled: 1-line block ×4, first 2 shown]
	v_add_co_u32 v5, s20, v5, -1
	s_wait_alu 0xf1ff
	v_cndmask_b32_e64 v9, 0, 1, s20
	v_not_b32_e32 v37, v6
	v_cmp_gt_i32_e64 s20, 0, v6
	v_not_b32_e32 v6, v7
	v_lshlrev_b32_e32 v11, 26, v4
	v_cmp_ne_u32_e32 vcc_lo, 0, v9
	v_ashrrev_i32_e32 v37, 31, v37
	v_lshlrev_b32_e32 v36, 25, v4
	v_ashrrev_i32_e32 v6, 31, v6
	v_lshlrev_b32_e32 v9, 24, v4
	s_wait_alu 0xfffd
	v_xor_b32_e32 v5, vcc_lo, v5
	v_cmp_gt_i32_e32 vcc_lo, 0, v7
	v_not_b32_e32 v7, v8
	s_wait_alu 0xf1ff
	v_xor_b32_e32 v37, s20, v37
	v_cmp_gt_i32_e64 s20, 0, v8
	v_and_b32_e32 v5, exec_lo, v5
	v_not_b32_e32 v8, v10
	v_ashrrev_i32_e32 v7, 31, v7
	s_wait_alu 0xfffd
	v_xor_b32_e32 v6, vcc_lo, v6
	v_cmp_gt_i32_e32 vcc_lo, 0, v10
	v_and_b32_e32 v5, v5, v37
	v_not_b32_e32 v10, v11
	v_ashrrev_i32_e32 v8, 31, v8
	s_wait_alu 0xf1ff
	v_xor_b32_e32 v7, s20, v7
	v_cmp_gt_i32_e64 s20, 0, v11
	v_and_b32_e32 v5, v5, v6
	v_not_b32_e32 v6, v36
	v_ashrrev_i32_e32 v10, 31, v10
	s_wait_alu 0xfffd
	v_xor_b32_e32 v8, vcc_lo, v8
	v_cmp_gt_i32_e32 vcc_lo, 0, v36
	v_and_b32_e32 v5, v5, v7
	v_not_b32_e32 v7, v9
	v_ashrrev_i32_e32 v6, 31, v6
	s_wait_alu 0xf1ff
	v_xor_b32_e32 v10, s20, v10
	v_lshlrev_b32_e32 v4, 4, v4
	v_and_b32_e32 v5, v5, v8
	v_cmp_gt_i32_e64 s20, 0, v9
	v_ashrrev_i32_e32 v7, 31, v7
	s_wait_alu 0xfffd
	v_xor_b32_e32 v6, vcc_lo, v6
	v_add_nc_u32_e32 v38, v52, v4
	v_and_b32_e32 v5, v5, v10
	s_wait_alu 0xf1ff
	v_xor_b32_e32 v4, s20, v7
	ds_load_b32 v36, v38 offset:16
	v_and_b32_e32 v5, v5, v6
	; wave barrier
	s_delay_alu instid0(VALU_DEP_1) | instskip(NEXT) | instid1(VALU_DEP_1)
	v_and_b32_e32 v4, v5, v4
	v_mbcnt_lo_u32_b32 v37, v4, 0
	v_cmp_ne_u32_e64 s20, 0, v4
	s_delay_alu instid0(VALU_DEP_2)
	v_cmp_eq_u32_e32 vcc_lo, 0, v37
	s_and_b32 s26, s20, vcc_lo
	s_wait_alu 0xfffe
	s_and_saveexec_b32 s20, s26
	s_cbranch_execz .LBB207_75
; %bb.74:                               ;   in Loop: Header=BB207_67 Depth=1
	s_wait_dscnt 0x0
	v_bcnt_u32_b32 v4, v4, v36
	ds_store_b32 v38, v4 offset:16
.LBB207_75:                             ;   in Loop: Header=BB207_67 Depth=1
	s_wait_alu 0xfffe
	s_or_b32 exec_lo, exec_lo, s20
	v_cmp_ne_u32_e32 vcc_lo, 0x80000000, v58
	; wave barrier
	s_wait_alu 0xfffd
	v_cndmask_b32_e32 v4, 0x7fffffff, v58, vcc_lo
	s_delay_alu instid0(VALU_DEP_1) | instskip(NEXT) | instid1(VALU_DEP_1)
	v_lshrrev_b32_e32 v4, s24, v4
	v_and_b32_e32 v4, s25, v4
	s_delay_alu instid0(VALU_DEP_1)
	v_and_b32_e32 v5, 1, v4
	v_lshlrev_b32_e32 v6, 30, v4
	v_lshlrev_b32_e32 v7, 29, v4
	;; [unrolled: 1-line block ×4, first 2 shown]
	v_add_co_u32 v5, s20, v5, -1
	s_wait_alu 0xf1ff
	v_cndmask_b32_e64 v9, 0, 1, s20
	v_not_b32_e32 v41, v6
	v_cmp_gt_i32_e64 s20, 0, v6
	v_not_b32_e32 v6, v7
	v_lshlrev_b32_e32 v11, 26, v4
	v_cmp_ne_u32_e32 vcc_lo, 0, v9
	v_ashrrev_i32_e32 v41, 31, v41
	v_lshlrev_b32_e32 v39, 25, v4
	v_ashrrev_i32_e32 v6, 31, v6
	v_lshlrev_b32_e32 v9, 24, v4
	s_wait_alu 0xfffd
	v_xor_b32_e32 v5, vcc_lo, v5
	v_cmp_gt_i32_e32 vcc_lo, 0, v7
	v_not_b32_e32 v7, v8
	s_wait_alu 0xf1ff
	v_xor_b32_e32 v41, s20, v41
	v_cmp_gt_i32_e64 s20, 0, v8
	v_and_b32_e32 v5, exec_lo, v5
	v_not_b32_e32 v8, v10
	v_ashrrev_i32_e32 v7, 31, v7
	s_wait_alu 0xfffd
	v_xor_b32_e32 v6, vcc_lo, v6
	v_cmp_gt_i32_e32 vcc_lo, 0, v10
	v_and_b32_e32 v5, v5, v41
	v_not_b32_e32 v10, v11
	v_ashrrev_i32_e32 v8, 31, v8
	s_wait_alu 0xf1ff
	v_xor_b32_e32 v7, s20, v7
	v_cmp_gt_i32_e64 s20, 0, v11
	v_and_b32_e32 v5, v5, v6
	v_not_b32_e32 v6, v39
	v_ashrrev_i32_e32 v10, 31, v10
	s_wait_alu 0xfffd
	v_xor_b32_e32 v8, vcc_lo, v8
	v_cmp_gt_i32_e32 vcc_lo, 0, v39
	v_and_b32_e32 v5, v5, v7
	v_not_b32_e32 v7, v9
	v_ashrrev_i32_e32 v6, 31, v6
	s_wait_alu 0xf1ff
	v_xor_b32_e32 v10, s20, v10
	v_lshlrev_b32_e32 v4, 4, v4
	v_and_b32_e32 v5, v5, v8
	v_cmp_gt_i32_e64 s20, 0, v9
	v_ashrrev_i32_e32 v7, 31, v7
	s_wait_alu 0xfffd
	v_xor_b32_e32 v6, vcc_lo, v6
	v_add_nc_u32_e32 v42, v52, v4
	v_and_b32_e32 v5, v5, v10
	s_wait_alu 0xf1ff
	v_xor_b32_e32 v4, s20, v7
	ds_load_b32 v39, v42 offset:16
	v_and_b32_e32 v5, v5, v6
	; wave barrier
	s_delay_alu instid0(VALU_DEP_1) | instskip(NEXT) | instid1(VALU_DEP_1)
	v_and_b32_e32 v4, v5, v4
	v_mbcnt_lo_u32_b32 v41, v4, 0
	v_cmp_ne_u32_e64 s20, 0, v4
	s_delay_alu instid0(VALU_DEP_2)
	v_cmp_eq_u32_e32 vcc_lo, 0, v41
	s_and_b32 s26, s20, vcc_lo
	s_wait_alu 0xfffe
	s_and_saveexec_b32 s20, s26
	s_cbranch_execz .LBB207_77
; %bb.76:                               ;   in Loop: Header=BB207_67 Depth=1
	s_wait_dscnt 0x0
	v_bcnt_u32_b32 v4, v4, v39
	ds_store_b32 v42, v4 offset:16
.LBB207_77:                             ;   in Loop: Header=BB207_67 Depth=1
	s_wait_alu 0xfffe
	s_or_b32 exec_lo, exec_lo, s20
	v_cmp_ne_u32_e32 vcc_lo, 0x80000000, v57
	; wave barrier
	s_wait_alu 0xfffd
	v_cndmask_b32_e32 v4, 0x7fffffff, v57, vcc_lo
	s_delay_alu instid0(VALU_DEP_1) | instskip(NEXT) | instid1(VALU_DEP_1)
	v_lshrrev_b32_e32 v4, s24, v4
	v_and_b32_e32 v4, s25, v4
	s_delay_alu instid0(VALU_DEP_1)
	v_and_b32_e32 v5, 1, v4
	v_lshlrev_b32_e32 v6, 30, v4
	v_lshlrev_b32_e32 v7, 29, v4
	;; [unrolled: 1-line block ×4, first 2 shown]
	v_add_co_u32 v5, s20, v5, -1
	s_wait_alu 0xf1ff
	v_cndmask_b32_e64 v9, 0, 1, s20
	v_not_b32_e32 v47, v6
	v_cmp_gt_i32_e64 s20, 0, v6
	v_not_b32_e32 v6, v7
	v_lshlrev_b32_e32 v11, 26, v4
	v_cmp_ne_u32_e32 vcc_lo, 0, v9
	v_ashrrev_i32_e32 v47, 31, v47
	v_lshlrev_b32_e32 v46, 25, v4
	v_ashrrev_i32_e32 v6, 31, v6
	v_lshlrev_b32_e32 v9, 24, v4
	s_wait_alu 0xfffd
	v_xor_b32_e32 v5, vcc_lo, v5
	v_cmp_gt_i32_e32 vcc_lo, 0, v7
	v_not_b32_e32 v7, v8
	s_wait_alu 0xf1ff
	v_xor_b32_e32 v47, s20, v47
	v_cmp_gt_i32_e64 s20, 0, v8
	v_and_b32_e32 v5, exec_lo, v5
	v_not_b32_e32 v8, v10
	v_ashrrev_i32_e32 v7, 31, v7
	s_wait_alu 0xfffd
	v_xor_b32_e32 v6, vcc_lo, v6
	v_cmp_gt_i32_e32 vcc_lo, 0, v10
	v_and_b32_e32 v5, v5, v47
	v_not_b32_e32 v10, v11
	v_ashrrev_i32_e32 v8, 31, v8
	s_wait_alu 0xf1ff
	v_xor_b32_e32 v7, s20, v7
	v_cmp_gt_i32_e64 s20, 0, v11
	v_and_b32_e32 v5, v5, v6
	v_not_b32_e32 v6, v46
	v_ashrrev_i32_e32 v10, 31, v10
	s_wait_alu 0xfffd
	v_xor_b32_e32 v8, vcc_lo, v8
	v_cmp_gt_i32_e32 vcc_lo, 0, v46
	v_and_b32_e32 v5, v5, v7
	v_not_b32_e32 v7, v9
	v_ashrrev_i32_e32 v6, 31, v6
	s_wait_alu 0xf1ff
	v_xor_b32_e32 v10, s20, v10
	v_lshlrev_b32_e32 v4, 4, v4
	v_and_b32_e32 v5, v5, v8
	v_cmp_gt_i32_e64 s20, 0, v9
	v_ashrrev_i32_e32 v7, 31, v7
	s_wait_alu 0xfffd
	v_xor_b32_e32 v6, vcc_lo, v6
	v_add_nc_u32_e32 v47, v52, v4
	v_and_b32_e32 v5, v5, v10
	s_wait_alu 0xf1ff
	v_xor_b32_e32 v4, s20, v7
	ds_load_b32 v46, v47 offset:16
	v_and_b32_e32 v5, v5, v6
	; wave barrier
	s_delay_alu instid0(VALU_DEP_1) | instskip(NEXT) | instid1(VALU_DEP_1)
	v_and_b32_e32 v4, v5, v4
	v_mbcnt_lo_u32_b32 v62, v4, 0
	v_cmp_ne_u32_e64 s20, 0, v4
	s_delay_alu instid0(VALU_DEP_2)
	v_cmp_eq_u32_e32 vcc_lo, 0, v62
	s_and_b32 s26, s20, vcc_lo
	s_wait_alu 0xfffe
	s_and_saveexec_b32 s20, s26
	s_cbranch_execz .LBB207_79
; %bb.78:                               ;   in Loop: Header=BB207_67 Depth=1
	s_wait_dscnt 0x0
	v_bcnt_u32_b32 v4, v4, v46
	ds_store_b32 v47, v4 offset:16
.LBB207_79:                             ;   in Loop: Header=BB207_67 Depth=1
	s_wait_alu 0xfffe
	s_or_b32 exec_lo, exec_lo, s20
	v_cmp_ne_u32_e32 vcc_lo, 0x80000000, v56
	; wave barrier
	s_wait_alu 0xfffd
	v_cndmask_b32_e32 v4, 0x7fffffff, v56, vcc_lo
	s_delay_alu instid0(VALU_DEP_1) | instskip(NEXT) | instid1(VALU_DEP_1)
	v_lshrrev_b32_e32 v4, s24, v4
	v_and_b32_e32 v4, s25, v4
	s_delay_alu instid0(VALU_DEP_1)
	v_and_b32_e32 v5, 1, v4
	v_lshlrev_b32_e32 v6, 30, v4
	v_lshlrev_b32_e32 v7, 29, v4
	;; [unrolled: 1-line block ×4, first 2 shown]
	v_add_co_u32 v5, s20, v5, -1
	s_wait_alu 0xf1ff
	v_cndmask_b32_e64 v9, 0, 1, s20
	v_not_b32_e32 v64, v6
	v_cmp_gt_i32_e64 s20, 0, v6
	v_not_b32_e32 v6, v7
	v_lshlrev_b32_e32 v11, 26, v4
	v_cmp_ne_u32_e32 vcc_lo, 0, v9
	v_ashrrev_i32_e32 v64, 31, v64
	v_lshlrev_b32_e32 v63, 25, v4
	v_ashrrev_i32_e32 v6, 31, v6
	v_lshlrev_b32_e32 v9, 24, v4
	s_wait_alu 0xfffd
	v_xor_b32_e32 v5, vcc_lo, v5
	v_cmp_gt_i32_e32 vcc_lo, 0, v7
	v_not_b32_e32 v7, v8
	s_wait_alu 0xf1ff
	v_xor_b32_e32 v64, s20, v64
	v_cmp_gt_i32_e64 s20, 0, v8
	v_and_b32_e32 v5, exec_lo, v5
	v_not_b32_e32 v8, v10
	v_ashrrev_i32_e32 v7, 31, v7
	s_wait_alu 0xfffd
	v_xor_b32_e32 v6, vcc_lo, v6
	v_cmp_gt_i32_e32 vcc_lo, 0, v10
	v_and_b32_e32 v5, v5, v64
	v_not_b32_e32 v10, v11
	v_ashrrev_i32_e32 v8, 31, v8
	s_wait_alu 0xf1ff
	v_xor_b32_e32 v7, s20, v7
	v_cmp_gt_i32_e64 s20, 0, v11
	v_and_b32_e32 v5, v5, v6
	v_not_b32_e32 v6, v63
	v_ashrrev_i32_e32 v10, 31, v10
	s_wait_alu 0xfffd
	v_xor_b32_e32 v8, vcc_lo, v8
	v_cmp_gt_i32_e32 vcc_lo, 0, v63
	v_and_b32_e32 v5, v5, v7
	v_not_b32_e32 v7, v9
	v_ashrrev_i32_e32 v6, 31, v6
	s_wait_alu 0xf1ff
	v_xor_b32_e32 v10, s20, v10
	v_lshlrev_b32_e32 v4, 4, v4
	v_and_b32_e32 v5, v5, v8
	v_cmp_gt_i32_e64 s20, 0, v9
	v_ashrrev_i32_e32 v7, 31, v7
	s_wait_alu 0xfffd
	v_xor_b32_e32 v6, vcc_lo, v6
	v_add_nc_u32_e32 v64, v52, v4
	v_and_b32_e32 v5, v5, v10
	s_wait_alu 0xf1ff
	v_xor_b32_e32 v4, s20, v7
	ds_load_b32 v63, v64 offset:16
	v_and_b32_e32 v5, v5, v6
	; wave barrier
	s_delay_alu instid0(VALU_DEP_1) | instskip(NEXT) | instid1(VALU_DEP_1)
	v_and_b32_e32 v4, v5, v4
	v_mbcnt_lo_u32_b32 v65, v4, 0
	v_cmp_ne_u32_e64 s20, 0, v4
	s_delay_alu instid0(VALU_DEP_2)
	v_cmp_eq_u32_e32 vcc_lo, 0, v65
	s_and_b32 s26, s20, vcc_lo
	s_wait_alu 0xfffe
	s_and_saveexec_b32 s20, s26
	s_cbranch_execz .LBB207_81
; %bb.80:                               ;   in Loop: Header=BB207_67 Depth=1
	s_wait_dscnt 0x0
	v_bcnt_u32_b32 v4, v4, v63
	ds_store_b32 v64, v4 offset:16
.LBB207_81:                             ;   in Loop: Header=BB207_67 Depth=1
	s_wait_alu 0xfffe
	s_or_b32 exec_lo, exec_lo, s20
	v_cmp_ne_u32_e32 vcc_lo, 0x80000000, v55
	; wave barrier
	s_wait_alu 0xfffd
	v_cndmask_b32_e32 v4, 0x7fffffff, v55, vcc_lo
	s_delay_alu instid0(VALU_DEP_1) | instskip(NEXT) | instid1(VALU_DEP_1)
	v_lshrrev_b32_e32 v4, s24, v4
	v_and_b32_e32 v4, s25, v4
	s_delay_alu instid0(VALU_DEP_1)
	v_and_b32_e32 v5, 1, v4
	v_lshlrev_b32_e32 v6, 30, v4
	v_lshlrev_b32_e32 v7, 29, v4
	;; [unrolled: 1-line block ×4, first 2 shown]
	v_add_co_u32 v5, s20, v5, -1
	s_wait_alu 0xf1ff
	v_cndmask_b32_e64 v9, 0, 1, s20
	v_not_b32_e32 v67, v6
	v_cmp_gt_i32_e64 s20, 0, v6
	v_not_b32_e32 v6, v7
	v_lshlrev_b32_e32 v11, 26, v4
	v_cmp_ne_u32_e32 vcc_lo, 0, v9
	v_ashrrev_i32_e32 v67, 31, v67
	v_lshlrev_b32_e32 v66, 25, v4
	v_ashrrev_i32_e32 v6, 31, v6
	v_lshlrev_b32_e32 v9, 24, v4
	s_wait_alu 0xfffd
	v_xor_b32_e32 v5, vcc_lo, v5
	v_cmp_gt_i32_e32 vcc_lo, 0, v7
	v_not_b32_e32 v7, v8
	s_wait_alu 0xf1ff
	v_xor_b32_e32 v67, s20, v67
	v_cmp_gt_i32_e64 s20, 0, v8
	v_and_b32_e32 v5, exec_lo, v5
	v_not_b32_e32 v8, v10
	v_ashrrev_i32_e32 v7, 31, v7
	s_wait_alu 0xfffd
	v_xor_b32_e32 v6, vcc_lo, v6
	v_cmp_gt_i32_e32 vcc_lo, 0, v10
	v_and_b32_e32 v5, v5, v67
	v_not_b32_e32 v10, v11
	v_ashrrev_i32_e32 v8, 31, v8
	s_wait_alu 0xf1ff
	v_xor_b32_e32 v7, s20, v7
	v_cmp_gt_i32_e64 s20, 0, v11
	v_and_b32_e32 v5, v5, v6
	v_not_b32_e32 v6, v66
	v_ashrrev_i32_e32 v10, 31, v10
	s_wait_alu 0xfffd
	v_xor_b32_e32 v8, vcc_lo, v8
	v_cmp_gt_i32_e32 vcc_lo, 0, v66
	v_and_b32_e32 v5, v5, v7
	v_not_b32_e32 v7, v9
	v_ashrrev_i32_e32 v6, 31, v6
	s_wait_alu 0xf1ff
	v_xor_b32_e32 v10, s20, v10
	v_lshlrev_b32_e32 v4, 4, v4
	v_and_b32_e32 v5, v5, v8
	v_cmp_gt_i32_e64 s20, 0, v9
	v_ashrrev_i32_e32 v7, 31, v7
	s_wait_alu 0xfffd
	v_xor_b32_e32 v6, vcc_lo, v6
	v_add_nc_u32_e32 v66, v52, v4
	v_and_b32_e32 v5, v5, v10
	s_wait_alu 0xf1ff
	v_xor_b32_e32 v4, s20, v7
	ds_load_b32 v71, v66 offset:16
	v_and_b32_e32 v5, v5, v6
	; wave barrier
	s_delay_alu instid0(VALU_DEP_1) | instskip(NEXT) | instid1(VALU_DEP_1)
	v_and_b32_e32 v4, v5, v4
	v_mbcnt_lo_u32_b32 v91, v4, 0
	v_cmp_ne_u32_e64 s20, 0, v4
	s_delay_alu instid0(VALU_DEP_2)
	v_cmp_eq_u32_e32 vcc_lo, 0, v91
	s_and_b32 s25, s20, vcc_lo
	s_wait_alu 0xfffe
	s_and_saveexec_b32 s20, s25
	s_cbranch_execz .LBB207_83
; %bb.82:                               ;   in Loop: Header=BB207_67 Depth=1
	s_wait_dscnt 0x0
	v_bcnt_u32_b32 v4, v4, v71
	ds_store_b32 v66, v4 offset:16
.LBB207_83:                             ;   in Loop: Header=BB207_67 Depth=1
	s_wait_alu 0xfffe
	s_or_b32 exec_lo, exec_lo, s20
	; wave barrier
	s_wait_loadcnt_dscnt 0x0
	s_barrier_signal -1
	s_barrier_wait -1
	global_inv scope:SCOPE_SE
	ds_load_b128 v[8:11], v89 offset:16
	ds_load_b128 v[4:7], v89 offset:32
	s_wait_dscnt 0x1
	v_add_nc_u32_e32 v67, v9, v8
	s_delay_alu instid0(VALU_DEP_1) | instskip(SKIP_1) | instid1(VALU_DEP_1)
	v_add3_u32 v67, v67, v10, v11
	s_wait_dscnt 0x0
	v_add3_u32 v67, v67, v4, v5
	s_delay_alu instid0(VALU_DEP_1) | instskip(NEXT) | instid1(VALU_DEP_1)
	v_add3_u32 v7, v67, v6, v7
	v_mov_b32_dpp v67, v7 row_shr:1 row_mask:0xf bank_mask:0xf
	s_delay_alu instid0(VALU_DEP_1) | instskip(NEXT) | instid1(VALU_DEP_1)
	v_cndmask_b32_e64 v67, v67, 0, s8
	v_add_nc_u32_e32 v7, v67, v7
	s_delay_alu instid0(VALU_DEP_1) | instskip(NEXT) | instid1(VALU_DEP_1)
	v_mov_b32_dpp v67, v7 row_shr:2 row_mask:0xf bank_mask:0xf
	v_cndmask_b32_e64 v67, 0, v67, s9
	s_delay_alu instid0(VALU_DEP_1) | instskip(NEXT) | instid1(VALU_DEP_1)
	v_add_nc_u32_e32 v7, v7, v67
	v_mov_b32_dpp v67, v7 row_shr:4 row_mask:0xf bank_mask:0xf
	s_delay_alu instid0(VALU_DEP_1) | instskip(NEXT) | instid1(VALU_DEP_1)
	v_cndmask_b32_e64 v67, 0, v67, s11
	v_add_nc_u32_e32 v7, v7, v67
	s_delay_alu instid0(VALU_DEP_1) | instskip(NEXT) | instid1(VALU_DEP_1)
	v_mov_b32_dpp v67, v7 row_shr:8 row_mask:0xf bank_mask:0xf
	v_cndmask_b32_e64 v67, 0, v67, s12
	s_delay_alu instid0(VALU_DEP_1) | instskip(SKIP_3) | instid1(VALU_DEP_1)
	v_add_nc_u32_e32 v7, v7, v67
	ds_swizzle_b32 v67, v7 offset:swizzle(BROADCAST,32,15)
	s_wait_dscnt 0x0
	v_cndmask_b32_e64 v67, v67, 0, s13
	v_add_nc_u32_e32 v7, v7, v67
	s_and_saveexec_b32 s20, s14
; %bb.84:                               ;   in Loop: Header=BB207_67 Depth=1
	ds_store_b32 v90, v7
; %bb.85:                               ;   in Loop: Header=BB207_67 Depth=1
	s_wait_alu 0xfffe
	s_or_b32 exec_lo, exec_lo, s20
	s_wait_loadcnt_dscnt 0x0
	s_barrier_signal -1
	s_barrier_wait -1
	global_inv scope:SCOPE_SE
	s_and_saveexec_b32 s20, s15
	s_cbranch_execz .LBB207_87
; %bb.86:                               ;   in Loop: Header=BB207_67 Depth=1
	ds_load_b32 v67, v53
	s_wait_dscnt 0x0
	v_mov_b32_dpp v68, v67 row_shr:1 row_mask:0xf bank_mask:0xf
	s_delay_alu instid0(VALU_DEP_1) | instskip(NEXT) | instid1(VALU_DEP_1)
	v_cndmask_b32_e64 v68, v68, 0, s18
	v_add_nc_u32_e32 v67, v68, v67
	s_delay_alu instid0(VALU_DEP_1) | instskip(NEXT) | instid1(VALU_DEP_1)
	v_mov_b32_dpp v68, v67 row_shr:2 row_mask:0xf bank_mask:0xf
	v_cndmask_b32_e64 v68, 0, v68, s19
	s_delay_alu instid0(VALU_DEP_1)
	v_add_nc_u32_e32 v67, v67, v68
	ds_store_b32 v53, v67
.LBB207_87:                             ;   in Loop: Header=BB207_67 Depth=1
	s_wait_alu 0xfffe
	s_or_b32 exec_lo, exec_lo, s20
	v_mov_b32_e32 v67, 0
	s_wait_loadcnt_dscnt 0x0
	s_barrier_signal -1
	s_barrier_wait -1
	global_inv scope:SCOPE_SE
	s_and_saveexec_b32 s20, s16
; %bb.88:                               ;   in Loop: Header=BB207_67 Depth=1
	ds_load_b32 v67, v51
; %bb.89:                               ;   in Loop: Header=BB207_67 Depth=1
	s_wait_alu 0xfffe
	s_or_b32 exec_lo, exec_lo, s20
	s_wait_dscnt 0x0
	v_add_nc_u32_e32 v7, v67, v7
	s_cmp_gt_u32 s24, 23
	s_mov_b32 s20, -1
	ds_bpermute_b32 v7, v50, v7
	s_wait_dscnt 0x0
	v_cndmask_b32_e64 v7, v7, v67, s10
	s_delay_alu instid0(VALU_DEP_1) | instskip(NEXT) | instid1(VALU_DEP_1)
	v_cndmask_b32_e64 v7, v7, 0, s17
	v_add_nc_u32_e32 v8, v7, v8
	s_delay_alu instid0(VALU_DEP_1) | instskip(NEXT) | instid1(VALU_DEP_1)
	v_add_nc_u32_e32 v9, v8, v9
	v_add_nc_u32_e32 v10, v9, v10
	s_delay_alu instid0(VALU_DEP_1) | instskip(NEXT) | instid1(VALU_DEP_1)
	v_add_nc_u32_e32 v67, v10, v11
	v_add_nc_u32_e32 v68, v67, v4
	s_delay_alu instid0(VALU_DEP_1) | instskip(NEXT) | instid1(VALU_DEP_1)
	v_add_nc_u32_e32 v69, v68, v5
	v_add_nc_u32_e32 v70, v69, v6
	ds_store_b128 v89, v[7:10] offset:16
	ds_store_b128 v89, v[67:70] offset:32
	s_wait_loadcnt_dscnt 0x0
	s_barrier_signal -1
	s_barrier_wait -1
	global_inv scope:SCOPE_SE
	ds_load_b32 v4, v13 offset:16
	ds_load_b32 v5, v16 offset:16
	;; [unrolled: 1-line block ×8, first 2 shown]
	s_wait_dscnt 0x7
	v_add_nc_u32_e32 v70, v4, v12
	s_wait_dscnt 0x6
	v_add3_u32 v69, v15, v14, v5
	s_wait_dscnt 0x5
	v_add3_u32 v68, v18, v17, v6
	;; [unrolled: 2-line block ×7, first 2 shown]
                                        ; implicit-def: $vgpr47
                                        ; implicit-def: $vgpr42
                                        ; implicit-def: $vgpr39
                                        ; implicit-def: $vgpr37
                                        ; implicit-def: $vgpr18_vgpr19
                                        ; implicit-def: $vgpr14_vgpr15
                                        ; implicit-def: $vgpr10_vgpr11
                                        ; implicit-def: $vgpr6_vgpr7
	s_cbranch_scc1 .LBB207_66
; %bb.90:                               ;   in Loop: Header=BB207_67 Depth=1
	v_lshlrev_b32_e32 v4, 2, v70
	v_lshlrev_b32_e32 v5, 2, v69
	;; [unrolled: 1-line block ×3, first 2 shown]
	s_wait_loadcnt 0x0
	s_barrier_signal -1
	s_barrier_wait -1
	global_inv scope:SCOPE_SE
	ds_store_b32 v4, v54
	ds_store_b32 v5, v61
	;; [unrolled: 1-line block ×3, first 2 shown]
	v_lshlrev_b32_e32 v7, 2, v67
	v_add_nc_u32_e32 v4, v4, v4
	v_lshlrev_b32_e32 v8, 2, v66
	v_add_nc_u32_e32 v5, v5, v5
	;; [unrolled: 2-line block ×3, first 2 shown]
	v_lshlrev_b32_e32 v10, 2, v63
	v_lshlrev_b32_e32 v11, 2, v62
	ds_store_b32 v7, v59
	ds_store_b32 v8, v58
	;; [unrolled: 1-line block ×5, first 2 shown]
	s_wait_loadcnt_dscnt 0x0
	s_barrier_signal -1
	s_barrier_wait -1
	global_inv scope:SCOPE_SE
	ds_load_2addr_b32 v[36:37], v48 offset1:32
	ds_load_2addr_b32 v[38:39], v48 offset0:64 offset1:96
	ds_load_2addr_b32 v[41:42], v48 offset0:128 offset1:160
	;; [unrolled: 1-line block ×3, first 2 shown]
	s_wait_loadcnt_dscnt 0x0
	s_barrier_signal -1
	s_barrier_wait -1
	global_inv scope:SCOPE_SE
	ds_store_b64 v4, v[34:35]
	ds_store_b64 v5, v[32:33]
	;; [unrolled: 1-line block ×3, first 2 shown]
	v_add_nc_u32_e32 v4, v7, v7
	v_add_nc_u32_e32 v5, v8, v8
	;; [unrolled: 1-line block ×5, first 2 shown]
	ds_store_b64 v4, v[28:29]
	ds_store_b64 v5, v[26:27]
	;; [unrolled: 1-line block ×5, first 2 shown]
	s_wait_loadcnt_dscnt 0x0
	s_barrier_signal -1
	s_barrier_wait -1
	global_inv scope:SCOPE_SE
	ds_load_2addr_b64 v[4:7], v49 offset1:32
	ds_load_2addr_b64 v[8:11], v49 offset0:64 offset1:96
	ds_load_2addr_b64 v[12:15], v49 offset0:128 offset1:160
	;; [unrolled: 1-line block ×3, first 2 shown]
	s_add_co_i32 s24, s24, 8
	s_add_co_i32 s23, s23, -8
	s_mov_b32 s20, 0
	s_wait_loadcnt_dscnt 0x0
	s_barrier_signal -1
	s_barrier_wait -1
	global_inv scope:SCOPE_SE
	s_branch .LBB207_66
.LBB207_91:
	v_lshlrev_b32_e32 v8, 2, v70
	v_lshlrev_b32_e32 v11, 2, v67
	;; [unrolled: 1-line block ×8, first 2 shown]
	s_wait_loadcnt 0x0
	s_barrier_signal -1
	s_barrier_wait -1
	global_inv scope:SCOPE_SE
	ds_store_b32 v8, v54
	ds_store_b32 v9, v61
	;; [unrolled: 1-line block ×8, first 2 shown]
	s_wait_loadcnt_dscnt 0x0
	s_barrier_signal -1
	s_barrier_wait -1
	global_inv scope:SCOPE_SE
	ds_load_b128 v[0:3], v89
	ds_load_b128 v[4:7], v89 offset:16
	v_add_nc_u32_e32 v8, v8, v8
	v_add_nc_u32_e32 v9, v9, v9
	;; [unrolled: 1-line block ×3, first 2 shown]
	s_wait_loadcnt_dscnt 0x0
	s_barrier_signal -1
	s_barrier_wait -1
	global_inv scope:SCOPE_SE
	ds_store_b64 v8, v[34:35]
	ds_store_b64 v9, v[32:33]
	;; [unrolled: 1-line block ×3, first 2 shown]
	v_add_nc_u32_e32 v8, v11, v11
	v_add_nc_u32_e32 v9, v12, v12
	;; [unrolled: 1-line block ×5, first 2 shown]
	ds_store_b64 v8, v[28:29]
	ds_store_b64 v9, v[26:27]
	;; [unrolled: 1-line block ×5, first 2 shown]
	v_lshl_add_u32 v8, v45, 5, v89
	s_wait_loadcnt_dscnt 0x0
	s_barrier_signal -1
	s_barrier_wait -1
	v_cmp_gt_i32_e32 vcc_lo, 0, v0
	global_inv scope:SCOPE_SE
	ds_load_b128 v[28:31], v8
	ds_load_b128 v[24:27], v8 offset:16
	ds_load_b128 v[36:39], v8 offset:32
	;; [unrolled: 1-line block ×3, first 2 shown]
	s_wait_alu 0xfffd
	v_cndmask_b32_e64 v9, 0x7fffffff, 0, vcc_lo
	v_cmp_gt_i32_e32 vcc_lo, 0, v1
	s_delay_alu instid0(VALU_DEP_2) | instskip(SKIP_3) | instid1(VALU_DEP_2)
	v_xor_b32_e32 v0, v9, v0
	s_wait_alu 0xfffd
	v_cndmask_b32_e64 v10, 0x7fffffff, 0, vcc_lo
	v_cmp_gt_i32_e32 vcc_lo, 0, v2
	v_xor_b32_e32 v1, v10, v1
	s_wait_alu 0xfffd
	v_cndmask_b32_e64 v11, 0x7fffffff, 0, vcc_lo
	v_cmp_gt_i32_e32 vcc_lo, 0, v3
	s_delay_alu instid0(VALU_DEP_2) | instskip(SKIP_3) | instid1(VALU_DEP_2)
	v_xor_b32_e32 v2, v11, v2
	s_wait_alu 0xfffd
	v_cndmask_b32_e64 v8, 0x7fffffff, 0, vcc_lo
	v_cmp_gt_i32_e32 vcc_lo, 0, v4
	v_xor_b32_e32 v3, v8, v3
	;; [unrolled: 9-line block ×3, first 2 shown]
	s_wait_alu 0xfffd
	v_cndmask_b32_e64 v11, 0x7fffffff, 0, vcc_lo
	v_cmp_gt_i32_e32 vcc_lo, 0, v7
	s_delay_alu instid0(VALU_DEP_2) | instskip(SKIP_2) | instid1(VALU_DEP_1)
	v_xor_b32_e32 v6, v11, v6
	s_wait_alu 0xfffd
	v_cndmask_b32_e64 v12, 0x7fffffff, 0, vcc_lo
	v_xor_b32_e32 v7, v12, v7
.LBB207_92:
	s_wait_loadcnt_dscnt 0x0
	s_barrier_signal -1
	s_barrier_wait -1
	global_inv scope:SCOPE_SE
	ds_store_2addr_b32 v79, v0, v1 offset1:1
	ds_store_2addr_b32 v79, v2, v3 offset0:2 offset1:3
	ds_store_2addr_b32 v79, v4, v5 offset0:4 offset1:5
	;; [unrolled: 1-line block ×3, first 2 shown]
	s_wait_loadcnt_dscnt 0x0
	s_barrier_signal -1
	s_barrier_wait -1
	global_inv scope:SCOPE_SE
	ds_load_b32 v8, v44 offset:512
	ds_load_b32 v7, v73 offset:1024
	;; [unrolled: 1-line block ×7, first 2 shown]
	v_mov_b32_e32 v44, 0
	s_delay_alu instid0(VALU_DEP_1) | instskip(NEXT) | instid1(VALU_DEP_1)
	v_lshlrev_b64_e32 v[0:1], 2, v[43:44]
	v_add_co_u32 v0, vcc_lo, s30, v0
	s_wait_alu 0xfffd
	s_delay_alu instid0(VALU_DEP_2)
	v_add_co_ci_u32_e64 v1, null, s31, v1, vcc_lo
	s_and_saveexec_b32 s8, s0
	s_cbranch_execnz .LBB207_111
; %bb.93:
	s_wait_alu 0xfffe
	s_or_b32 exec_lo, exec_lo, s8
	s_and_saveexec_b32 s8, s1
	s_cbranch_execnz .LBB207_112
.LBB207_94:
	s_wait_alu 0xfffe
	s_or_b32 exec_lo, exec_lo, s8
	s_and_saveexec_b32 s8, s2
	s_cbranch_execnz .LBB207_113
.LBB207_95:
	s_wait_alu 0xfffe
	s_or_b32 exec_lo, exec_lo, s8
	s_and_saveexec_b32 s8, s3
	s_cbranch_execnz .LBB207_114
.LBB207_96:
	s_wait_alu 0xfffe
	s_or_b32 exec_lo, exec_lo, s8
	s_and_saveexec_b32 s8, s4
	s_cbranch_execnz .LBB207_115
.LBB207_97:
	s_wait_alu 0xfffe
	s_or_b32 exec_lo, exec_lo, s8
	s_and_saveexec_b32 s8, s5
	s_cbranch_execnz .LBB207_116
.LBB207_98:
	s_wait_alu 0xfffe
	s_or_b32 exec_lo, exec_lo, s8
	s_and_saveexec_b32 s8, s6
	s_cbranch_execnz .LBB207_117
.LBB207_99:
	s_wait_alu 0xfffe
	s_or_b32 exec_lo, exec_lo, s8
	s_and_saveexec_b32 s8, s7
	s_cbranch_execz .LBB207_101
.LBB207_100:
	s_mul_i32 s10, s22, 0x380
	s_mov_b32 s11, 0
	s_wait_alu 0xfffe
	s_lshl_b64 s[10:11], s[10:11], 2
	s_wait_alu 0xfffe
	v_add_co_u32 v0, vcc_lo, v0, s10
	s_wait_alu 0xfffd
	v_add_co_ci_u32_e64 v1, null, s11, v1, vcc_lo
	s_wait_dscnt 0x0
	global_store_b32 v[0:1], v2, off
.LBB207_101:
	s_wait_alu 0xfffe
	s_or_b32 exec_lo, exec_lo, s8
	s_wait_storecnt 0x0
	s_wait_loadcnt_dscnt 0x0
	s_barrier_signal -1
	s_barrier_wait -1
	global_inv scope:SCOPE_SE
	ds_store_2addr_b64 v88, v[28:29], v[30:31] offset1:1
	ds_store_2addr_b64 v88, v[24:25], v[26:27] offset0:2 offset1:3
	ds_store_2addr_b64 v88, v[36:37], v[38:39] offset0:4 offset1:5
	;; [unrolled: 1-line block ×3, first 2 shown]
	s_wait_loadcnt_dscnt 0x0
	s_barrier_signal -1
	s_barrier_wait -1
	global_inv scope:SCOPE_SE
	ds_load_b64 v[14:15], v81 offset:1024
	ds_load_b64 v[12:13], v82 offset:2048
	;; [unrolled: 1-line block ×7, first 2 shown]
	v_mov_b32_e32 v41, 0
	s_delay_alu instid0(VALU_DEP_1) | instskip(NEXT) | instid1(VALU_DEP_1)
	v_lshlrev_b64_e32 v[2:3], 3, v[40:41]
	v_add_co_u32 v2, vcc_lo, s34, v2
	s_wait_alu 0xfffd
	s_delay_alu instid0(VALU_DEP_2)
	v_add_co_ci_u32_e64 v3, null, s35, v3, vcc_lo
	s_and_saveexec_b32 s8, s0
	s_cbranch_execnz .LBB207_118
; %bb.102:
	s_wait_alu 0xfffe
	s_or_b32 exec_lo, exec_lo, s8
	s_and_saveexec_b32 s0, s1
	s_cbranch_execnz .LBB207_119
.LBB207_103:
	s_or_b32 exec_lo, exec_lo, s0
	s_and_saveexec_b32 s0, s2
	s_cbranch_execnz .LBB207_120
.LBB207_104:
	s_or_b32 exec_lo, exec_lo, s0
	s_and_saveexec_b32 s0, s3
	s_cbranch_execnz .LBB207_121
.LBB207_105:
	s_or_b32 exec_lo, exec_lo, s0
	s_and_saveexec_b32 s0, s4
	s_cbranch_execnz .LBB207_122
.LBB207_106:
	s_or_b32 exec_lo, exec_lo, s0
	s_and_saveexec_b32 s0, s5
	s_cbranch_execnz .LBB207_123
.LBB207_107:
	s_or_b32 exec_lo, exec_lo, s0
	s_and_saveexec_b32 s0, s6
	s_cbranch_execnz .LBB207_124
.LBB207_108:
	s_or_b32 exec_lo, exec_lo, s0
	s_and_saveexec_b32 s0, s7
	s_cbranch_execz .LBB207_110
.LBB207_109:
	s_mul_i32 s0, s28, 0x380
	s_mov_b32 s1, 0
	s_delay_alu instid0(SALU_CYCLE_1) | instskip(NEXT) | instid1(SALU_CYCLE_1)
	s_lshl_b64 s[0:1], s[0:1], 3
	v_add_co_u32 v2, vcc_lo, v2, s0
	s_wait_alu 0xfffd
	v_add_co_ci_u32_e64 v3, null, s1, v3, vcc_lo
	s_wait_dscnt 0x0
	global_store_b64 v[2:3], v[0:1], off
.LBB207_110:
	s_nop 0
	s_sendmsg sendmsg(MSG_DEALLOC_VGPRS)
	s_endpgm
.LBB207_111:
	ds_load_b32 v9, v72
	s_wait_dscnt 0x0
	global_store_b32 v[0:1], v9, off
	s_wait_alu 0xfffe
	s_or_b32 exec_lo, exec_lo, s8
	s_and_saveexec_b32 s8, s1
	s_cbranch_execz .LBB207_94
.LBB207_112:
	s_lshl_b32 s10, s22, 7
	s_mov_b32 s11, 0
	s_wait_alu 0xfffe
	s_lshl_b64 s[10:11], s[10:11], 2
	s_wait_alu 0xfffe
	v_add_co_u32 v9, vcc_lo, v0, s10
	s_wait_alu 0xfffd
	v_add_co_ci_u32_e64 v10, null, s11, v1, vcc_lo
	s_wait_dscnt 0x6
	global_store_b32 v[9:10], v8, off
	s_or_b32 exec_lo, exec_lo, s8
	s_and_saveexec_b32 s8, s2
	s_cbranch_execz .LBB207_95
.LBB207_113:
	s_lshl_b32 s10, s22, 8
	s_mov_b32 s11, 0
	s_wait_alu 0xfffe
	s_lshl_b64 s[10:11], s[10:11], 2
	s_wait_dscnt 0x6
	s_wait_alu 0xfffe
	v_add_co_u32 v8, vcc_lo, v0, s10
	s_wait_alu 0xfffd
	v_add_co_ci_u32_e64 v9, null, s11, v1, vcc_lo
	s_wait_dscnt 0x5
	global_store_b32 v[8:9], v7, off
	s_or_b32 exec_lo, exec_lo, s8
	s_and_saveexec_b32 s8, s3
	s_cbranch_execz .LBB207_96
.LBB207_114:
	s_mul_i32 s10, s22, 0x180
	s_mov_b32 s11, 0
	s_wait_alu 0xfffe
	s_lshl_b64 s[10:11], s[10:11], 2
	s_wait_dscnt 0x5
	s_wait_alu 0xfffe
	v_add_co_u32 v7, vcc_lo, v0, s10
	s_wait_alu 0xfffd
	v_add_co_ci_u32_e64 v8, null, s11, v1, vcc_lo
	s_wait_dscnt 0x4
	global_store_b32 v[7:8], v6, off
	s_or_b32 exec_lo, exec_lo, s8
	s_and_saveexec_b32 s8, s4
	s_cbranch_execz .LBB207_97
.LBB207_115:
	s_lshl_b32 s10, s22, 9
	s_mov_b32 s11, 0
	s_wait_alu 0xfffe
	s_lshl_b64 s[10:11], s[10:11], 2
	s_wait_dscnt 0x4
	s_wait_alu 0xfffe
	v_add_co_u32 v6, vcc_lo, v0, s10
	s_wait_alu 0xfffd
	v_add_co_ci_u32_e64 v7, null, s11, v1, vcc_lo
	s_wait_dscnt 0x3
	global_store_b32 v[6:7], v5, off
	s_or_b32 exec_lo, exec_lo, s8
	s_and_saveexec_b32 s8, s5
	s_cbranch_execz .LBB207_98
.LBB207_116:
	s_mul_i32 s10, s22, 0x280
	s_mov_b32 s11, 0
	s_wait_alu 0xfffe
	s_lshl_b64 s[10:11], s[10:11], 2
	s_wait_dscnt 0x3
	s_wait_alu 0xfffe
	v_add_co_u32 v5, vcc_lo, v0, s10
	s_wait_alu 0xfffd
	v_add_co_ci_u32_e64 v6, null, s11, v1, vcc_lo
	s_wait_dscnt 0x2
	global_store_b32 v[5:6], v4, off
	s_or_b32 exec_lo, exec_lo, s8
	s_and_saveexec_b32 s8, s6
	s_cbranch_execz .LBB207_99
.LBB207_117:
	s_mul_i32 s10, s22, 0x300
	s_mov_b32 s11, 0
	s_wait_alu 0xfffe
	s_lshl_b64 s[10:11], s[10:11], 2
	s_wait_dscnt 0x2
	s_wait_alu 0xfffe
	v_add_co_u32 v4, vcc_lo, v0, s10
	s_wait_alu 0xfffd
	v_add_co_ci_u32_e64 v5, null, s11, v1, vcc_lo
	s_wait_dscnt 0x1
	global_store_b32 v[4:5], v3, off
	s_or_b32 exec_lo, exec_lo, s8
	s_and_saveexec_b32 s8, s7
	s_cbranch_execnz .LBB207_100
	s_branch .LBB207_101
.LBB207_118:
	ds_load_b64 v[16:17], v80
	s_wait_dscnt 0x0
	global_store_b64 v[2:3], v[16:17], off
	s_wait_alu 0xfffe
	s_or_b32 exec_lo, exec_lo, s8
	s_and_saveexec_b32 s0, s1
	s_cbranch_execz .LBB207_103
.LBB207_119:
	s_lshl_b32 s8, s28, 7
	s_mov_b32 s9, 0
	s_wait_alu 0xfffe
	s_lshl_b64 s[8:9], s[8:9], 3
	s_wait_alu 0xfffe
	v_add_co_u32 v16, vcc_lo, v2, s8
	s_wait_alu 0xfffd
	v_add_co_ci_u32_e64 v17, null, s9, v3, vcc_lo
	s_wait_dscnt 0x6
	global_store_b64 v[16:17], v[14:15], off
	s_or_b32 exec_lo, exec_lo, s0
	s_and_saveexec_b32 s0, s2
	s_cbranch_execz .LBB207_104
.LBB207_120:
	s_lshl_b32 s8, s28, 8
	s_mov_b32 s9, 0
	s_wait_alu 0xfffe
	s_lshl_b64 s[8:9], s[8:9], 3
	s_wait_dscnt 0x6
	s_wait_alu 0xfffe
	v_add_co_u32 v14, vcc_lo, v2, s8
	s_wait_alu 0xfffd
	v_add_co_ci_u32_e64 v15, null, s9, v3, vcc_lo
	s_wait_dscnt 0x5
	global_store_b64 v[14:15], v[12:13], off
	s_or_b32 exec_lo, exec_lo, s0
	s_and_saveexec_b32 s0, s3
	s_cbranch_execz .LBB207_105
.LBB207_121:
	s_mul_i32 s2, s28, 0x180
	s_mov_b32 s3, 0
	s_wait_alu 0xfffe
	s_lshl_b64 s[2:3], s[2:3], 3
	s_wait_dscnt 0x5
	s_wait_alu 0xfffe
	v_add_co_u32 v12, vcc_lo, v2, s2
	s_wait_alu 0xfffd
	v_add_co_ci_u32_e64 v13, null, s3, v3, vcc_lo
	s_wait_dscnt 0x4
	global_store_b64 v[12:13], v[10:11], off
	s_or_b32 exec_lo, exec_lo, s0
	s_and_saveexec_b32 s0, s4
	s_cbranch_execz .LBB207_106
.LBB207_122:
	s_lshl_b32 s2, s28, 9
	s_mov_b32 s3, 0
	s_wait_alu 0xfffe
	s_lshl_b64 s[2:3], s[2:3], 3
	s_wait_dscnt 0x4
	s_wait_alu 0xfffe
	v_add_co_u32 v10, vcc_lo, v2, s2
	s_wait_alu 0xfffd
	v_add_co_ci_u32_e64 v11, null, s3, v3, vcc_lo
	s_wait_dscnt 0x3
	global_store_b64 v[10:11], v[8:9], off
	s_or_b32 exec_lo, exec_lo, s0
	s_and_saveexec_b32 s0, s5
	s_cbranch_execz .LBB207_107
.LBB207_123:
	s_mul_i32 s2, s28, 0x280
	s_mov_b32 s3, 0
	s_wait_alu 0xfffe
	s_lshl_b64 s[2:3], s[2:3], 3
	s_wait_dscnt 0x3
	s_wait_alu 0xfffe
	v_add_co_u32 v8, vcc_lo, v2, s2
	s_wait_alu 0xfffd
	v_add_co_ci_u32_e64 v9, null, s3, v3, vcc_lo
	s_wait_dscnt 0x2
	global_store_b64 v[8:9], v[6:7], off
	s_or_b32 exec_lo, exec_lo, s0
	s_and_saveexec_b32 s0, s6
	s_cbranch_execz .LBB207_108
.LBB207_124:
	s_mul_i32 s2, s28, 0x300
	s_mov_b32 s3, 0
	s_wait_alu 0xfffe
	s_lshl_b64 s[2:3], s[2:3], 3
	s_wait_dscnt 0x2
	s_wait_alu 0xfffe
	v_add_co_u32 v6, vcc_lo, v2, s2
	s_wait_alu 0xfffd
	v_add_co_ci_u32_e64 v7, null, s3, v3, vcc_lo
	s_wait_dscnt 0x1
	global_store_b64 v[6:7], v[4:5], off
	s_or_b32 exec_lo, exec_lo, s0
	s_and_saveexec_b32 s0, s7
	s_cbranch_execnz .LBB207_109
	s_branch .LBB207_110
	.section	.rodata,"a",@progbits
	.p2align	6, 0x0
	.amdhsa_kernel _ZN2at6native18radixSortKVInPlaceILi2ELin1ELi128ELi8EfljEEvNS_4cuda6detail10TensorInfoIT3_T5_EES6_S6_S6_NS4_IT4_S6_EES6_b
		.amdhsa_group_segment_fixed_size 8448
		.amdhsa_private_segment_fixed_size 0
		.amdhsa_kernarg_size 712
		.amdhsa_user_sgpr_count 2
		.amdhsa_user_sgpr_dispatch_ptr 0
		.amdhsa_user_sgpr_queue_ptr 0
		.amdhsa_user_sgpr_kernarg_segment_ptr 1
		.amdhsa_user_sgpr_dispatch_id 0
		.amdhsa_user_sgpr_private_segment_size 0
		.amdhsa_wavefront_size32 1
		.amdhsa_uses_dynamic_stack 0
		.amdhsa_enable_private_segment 0
		.amdhsa_system_sgpr_workgroup_id_x 1
		.amdhsa_system_sgpr_workgroup_id_y 1
		.amdhsa_system_sgpr_workgroup_id_z 1
		.amdhsa_system_sgpr_workgroup_info 0
		.amdhsa_system_vgpr_workitem_id 2
		.amdhsa_next_free_vgpr 121
		.amdhsa_next_free_sgpr 38
		.amdhsa_reserve_vcc 1
		.amdhsa_float_round_mode_32 0
		.amdhsa_float_round_mode_16_64 0
		.amdhsa_float_denorm_mode_32 3
		.amdhsa_float_denorm_mode_16_64 3
		.amdhsa_fp16_overflow 0
		.amdhsa_workgroup_processor_mode 1
		.amdhsa_memory_ordered 1
		.amdhsa_forward_progress 1
		.amdhsa_inst_pref_size 121
		.amdhsa_round_robin_scheduling 0
		.amdhsa_exception_fp_ieee_invalid_op 0
		.amdhsa_exception_fp_denorm_src 0
		.amdhsa_exception_fp_ieee_div_zero 0
		.amdhsa_exception_fp_ieee_overflow 0
		.amdhsa_exception_fp_ieee_underflow 0
		.amdhsa_exception_fp_ieee_inexact 0
		.amdhsa_exception_int_div_zero 0
	.end_amdhsa_kernel
	.section	.text._ZN2at6native18radixSortKVInPlaceILi2ELin1ELi128ELi8EfljEEvNS_4cuda6detail10TensorInfoIT3_T5_EES6_S6_S6_NS4_IT4_S6_EES6_b,"axG",@progbits,_ZN2at6native18radixSortKVInPlaceILi2ELin1ELi128ELi8EfljEEvNS_4cuda6detail10TensorInfoIT3_T5_EES6_S6_S6_NS4_IT4_S6_EES6_b,comdat
.Lfunc_end207:
	.size	_ZN2at6native18radixSortKVInPlaceILi2ELin1ELi128ELi8EfljEEvNS_4cuda6detail10TensorInfoIT3_T5_EES6_S6_S6_NS4_IT4_S6_EES6_b, .Lfunc_end207-_ZN2at6native18radixSortKVInPlaceILi2ELin1ELi128ELi8EfljEEvNS_4cuda6detail10TensorInfoIT3_T5_EES6_S6_S6_NS4_IT4_S6_EES6_b
                                        ; -- End function
	.set _ZN2at6native18radixSortKVInPlaceILi2ELin1ELi128ELi8EfljEEvNS_4cuda6detail10TensorInfoIT3_T5_EES6_S6_S6_NS4_IT4_S6_EES6_b.num_vgpr, 121
	.set _ZN2at6native18radixSortKVInPlaceILi2ELin1ELi128ELi8EfljEEvNS_4cuda6detail10TensorInfoIT3_T5_EES6_S6_S6_NS4_IT4_S6_EES6_b.num_agpr, 0
	.set _ZN2at6native18radixSortKVInPlaceILi2ELin1ELi128ELi8EfljEEvNS_4cuda6detail10TensorInfoIT3_T5_EES6_S6_S6_NS4_IT4_S6_EES6_b.numbered_sgpr, 38
	.set _ZN2at6native18radixSortKVInPlaceILi2ELin1ELi128ELi8EfljEEvNS_4cuda6detail10TensorInfoIT3_T5_EES6_S6_S6_NS4_IT4_S6_EES6_b.num_named_barrier, 0
	.set _ZN2at6native18radixSortKVInPlaceILi2ELin1ELi128ELi8EfljEEvNS_4cuda6detail10TensorInfoIT3_T5_EES6_S6_S6_NS4_IT4_S6_EES6_b.private_seg_size, 0
	.set _ZN2at6native18radixSortKVInPlaceILi2ELin1ELi128ELi8EfljEEvNS_4cuda6detail10TensorInfoIT3_T5_EES6_S6_S6_NS4_IT4_S6_EES6_b.uses_vcc, 1
	.set _ZN2at6native18radixSortKVInPlaceILi2ELin1ELi128ELi8EfljEEvNS_4cuda6detail10TensorInfoIT3_T5_EES6_S6_S6_NS4_IT4_S6_EES6_b.uses_flat_scratch, 0
	.set _ZN2at6native18radixSortKVInPlaceILi2ELin1ELi128ELi8EfljEEvNS_4cuda6detail10TensorInfoIT3_T5_EES6_S6_S6_NS4_IT4_S6_EES6_b.has_dyn_sized_stack, 0
	.set _ZN2at6native18radixSortKVInPlaceILi2ELin1ELi128ELi8EfljEEvNS_4cuda6detail10TensorInfoIT3_T5_EES6_S6_S6_NS4_IT4_S6_EES6_b.has_recursion, 0
	.set _ZN2at6native18radixSortKVInPlaceILi2ELin1ELi128ELi8EfljEEvNS_4cuda6detail10TensorInfoIT3_T5_EES6_S6_S6_NS4_IT4_S6_EES6_b.has_indirect_call, 0
	.section	.AMDGPU.csdata,"",@progbits
; Kernel info:
; codeLenInByte = 15416
; TotalNumSgprs: 40
; NumVgprs: 121
; ScratchSize: 0
; MemoryBound: 0
; FloatMode: 240
; IeeeMode: 1
; LDSByteSize: 8448 bytes/workgroup (compile time only)
; SGPRBlocks: 0
; VGPRBlocks: 15
; NumSGPRsForWavesPerEU: 40
; NumVGPRsForWavesPerEU: 121
; Occupancy: 10
; WaveLimiterHint : 1
; COMPUTE_PGM_RSRC2:SCRATCH_EN: 0
; COMPUTE_PGM_RSRC2:USER_SGPR: 2
; COMPUTE_PGM_RSRC2:TRAP_HANDLER: 0
; COMPUTE_PGM_RSRC2:TGID_X_EN: 1
; COMPUTE_PGM_RSRC2:TGID_Y_EN: 1
; COMPUTE_PGM_RSRC2:TGID_Z_EN: 1
; COMPUTE_PGM_RSRC2:TIDIG_COMP_CNT: 2
	.section	.text._ZN2at6native18radixSortKVInPlaceILi2ELin1ELi32ELi4EfljEEvNS_4cuda6detail10TensorInfoIT3_T5_EES6_S6_S6_NS4_IT4_S6_EES6_b,"axG",@progbits,_ZN2at6native18radixSortKVInPlaceILi2ELin1ELi32ELi4EfljEEvNS_4cuda6detail10TensorInfoIT3_T5_EES6_S6_S6_NS4_IT4_S6_EES6_b,comdat
	.protected	_ZN2at6native18radixSortKVInPlaceILi2ELin1ELi32ELi4EfljEEvNS_4cuda6detail10TensorInfoIT3_T5_EES6_S6_S6_NS4_IT4_S6_EES6_b ; -- Begin function _ZN2at6native18radixSortKVInPlaceILi2ELin1ELi32ELi4EfljEEvNS_4cuda6detail10TensorInfoIT3_T5_EES6_S6_S6_NS4_IT4_S6_EES6_b
	.globl	_ZN2at6native18radixSortKVInPlaceILi2ELin1ELi32ELi4EfljEEvNS_4cuda6detail10TensorInfoIT3_T5_EES6_S6_S6_NS4_IT4_S6_EES6_b
	.p2align	8
	.type	_ZN2at6native18radixSortKVInPlaceILi2ELin1ELi32ELi4EfljEEvNS_4cuda6detail10TensorInfoIT3_T5_EES6_S6_S6_NS4_IT4_S6_EES6_b,@function
_ZN2at6native18radixSortKVInPlaceILi2ELin1ELi32ELi4EfljEEvNS_4cuda6detail10TensorInfoIT3_T5_EES6_S6_S6_NS4_IT4_S6_EES6_b: ; @_ZN2at6native18radixSortKVInPlaceILi2ELin1ELi32ELi4EfljEEvNS_4cuda6detail10TensorInfoIT3_T5_EES6_S6_S6_NS4_IT4_S6_EES6_b
; %bb.0:
	s_clause 0x1
	s_load_b64 s[2:3], s[0:1], 0x1c8
	s_load_b96 s[12:14], s[0:1], 0xd8
	s_lshr_b32 s4, ttmp7, 16
	s_wait_kmcnt 0x0
	s_mul_i32 s3, s3, s4
	s_and_b32 s4, ttmp7, 0xffff
	s_delay_alu instid0(SALU_CYCLE_1) | instskip(NEXT) | instid1(SALU_CYCLE_1)
	s_add_co_i32 s3, s3, s4
	s_mul_i32 s2, s3, s2
	s_delay_alu instid0(SALU_CYCLE_1) | instskip(NEXT) | instid1(SALU_CYCLE_1)
	s_add_co_i32 s2, s2, ttmp9
	s_cmp_ge_u32 s2, s12
	s_cbranch_scc1 .LBB208_62
; %bb.1:
	s_clause 0x2
	s_load_b32 s12, s[0:1], 0xc
	s_load_b64 s[4:5], s[0:1], 0x6c
	s_load_b32 s15, s[0:1], 0x1b8
	s_add_nc_u64 s[10:11], s[0:1], 0xe8
	s_wait_kmcnt 0x0
	s_cvt_f32_u32 s3, s12
	s_delay_alu instid0(SALU_CYCLE_3) | instskip(NEXT) | instid1(TRANS32_DEP_1)
	v_rcp_iflag_f32_e32 v1, s3
	v_readfirstlane_b32 s3, v1
	s_mul_f32 s3, s3, 0x4f7ffffe
	s_wait_alu 0xfffe
	s_delay_alu instid0(SALU_CYCLE_2) | instskip(SKIP_2) | instid1(SALU_CYCLE_1)
	s_cvt_u32_f32 s6, s3
	s_sub_co_i32 s3, 0, s12
	s_wait_alu 0xfffe
	s_mul_i32 s7, s3, s6
	s_mov_b32 s3, 0
	s_mul_hi_u32 s8, s6, s7
	s_wait_alu 0xfffe
	s_mov_b32 s7, s3
	s_add_co_i32 s6, s6, s8
	s_cmp_lt_i32 s15, 2
	s_mov_b32 s8, s2
	s_mov_b32 s9, s3
	s_cbranch_scc1 .LBB208_4
; %bb.2:
	s_add_co_i32 s8, s15, -1
	s_mov_b32 s9, 0
	s_add_co_i32 s15, s15, 1
	s_lshl_b64 s[16:17], s[8:9], 2
	s_mov_b32 s8, s2
	s_add_nc_u64 s[16:17], s[10:11], s[16:17]
	s_delay_alu instid0(SALU_CYCLE_1)
	s_add_nc_u64 s[16:17], s[16:17], 8
.LBB208_3:                              ; =>This Inner Loop Header: Depth=1
	s_clause 0x1
	s_load_b32 s18, s[16:17], 0x0
	s_load_b32 s19, s[16:17], 0x64
	s_mov_b32 s22, s8
	s_add_nc_u64 s[16:17], s[16:17], -4
	s_wait_kmcnt 0x0
	s_cvt_f32_u32 s20, s18
	s_sub_co_i32 s21, 0, s18
	s_wait_alu 0xfffe
	s_delay_alu instid0(SALU_CYCLE_1) | instskip(NEXT) | instid1(TRANS32_DEP_1)
	v_rcp_iflag_f32_e32 v1, s20
	v_readfirstlane_b32 s20, v1
	s_mul_f32 s20, s20, 0x4f7ffffe
	s_wait_alu 0xfffe
	s_delay_alu instid0(SALU_CYCLE_2) | instskip(SKIP_1) | instid1(SALU_CYCLE_2)
	s_cvt_u32_f32 s20, s20
	s_wait_alu 0xfffe
	s_mul_i32 s21, s21, s20
	s_wait_alu 0xfffe
	s_mul_hi_u32 s21, s20, s21
	s_wait_alu 0xfffe
	s_add_co_i32 s20, s20, s21
	s_wait_alu 0xfffe
	s_mul_hi_u32 s8, s8, s20
	s_delay_alu instid0(SALU_CYCLE_1)
	s_mul_i32 s20, s8, s18
	s_add_co_i32 s21, s8, 1
	s_wait_alu 0xfffe
	s_sub_co_i32 s20, s22, s20
	s_wait_alu 0xfffe
	s_sub_co_i32 s23, s20, s18
	s_cmp_ge_u32 s20, s18
	s_cselect_b32 s8, s21, s8
	s_cselect_b32 s20, s23, s20
	s_add_co_i32 s21, s8, 1
	s_wait_alu 0xfffe
	s_cmp_ge_u32 s20, s18
	s_cselect_b32 s8, s21, s8
	s_add_co_i32 s15, s15, -1
	s_mul_i32 s18, s8, s18
	s_delay_alu instid0(SALU_CYCLE_1) | instskip(NEXT) | instid1(SALU_CYCLE_1)
	s_sub_co_i32 s18, s22, s18
	s_mul_i32 s18, s19, s18
	s_delay_alu instid0(SALU_CYCLE_1)
	s_add_co_i32 s9, s18, s9
	s_cmp_gt_u32 s15, 2
	s_cbranch_scc1 .LBB208_3
.LBB208_4:
	s_mul_u64 s[6:7], s[2:3], s[6:7]
	s_clause 0x1
	s_load_b64 s[18:19], s[0:1], 0x0
	s_load_b64 s[16:17], s[0:1], 0x1c0
	s_mul_i32 s3, s7, s12
	s_add_nc_u64 s[22:23], s[0:1], 0x1c8
	s_wait_alu 0xfffe
	s_sub_co_i32 s0, s2, s3
	s_add_co_i32 s1, s7, 1
	s_sub_co_i32 s3, s0, s12
	s_cmp_ge_u32 s0, s12
	s_cselect_b32 s1, s1, s7
	s_wait_alu 0xfffe
	s_cselect_b32 s0, s3, s0
	s_add_co_i32 s3, s1, 1
	s_cmp_ge_u32 s0, s12
	s_wait_alu 0xfffe
	s_cselect_b32 s0, s3, s1
	s_mov_b32 s3, 0
	s_mul_i32 s1, s0, s12
	s_mul_i32 s0, s0, s4
	s_sub_co_i32 s1, s2, s1
	s_delay_alu instid0(SALU_CYCLE_1) | instskip(NEXT) | instid1(SALU_CYCLE_1)
	s_mul_i32 s1, s1, s5
	s_add_co_i32 s2, s0, s1
	s_wait_kmcnt 0x0
	s_bitcmp1_b32 s17, 0
	s_cselect_b32 s12, -1, 0
	s_delay_alu instid0(SALU_CYCLE_1)
	s_and_b32 s0, s12, exec_lo
	s_cselect_b32 s4, -1, 0x7fffffff
	s_wait_alu 0xfffe
	s_lshl_b64 s[2:3], s[2:3], 2
	s_mov_b32 s5, s4
	s_mov_b32 s6, s4
	;; [unrolled: 1-line block ×3, first 2 shown]
	v_and_b32_e32 v21, 0x3ff, v0
	v_dual_mov_b32 v1, s4 :: v_dual_mov_b32 v4, s7
	v_dual_mov_b32 v2, s5 :: v_dual_mov_b32 v3, s6
	v_mov_b32_e32 v6, s4
	s_delay_alu instid0(VALU_DEP_4)
	v_mul_lo_u32 v17, s14, v21
	v_cmp_gt_u32_e64 s0, s13, v21
	s_wait_alu 0xfffe
	s_add_nc_u64 s[18:19], s[18:19], s[2:3]
	s_and_saveexec_b32 s1, s0
	s_cbranch_execz .LBB208_6
; %bb.5:
	v_mov_b32_e32 v18, 0
	s_delay_alu instid0(VALU_DEP_1) | instskip(NEXT) | instid1(VALU_DEP_1)
	v_lshlrev_b64_e32 v[1:2], 2, v[17:18]
	v_add_co_u32 v1, vcc_lo, s18, v1
	s_delay_alu instid0(VALU_DEP_1)
	v_add_co_ci_u32_e64 v2, null, s19, v2, vcc_lo
	global_load_b32 v6, v[1:2], off
	v_dual_mov_b32 v1, s4 :: v_dual_mov_b32 v2, s5
	v_dual_mov_b32 v3, s6 :: v_dual_mov_b32 v4, s7
.LBB208_6:
	s_or_b32 exec_lo, exec_lo, s1
	v_add_nc_u32_e32 v5, 32, v21
	s_delay_alu instid0(VALU_DEP_1)
	v_cmp_gt_u32_e64 s1, s13, v5
	s_and_saveexec_b32 s2, s1
	s_cbranch_execz .LBB208_8
; %bb.7:
	v_mul_lo_u32 v1, s14, v5
	v_mov_b32_e32 v2, 0
	s_delay_alu instid0(VALU_DEP_1) | instskip(NEXT) | instid1(VALU_DEP_1)
	v_lshlrev_b64_e32 v[1:2], 2, v[1:2]
	v_add_co_u32 v1, vcc_lo, s18, v1
	s_wait_alu 0xfffd
	s_delay_alu instid0(VALU_DEP_2)
	v_add_co_ci_u32_e64 v2, null, s19, v2, vcc_lo
	global_load_b32 v2, v[1:2], off
.LBB208_8:
	s_wait_alu 0xfffe
	s_or_b32 exec_lo, exec_lo, s2
	v_add_nc_u32_e32 v9, 64, v21
	s_delay_alu instid0(VALU_DEP_1)
	v_cmp_gt_u32_e64 s2, s13, v9
	s_and_saveexec_b32 s3, s2
	s_cbranch_execz .LBB208_10
; %bb.9:
	v_mul_lo_u32 v7, s14, v9
	v_mov_b32_e32 v8, 0
	s_delay_alu instid0(VALU_DEP_1) | instskip(NEXT) | instid1(VALU_DEP_1)
	v_lshlrev_b64_e32 v[7:8], 2, v[7:8]
	v_add_co_u32 v7, vcc_lo, s18, v7
	s_wait_alu 0xfffd
	s_delay_alu instid0(VALU_DEP_2)
	v_add_co_ci_u32_e64 v8, null, s19, v8, vcc_lo
	global_load_b32 v3, v[7:8], off
.LBB208_10:
	s_wait_alu 0xfffe
	s_or_b32 exec_lo, exec_lo, s3
	s_clause 0x1
	s_load_b32 s6, s[10:11], 0x6c
	s_load_b64 s[4:5], s[10:11], 0x0
	v_add_nc_u32_e32 v10, 0x60, v21
	s_delay_alu instid0(VALU_DEP_1)
	v_cmp_gt_u32_e64 s3, s13, v10
	s_and_saveexec_b32 s7, s3
	s_cbranch_execz .LBB208_12
; %bb.11:
	v_mul_lo_u32 v7, s14, v10
	v_mov_b32_e32 v8, 0
	s_delay_alu instid0(VALU_DEP_1) | instskip(NEXT) | instid1(VALU_DEP_1)
	v_lshlrev_b64_e32 v[7:8], 2, v[7:8]
	v_add_co_u32 v7, vcc_lo, s18, v7
	s_wait_alu 0xfffd
	s_delay_alu instid0(VALU_DEP_2)
	v_add_co_ci_u32_e64 v8, null, s19, v8, vcc_lo
	global_load_b32 v4, v[7:8], off
.LBB208_12:
	s_wait_alu 0xfffe
	s_or_b32 exec_lo, exec_lo, s7
	v_lshrrev_b32_e32 v1, 5, v21
	v_lshrrev_b32_e32 v7, 5, v5
	v_lshrrev_b32_e32 v8, 5, v9
	v_lshlrev_b32_e32 v41, 2, v21
	v_lshrrev_b32_e32 v11, 5, v10
	v_add_nc_u32_e32 v1, v1, v21
	v_add_nc_u32_e32 v12, v7, v21
	v_lshrrev_b32_e32 v7, 3, v21
	v_add_nc_u32_e32 v13, v8, v21
	v_add_nc_u32_e32 v11, v11, v21
	v_lshlrev_b32_e32 v38, 2, v1
	v_lshlrev_b32_e32 v18, 2, v12
	v_add_nc_u32_e32 v1, v7, v41
	v_lshlrev_b32_e32 v39, 2, v13
	v_lshlrev_b32_e32 v40, 2, v11
	s_wait_loadcnt 0x0
	ds_store_b32 v38, v6
	ds_store_b32 v18, v2 offset:128
	ds_store_b32 v39, v3 offset:256
	;; [unrolled: 1-line block ×3, first 2 shown]
	v_lshlrev_b32_e32 v42, 2, v1
	s_wait_dscnt 0x0
	; wave barrier
	global_inv scope:SCOPE_SE
	ds_load_2addr_b32 v[24:25], v42 offset1:1
	ds_load_2addr_b32 v[22:23], v42 offset0:2 offset1:3
	s_wait_kmcnt 0x0
	s_mul_i32 s6, s6, s8
	v_mul_lo_u32 v19, s16, v21
	s_wait_alu 0xfffe
	s_add_co_i32 s6, s6, s9
	s_mov_b32 s7, 0
	v_mov_b32_e32 v1, 0
	v_dual_mov_b32 v3, 0 :: v_dual_mov_b32 v2, 0
	v_mov_b32_e32 v4, 0
	s_wait_alu 0xfffe
	s_lshl_b64 s[6:7], s[6:7], 3
	s_wait_loadcnt_dscnt 0x0
	s_wait_alu 0xfffe
	s_add_nc_u64 s[20:21], s[4:5], s[6:7]
	; wave barrier
	global_inv scope:SCOPE_SE
	s_and_saveexec_b32 s4, s0
	s_cbranch_execz .LBB208_14
; %bb.13:
	v_mov_b32_e32 v20, 0
	s_delay_alu instid0(VALU_DEP_1) | instskip(SKIP_1) | instid1(VALU_DEP_1)
	v_lshlrev_b64_e32 v[3:4], 3, v[19:20]
	s_wait_alu 0xfffe
	v_add_co_u32 v3, vcc_lo, s20, v3
	s_wait_alu 0xfffd
	s_delay_alu instid0(VALU_DEP_2)
	v_add_co_ci_u32_e64 v4, null, s21, v4, vcc_lo
	global_load_b64 v[3:4], v[3:4], off
.LBB208_14:
	s_wait_alu 0xfffe
	s_or_b32 exec_lo, exec_lo, s4
	s_and_saveexec_b32 s4, s1
	s_cbranch_execz .LBB208_16
; %bb.15:
	v_mul_lo_u32 v1, s16, v5
	v_mov_b32_e32 v2, 0
	s_delay_alu instid0(VALU_DEP_1) | instskip(NEXT) | instid1(VALU_DEP_1)
	v_lshlrev_b64_e32 v[1:2], 3, v[1:2]
	v_add_co_u32 v1, vcc_lo, s20, v1
	s_wait_alu 0xfffd
	s_delay_alu instid0(VALU_DEP_2)
	v_add_co_ci_u32_e64 v2, null, s21, v2, vcc_lo
	global_load_b64 v[1:2], v[1:2], off
.LBB208_16:
	s_wait_alu 0xfffe
	s_or_b32 exec_lo, exec_lo, s4
	v_mov_b32_e32 v5, 0
	v_dual_mov_b32 v6, 0 :: v_dual_mov_b32 v7, 0
	v_mov_b32_e32 v8, 0
	s_and_saveexec_b32 s4, s2
	s_cbranch_execz .LBB208_18
; %bb.17:
	v_mul_lo_u32 v7, s16, v9
	v_mov_b32_e32 v8, 0
	s_delay_alu instid0(VALU_DEP_1) | instskip(NEXT) | instid1(VALU_DEP_1)
	v_lshlrev_b64_e32 v[7:8], 3, v[7:8]
	v_add_co_u32 v7, vcc_lo, s20, v7
	s_wait_alu 0xfffd
	s_delay_alu instid0(VALU_DEP_2)
	v_add_co_ci_u32_e64 v8, null, s21, v8, vcc_lo
	global_load_b64 v[7:8], v[7:8], off
.LBB208_18:
	s_wait_alu 0xfffe
	s_or_b32 exec_lo, exec_lo, s4
	s_xor_b32 s6, s12, -1
	s_and_saveexec_b32 s4, s3
	s_cbranch_execz .LBB208_20
; %bb.19:
	v_mul_lo_u32 v5, s16, v10
	v_mov_b32_e32 v6, 0
	s_delay_alu instid0(VALU_DEP_1) | instskip(NEXT) | instid1(VALU_DEP_1)
	v_lshlrev_b64_e32 v[5:6], 3, v[5:6]
	v_add_co_u32 v5, vcc_lo, s20, v5
	s_wait_alu 0xfffd
	s_delay_alu instid0(VALU_DEP_2)
	v_add_co_ci_u32_e64 v6, null, s21, v6, vcc_lo
	global_load_b64 v[5:6], v[5:6], off
.LBB208_20:
	s_wait_alu 0xfffe
	s_or_b32 exec_lo, exec_lo, s4
	v_add_nc_u32_e32 v43, v38, v38
	v_lshlrev_b32_e32 v45, 3, v11
	v_add_nc_u32_e32 v46, v42, v42
	v_lshlrev_b32_e32 v20, 3, v12
	v_lshlrev_b32_e32 v44, 3, v13
	s_wait_loadcnt 0x0
	ds_store_b64 v43, v[3:4]
	ds_store_b64 v20, v[1:2] offset:256
	ds_store_b64 v44, v[7:8] offset:512
	;; [unrolled: 1-line block ×3, first 2 shown]
	s_wait_dscnt 0x0
	; wave barrier
	global_inv scope:SCOPE_SE
	ds_load_2addr_b64 v[5:8], v46 offset1:1
	ds_load_2addr_b64 v[1:4], v46 offset0:2 offset1:3
	v_mbcnt_lo_u32_b32 v48, -1, 0
	s_and_b32 vcc_lo, exec_lo, s6
	v_bfe_u32 v52, v0, 10, 10
	v_bfe_u32 v53, v0, 20, 10
	v_lshlrev_b32_e32 v47, 5, v21
	v_and_b32_e32 v55, 3, v48
	v_and_b32_e32 v54, 28, v48
	;; [unrolled: 1-line block ×4, first 2 shown]
	v_cmp_eq_u32_e64 s6, 31, v21
	v_cmp_eq_u32_e64 s5, 0, v55
	;; [unrolled: 1-line block ×6, first 2 shown]
	v_and_or_b32 v49, 0xf80, v41, v48
	s_mov_b32 s13, 0
	s_mov_b32 s9, -1
	; wave barrier
	s_wait_loadcnt_dscnt 0x0
	global_inv scope:SCOPE_SE
                                        ; implicit-def: $vgpr9_vgpr10_vgpr11_vgpr12
	s_wait_alu 0xfffe
	s_cbranch_vccz .LBB208_36
; %bb.21:
	v_cmp_lt_i32_e32 vcc_lo, -1, v24
	ds_bpermute_b32 v13, v54, v5
	ds_bpermute_b32 v26, v54, v6
	;; [unrolled: 1-line block ×4, first 2 shown]
	s_wait_alu 0xfffd
	v_cndmask_b32_e64 v0, -1, 0x80000000, vcc_lo
	v_cmp_lt_i32_e32 vcc_lo, -1, v25
	ds_bpermute_b32 v37, v54, v1
	ds_bpermute_b32 v56, v54, v2
	ds_bpermute_b32 v57, v54, v5 offset:32
	v_xor_b32_e32 v0, v0, v24
	s_wait_alu 0xfffd
	v_cndmask_b32_e64 v9, -1, 0x80000000, vcc_lo
	v_cmp_lt_i32_e32 vcc_lo, -1, v22
	ds_bpermute_b32 v58, v54, v2 offset:96
	s_wait_loadcnt_dscnt 0x0
	ds_bpermute_b32 v12, v54, v0
	v_xor_b32_e32 v9, v9, v25
	s_wait_alu 0xfffd
	v_cndmask_b32_e64 v10, -1, 0x80000000, vcc_lo
	v_cmp_lt_i32_e32 vcc_lo, -1, v23
	ds_bpermute_b32 v14, v54, v0 offset:32
	ds_bpermute_b32 v15, v54, v0 offset:64
	ds_bpermute_b32 v16, v54, v9
	v_xor_b32_e32 v10, v10, v22
	s_wait_alu 0xfffd
	v_cndmask_b32_e64 v11, -1, 0x80000000, vcc_lo
	ds_bpermute_b32 v27, v54, v9 offset:32
	ds_bpermute_b32 v28, v54, v9 offset:64
	;; [unrolled: 1-line block ×3, first 2 shown]
	ds_bpermute_b32 v29, v54, v10
	v_xor_b32_e32 v11, v11, v23
	ds_bpermute_b32 v32, v54, v10 offset:32
	ds_bpermute_b32 v9, v54, v9 offset:96
	ds_bpermute_b32 v33, v54, v10 offset:64
	ds_bpermute_b32 v10, v54, v10 offset:96
	ds_bpermute_b32 v34, v54, v11
	ds_bpermute_b32 v35, v54, v11 offset:32
	s_wait_dscnt 0xd
	s_wait_alu 0xf1ff
	v_cndmask_b32_e64 v12, 0, v12, s5
	v_cndmask_b32_e64 v26, 0, v26, s5
	;; [unrolled: 1-line block ×3, first 2 shown]
	; wave barrier
	s_wait_dscnt 0x0
	global_inv scope:SCOPE_SE
	v_cndmask_b32_e64 v14, 0, v14, s5
	v_cndmask_b32_e64 v15, 0, v15, s5
	;; [unrolled: 1-line block ×3, first 2 shown]
	ds_bpermute_b32 v16, v54, v11 offset:64
	ds_bpermute_b32 v11, v54, v11 offset:96
	v_cndmask_b32_e64 v14, v14, v27, s4
	ds_bpermute_b32 v27, v54, v6 offset:32
	v_cndmask_b32_e64 v15, v15, v28, s4
	v_cndmask_b32_e64 v12, v12, v29, s8
	ds_bpermute_b32 v29, v54, v3
	ds_bpermute_b32 v28, v54, v8 offset:32
	v_cndmask_b32_e64 v0, 0, v0, s5
	v_cndmask_b32_e64 v14, v14, v32, s8
	ds_bpermute_b32 v32, v54, v7 offset:32
	v_cndmask_b32_e64 v34, v12, v34, s7
	ds_bpermute_b32 v12, v54, v4
	v_cndmask_b32_e64 v0, v0, v9, s4
	v_cndmask_b32_e64 v9, v26, v31, s4
	;; [unrolled: 1-line block ×4, first 2 shown]
	ds_bpermute_b32 v33, v54, v2 offset:32
	v_cndmask_b32_e64 v0, v0, v10, s8
	v_cndmask_b32_e64 v9, v9, v56, s8
	;; [unrolled: 1-line block ×3, first 2 shown]
	s_wait_dscnt 0x7
	v_cndmask_b32_e64 v36, v15, v16, s7
	v_cndmask_b32_e64 v16, 0, v57, s5
	s_wait_dscnt 0x5
	v_cndmask_b32_e64 v15, 0, v27, s5
	v_cndmask_b32_e64 v37, v0, v11, s7
	ds_bpermute_b32 v26, v54, v4 offset:32
	ds_bpermute_b32 v27, v54, v7 offset:64
	v_cndmask_b32_e64 v35, v14, v35, s7
	s_wait_dscnt 0x5
	v_cndmask_b32_e64 v0, v15, v28, s4
	ds_bpermute_b32 v28, v54, v6 offset:96
	ds_bpermute_b32 v14, v54, v6 offset:64
	s_wait_dscnt 0x6
	v_cndmask_b32_e64 v11, v16, v32, s4
	s_wait_dscnt 0x5
	v_cndmask_b32_e64 v10, v9, v12, s7
	v_cndmask_b32_e64 v9, v13, v29, s7
	ds_bpermute_b32 v13, v54, v5 offset:64
	ds_bpermute_b32 v12, v54, v1 offset:32
	;; [unrolled: 1-line block ×5, first 2 shown]
	s_wait_dscnt 0x9
	v_cndmask_b32_e64 v0, v0, v33, s8
	ds_bpermute_b32 v15, v54, v8 offset:64
	ds_bpermute_b32 v16, v54, v3 offset:32
	;; [unrolled: 1-line block ×4, first 2 shown]
	s_load_b32 s9, s[22:23], 0xc
	ds_bpermute_b32 v29, v54, v2 offset:64
	ds_bpermute_b32 v59, v54, v1 offset:96
	;; [unrolled: 1-line block ×3, first 2 shown]
	s_getpc_b64 s[10:11]
	s_sext_i32_i16 s11, s11
	s_add_co_u32 s10, s10, _ZN7rocprim17ROCPRIM_400000_NS16block_radix_sortIfLj32ELj4ElLj1ELj1ELj0ELNS0_26block_radix_rank_algorithmE1ELNS0_18block_padding_hintE2ELNS0_4arch9wavefront6targetE0EE19radix_bits_per_passE@rel32@lo+8
	s_add_co_ci_u32 s11, s11, _ZN7rocprim17ROCPRIM_400000_NS16block_radix_sortIfLj32ELj4ElLj1ELj1ELj0ELNS0_26block_radix_rank_algorithmE1ELNS0_18block_padding_hintE2ELNS0_4arch9wavefront6targetE0EE19radix_bits_per_passE@rel32@hi+16
	ds_bpermute_b32 v56, v54, v4 offset:64
	s_wait_dscnt 0xd
	v_cndmask_b32_e64 v14, 0, v14, s5
	s_mov_b32 s24, 32
	s_wait_dscnt 0xc
	v_cndmask_b32_e64 v13, 0, v13, s5
	s_wait_dscnt 0xb
	v_cndmask_b32_e64 v11, v11, v12, s8
	v_cndmask_b32_e64 v12, v0, v26, s7
	s_wait_dscnt 0xa
	v_cndmask_b32_e64 v26, 0, v30, s5
	v_cndmask_b32_e64 v0, v13, v27, s4
	v_cndmask_b32_e64 v13, 0, v28, s5
	s_wait_dscnt 0x7
	v_cndmask_b32_e64 v14, v14, v15, s4
	ds_bpermute_b32 v15, v54, v3 offset:96
	s_wait_dscnt 0x7
	v_cndmask_b32_e64 v11, v11, v16, s7
	v_cndmask_b32_e64 v0, v0, v31, s8
	;; [unrolled: 1-line block ×3, first 2 shown]
	s_wait_dscnt 0x5
	v_cndmask_b32_e64 v16, v26, v57, s4
	s_wait_kmcnt 0x0
	s_lshr_b32 s15, s9, 16
	s_wait_dscnt 0x4
	v_cndmask_b32_e64 v14, v14, v29, s8
	v_cndmask_b32_e64 v13, v0, v33, s7
	;; [unrolled: 1-line block ×3, first 2 shown]
	s_wait_alu 0xfffe
	v_mad_u32_u24 v26, v53, s15, v52
	s_wait_dscnt 0x3
	v_cndmask_b32_e64 v28, v16, v59, s8
	s_load_b32 s15, s[10:11], 0x0
	s_and_b32 s8, s9, 0xffff
	s_wait_dscnt 0x2
	v_cndmask_b32_e64 v16, v0, v60, s7
	v_sub_co_u32 v0, s17, v48, 1
	s_wait_alu 0xfffe
	v_mad_co_u64_u32 v[26:27], null, v26, s8, v[21:22]
	s_wait_dscnt 0x1
	v_cndmask_b32_e64 v14, v14, v56, s7
	v_cmp_gt_i32_e32 vcc_lo, 0, v0
	s_wait_dscnt 0x0
	v_cndmask_b32_e64 v15, v28, v15, s7
	v_cmp_eq_u32_e64 s7, 0, v51
	v_cmp_lt_u32_e64 s8, 1, v51
	v_cmp_lt_u32_e64 s9, 3, v51
	s_wait_alu 0xfffd
	v_dual_cndmask_b32 v27, v0, v48 :: v_dual_lshlrev_b32 v0, 2, v49
	v_lshrrev_b32_e32 v26, 3, v26
	v_cmp_lt_u32_e64 s10, 7, v51
	v_cmp_eq_u32_e64 s11, 0, v50
	s_delay_alu instid0(VALU_DEP_4) | instskip(NEXT) | instid1(VALU_DEP_4)
	v_lshlrev_b32_e32 v56, 2, v27
	v_dual_mov_b32 v58, 0 :: v_dual_and_b32 v57, 0x1ffffffc, v26
	v_add_nc_u32_e32 v59, v0, v0
	s_or_b32 s17, s12, s17
	s_branch .LBB208_23
.LBB208_22:                             ;   in Loop: Header=BB208_23 Depth=1
	s_wait_alu 0xfffe
	s_and_not1_b32 vcc_lo, exec_lo, s12
	s_wait_alu 0xfffe
	s_cbranch_vccz .LBB208_35
.LBB208_23:                             ; =>This Inner Loop Header: Depth=1
	v_mov_b32_e32 v60, v34
	s_wait_kmcnt 0x0
	s_min_u32 s12, s15, s24
	ds_store_2addr_b32 v47, v58, v58 offset0:1 offset1:2
	ds_store_2addr_b32 v47, v58, v58 offset0:3 offset1:4
	;; [unrolled: 1-line block ×4, first 2 shown]
	s_wait_alu 0xfffe
	s_lshl_b32 s12, -1, s12
	s_wait_loadcnt_dscnt 0x0
	v_cmp_ne_u32_e32 vcc_lo, 0x7fffffff, v60
	s_wait_alu 0xfffe
	s_not_b32 s25, s12
	; wave barrier
	global_inv scope:SCOPE_SE
	; wave barrier
	s_wait_alu 0xfffd
	v_dual_cndmask_b32 v26, 0x80000000, v60 :: v_dual_mov_b32 v61, v37
	v_dual_mov_b32 v63, v35 :: v_dual_mov_b32 v62, v36
	s_delay_alu instid0(VALU_DEP_2) | instskip(SKIP_1) | instid1(VALU_DEP_1)
	v_lshrrev_b32_e32 v26, s13, v26
	s_wait_alu 0xfffe
	v_and_b32_e32 v64, s25, v26
	s_delay_alu instid0(VALU_DEP_1)
	v_and_b32_e32 v26, 1, v64
	v_lshlrev_b32_e32 v27, 30, v64
	v_lshlrev_b32_e32 v28, 29, v64
	;; [unrolled: 1-line block ×4, first 2 shown]
	v_add_co_u32 v26, s12, v26, -1
	s_wait_alu 0xf1ff
	v_cndmask_b32_e64 v30, 0, 1, s12
	v_not_b32_e32 v34, v27
	v_cmp_gt_i32_e64 s12, 0, v27
	v_not_b32_e32 v27, v28
	v_lshlrev_b32_e32 v32, 26, v64
	v_cmp_ne_u32_e32 vcc_lo, 0, v30
	v_ashrrev_i32_e32 v34, 31, v34
	v_lshlrev_b32_e32 v30, 24, v64
	v_ashrrev_i32_e32 v27, 31, v27
	v_lshlrev_b32_e32 v33, 25, v64
	s_wait_alu 0xfffd
	v_xor_b32_e32 v26, vcc_lo, v26
	v_cmp_gt_i32_e32 vcc_lo, 0, v28
	v_not_b32_e32 v28, v29
	s_wait_alu 0xf1ff
	v_xor_b32_e32 v34, s12, v34
	v_cmp_gt_i32_e64 s12, 0, v29
	v_and_b32_e32 v26, exec_lo, v26
	v_not_b32_e32 v29, v31
	v_ashrrev_i32_e32 v28, 31, v28
	s_wait_alu 0xfffd
	v_xor_b32_e32 v27, vcc_lo, v27
	v_cmp_gt_i32_e32 vcc_lo, 0, v31
	v_and_b32_e32 v26, v26, v34
	v_not_b32_e32 v31, v32
	v_ashrrev_i32_e32 v29, 31, v29
	s_wait_alu 0xf1ff
	v_xor_b32_e32 v28, s12, v28
	v_cmp_gt_i32_e64 s12, 0, v32
	v_and_b32_e32 v26, v26, v27
	v_ashrrev_i32_e32 v31, 31, v31
	s_wait_alu 0xfffd
	v_xor_b32_e32 v29, vcc_lo, v29
	v_lshl_add_u32 v35, v64, 2, v57
	v_and_b32_e32 v26, v26, v28
	s_wait_alu 0xf1ff
	v_xor_b32_e32 v31, s12, v31
	v_not_b32_e32 v28, v30
	v_cmp_gt_i32_e64 s12, 0, v30
	v_and_b32_e32 v26, v26, v29
	s_delay_alu instid0(VALU_DEP_3) | instskip(NEXT) | instid1(VALU_DEP_2)
	v_ashrrev_i32_e32 v28, 31, v28
	v_dual_mov_b32 v31, v12 :: v_dual_and_b32 v26, v26, v31
	v_mov_b32_e32 v30, v11
	v_not_b32_e32 v27, v33
	v_cmp_gt_i32_e32 vcc_lo, 0, v33
	s_wait_alu 0xf1ff
	v_xor_b32_e32 v28, s12, v28
	v_dual_mov_b32 v33, v10 :: v_dual_mov_b32 v32, v9
	v_ashrrev_i32_e32 v27, 31, v27
	s_wait_alu 0xfffd
	s_delay_alu instid0(VALU_DEP_1) | instskip(NEXT) | instid1(VALU_DEP_1)
	v_xor_b32_e32 v27, vcc_lo, v27
	v_and_b32_e32 v26, v26, v27
	s_delay_alu instid0(VALU_DEP_1) | instskip(SKIP_3) | instid1(VALU_DEP_4)
	v_and_b32_e32 v36, v26, v28
	v_mov_b32_e32 v29, v14
	v_dual_mov_b32 v27, v16 :: v_dual_mov_b32 v28, v13
	v_mov_b32_e32 v26, v15
	v_mbcnt_lo_u32_b32 v34, v36, 0
	v_cmp_ne_u32_e64 s12, 0, v36
	s_delay_alu instid0(VALU_DEP_2) | instskip(SKIP_1) | instid1(SALU_CYCLE_1)
	v_cmp_eq_u32_e32 vcc_lo, 0, v34
	s_and_b32 s26, s12, vcc_lo
	s_and_saveexec_b32 s12, s26
; %bb.24:                               ;   in Loop: Header=BB208_23 Depth=1
	v_bcnt_u32_b32 v9, v36, 0
	ds_store_b32 v35, v9 offset:4
; %bb.25:                               ;   in Loop: Header=BB208_23 Depth=1
	s_wait_alu 0xfffe
	s_or_b32 exec_lo, exec_lo, s12
	v_cmp_ne_u32_e32 vcc_lo, 0x7fffffff, v63
	; wave barrier
	s_wait_alu 0xfffd
	v_cndmask_b32_e32 v9, 0x80000000, v63, vcc_lo
	s_delay_alu instid0(VALU_DEP_1) | instskip(NEXT) | instid1(VALU_DEP_1)
	v_lshrrev_b32_e32 v9, s13, v9
	v_and_b32_e32 v9, s25, v9
	s_delay_alu instid0(VALU_DEP_1)
	v_and_b32_e32 v10, 1, v9
	v_lshlrev_b32_e32 v11, 30, v9
	v_lshlrev_b32_e32 v12, 29, v9
	;; [unrolled: 1-line block ×4, first 2 shown]
	v_add_co_u32 v10, s12, v10, -1
	s_wait_alu 0xf1ff
	v_cndmask_b32_e64 v14, 0, 1, s12
	v_not_b32_e32 v37, v11
	v_cmp_gt_i32_e64 s12, 0, v11
	v_not_b32_e32 v11, v12
	v_lshlrev_b32_e32 v16, 26, v9
	v_cmp_ne_u32_e32 vcc_lo, 0, v14
	v_ashrrev_i32_e32 v37, 31, v37
	v_lshlrev_b32_e32 v36, 25, v9
	v_ashrrev_i32_e32 v11, 31, v11
	v_lshlrev_b32_e32 v14, 24, v9
	s_wait_alu 0xfffd
	v_xor_b32_e32 v10, vcc_lo, v10
	v_cmp_gt_i32_e32 vcc_lo, 0, v12
	v_not_b32_e32 v12, v13
	s_wait_alu 0xf1ff
	v_xor_b32_e32 v37, s12, v37
	v_cmp_gt_i32_e64 s12, 0, v13
	v_and_b32_e32 v10, exec_lo, v10
	v_not_b32_e32 v13, v15
	v_ashrrev_i32_e32 v12, 31, v12
	s_wait_alu 0xfffd
	v_xor_b32_e32 v11, vcc_lo, v11
	v_cmp_gt_i32_e32 vcc_lo, 0, v15
	v_and_b32_e32 v10, v10, v37
	v_not_b32_e32 v15, v16
	v_ashrrev_i32_e32 v13, 31, v13
	s_wait_alu 0xf1ff
	v_xor_b32_e32 v12, s12, v12
	v_cmp_gt_i32_e64 s12, 0, v16
	v_and_b32_e32 v10, v10, v11
	v_not_b32_e32 v11, v36
	v_ashrrev_i32_e32 v15, 31, v15
	s_wait_alu 0xfffd
	v_xor_b32_e32 v13, vcc_lo, v13
	v_cmp_gt_i32_e32 vcc_lo, 0, v36
	v_and_b32_e32 v10, v10, v12
	v_not_b32_e32 v12, v14
	v_ashrrev_i32_e32 v11, 31, v11
	s_wait_alu 0xf1ff
	v_xor_b32_e32 v15, s12, v15
	v_cmp_gt_i32_e64 s12, 0, v14
	v_and_b32_e32 v10, v10, v13
	v_ashrrev_i32_e32 v12, 31, v12
	s_wait_alu 0xfffd
	v_xor_b32_e32 v11, vcc_lo, v11
	v_lshl_add_u32 v36, v9, 2, v57
	v_and_b32_e32 v10, v10, v15
	s_wait_alu 0xf1ff
	v_xor_b32_e32 v9, s12, v12
	ds_load_b32 v37, v36 offset:4
	v_and_b32_e32 v10, v10, v11
	; wave barrier
	s_delay_alu instid0(VALU_DEP_1) | instskip(NEXT) | instid1(VALU_DEP_1)
	v_and_b32_e32 v9, v10, v9
	v_mbcnt_lo_u32_b32 v64, v9, 0
	v_cmp_ne_u32_e64 s12, 0, v9
	s_delay_alu instid0(VALU_DEP_2) | instskip(SKIP_1) | instid1(SALU_CYCLE_1)
	v_cmp_eq_u32_e32 vcc_lo, 0, v64
	s_and_b32 s26, s12, vcc_lo
	s_and_saveexec_b32 s12, s26
	s_cbranch_execz .LBB208_27
; %bb.26:                               ;   in Loop: Header=BB208_23 Depth=1
	s_wait_dscnt 0x0
	v_bcnt_u32_b32 v9, v9, v37
	ds_store_b32 v36, v9 offset:4
.LBB208_27:                             ;   in Loop: Header=BB208_23 Depth=1
	s_wait_alu 0xfffe
	s_or_b32 exec_lo, exec_lo, s12
	v_cmp_ne_u32_e32 vcc_lo, 0x7fffffff, v62
	; wave barrier
	s_wait_alu 0xfffd
	v_cndmask_b32_e32 v9, 0x80000000, v62, vcc_lo
	s_delay_alu instid0(VALU_DEP_1) | instskip(NEXT) | instid1(VALU_DEP_1)
	v_lshrrev_b32_e32 v9, s13, v9
	v_and_b32_e32 v9, s25, v9
	s_delay_alu instid0(VALU_DEP_1)
	v_and_b32_e32 v10, 1, v9
	v_lshlrev_b32_e32 v11, 30, v9
	v_lshlrev_b32_e32 v12, 29, v9
	;; [unrolled: 1-line block ×4, first 2 shown]
	v_add_co_u32 v10, s12, v10, -1
	s_wait_alu 0xf1ff
	v_cndmask_b32_e64 v14, 0, 1, s12
	v_not_b32_e32 v66, v11
	v_cmp_gt_i32_e64 s12, 0, v11
	v_not_b32_e32 v11, v12
	v_lshlrev_b32_e32 v16, 26, v9
	v_cmp_ne_u32_e32 vcc_lo, 0, v14
	v_ashrrev_i32_e32 v66, 31, v66
	v_lshlrev_b32_e32 v65, 25, v9
	v_ashrrev_i32_e32 v11, 31, v11
	v_lshlrev_b32_e32 v14, 24, v9
	s_wait_alu 0xfffd
	v_xor_b32_e32 v10, vcc_lo, v10
	v_cmp_gt_i32_e32 vcc_lo, 0, v12
	v_not_b32_e32 v12, v13
	s_wait_alu 0xf1ff
	v_xor_b32_e32 v66, s12, v66
	v_cmp_gt_i32_e64 s12, 0, v13
	v_and_b32_e32 v10, exec_lo, v10
	v_not_b32_e32 v13, v15
	v_ashrrev_i32_e32 v12, 31, v12
	s_wait_alu 0xfffd
	v_xor_b32_e32 v11, vcc_lo, v11
	v_cmp_gt_i32_e32 vcc_lo, 0, v15
	v_and_b32_e32 v10, v10, v66
	v_not_b32_e32 v15, v16
	v_ashrrev_i32_e32 v13, 31, v13
	s_wait_alu 0xf1ff
	v_xor_b32_e32 v12, s12, v12
	v_cmp_gt_i32_e64 s12, 0, v16
	v_and_b32_e32 v10, v10, v11
	v_not_b32_e32 v11, v65
	v_ashrrev_i32_e32 v15, 31, v15
	s_wait_alu 0xfffd
	v_xor_b32_e32 v13, vcc_lo, v13
	v_cmp_gt_i32_e32 vcc_lo, 0, v65
	v_and_b32_e32 v10, v10, v12
	v_not_b32_e32 v12, v14
	v_ashrrev_i32_e32 v11, 31, v11
	s_wait_alu 0xf1ff
	v_xor_b32_e32 v15, s12, v15
	v_cmp_gt_i32_e64 s12, 0, v14
	v_and_b32_e32 v10, v10, v13
	v_ashrrev_i32_e32 v12, 31, v12
	s_wait_alu 0xfffd
	v_xor_b32_e32 v11, vcc_lo, v11
	v_lshl_add_u32 v65, v9, 2, v57
	v_and_b32_e32 v10, v10, v15
	s_wait_alu 0xf1ff
	v_xor_b32_e32 v9, s12, v12
	ds_load_b32 v66, v65 offset:4
	v_and_b32_e32 v10, v10, v11
	; wave barrier
	s_delay_alu instid0(VALU_DEP_1) | instskip(NEXT) | instid1(VALU_DEP_1)
	v_and_b32_e32 v9, v10, v9
	v_mbcnt_lo_u32_b32 v67, v9, 0
	v_cmp_ne_u32_e64 s12, 0, v9
	s_delay_alu instid0(VALU_DEP_2) | instskip(SKIP_1) | instid1(SALU_CYCLE_1)
	v_cmp_eq_u32_e32 vcc_lo, 0, v67
	s_and_b32 s26, s12, vcc_lo
	s_and_saveexec_b32 s12, s26
	s_cbranch_execz .LBB208_29
; %bb.28:                               ;   in Loop: Header=BB208_23 Depth=1
	s_wait_dscnt 0x0
	v_bcnt_u32_b32 v9, v9, v66
	ds_store_b32 v65, v9 offset:4
.LBB208_29:                             ;   in Loop: Header=BB208_23 Depth=1
	s_wait_alu 0xfffe
	s_or_b32 exec_lo, exec_lo, s12
	v_cmp_ne_u32_e32 vcc_lo, 0x7fffffff, v61
	; wave barrier
	s_wait_alu 0xfffd
	v_cndmask_b32_e32 v9, 0x80000000, v61, vcc_lo
	s_delay_alu instid0(VALU_DEP_1) | instskip(NEXT) | instid1(VALU_DEP_1)
	v_lshrrev_b32_e32 v9, s13, v9
	v_and_b32_e32 v9, s25, v9
	s_delay_alu instid0(VALU_DEP_1)
	v_and_b32_e32 v10, 1, v9
	v_lshlrev_b32_e32 v11, 30, v9
	v_lshlrev_b32_e32 v12, 29, v9
	;; [unrolled: 1-line block ×4, first 2 shown]
	v_add_co_u32 v10, s12, v10, -1
	s_wait_alu 0xf1ff
	v_cndmask_b32_e64 v14, 0, 1, s12
	v_not_b32_e32 v69, v11
	v_cmp_gt_i32_e64 s12, 0, v11
	v_not_b32_e32 v11, v12
	v_lshlrev_b32_e32 v16, 26, v9
	v_cmp_ne_u32_e32 vcc_lo, 0, v14
	v_ashrrev_i32_e32 v69, 31, v69
	v_lshlrev_b32_e32 v68, 25, v9
	v_ashrrev_i32_e32 v11, 31, v11
	v_lshlrev_b32_e32 v14, 24, v9
	s_wait_alu 0xfffd
	v_xor_b32_e32 v10, vcc_lo, v10
	v_cmp_gt_i32_e32 vcc_lo, 0, v12
	v_not_b32_e32 v12, v13
	s_wait_alu 0xf1ff
	v_xor_b32_e32 v69, s12, v69
	v_cmp_gt_i32_e64 s12, 0, v13
	v_and_b32_e32 v10, exec_lo, v10
	v_not_b32_e32 v13, v15
	v_ashrrev_i32_e32 v12, 31, v12
	s_wait_alu 0xfffd
	v_xor_b32_e32 v11, vcc_lo, v11
	v_cmp_gt_i32_e32 vcc_lo, 0, v15
	v_and_b32_e32 v10, v10, v69
	v_not_b32_e32 v15, v16
	v_ashrrev_i32_e32 v13, 31, v13
	s_wait_alu 0xf1ff
	v_xor_b32_e32 v12, s12, v12
	v_cmp_gt_i32_e64 s12, 0, v16
	v_and_b32_e32 v10, v10, v11
	v_not_b32_e32 v11, v68
	v_ashrrev_i32_e32 v15, 31, v15
	s_wait_alu 0xfffd
	v_xor_b32_e32 v13, vcc_lo, v13
	v_cmp_gt_i32_e32 vcc_lo, 0, v68
	v_and_b32_e32 v10, v10, v12
	v_not_b32_e32 v12, v14
	v_ashrrev_i32_e32 v11, 31, v11
	s_wait_alu 0xf1ff
	v_xor_b32_e32 v15, s12, v15
	v_cmp_gt_i32_e64 s12, 0, v14
	v_and_b32_e32 v10, v10, v13
	v_ashrrev_i32_e32 v12, 31, v12
	s_wait_alu 0xfffd
	v_xor_b32_e32 v11, vcc_lo, v11
	v_lshl_add_u32 v68, v9, 2, v57
	v_and_b32_e32 v10, v10, v15
	s_wait_alu 0xf1ff
	v_xor_b32_e32 v9, s12, v12
	ds_load_b32 v70, v68 offset:4
	v_and_b32_e32 v10, v10, v11
	; wave barrier
	s_delay_alu instid0(VALU_DEP_1) | instskip(NEXT) | instid1(VALU_DEP_1)
	v_and_b32_e32 v9, v10, v9
	v_mbcnt_lo_u32_b32 v71, v9, 0
	v_cmp_ne_u32_e64 s12, 0, v9
	s_delay_alu instid0(VALU_DEP_2)
	v_cmp_eq_u32_e32 vcc_lo, 0, v71
	s_and_b32 s25, s12, vcc_lo
	s_wait_alu 0xfffe
	s_and_saveexec_b32 s12, s25
	s_cbranch_execz .LBB208_31
; %bb.30:                               ;   in Loop: Header=BB208_23 Depth=1
	s_wait_dscnt 0x0
	v_bcnt_u32_b32 v9, v9, v70
	ds_store_b32 v68, v9 offset:4
.LBB208_31:                             ;   in Loop: Header=BB208_23 Depth=1
	s_wait_alu 0xfffe
	s_or_b32 exec_lo, exec_lo, s12
	; wave barrier
	; wave barrier
	s_wait_loadcnt_dscnt 0x0
	global_inv scope:SCOPE_SE
	ds_load_2addr_b32 v[15:16], v47 offset0:1 offset1:2
	ds_load_2addr_b32 v[13:14], v47 offset0:3 offset1:4
	;; [unrolled: 1-line block ×4, first 2 shown]
	s_wait_dscnt 0x3
	v_add_nc_u32_e32 v69, v16, v15
	s_wait_dscnt 0x2
	s_delay_alu instid0(VALU_DEP_1) | instskip(SKIP_1) | instid1(VALU_DEP_1)
	v_add3_u32 v69, v69, v13, v14
	s_wait_dscnt 0x1
	v_add3_u32 v69, v69, v11, v12
	s_wait_dscnt 0x0
	s_delay_alu instid0(VALU_DEP_1) | instskip(NEXT) | instid1(VALU_DEP_1)
	v_add3_u32 v10, v69, v9, v10
	v_mov_b32_dpp v69, v10 row_shr:1 row_mask:0xf bank_mask:0xf
	s_delay_alu instid0(VALU_DEP_1) | instskip(NEXT) | instid1(VALU_DEP_1)
	v_cndmask_b32_e64 v69, v69, 0, s7
	v_add_nc_u32_e32 v10, v69, v10
	s_delay_alu instid0(VALU_DEP_1) | instskip(NEXT) | instid1(VALU_DEP_1)
	v_mov_b32_dpp v69, v10 row_shr:2 row_mask:0xf bank_mask:0xf
	v_cndmask_b32_e64 v69, 0, v69, s8
	s_delay_alu instid0(VALU_DEP_1) | instskip(NEXT) | instid1(VALU_DEP_1)
	v_add_nc_u32_e32 v10, v10, v69
	v_mov_b32_dpp v69, v10 row_shr:4 row_mask:0xf bank_mask:0xf
	s_delay_alu instid0(VALU_DEP_1) | instskip(NEXT) | instid1(VALU_DEP_1)
	v_cndmask_b32_e64 v69, 0, v69, s9
	v_add_nc_u32_e32 v10, v10, v69
	s_delay_alu instid0(VALU_DEP_1) | instskip(NEXT) | instid1(VALU_DEP_1)
	v_mov_b32_dpp v69, v10 row_shr:8 row_mask:0xf bank_mask:0xf
	v_cndmask_b32_e64 v69, 0, v69, s10
	s_delay_alu instid0(VALU_DEP_1) | instskip(SKIP_3) | instid1(VALU_DEP_1)
	v_add_nc_u32_e32 v10, v10, v69
	ds_swizzle_b32 v69, v10 offset:swizzle(BROADCAST,32,15)
	s_wait_dscnt 0x0
	v_cndmask_b32_e64 v69, v69, 0, s11
	v_add_nc_u32_e32 v10, v10, v69
	s_and_saveexec_b32 s12, s6
; %bb.32:                               ;   in Loop: Header=BB208_23 Depth=1
	ds_store_b32 v58, v10
; %bb.33:                               ;   in Loop: Header=BB208_23 Depth=1
	s_wait_alu 0xfffe
	s_or_b32 exec_lo, exec_lo, s12
	ds_bpermute_b32 v10, v56, v10
	; wave barrier
	s_wait_loadcnt_dscnt 0x0
	global_inv scope:SCOPE_SE
	s_cmp_gt_u32 s13, 23
	s_mov_b32 s12, -1
	v_cndmask_b32_e64 v10, v10, 0, s17
	s_delay_alu instid0(VALU_DEP_1) | instskip(NEXT) | instid1(VALU_DEP_1)
	v_add_nc_u32_e32 v15, v10, v15
	v_add_nc_u32_e32 v16, v15, v16
	s_delay_alu instid0(VALU_DEP_1) | instskip(NEXT) | instid1(VALU_DEP_1)
	v_add_nc_u32_e32 v13, v16, v13
	v_add_nc_u32_e32 v14, v13, v14
	;; [unrolled: 3-line block ×3, first 2 shown]
	s_delay_alu instid0(VALU_DEP_1)
	v_add_nc_u32_e32 v9, v12, v9
	ds_store_2addr_b32 v47, v10, v15 offset0:1 offset1:2
	ds_store_2addr_b32 v47, v16, v13 offset0:3 offset1:4
	;; [unrolled: 1-line block ×4, first 2 shown]
	; wave barrier
	s_wait_loadcnt_dscnt 0x0
	global_inv scope:SCOPE_SE
	ds_load_b32 v9, v35 offset:4
	ds_load_b32 v10, v36 offset:4
	;; [unrolled: 1-line block ×4, first 2 shown]
                                        ; implicit-def: $vgpr13_vgpr14
	s_wait_dscnt 0x3
	v_add_nc_u32_e32 v69, v9, v34
	s_wait_dscnt 0x2
	v_add3_u32 v68, v64, v37, v10
	s_wait_dscnt 0x1
	v_add3_u32 v65, v67, v66, v11
	;; [unrolled: 2-line block ×3, first 2 shown]
                                        ; implicit-def: $vgpr37
                                        ; implicit-def: $vgpr35
                                        ; implicit-def: $vgpr9_vgpr10
	s_cbranch_scc1 .LBB208_22
; %bb.34:                               ;   in Loop: Header=BB208_23 Depth=1
	v_lshlrev_b32_e32 v9, 2, v69
	v_lshlrev_b32_e32 v10, 2, v68
	;; [unrolled: 1-line block ×4, first 2 shown]
	s_wait_loadcnt 0x0
	; wave barrier
	global_inv scope:SCOPE_SE
	ds_store_b32 v9, v60
	ds_store_b32 v10, v63
	;; [unrolled: 1-line block ×4, first 2 shown]
	v_add_nc_u32_e32 v9, v9, v9
	v_add_nc_u32_e32 v10, v10, v10
	;; [unrolled: 1-line block ×4, first 2 shown]
	; wave barrier
	s_wait_loadcnt_dscnt 0x0
	global_inv scope:SCOPE_SE
	ds_load_2addr_b32 v[34:35], v0 offset1:32
	ds_load_2addr_b32 v[36:37], v0 offset0:64 offset1:96
	; wave barrier
	s_wait_loadcnt_dscnt 0x0
	global_inv scope:SCOPE_SE
	ds_store_b64 v9, v[32:33]
	ds_store_b64 v10, v[30:31]
	;; [unrolled: 1-line block ×4, first 2 shown]
	; wave barrier
	s_wait_loadcnt_dscnt 0x0
	global_inv scope:SCOPE_SE
	ds_load_2addr_b64 v[9:12], v59 offset1:32
	ds_load_2addr_b64 v[13:16], v59 offset0:64 offset1:96
	s_add_co_i32 s13, s13, 8
	s_add_co_i32 s24, s24, -8
	s_mov_b32 s12, 0
	; wave barrier
	s_wait_loadcnt_dscnt 0x0
	global_inv scope:SCOPE_SE
	s_branch .LBB208_22
.LBB208_35:
	v_lshlrev_b32_e32 v0, 2, v69
	v_lshlrev_b32_e32 v14, 2, v65
	;; [unrolled: 1-line block ×5, first 2 shown]
	s_wait_loadcnt 0x0
	; wave barrier
	global_inv scope:SCOPE_SE
	ds_store_b32 v0, v60
	ds_store_b32 v13, v63
	;; [unrolled: 1-line block ×4, first 2 shown]
	; wave barrier
	s_wait_loadcnt_dscnt 0x0
	global_inv scope:SCOPE_SE
	ds_load_b128 v[9:12], v9
	v_add_nc_u32_e32 v0, v0, v0
	v_add_nc_u32_e32 v13, v13, v13
	;; [unrolled: 1-line block ×3, first 2 shown]
	; wave barrier
	s_wait_loadcnt_dscnt 0x0
	global_inv scope:SCOPE_SE
	ds_store_b64 v0, v[32:33]
	ds_store_b64 v13, v[30:31]
	;; [unrolled: 1-line block ×3, first 2 shown]
	v_add_nc_u32_e32 v15, v15, v15
	s_mov_b32 s9, 0
	ds_store_b64 v15, v[26:27]
	; wave barrier
	s_wait_loadcnt_dscnt 0x0
	global_inv scope:SCOPE_SE
	v_cmp_lt_i32_e32 vcc_lo, -1, v9
	s_wait_alu 0xfffd
	v_cndmask_b32_e64 v0, 0x80000000, -1, vcc_lo
	v_cmp_lt_i32_e32 vcc_lo, -1, v10
	s_delay_alu instid0(VALU_DEP_2) | instskip(SKIP_3) | instid1(VALU_DEP_2)
	v_xor_b32_e32 v9, v0, v9
	s_wait_alu 0xfffd
	v_cndmask_b32_e64 v13, 0x80000000, -1, vcc_lo
	v_cmp_lt_i32_e32 vcc_lo, -1, v11
	v_xor_b32_e32 v10, v13, v10
	s_wait_alu 0xfffd
	v_cndmask_b32_e64 v14, 0x80000000, -1, vcc_lo
	v_cmp_lt_i32_e32 vcc_lo, -1, v12
	s_delay_alu instid0(VALU_DEP_2) | instskip(SKIP_2) | instid1(VALU_DEP_1)
	v_xor_b32_e32 v11, v14, v11
	s_wait_alu 0xfffd
	v_cndmask_b32_e64 v16, 0x80000000, -1, vcc_lo
	v_xor_b32_e32 v12, v16, v12
.LBB208_36:
	s_wait_alu 0xfffe
	s_and_b32 vcc_lo, exec_lo, s9
	s_wait_alu 0xfffe
	s_cbranch_vccz .LBB208_52
; %bb.37:
	v_cmp_gt_i32_e32 vcc_lo, 0, v24
	ds_bpermute_b32 v29, v54, v8
	ds_bpermute_b32 v13, v54, v5
	ds_bpermute_b32 v26, v54, v7
	ds_bpermute_b32 v31, v54, v1
	s_wait_alu 0xfffd
	v_cndmask_b32_e64 v0, 0x7fffffff, 0, vcc_lo
	v_cmp_gt_i32_e32 vcc_lo, 0, v25
	ds_bpermute_b32 v32, v54, v2
	v_cmp_eq_u32_e64 s6, 3, v55
	ds_bpermute_b32 v35, v54, v8 offset:32
	v_xor_b32_e32 v0, v0, v24
	s_wait_alu 0xfffd
	v_cndmask_b32_e64 v9, 0x7fffffff, 0, vcc_lo
	v_cmp_gt_i32_e32 vcc_lo, 0, v22
	ds_bpermute_b32 v24, v54, v6
	s_wait_loadcnt_dscnt 0x0
	ds_bpermute_b32 v12, v54, v0
	v_xor_b32_e32 v9, v9, v25
	s_wait_alu 0xfffd
	v_cndmask_b32_e64 v10, 0x7fffffff, 0, vcc_lo
	v_cmp_gt_i32_e32 vcc_lo, 0, v23
	ds_bpermute_b32 v14, v54, v0 offset:32
	ds_bpermute_b32 v15, v54, v0 offset:64
	ds_bpermute_b32 v16, v54, v9
	v_xor_b32_e32 v10, v10, v22
	s_wait_alu 0xfffd
	v_cndmask_b32_e64 v11, 0x7fffffff, 0, vcc_lo
	ds_bpermute_b32 v22, v54, v9 offset:32
	ds_bpermute_b32 v25, v54, v9 offset:64
	;; [unrolled: 1-line block ×4, first 2 shown]
	v_xor_b32_e32 v11, v11, v23
	ds_bpermute_b32 v23, v54, v10
	ds_bpermute_b32 v28, v54, v10 offset:64
	ds_bpermute_b32 v9, v54, v9 offset:96
	v_cmp_eq_u32_e32 vcc_lo, 2, v55
	ds_bpermute_b32 v30, v54, v11
	ds_bpermute_b32 v10, v54, v10 offset:96
	s_wait_dscnt 0xc
	v_cndmask_b32_e64 v12, 0, v12, s5
	ds_bpermute_b32 v33, v54, v11 offset:32
	ds_bpermute_b32 v34, v54, v11 offset:64
	;; [unrolled: 1-line block ×3, first 2 shown]
	s_wait_dscnt 0xe
	v_cndmask_b32_e64 v14, 0, v14, s5
	s_wait_dscnt 0xd
	v_cndmask_b32_e64 v15, 0, v15, s5
	;; [unrolled: 2-line block ×3, first 2 shown]
	ds_bpermute_b32 v16, v54, v5 offset:32
	v_cndmask_b32_e64 v13, 0, v13, s5
	s_wait_dscnt 0xc
	v_cndmask_b32_e64 v14, v14, v22, s4
	s_wait_dscnt 0xb
	;; [unrolled: 2-line block ×3, first 2 shown]
	v_cndmask_b32_e64 v0, 0, v0, s5
	v_cndmask_b32_e64 v25, 0, v24, s5
	;; [unrolled: 1-line block ×3, first 2 shown]
	s_wait_dscnt 0x7
	s_wait_alu 0xfffd
	v_dual_cndmask_b32 v12, v12, v23 :: v_dual_cndmask_b32 v15, v15, v28
	ds_bpermute_b32 v28, v54, v4
	s_wait_dscnt 0x7
	v_cndmask_b32_e64 v0, v0, v9, s4
	v_cndmask_b32_e64 v9, v25, v29, s4
	v_cndmask_b32_e32 v14, v14, v27, vcc_lo
	s_wait_dscnt 0x6
	s_wait_alu 0xf1ff
	v_cndmask_b32_e64 v22, v12, v30, s6
	ds_bpermute_b32 v12, v54, v6 offset:32
	ds_bpermute_b32 v27, v54, v7 offset:32
	ds_bpermute_b32 v30, v54, v3
	s_wait_dscnt 0x8
	v_dual_cndmask_b32 v0, v0, v10 :: v_dual_cndmask_b32 v13, v13, v31
	v_cndmask_b32_e32 v9, v9, v32, vcc_lo
	s_wait_dscnt 0x4
	v_cndmask_b32_e64 v10, 0, v16, s5
	v_cndmask_b32_e64 v23, v14, v33, s6
	ds_bpermute_b32 v14, v54, v6 offset:64
	v_cndmask_b32_e64 v25, v0, v11, s6
	ds_bpermute_b32 v6, v54, v6 offset:96
	ds_bpermute_b32 v26, v54, v8 offset:64
	ds_bpermute_b32 v8, v54, v8 offset:96
	ds_bpermute_b32 v16, v54, v4 offset:32
	ds_bpermute_b32 v29, v54, v1 offset:64
	; wave barrier
	s_wait_dscnt 0x0
	global_inv scope:SCOPE_SE
	s_load_b32 s7, s[22:23], 0xc
	ds_bpermute_b32 v31, v54, v4 offset:64
	ds_bpermute_b32 v32, v54, v1 offset:96
	;; [unrolled: 1-line block ×3, first 2 shown]
	v_cndmask_b32_e64 v12, 0, v12, s5
	v_cndmask_b32_e64 v0, v10, v27, s4
	;; [unrolled: 1-line block ×4, first 2 shown]
	ds_bpermute_b32 v13, v54, v5 offset:64
	v_cndmask_b32_e64 v11, v12, v35, s4
	ds_bpermute_b32 v12, v54, v2 offset:32
	ds_bpermute_b32 v27, v54, v7 offset:64
	;; [unrolled: 1-line block ×7, first 2 shown]
	v_cndmask_b32_e64 v14, 0, v14, s5
	v_cndmask_b32_e64 v6, 0, v6, s5
	;; [unrolled: 1-line block ×3, first 2 shown]
	ds_bpermute_b32 v15, v54, v3 offset:32
	ds_bpermute_b32 v30, v54, v3 offset:64
	v_cmp_eq_u32_e64 s9, 31, v21
	v_cndmask_b32_e64 v6, v6, v8, s4
	s_mov_b32 s12, 0
	s_mov_b32 s15, 32
	s_wait_dscnt 0x9
	v_cndmask_b32_e64 v1, 0, v13, s5
	ds_bpermute_b32 v13, v54, v3 offset:96
	s_wait_dscnt 0x7
	v_cndmask_b32_e64 v5, 0, v5, s5
	v_cndmask_b32_e64 v1, v1, v27, s4
	v_cndmask_b32_e32 v3, v11, v12, vcc_lo
	v_cndmask_b32_e64 v11, v14, v26, s4
	s_wait_dscnt 0x4
	v_cndmask_b32_e32 v2, v6, v2, vcc_lo
	v_cndmask_b32_e64 v5, v5, v7, s4
	v_cndmask_b32_e32 v8, v1, v29, vcc_lo
	v_cndmask_b32_e64 v12, v3, v16, s6
	v_cndmask_b32_e32 v3, v11, v28, vcc_lo
	s_getpc_b64 s[4:5]
	s_wait_alu 0xfffe
	s_sext_i32_i16 s5, s5
	s_add_co_u32 s4, s4, _ZN7rocprim17ROCPRIM_400000_NS16block_radix_sortIfLj32ELj4ElLj1ELj1ELj0ELNS0_26block_radix_rank_algorithmE1ELNS0_18block_padding_hintE2ELNS0_4arch9wavefront6targetE0EE19radix_bits_per_passE@rel32@lo+12
	s_wait_alu 0xfffe
	s_add_co_ci_u32 s5, s5, _ZN7rocprim17ROCPRIM_400000_NS16block_radix_sortIfLj32ELj4ElLj1ELj1ELj0ELNS0_26block_radix_rank_algorithmE1ELNS0_18block_padding_hintE2ELNS0_4arch9wavefront6targetE0EE19radix_bits_per_passE@rel32@hi+24
	s_wait_kmcnt 0x0
	s_lshr_b32 s8, s7, 16
	v_dual_cndmask_b32 v5, v5, v32 :: v_dual_lshlrev_b32 v26, 2, v49
	v_cndmask_b32_e64 v1, v3, v31, s6
	v_cndmask_b32_e64 v3, v2, v4, s6
	s_wait_alu 0xfffe
	v_mad_u32_u24 v4, v53, s8, v52
	s_load_b32 s11, s[4:5], 0x0
	s_and_b32 s4, s7, 0xffff
	s_wait_dscnt 0x0
	v_cndmask_b32_e64 v2, v5, v13, s6
	v_cndmask_b32_e32 v0, v0, v36, vcc_lo
	s_wait_alu 0xfffe
	v_mad_co_u64_u32 v[4:5], null, v4, s4, v[21:22]
	v_sub_co_u32 v5, s10, v48, 1
	v_cmp_eq_u32_e64 s4, 0, v51
	v_cmp_lt_u32_e64 s5, 1, v51
	v_cmp_lt_u32_e64 s7, 7, v51
	s_delay_alu instid0(VALU_DEP_4)
	v_cmp_gt_i32_e32 vcc_lo, 0, v5
	v_lshrrev_b32_e32 v4, 3, v4
	v_cmp_eq_u32_e64 s8, 0, v50
	v_dual_mov_b32 v28, 0 :: v_dual_add_nc_u32 v29, v26, v26
	s_wait_alu 0xfffd
	v_cndmask_b32_e32 v5, v5, v48, vcc_lo
	v_cmp_eq_u32_e32 vcc_lo, 0, v21
	v_and_b32_e32 v21, 0x1ffffffc, v4
	s_delay_alu instid0(VALU_DEP_3)
	v_lshlrev_b32_e32 v27, 2, v5
	v_cndmask_b32_e64 v11, v0, v15, s6
	v_cndmask_b32_e64 v0, v8, v30, s6
	v_cmp_lt_u32_e64 s6, 3, v51
	s_or_b32 s13, vcc_lo, s10
	s_branch .LBB208_39
.LBB208_38:                             ;   in Loop: Header=BB208_39 Depth=1
	s_wait_alu 0xfffe
	s_and_not1_b32 vcc_lo, exec_lo, s10
	s_wait_alu 0xfffe
	s_cbranch_vccz .LBB208_51
.LBB208_39:                             ; =>This Inner Loop Header: Depth=1
	v_mov_b32_e32 v30, v22
	s_wait_kmcnt 0x0
	s_min_u32 s10, s11, s15
	ds_store_2addr_b32 v47, v28, v28 offset0:1 offset1:2
	ds_store_2addr_b32 v47, v28, v28 offset0:3 offset1:4
	;; [unrolled: 1-line block ×4, first 2 shown]
	s_wait_alu 0xfffe
	s_lshl_b32 s10, -1, s10
	s_wait_loadcnt_dscnt 0x0
	v_cmp_ne_u32_e32 vcc_lo, 0x80000000, v30
	s_wait_alu 0xfffe
	s_not_b32 s17, s10
	; wave barrier
	global_inv scope:SCOPE_SE
	; wave barrier
	s_wait_alu 0xfffd
	v_dual_cndmask_b32 v4, 0x7fffffff, v30 :: v_dual_mov_b32 v31, v25
	v_dual_mov_b32 v33, v23 :: v_dual_mov_b32 v32, v24
	s_delay_alu instid0(VALU_DEP_2) | instskip(SKIP_1) | instid1(VALU_DEP_1)
	v_lshrrev_b32_e32 v4, s12, v4
	s_wait_alu 0xfffe
	v_and_b32_e32 v22, s17, v4
	s_delay_alu instid0(VALU_DEP_1)
	v_and_b32_e32 v4, 1, v22
	v_lshlrev_b32_e32 v5, 30, v22
	v_lshlrev_b32_e32 v6, 29, v22
	;; [unrolled: 1-line block ×4, first 2 shown]
	v_add_co_u32 v4, s10, v4, -1
	s_wait_alu 0xf1ff
	v_cndmask_b32_e64 v8, 0, 1, s10
	v_not_b32_e32 v16, v5
	v_cmp_gt_i32_e64 s10, 0, v5
	v_not_b32_e32 v5, v6
	v_lshlrev_b32_e32 v14, 26, v22
	v_cmp_ne_u32_e32 vcc_lo, 0, v8
	v_ashrrev_i32_e32 v16, 31, v16
	v_lshlrev_b32_e32 v15, 25, v22
	v_ashrrev_i32_e32 v5, 31, v5
	v_lshlrev_b32_e32 v8, 24, v22
	s_wait_alu 0xfffd
	v_xor_b32_e32 v4, vcc_lo, v4
	v_cmp_gt_i32_e32 vcc_lo, 0, v6
	v_not_b32_e32 v6, v7
	s_wait_alu 0xf1ff
	v_xor_b32_e32 v16, s10, v16
	v_cmp_gt_i32_e64 s10, 0, v7
	v_and_b32_e32 v4, exec_lo, v4
	v_not_b32_e32 v7, v13
	v_ashrrev_i32_e32 v6, 31, v6
	s_wait_alu 0xfffd
	v_xor_b32_e32 v5, vcc_lo, v5
	v_cmp_gt_i32_e32 vcc_lo, 0, v13
	v_and_b32_e32 v4, v4, v16
	v_not_b32_e32 v13, v14
	v_ashrrev_i32_e32 v7, 31, v7
	s_wait_alu 0xf1ff
	v_xor_b32_e32 v6, s10, v6
	v_cmp_gt_i32_e64 s10, 0, v14
	v_and_b32_e32 v4, v4, v5
	v_ashrrev_i32_e32 v13, 31, v13
	s_wait_alu 0xfffd
	v_xor_b32_e32 v7, vcc_lo, v7
	v_lshl_add_u32 v22, v22, 2, v21
	v_and_b32_e32 v4, v4, v6
	s_wait_alu 0xf1ff
	v_xor_b32_e32 v13, s10, v13
	v_not_b32_e32 v6, v8
	v_cmp_gt_i32_e64 s10, 0, v8
	v_and_b32_e32 v4, v4, v7
	s_delay_alu instid0(VALU_DEP_3) | instskip(NEXT) | instid1(VALU_DEP_2)
	v_ashrrev_i32_e32 v6, 31, v6
	v_and_b32_e32 v4, v4, v13
	v_mov_b32_e32 v14, v12
	v_not_b32_e32 v5, v15
	v_cmp_gt_i32_e32 vcc_lo, 0, v15
	s_wait_alu 0xf1ff
	v_xor_b32_e32 v6, s10, v6
	v_dual_mov_b32 v13, v11 :: v_dual_mov_b32 v16, v10
	v_ashrrev_i32_e32 v5, 31, v5
	v_mov_b32_e32 v15, v9
	s_wait_alu 0xfffd
	s_delay_alu instid0(VALU_DEP_2) | instskip(NEXT) | instid1(VALU_DEP_1)
	v_xor_b32_e32 v5, vcc_lo, v5
	v_and_b32_e32 v4, v4, v5
	s_delay_alu instid0(VALU_DEP_1) | instskip(SKIP_2) | instid1(VALU_DEP_3)
	v_dual_mov_b32 v7, v1 :: v_dual_and_b32 v8, v4, v6
	v_dual_mov_b32 v5, v3 :: v_dual_mov_b32 v6, v0
	v_mov_b32_e32 v4, v2
	v_mbcnt_lo_u32_b32 v12, v8, 0
	v_cmp_ne_u32_e64 s10, 0, v8
	s_delay_alu instid0(VALU_DEP_2) | instskip(SKIP_1) | instid1(SALU_CYCLE_1)
	v_cmp_eq_u32_e32 vcc_lo, 0, v12
	s_and_b32 s22, s10, vcc_lo
	s_and_saveexec_b32 s10, s22
; %bb.40:                               ;   in Loop: Header=BB208_39 Depth=1
	v_bcnt_u32_b32 v0, v8, 0
	ds_store_b32 v22, v0 offset:4
; %bb.41:                               ;   in Loop: Header=BB208_39 Depth=1
	s_wait_alu 0xfffe
	s_or_b32 exec_lo, exec_lo, s10
	v_cmp_ne_u32_e32 vcc_lo, 0x80000000, v33
	; wave barrier
	s_wait_alu 0xfffd
	v_cndmask_b32_e32 v0, 0x7fffffff, v33, vcc_lo
	s_delay_alu instid0(VALU_DEP_1) | instskip(NEXT) | instid1(VALU_DEP_1)
	v_lshrrev_b32_e32 v0, s12, v0
	v_and_b32_e32 v0, s17, v0
	s_delay_alu instid0(VALU_DEP_1)
	v_and_b32_e32 v1, 1, v0
	v_lshlrev_b32_e32 v2, 30, v0
	v_lshlrev_b32_e32 v3, 29, v0
	;; [unrolled: 1-line block ×4, first 2 shown]
	v_add_co_u32 v1, s10, v1, -1
	s_wait_alu 0xf1ff
	v_cndmask_b32_e64 v9, 0, 1, s10
	v_not_b32_e32 v24, v2
	v_cmp_gt_i32_e64 s10, 0, v2
	v_not_b32_e32 v2, v3
	v_lshlrev_b32_e32 v11, 26, v0
	v_cmp_ne_u32_e32 vcc_lo, 0, v9
	v_ashrrev_i32_e32 v24, 31, v24
	v_lshlrev_b32_e32 v23, 25, v0
	v_ashrrev_i32_e32 v2, 31, v2
	v_lshlrev_b32_e32 v9, 24, v0
	s_wait_alu 0xfffd
	v_xor_b32_e32 v1, vcc_lo, v1
	v_cmp_gt_i32_e32 vcc_lo, 0, v3
	v_not_b32_e32 v3, v8
	s_wait_alu 0xf1ff
	v_xor_b32_e32 v24, s10, v24
	v_cmp_gt_i32_e64 s10, 0, v8
	v_and_b32_e32 v1, exec_lo, v1
	v_not_b32_e32 v8, v10
	v_ashrrev_i32_e32 v3, 31, v3
	s_wait_alu 0xfffd
	v_xor_b32_e32 v2, vcc_lo, v2
	v_cmp_gt_i32_e32 vcc_lo, 0, v10
	v_and_b32_e32 v1, v1, v24
	v_not_b32_e32 v10, v11
	v_ashrrev_i32_e32 v8, 31, v8
	s_wait_alu 0xf1ff
	v_xor_b32_e32 v3, s10, v3
	v_cmp_gt_i32_e64 s10, 0, v11
	v_and_b32_e32 v1, v1, v2
	v_not_b32_e32 v2, v23
	v_ashrrev_i32_e32 v10, 31, v10
	s_wait_alu 0xfffd
	v_xor_b32_e32 v8, vcc_lo, v8
	v_cmp_gt_i32_e32 vcc_lo, 0, v23
	v_and_b32_e32 v1, v1, v3
	v_not_b32_e32 v3, v9
	v_ashrrev_i32_e32 v2, 31, v2
	s_wait_alu 0xf1ff
	v_xor_b32_e32 v10, s10, v10
	v_cmp_gt_i32_e64 s10, 0, v9
	v_and_b32_e32 v1, v1, v8
	v_ashrrev_i32_e32 v3, 31, v3
	s_wait_alu 0xfffd
	v_xor_b32_e32 v2, vcc_lo, v2
	v_lshl_add_u32 v23, v0, 2, v21
	v_and_b32_e32 v1, v1, v10
	s_wait_alu 0xf1ff
	v_xor_b32_e32 v0, s10, v3
	ds_load_b32 v24, v23 offset:4
	v_and_b32_e32 v1, v1, v2
	; wave barrier
	s_delay_alu instid0(VALU_DEP_1) | instskip(NEXT) | instid1(VALU_DEP_1)
	v_and_b32_e32 v0, v1, v0
	v_mbcnt_lo_u32_b32 v25, v0, 0
	v_cmp_ne_u32_e64 s10, 0, v0
	s_delay_alu instid0(VALU_DEP_2) | instskip(SKIP_1) | instid1(SALU_CYCLE_1)
	v_cmp_eq_u32_e32 vcc_lo, 0, v25
	s_and_b32 s22, s10, vcc_lo
	s_and_saveexec_b32 s10, s22
	s_cbranch_execz .LBB208_43
; %bb.42:                               ;   in Loop: Header=BB208_39 Depth=1
	s_wait_dscnt 0x0
	v_bcnt_u32_b32 v0, v0, v24
	ds_store_b32 v23, v0 offset:4
.LBB208_43:                             ;   in Loop: Header=BB208_39 Depth=1
	s_wait_alu 0xfffe
	s_or_b32 exec_lo, exec_lo, s10
	v_cmp_ne_u32_e32 vcc_lo, 0x80000000, v32
	; wave barrier
	s_wait_alu 0xfffd
	v_cndmask_b32_e32 v0, 0x7fffffff, v32, vcc_lo
	s_delay_alu instid0(VALU_DEP_1) | instskip(NEXT) | instid1(VALU_DEP_1)
	v_lshrrev_b32_e32 v0, s12, v0
	v_and_b32_e32 v0, s17, v0
	s_delay_alu instid0(VALU_DEP_1)
	v_and_b32_e32 v1, 1, v0
	v_lshlrev_b32_e32 v2, 30, v0
	v_lshlrev_b32_e32 v3, 29, v0
	;; [unrolled: 1-line block ×4, first 2 shown]
	v_add_co_u32 v1, s10, v1, -1
	s_wait_alu 0xf1ff
	v_cndmask_b32_e64 v9, 0, 1, s10
	v_not_b32_e32 v35, v2
	v_cmp_gt_i32_e64 s10, 0, v2
	v_not_b32_e32 v2, v3
	v_lshlrev_b32_e32 v11, 26, v0
	v_cmp_ne_u32_e32 vcc_lo, 0, v9
	v_ashrrev_i32_e32 v35, 31, v35
	v_lshlrev_b32_e32 v34, 25, v0
	v_ashrrev_i32_e32 v2, 31, v2
	v_lshlrev_b32_e32 v9, 24, v0
	s_wait_alu 0xfffd
	v_xor_b32_e32 v1, vcc_lo, v1
	v_cmp_gt_i32_e32 vcc_lo, 0, v3
	v_not_b32_e32 v3, v8
	s_wait_alu 0xf1ff
	v_xor_b32_e32 v35, s10, v35
	v_cmp_gt_i32_e64 s10, 0, v8
	v_and_b32_e32 v1, exec_lo, v1
	v_not_b32_e32 v8, v10
	v_ashrrev_i32_e32 v3, 31, v3
	s_wait_alu 0xfffd
	v_xor_b32_e32 v2, vcc_lo, v2
	v_cmp_gt_i32_e32 vcc_lo, 0, v10
	v_and_b32_e32 v1, v1, v35
	v_not_b32_e32 v10, v11
	v_ashrrev_i32_e32 v8, 31, v8
	s_wait_alu 0xf1ff
	v_xor_b32_e32 v3, s10, v3
	v_cmp_gt_i32_e64 s10, 0, v11
	v_and_b32_e32 v1, v1, v2
	v_not_b32_e32 v2, v34
	v_ashrrev_i32_e32 v10, 31, v10
	s_wait_alu 0xfffd
	v_xor_b32_e32 v8, vcc_lo, v8
	v_cmp_gt_i32_e32 vcc_lo, 0, v34
	v_and_b32_e32 v1, v1, v3
	v_not_b32_e32 v3, v9
	v_ashrrev_i32_e32 v2, 31, v2
	s_wait_alu 0xf1ff
	v_xor_b32_e32 v10, s10, v10
	v_cmp_gt_i32_e64 s10, 0, v9
	v_and_b32_e32 v1, v1, v8
	v_ashrrev_i32_e32 v3, 31, v3
	s_wait_alu 0xfffd
	v_xor_b32_e32 v2, vcc_lo, v2
	v_lshl_add_u32 v34, v0, 2, v21
	v_and_b32_e32 v1, v1, v10
	s_wait_alu 0xf1ff
	v_xor_b32_e32 v0, s10, v3
	ds_load_b32 v35, v34 offset:4
	v_and_b32_e32 v1, v1, v2
	; wave barrier
	s_delay_alu instid0(VALU_DEP_1) | instskip(NEXT) | instid1(VALU_DEP_1)
	v_and_b32_e32 v0, v1, v0
	v_mbcnt_lo_u32_b32 v36, v0, 0
	v_cmp_ne_u32_e64 s10, 0, v0
	s_delay_alu instid0(VALU_DEP_2) | instskip(SKIP_1) | instid1(SALU_CYCLE_1)
	v_cmp_eq_u32_e32 vcc_lo, 0, v36
	s_and_b32 s22, s10, vcc_lo
	s_and_saveexec_b32 s10, s22
	s_cbranch_execz .LBB208_45
; %bb.44:                               ;   in Loop: Header=BB208_39 Depth=1
	s_wait_dscnt 0x0
	v_bcnt_u32_b32 v0, v0, v35
	ds_store_b32 v34, v0 offset:4
.LBB208_45:                             ;   in Loop: Header=BB208_39 Depth=1
	s_wait_alu 0xfffe
	s_or_b32 exec_lo, exec_lo, s10
	v_cmp_ne_u32_e32 vcc_lo, 0x80000000, v31
	; wave barrier
	s_wait_alu 0xfffd
	v_cndmask_b32_e32 v0, 0x7fffffff, v31, vcc_lo
	s_delay_alu instid0(VALU_DEP_1) | instskip(NEXT) | instid1(VALU_DEP_1)
	v_lshrrev_b32_e32 v0, s12, v0
	v_and_b32_e32 v0, s17, v0
	s_delay_alu instid0(VALU_DEP_1)
	v_and_b32_e32 v1, 1, v0
	v_lshlrev_b32_e32 v2, 30, v0
	v_lshlrev_b32_e32 v3, 29, v0
	;; [unrolled: 1-line block ×4, first 2 shown]
	v_add_co_u32 v1, s10, v1, -1
	s_wait_alu 0xf1ff
	v_cndmask_b32_e64 v9, 0, 1, s10
	v_not_b32_e32 v48, v2
	v_cmp_gt_i32_e64 s10, 0, v2
	v_not_b32_e32 v2, v3
	v_lshlrev_b32_e32 v11, 26, v0
	v_cmp_ne_u32_e32 vcc_lo, 0, v9
	v_ashrrev_i32_e32 v48, 31, v48
	v_lshlrev_b32_e32 v37, 25, v0
	v_ashrrev_i32_e32 v2, 31, v2
	v_lshlrev_b32_e32 v9, 24, v0
	s_wait_alu 0xfffd
	v_xor_b32_e32 v1, vcc_lo, v1
	v_cmp_gt_i32_e32 vcc_lo, 0, v3
	v_not_b32_e32 v3, v8
	s_wait_alu 0xf1ff
	v_xor_b32_e32 v48, s10, v48
	v_cmp_gt_i32_e64 s10, 0, v8
	v_and_b32_e32 v1, exec_lo, v1
	v_not_b32_e32 v8, v10
	v_ashrrev_i32_e32 v3, 31, v3
	s_wait_alu 0xfffd
	v_xor_b32_e32 v2, vcc_lo, v2
	v_cmp_gt_i32_e32 vcc_lo, 0, v10
	v_and_b32_e32 v1, v1, v48
	v_not_b32_e32 v10, v11
	v_ashrrev_i32_e32 v8, 31, v8
	s_wait_alu 0xf1ff
	v_xor_b32_e32 v3, s10, v3
	v_cmp_gt_i32_e64 s10, 0, v11
	v_and_b32_e32 v1, v1, v2
	v_not_b32_e32 v2, v37
	v_ashrrev_i32_e32 v10, 31, v10
	s_wait_alu 0xfffd
	v_xor_b32_e32 v8, vcc_lo, v8
	v_cmp_gt_i32_e32 vcc_lo, 0, v37
	v_and_b32_e32 v1, v1, v3
	v_not_b32_e32 v3, v9
	v_ashrrev_i32_e32 v2, 31, v2
	s_wait_alu 0xf1ff
	v_xor_b32_e32 v10, s10, v10
	v_cmp_gt_i32_e64 s10, 0, v9
	v_and_b32_e32 v1, v1, v8
	v_ashrrev_i32_e32 v3, 31, v3
	s_wait_alu 0xfffd
	v_xor_b32_e32 v2, vcc_lo, v2
	v_lshl_add_u32 v37, v0, 2, v21
	v_and_b32_e32 v1, v1, v10
	s_wait_alu 0xf1ff
	v_xor_b32_e32 v0, s10, v3
	ds_load_b32 v49, v37 offset:4
	v_and_b32_e32 v1, v1, v2
	; wave barrier
	s_delay_alu instid0(VALU_DEP_1) | instskip(NEXT) | instid1(VALU_DEP_1)
	v_and_b32_e32 v0, v1, v0
	v_mbcnt_lo_u32_b32 v50, v0, 0
	v_cmp_ne_u32_e64 s10, 0, v0
	s_delay_alu instid0(VALU_DEP_2)
	v_cmp_eq_u32_e32 vcc_lo, 0, v50
	s_and_b32 s17, s10, vcc_lo
	s_wait_alu 0xfffe
	s_and_saveexec_b32 s10, s17
	s_cbranch_execz .LBB208_47
; %bb.46:                               ;   in Loop: Header=BB208_39 Depth=1
	s_wait_dscnt 0x0
	v_bcnt_u32_b32 v0, v0, v49
	ds_store_b32 v37, v0 offset:4
.LBB208_47:                             ;   in Loop: Header=BB208_39 Depth=1
	s_wait_alu 0xfffe
	s_or_b32 exec_lo, exec_lo, s10
	; wave barrier
	; wave barrier
	s_wait_loadcnt_dscnt 0x0
	global_inv scope:SCOPE_SE
	ds_load_2addr_b32 v[10:11], v47 offset0:1 offset1:2
	ds_load_2addr_b32 v[8:9], v47 offset0:3 offset1:4
	;; [unrolled: 1-line block ×4, first 2 shown]
	s_wait_dscnt 0x3
	v_add_nc_u32_e32 v48, v11, v10
	s_wait_dscnt 0x2
	s_delay_alu instid0(VALU_DEP_1) | instskip(SKIP_1) | instid1(VALU_DEP_1)
	v_add3_u32 v48, v48, v8, v9
	s_wait_dscnt 0x1
	v_add3_u32 v48, v48, v2, v3
	s_wait_dscnt 0x0
	s_delay_alu instid0(VALU_DEP_1) | instskip(NEXT) | instid1(VALU_DEP_1)
	v_add3_u32 v1, v48, v0, v1
	v_mov_b32_dpp v48, v1 row_shr:1 row_mask:0xf bank_mask:0xf
	s_delay_alu instid0(VALU_DEP_1) | instskip(NEXT) | instid1(VALU_DEP_1)
	v_cndmask_b32_e64 v48, v48, 0, s4
	v_add_nc_u32_e32 v1, v48, v1
	s_delay_alu instid0(VALU_DEP_1) | instskip(NEXT) | instid1(VALU_DEP_1)
	v_mov_b32_dpp v48, v1 row_shr:2 row_mask:0xf bank_mask:0xf
	v_cndmask_b32_e64 v48, 0, v48, s5
	s_delay_alu instid0(VALU_DEP_1) | instskip(NEXT) | instid1(VALU_DEP_1)
	v_add_nc_u32_e32 v1, v1, v48
	v_mov_b32_dpp v48, v1 row_shr:4 row_mask:0xf bank_mask:0xf
	s_delay_alu instid0(VALU_DEP_1) | instskip(NEXT) | instid1(VALU_DEP_1)
	v_cndmask_b32_e64 v48, 0, v48, s6
	v_add_nc_u32_e32 v1, v1, v48
	s_delay_alu instid0(VALU_DEP_1) | instskip(NEXT) | instid1(VALU_DEP_1)
	v_mov_b32_dpp v48, v1 row_shr:8 row_mask:0xf bank_mask:0xf
	v_cndmask_b32_e64 v48, 0, v48, s7
	s_delay_alu instid0(VALU_DEP_1) | instskip(SKIP_3) | instid1(VALU_DEP_1)
	v_add_nc_u32_e32 v1, v1, v48
	ds_swizzle_b32 v48, v1 offset:swizzle(BROADCAST,32,15)
	s_wait_dscnt 0x0
	v_cndmask_b32_e64 v48, v48, 0, s8
	v_add_nc_u32_e32 v1, v1, v48
	s_and_saveexec_b32 s10, s9
; %bb.48:                               ;   in Loop: Header=BB208_39 Depth=1
	ds_store_b32 v28, v1
; %bb.49:                               ;   in Loop: Header=BB208_39 Depth=1
	s_wait_alu 0xfffe
	s_or_b32 exec_lo, exec_lo, s10
	ds_bpermute_b32 v1, v27, v1
	; wave barrier
	s_wait_loadcnt_dscnt 0x0
	global_inv scope:SCOPE_SE
	s_cmp_gt_u32 s12, 23
	s_mov_b32 s10, -1
	v_cndmask_b32_e64 v1, v1, 0, s13
	s_delay_alu instid0(VALU_DEP_1) | instskip(NEXT) | instid1(VALU_DEP_1)
	v_add_nc_u32_e32 v10, v1, v10
	v_add_nc_u32_e32 v11, v10, v11
	s_delay_alu instid0(VALU_DEP_1) | instskip(NEXT) | instid1(VALU_DEP_1)
	v_add_nc_u32_e32 v8, v11, v8
	v_add_nc_u32_e32 v9, v8, v9
	;; [unrolled: 3-line block ×3, first 2 shown]
	s_delay_alu instid0(VALU_DEP_1)
	v_add_nc_u32_e32 v0, v3, v0
	ds_store_2addr_b32 v47, v1, v10 offset0:1 offset1:2
	ds_store_2addr_b32 v47, v11, v8 offset0:3 offset1:4
	;; [unrolled: 1-line block ×4, first 2 shown]
	; wave barrier
	s_wait_loadcnt_dscnt 0x0
	global_inv scope:SCOPE_SE
	ds_load_b32 v0, v22 offset:4
	ds_load_b32 v1, v23 offset:4
	;; [unrolled: 1-line block ×4, first 2 shown]
                                        ; implicit-def: $vgpr23
	s_wait_dscnt 0x3
	v_add_nc_u32_e32 v48, v0, v12
	s_wait_dscnt 0x2
	v_add3_u32 v37, v25, v24, v1
	s_wait_dscnt 0x1
	v_add3_u32 v34, v36, v35, v2
	s_wait_dscnt 0x0
	v_add3_u32 v8, v50, v49, v3
                                        ; implicit-def: $vgpr25
                                        ; implicit-def: $vgpr9_vgpr10
                                        ; implicit-def: $vgpr0_vgpr1
	s_cbranch_scc1 .LBB208_38
; %bb.50:                               ;   in Loop: Header=BB208_39 Depth=1
	v_lshlrev_b32_e32 v0, 2, v48
	v_lshlrev_b32_e32 v1, 2, v37
	;; [unrolled: 1-line block ×4, first 2 shown]
	s_wait_loadcnt 0x0
	; wave barrier
	global_inv scope:SCOPE_SE
	ds_store_b32 v0, v30
	ds_store_b32 v1, v33
	;; [unrolled: 1-line block ×4, first 2 shown]
	v_add_nc_u32_e32 v0, v0, v0
	v_add_nc_u32_e32 v1, v1, v1
	;; [unrolled: 1-line block ×4, first 2 shown]
	; wave barrier
	s_wait_loadcnt_dscnt 0x0
	global_inv scope:SCOPE_SE
	ds_load_2addr_b32 v[22:23], v26 offset1:32
	ds_load_2addr_b32 v[24:25], v26 offset0:64 offset1:96
	; wave barrier
	s_wait_loadcnt_dscnt 0x0
	global_inv scope:SCOPE_SE
	ds_store_b64 v0, v[15:16]
	ds_store_b64 v1, v[13:14]
	;; [unrolled: 1-line block ×4, first 2 shown]
	; wave barrier
	s_wait_loadcnt_dscnt 0x0
	global_inv scope:SCOPE_SE
	ds_load_2addr_b64 v[9:12], v29 offset1:32
	ds_load_2addr_b64 v[0:3], v29 offset0:64 offset1:96
	s_add_co_i32 s12, s12, 8
	s_add_co_i32 s15, s15, -8
	s_mov_b32 s10, 0
	; wave barrier
	s_wait_loadcnt_dscnt 0x0
	global_inv scope:SCOPE_SE
	s_branch .LBB208_38
.LBB208_51:
	v_lshlrev_b32_e32 v9, 2, v48
	v_lshlrev_b32_e32 v11, 2, v34
	;; [unrolled: 1-line block ×5, first 2 shown]
	s_wait_loadcnt 0x0
	; wave barrier
	global_inv scope:SCOPE_SE
	ds_store_b32 v9, v30
	ds_store_b32 v10, v33
	ds_store_b32 v11, v32
	ds_store_b32 v8, v31
	; wave barrier
	s_wait_loadcnt_dscnt 0x0
	global_inv scope:SCOPE_SE
	ds_load_b128 v[0:3], v0
	v_add_nc_u32_e32 v9, v9, v9
	; wave barrier
	s_wait_loadcnt_dscnt 0x0
	global_inv scope:SCOPE_SE
	v_add_nc_u32_e32 v21, v11, v11
	v_add_nc_u32_e32 v10, v10, v10
	ds_store_b64 v9, v[15:16]
	v_add_nc_u32_e32 v8, v8, v8
	ds_store_b64 v10, v[13:14]
	ds_store_b64 v21, v[6:7]
	;; [unrolled: 1-line block ×3, first 2 shown]
	; wave barrier
	s_wait_loadcnt_dscnt 0x0
	global_inv scope:SCOPE_SE
	v_cmp_gt_i32_e32 vcc_lo, 0, v0
	s_wait_alu 0xfffd
	v_cndmask_b32_e64 v9, 0x7fffffff, 0, vcc_lo
	v_cmp_gt_i32_e32 vcc_lo, 0, v1
	s_delay_alu instid0(VALU_DEP_2) | instskip(SKIP_3) | instid1(VALU_DEP_2)
	v_xor_b32_e32 v9, v9, v0
	s_wait_alu 0xfffd
	v_cndmask_b32_e64 v11, 0x7fffffff, 0, vcc_lo
	v_cmp_gt_i32_e32 vcc_lo, 0, v2
	v_xor_b32_e32 v10, v11, v1
	s_wait_alu 0xfffd
	v_cndmask_b32_e64 v12, 0x7fffffff, 0, vcc_lo
	v_cmp_gt_i32_e32 vcc_lo, 0, v3
	s_delay_alu instid0(VALU_DEP_2) | instskip(SKIP_2) | instid1(VALU_DEP_1)
	v_xor_b32_e32 v11, v12, v2
	s_wait_alu 0xfffd
	v_cndmask_b32_e64 v15, 0x7fffffff, 0, vcc_lo
	v_xor_b32_e32 v12, v15, v3
.LBB208_52:
	v_lshlrev_b32_e32 v4, 3, v41
	ds_load_b128 v[0:3], v4
	ds_load_b128 v[4:7], v4 offset:16
	; wave barrier
	s_wait_loadcnt_dscnt 0x0
	global_inv scope:SCOPE_SE
	ds_store_2addr_b32 v42, v9, v10 offset1:1
	ds_store_2addr_b32 v42, v11, v12 offset0:2 offset1:3
	; wave barrier
	s_wait_loadcnt_dscnt 0x0
	global_inv scope:SCOPE_SE
	ds_load_b32 v12, v18 offset:128
	ds_load_b32 v11, v39 offset:256
	;; [unrolled: 1-line block ×3, first 2 shown]
	v_mov_b32_e32 v18, 0
	s_delay_alu instid0(VALU_DEP_1) | instskip(NEXT) | instid1(VALU_DEP_1)
	v_lshlrev_b64_e32 v[8:9], 2, v[17:18]
	v_add_co_u32 v8, vcc_lo, s18, v8
	s_wait_alu 0xfffd
	s_delay_alu instid0(VALU_DEP_2)
	v_add_co_ci_u32_e64 v9, null, s19, v9, vcc_lo
	s_and_saveexec_b32 s4, s0
	s_cbranch_execnz .LBB208_63
; %bb.53:
	s_wait_alu 0xfffe
	s_or_b32 exec_lo, exec_lo, s4
	s_and_saveexec_b32 s4, s1
	s_cbranch_execnz .LBB208_64
.LBB208_54:
	s_wait_alu 0xfffe
	s_or_b32 exec_lo, exec_lo, s4
	s_and_saveexec_b32 s4, s2
	s_cbranch_execnz .LBB208_65
.LBB208_55:
	s_wait_alu 0xfffe
	s_or_b32 exec_lo, exec_lo, s4
	s_and_saveexec_b32 s4, s3
	s_cbranch_execz .LBB208_57
.LBB208_56:
	s_mul_i32 s6, s14, 0x60
	s_mov_b32 s7, 0
	s_wait_alu 0xfffe
	s_lshl_b64 s[6:7], s[6:7], 2
	s_wait_alu 0xfffe
	v_add_co_u32 v8, vcc_lo, v8, s6
	s_wait_alu 0xfffd
	v_add_co_ci_u32_e64 v9, null, s7, v9, vcc_lo
	s_wait_dscnt 0x0
	global_store_b32 v[8:9], v10, off
.LBB208_57:
	s_wait_alu 0xfffe
	s_or_b32 exec_lo, exec_lo, s4
	s_wait_storecnt 0x0
	; wave barrier
	s_wait_loadcnt_dscnt 0x0
	global_inv scope:SCOPE_SE
	ds_store_2addr_b64 v46, v[0:1], v[2:3] offset1:1
	ds_store_2addr_b64 v46, v[4:5], v[6:7] offset0:2 offset1:3
	; wave barrier
	s_wait_loadcnt_dscnt 0x0
	global_inv scope:SCOPE_SE
	ds_load_b64 v[6:7], v20 offset:256
	ds_load_b64 v[4:5], v44 offset:512
	;; [unrolled: 1-line block ×3, first 2 shown]
	v_mov_b32_e32 v20, 0
	s_delay_alu instid0(VALU_DEP_1) | instskip(NEXT) | instid1(VALU_DEP_1)
	v_lshlrev_b64_e32 v[2:3], 3, v[19:20]
	v_add_co_u32 v2, vcc_lo, s20, v2
	s_wait_alu 0xfffd
	s_delay_alu instid0(VALU_DEP_2)
	v_add_co_ci_u32_e64 v3, null, s21, v3, vcc_lo
	s_and_saveexec_b32 s4, s0
	s_cbranch_execnz .LBB208_66
; %bb.58:
	s_wait_alu 0xfffe
	s_or_b32 exec_lo, exec_lo, s4
	s_and_saveexec_b32 s0, s1
	s_cbranch_execnz .LBB208_67
.LBB208_59:
	s_or_b32 exec_lo, exec_lo, s0
	s_and_saveexec_b32 s0, s2
	s_cbranch_execnz .LBB208_68
.LBB208_60:
	s_or_b32 exec_lo, exec_lo, s0
	s_and_saveexec_b32 s0, s3
	s_cbranch_execz .LBB208_62
.LBB208_61:
	s_mul_i32 s0, s16, 0x60
	s_mov_b32 s1, 0
	s_delay_alu instid0(SALU_CYCLE_1) | instskip(NEXT) | instid1(SALU_CYCLE_1)
	s_lshl_b64 s[0:1], s[0:1], 3
	v_add_co_u32 v2, vcc_lo, v2, s0
	s_wait_alu 0xfffd
	v_add_co_ci_u32_e64 v3, null, s1, v3, vcc_lo
	s_wait_dscnt 0x0
	global_store_b64 v[2:3], v[0:1], off
.LBB208_62:
	s_endpgm
.LBB208_63:
	ds_load_b32 v13, v38
	s_wait_dscnt 0x0
	global_store_b32 v[8:9], v13, off
	s_wait_alu 0xfffe
	s_or_b32 exec_lo, exec_lo, s4
	s_and_saveexec_b32 s4, s1
	s_cbranch_execz .LBB208_54
.LBB208_64:
	s_lshl_b32 s6, s14, 5
	s_mov_b32 s7, 0
	s_wait_alu 0xfffe
	s_lshl_b64 s[6:7], s[6:7], 2
	s_wait_alu 0xfffe
	v_add_co_u32 v13, vcc_lo, v8, s6
	s_wait_alu 0xfffd
	v_add_co_ci_u32_e64 v14, null, s7, v9, vcc_lo
	s_wait_dscnt 0x2
	global_store_b32 v[13:14], v12, off
	s_or_b32 exec_lo, exec_lo, s4
	s_and_saveexec_b32 s4, s2
	s_cbranch_execz .LBB208_55
.LBB208_65:
	s_lshl_b32 s6, s14, 6
	s_mov_b32 s7, 0
	s_wait_alu 0xfffe
	s_lshl_b64 s[6:7], s[6:7], 2
	s_wait_dscnt 0x2
	s_wait_alu 0xfffe
	v_add_co_u32 v12, vcc_lo, v8, s6
	s_wait_alu 0xfffd
	v_add_co_ci_u32_e64 v13, null, s7, v9, vcc_lo
	s_wait_dscnt 0x1
	global_store_b32 v[12:13], v11, off
	s_or_b32 exec_lo, exec_lo, s4
	s_and_saveexec_b32 s4, s3
	s_cbranch_execnz .LBB208_56
	s_branch .LBB208_57
.LBB208_66:
	ds_load_b64 v[8:9], v43
	s_wait_dscnt 0x0
	global_store_b64 v[2:3], v[8:9], off
	s_wait_alu 0xfffe
	s_or_b32 exec_lo, exec_lo, s4
	s_and_saveexec_b32 s0, s1
	s_cbranch_execz .LBB208_59
.LBB208_67:
	s_lshl_b32 s4, s16, 5
	s_mov_b32 s5, 0
	s_wait_alu 0xfffe
	s_lshl_b64 s[4:5], s[4:5], 3
	s_wait_alu 0xfffe
	v_add_co_u32 v8, vcc_lo, v2, s4
	s_wait_alu 0xfffd
	v_add_co_ci_u32_e64 v9, null, s5, v3, vcc_lo
	s_wait_dscnt 0x2
	global_store_b64 v[8:9], v[6:7], off
	s_or_b32 exec_lo, exec_lo, s0
	s_and_saveexec_b32 s0, s2
	s_cbranch_execz .LBB208_60
.LBB208_68:
	s_lshl_b32 s4, s16, 6
	s_mov_b32 s5, 0
	s_wait_alu 0xfffe
	s_lshl_b64 s[4:5], s[4:5], 3
	s_wait_dscnt 0x2
	s_wait_alu 0xfffe
	v_add_co_u32 v6, vcc_lo, v2, s4
	s_wait_alu 0xfffd
	v_add_co_ci_u32_e64 v7, null, s5, v3, vcc_lo
	s_wait_dscnt 0x1
	global_store_b64 v[6:7], v[4:5], off
	s_or_b32 exec_lo, exec_lo, s0
	s_and_saveexec_b32 s0, s3
	s_cbranch_execnz .LBB208_61
	s_branch .LBB208_62
	.section	.rodata,"a",@progbits
	.p2align	6, 0x0
	.amdhsa_kernel _ZN2at6native18radixSortKVInPlaceILi2ELin1ELi32ELi4EfljEEvNS_4cuda6detail10TensorInfoIT3_T5_EES6_S6_S6_NS4_IT4_S6_EES6_b
		.amdhsa_group_segment_fixed_size 1056
		.amdhsa_private_segment_fixed_size 0
		.amdhsa_kernarg_size 712
		.amdhsa_user_sgpr_count 2
		.amdhsa_user_sgpr_dispatch_ptr 0
		.amdhsa_user_sgpr_queue_ptr 0
		.amdhsa_user_sgpr_kernarg_segment_ptr 1
		.amdhsa_user_sgpr_dispatch_id 0
		.amdhsa_user_sgpr_private_segment_size 0
		.amdhsa_wavefront_size32 1
		.amdhsa_uses_dynamic_stack 0
		.amdhsa_enable_private_segment 0
		.amdhsa_system_sgpr_workgroup_id_x 1
		.amdhsa_system_sgpr_workgroup_id_y 1
		.amdhsa_system_sgpr_workgroup_id_z 1
		.amdhsa_system_sgpr_workgroup_info 0
		.amdhsa_system_vgpr_workitem_id 2
		.amdhsa_next_free_vgpr 72
		.amdhsa_next_free_sgpr 27
		.amdhsa_reserve_vcc 1
		.amdhsa_float_round_mode_32 0
		.amdhsa_float_round_mode_16_64 0
		.amdhsa_float_denorm_mode_32 3
		.amdhsa_float_denorm_mode_16_64 3
		.amdhsa_fp16_overflow 0
		.amdhsa_workgroup_processor_mode 1
		.amdhsa_memory_ordered 1
		.amdhsa_forward_progress 1
		.amdhsa_inst_pref_size 79
		.amdhsa_round_robin_scheduling 0
		.amdhsa_exception_fp_ieee_invalid_op 0
		.amdhsa_exception_fp_denorm_src 0
		.amdhsa_exception_fp_ieee_div_zero 0
		.amdhsa_exception_fp_ieee_overflow 0
		.amdhsa_exception_fp_ieee_underflow 0
		.amdhsa_exception_fp_ieee_inexact 0
		.amdhsa_exception_int_div_zero 0
	.end_amdhsa_kernel
	.section	.text._ZN2at6native18radixSortKVInPlaceILi2ELin1ELi32ELi4EfljEEvNS_4cuda6detail10TensorInfoIT3_T5_EES6_S6_S6_NS4_IT4_S6_EES6_b,"axG",@progbits,_ZN2at6native18radixSortKVInPlaceILi2ELin1ELi32ELi4EfljEEvNS_4cuda6detail10TensorInfoIT3_T5_EES6_S6_S6_NS4_IT4_S6_EES6_b,comdat
.Lfunc_end208:
	.size	_ZN2at6native18radixSortKVInPlaceILi2ELin1ELi32ELi4EfljEEvNS_4cuda6detail10TensorInfoIT3_T5_EES6_S6_S6_NS4_IT4_S6_EES6_b, .Lfunc_end208-_ZN2at6native18radixSortKVInPlaceILi2ELin1ELi32ELi4EfljEEvNS_4cuda6detail10TensorInfoIT3_T5_EES6_S6_S6_NS4_IT4_S6_EES6_b
                                        ; -- End function
	.set _ZN2at6native18radixSortKVInPlaceILi2ELin1ELi32ELi4EfljEEvNS_4cuda6detail10TensorInfoIT3_T5_EES6_S6_S6_NS4_IT4_S6_EES6_b.num_vgpr, 72
	.set _ZN2at6native18radixSortKVInPlaceILi2ELin1ELi32ELi4EfljEEvNS_4cuda6detail10TensorInfoIT3_T5_EES6_S6_S6_NS4_IT4_S6_EES6_b.num_agpr, 0
	.set _ZN2at6native18radixSortKVInPlaceILi2ELin1ELi32ELi4EfljEEvNS_4cuda6detail10TensorInfoIT3_T5_EES6_S6_S6_NS4_IT4_S6_EES6_b.numbered_sgpr, 27
	.set _ZN2at6native18radixSortKVInPlaceILi2ELin1ELi32ELi4EfljEEvNS_4cuda6detail10TensorInfoIT3_T5_EES6_S6_S6_NS4_IT4_S6_EES6_b.num_named_barrier, 0
	.set _ZN2at6native18radixSortKVInPlaceILi2ELin1ELi32ELi4EfljEEvNS_4cuda6detail10TensorInfoIT3_T5_EES6_S6_S6_NS4_IT4_S6_EES6_b.private_seg_size, 0
	.set _ZN2at6native18radixSortKVInPlaceILi2ELin1ELi32ELi4EfljEEvNS_4cuda6detail10TensorInfoIT3_T5_EES6_S6_S6_NS4_IT4_S6_EES6_b.uses_vcc, 1
	.set _ZN2at6native18radixSortKVInPlaceILi2ELin1ELi32ELi4EfljEEvNS_4cuda6detail10TensorInfoIT3_T5_EES6_S6_S6_NS4_IT4_S6_EES6_b.uses_flat_scratch, 0
	.set _ZN2at6native18radixSortKVInPlaceILi2ELin1ELi32ELi4EfljEEvNS_4cuda6detail10TensorInfoIT3_T5_EES6_S6_S6_NS4_IT4_S6_EES6_b.has_dyn_sized_stack, 0
	.set _ZN2at6native18radixSortKVInPlaceILi2ELin1ELi32ELi4EfljEEvNS_4cuda6detail10TensorInfoIT3_T5_EES6_S6_S6_NS4_IT4_S6_EES6_b.has_recursion, 0
	.set _ZN2at6native18radixSortKVInPlaceILi2ELin1ELi32ELi4EfljEEvNS_4cuda6detail10TensorInfoIT3_T5_EES6_S6_S6_NS4_IT4_S6_EES6_b.has_indirect_call, 0
	.section	.AMDGPU.csdata,"",@progbits
; Kernel info:
; codeLenInByte = 10048
; TotalNumSgprs: 29
; NumVgprs: 72
; ScratchSize: 0
; MemoryBound: 0
; FloatMode: 240
; IeeeMode: 1
; LDSByteSize: 1056 bytes/workgroup (compile time only)
; SGPRBlocks: 0
; VGPRBlocks: 8
; NumSGPRsForWavesPerEU: 29
; NumVGPRsForWavesPerEU: 72
; Occupancy: 16
; WaveLimiterHint : 1
; COMPUTE_PGM_RSRC2:SCRATCH_EN: 0
; COMPUTE_PGM_RSRC2:USER_SGPR: 2
; COMPUTE_PGM_RSRC2:TRAP_HANDLER: 0
; COMPUTE_PGM_RSRC2:TGID_X_EN: 1
; COMPUTE_PGM_RSRC2:TGID_Y_EN: 1
; COMPUTE_PGM_RSRC2:TGID_Z_EN: 1
; COMPUTE_PGM_RSRC2:TIDIG_COMP_CNT: 2
	.section	.text._ZN2at6native18radixSortKVInPlaceILi2ELin1ELi16ELi2EfljEEvNS_4cuda6detail10TensorInfoIT3_T5_EES6_S6_S6_NS4_IT4_S6_EES6_b,"axG",@progbits,_ZN2at6native18radixSortKVInPlaceILi2ELin1ELi16ELi2EfljEEvNS_4cuda6detail10TensorInfoIT3_T5_EES6_S6_S6_NS4_IT4_S6_EES6_b,comdat
	.protected	_ZN2at6native18radixSortKVInPlaceILi2ELin1ELi16ELi2EfljEEvNS_4cuda6detail10TensorInfoIT3_T5_EES6_S6_S6_NS4_IT4_S6_EES6_b ; -- Begin function _ZN2at6native18radixSortKVInPlaceILi2ELin1ELi16ELi2EfljEEvNS_4cuda6detail10TensorInfoIT3_T5_EES6_S6_S6_NS4_IT4_S6_EES6_b
	.globl	_ZN2at6native18radixSortKVInPlaceILi2ELin1ELi16ELi2EfljEEvNS_4cuda6detail10TensorInfoIT3_T5_EES6_S6_S6_NS4_IT4_S6_EES6_b
	.p2align	8
	.type	_ZN2at6native18radixSortKVInPlaceILi2ELin1ELi16ELi2EfljEEvNS_4cuda6detail10TensorInfoIT3_T5_EES6_S6_S6_NS4_IT4_S6_EES6_b,@function
_ZN2at6native18radixSortKVInPlaceILi2ELin1ELi16ELi2EfljEEvNS_4cuda6detail10TensorInfoIT3_T5_EES6_S6_S6_NS4_IT4_S6_EES6_b: ; @_ZN2at6native18radixSortKVInPlaceILi2ELin1ELi16ELi2EfljEEvNS_4cuda6detail10TensorInfoIT3_T5_EES6_S6_S6_NS4_IT4_S6_EES6_b
; %bb.0:
	s_clause 0x1
	s_load_b64 s[2:3], s[0:1], 0x1c8
	s_load_b96 s[16:18], s[0:1], 0xd8
	s_lshr_b32 s4, ttmp7, 16
	s_wait_kmcnt 0x0
	s_mul_i32 s3, s3, s4
	s_and_b32 s4, ttmp7, 0xffff
	s_delay_alu instid0(SALU_CYCLE_1) | instskip(NEXT) | instid1(SALU_CYCLE_1)
	s_add_co_i32 s3, s3, s4
	s_mul_i32 s2, s3, s2
	s_delay_alu instid0(SALU_CYCLE_1) | instskip(NEXT) | instid1(SALU_CYCLE_1)
	s_add_co_i32 s6, s2, ttmp9
	s_cmp_ge_u32 s6, s16
	s_cbranch_scc1 .LBB209_54
; %bb.1:
	s_clause 0x2
	s_load_b32 s14, s[0:1], 0xc
	s_load_b64 s[8:9], s[0:1], 0x6c
	s_load_b32 s12, s[0:1], 0x1b8
	s_mov_b32 s7, 0
	s_add_nc_u64 s[4:5], s[0:1], 0xe8
	s_mov_b32 s11, s7
	s_wait_kmcnt 0x0
	s_cvt_f32_u32 s2, s14
	s_sub_co_i32 s3, 0, s14
	s_delay_alu instid0(SALU_CYCLE_2) | instskip(NEXT) | instid1(TRANS32_DEP_1)
	v_rcp_iflag_f32_e32 v1, s2
	v_readfirstlane_b32 s2, v1
	s_mul_f32 s2, s2, 0x4f7ffffe
	s_wait_alu 0xfffe
	s_delay_alu instid0(SALU_CYCLE_2) | instskip(SKIP_1) | instid1(SALU_CYCLE_2)
	s_cvt_u32_f32 s2, s2
	s_wait_alu 0xfffe
	s_mul_i32 s3, s3, s2
	s_wait_alu 0xfffe
	s_mul_hi_u32 s3, s2, s3
	s_wait_alu 0xfffe
	s_add_co_i32 s10, s2, s3
	s_cmp_lt_i32 s12, 2
	s_mov_b32 s2, s6
	s_mov_b32 s3, s7
	s_cbranch_scc1 .LBB209_4
; %bb.2:
	s_add_co_i32 s2, s12, -1
	s_mov_b32 s3, 0
	s_add_co_i32 s15, s12, 1
	s_wait_alu 0xfffe
	s_lshl_b64 s[20:21], s[2:3], 2
	s_mov_b32 s2, s6
	s_add_nc_u64 s[20:21], s[4:5], s[20:21]
	s_delay_alu instid0(SALU_CYCLE_1)
	s_add_nc_u64 s[12:13], s[20:21], 8
.LBB209_3:                              ; =>This Inner Loop Header: Depth=1
	s_clause 0x1
	s_load_b32 s16, s[12:13], 0x0
	s_load_b32 s19, s[12:13], 0x64
	s_mov_b32 s22, s2
	s_add_nc_u64 s[12:13], s[12:13], -4
	s_wait_kmcnt 0x0
	s_cvt_f32_u32 s20, s16
	s_sub_co_i32 s21, 0, s16
	s_wait_alu 0xfffe
	s_delay_alu instid0(SALU_CYCLE_1) | instskip(NEXT) | instid1(TRANS32_DEP_1)
	v_rcp_iflag_f32_e32 v1, s20
	v_readfirstlane_b32 s20, v1
	s_mul_f32 s20, s20, 0x4f7ffffe
	s_wait_alu 0xfffe
	s_delay_alu instid0(SALU_CYCLE_2) | instskip(SKIP_1) | instid1(SALU_CYCLE_2)
	s_cvt_u32_f32 s20, s20
	s_wait_alu 0xfffe
	s_mul_i32 s21, s21, s20
	s_wait_alu 0xfffe
	s_mul_hi_u32 s21, s20, s21
	s_wait_alu 0xfffe
	s_add_co_i32 s20, s20, s21
	s_wait_alu 0xfffe
	s_mul_hi_u32 s2, s2, s20
	s_wait_alu 0xfffe
	s_mul_i32 s20, s2, s16
	s_add_co_i32 s21, s2, 1
	s_wait_alu 0xfffe
	s_sub_co_i32 s20, s22, s20
	s_wait_alu 0xfffe
	s_sub_co_i32 s23, s20, s16
	s_cmp_ge_u32 s20, s16
	s_cselect_b32 s2, s21, s2
	s_cselect_b32 s20, s23, s20
	s_wait_alu 0xfffe
	s_add_co_i32 s21, s2, 1
	s_cmp_ge_u32 s20, s16
	s_wait_alu 0xfffe
	s_cselect_b32 s2, s21, s2
	s_add_co_i32 s15, s15, -1
	s_wait_alu 0xfffe
	s_mul_i32 s16, s2, s16
	s_delay_alu instid0(SALU_CYCLE_1) | instskip(NEXT) | instid1(SALU_CYCLE_1)
	s_sub_co_i32 s16, s22, s16
	s_mul_i32 s16, s19, s16
	s_delay_alu instid0(SALU_CYCLE_1)
	s_add_co_i32 s3, s16, s3
	s_cmp_gt_u32 s15, 2
	s_cbranch_scc1 .LBB209_3
.LBB209_4:
	s_mul_u64 s[10:11], s[6:7], s[10:11]
	s_clause 0x1
	s_load_b64 s[12:13], s[0:1], 0x0
	s_load_b64 s[20:21], s[0:1], 0x1c0
	s_mul_i32 s7, s11, s14
	s_add_co_i32 s1, s11, 1
	s_sub_co_i32 s0, s6, s7
	v_mul_lo_u32 v16, s18, v0
	s_sub_co_i32 s7, s0, s14
	s_cmp_ge_u32 s0, s14
	s_cselect_b32 s1, s1, s11
	s_cselect_b32 s0, s7, s0
	s_add_co_i32 s7, s1, 1
	s_cmp_ge_u32 s0, s14
	s_mov_b32 s11, 0
	s_cselect_b32 s0, s7, s1
	s_delay_alu instid0(SALU_CYCLE_1) | instskip(SKIP_2) | instid1(SALU_CYCLE_1)
	s_mul_i32 s1, s0, s14
	s_mul_i32 s0, s0, s8
	s_sub_co_i32 s1, s6, s1
	s_mul_i32 s1, s1, s9
	s_delay_alu instid0(SALU_CYCLE_1) | instskip(SKIP_3) | instid1(SALU_CYCLE_1)
	s_add_co_i32 s10, s0, s1
	s_wait_kmcnt 0x0
	s_bitcmp1_b32 s21, 0
	s_cselect_b32 s8, -1, 0
	s_and_b32 s0, s8, exec_lo
	s_cselect_b32 s6, -1, 0x7fffffff
	v_cmp_gt_u32_e64 s0, s17, v0
	s_mov_b32 s7, s6
	s_delay_alu instid0(SALU_CYCLE_1) | instskip(SKIP_1) | instid1(SALU_CYCLE_1)
	v_dual_mov_b32 v1, s6 :: v_dual_mov_b32 v2, s7
	s_lshl_b64 s[10:11], s[10:11], 2
	s_add_nc_u64 s[22:23], s[12:13], s[10:11]
	s_and_saveexec_b32 s1, s0
	s_cbranch_execz .LBB209_6
; %bb.5:
	v_mov_b32_e32 v17, 0
	s_delay_alu instid0(VALU_DEP_1) | instskip(NEXT) | instid1(VALU_DEP_1)
	v_lshlrev_b64_e32 v[1:2], 2, v[16:17]
	v_add_co_u32 v1, vcc_lo, s22, v1
	s_delay_alu instid0(VALU_DEP_1)
	v_add_co_ci_u32_e64 v2, null, s23, v2, vcc_lo
	global_load_b32 v1, v[1:2], off
	v_mov_b32_e32 v2, s7
.LBB209_6:
	s_or_b32 exec_lo, exec_lo, s1
	s_clause 0x1
	s_load_b32 s6, s[4:5], 0x6c
	s_load_b64 s[4:5], s[4:5], 0x0
	v_or_b32_e32 v3, 16, v0
	s_delay_alu instid0(VALU_DEP_1)
	v_cmp_gt_u32_e64 s1, s17, v3
	s_and_saveexec_b32 s7, s1
	s_cbranch_execz .LBB209_8
; %bb.7:
	v_mul_lo_u32 v4, s18, v3
	v_mov_b32_e32 v5, 0
	s_delay_alu instid0(VALU_DEP_1) | instskip(NEXT) | instid1(VALU_DEP_1)
	v_lshlrev_b64_e32 v[4:5], 2, v[4:5]
	v_add_co_u32 v4, vcc_lo, s22, v4
	s_wait_alu 0xfffd
	s_delay_alu instid0(VALU_DEP_2)
	v_add_co_ci_u32_e64 v5, null, s23, v5, vcc_lo
	global_load_b32 v2, v[4:5], off
.LBB209_8:
	s_wait_alu 0xfffe
	s_or_b32 exec_lo, exec_lo, s7
	v_lshlrev_b32_e32 v22, 2, v0
	v_dual_mov_b32 v14, 0 :: v_dual_lshlrev_b32 v21, 3, v0
	s_wait_kmcnt 0x0
	s_mul_i32 s2, s6, s2
	v_mul_lo_u32 v13, s20, v0
	s_wait_loadcnt 0x0
	ds_store_2addr_b32 v22, v1, v2 offset1:16
	s_wait_dscnt 0x0
	; wave barrier
	global_inv scope:SCOPE_SE
	ds_load_2addr_b32 v[17:18], v21 offset1:1
	s_wait_alu 0xfffe
	s_add_co_i32 s2, s2, s3
	s_mov_b32 s3, 0
	v_mov_b32_e32 v1, 0
	v_dual_mov_b32 v2, 0 :: v_dual_mov_b32 v15, v14
	s_wait_alu 0xfffe
	s_lshl_b64 s[2:3], s[2:3], 3
	s_wait_loadcnt_dscnt 0x0
	s_wait_alu 0xfffe
	s_add_nc_u64 s[16:17], s[4:5], s[2:3]
	; wave barrier
	global_inv scope:SCOPE_SE
	s_and_saveexec_b32 s2, s0
	s_cbranch_execz .LBB209_10
; %bb.9:
	v_lshlrev_b64_e32 v[1:2], 3, v[13:14]
	v_mov_b32_e32 v15, v14
	s_wait_alu 0xfffe
	s_delay_alu instid0(VALU_DEP_2) | instskip(SKIP_1) | instid1(VALU_DEP_3)
	v_add_co_u32 v1, vcc_lo, s16, v1
	s_wait_alu 0xfffd
	v_add_co_ci_u32_e64 v2, null, s17, v2, vcc_lo
	global_load_b64 v[1:2], v[1:2], off
.LBB209_10:
	s_wait_alu 0xfffe
	s_or_b32 exec_lo, exec_lo, s2
	v_lshlrev_b32_e32 v4, 1, v0
	s_xor_b32 s8, s8, -1
	s_and_saveexec_b32 s2, s1
	s_cbranch_execz .LBB209_12
; %bb.11:
	v_mul_lo_u32 v5, s20, v3
	v_mov_b32_e32 v6, 0
	s_delay_alu instid0(VALU_DEP_1) | instskip(NEXT) | instid1(VALU_DEP_1)
	v_lshlrev_b64_e32 v[5:6], 3, v[5:6]
	v_add_co_u32 v5, vcc_lo, s16, v5
	s_wait_alu 0xfffd
	s_delay_alu instid0(VALU_DEP_2)
	v_add_co_ci_u32_e64 v6, null, s17, v6, vcc_lo
	global_load_b64 v[14:15], v[5:6], off
.LBB209_12:
	s_wait_alu 0xfffe
	s_or_b32 exec_lo, exec_lo, s2
	v_mbcnt_lo_u32_b32 v5, -1, 0
	v_lshlrev_b32_e32 v3, 2, v4
	v_add_nc_u32_e32 v23, v22, v22
	s_getpc_b64 s[2:3]
	s_wait_alu 0xfffe
	s_sext_i32_i16 s3, s3
	s_add_co_u32 s2, s2, _ZN7rocprim17ROCPRIM_400000_NS16block_radix_sortIfLj16ELj2ElLj1ELj1ELj0ELNS0_26block_radix_rank_algorithmE1ELNS0_18block_padding_hintE2ELNS0_4arch9wavefront6targetE0EE19radix_bits_per_passE@rel32@lo+12
	s_wait_alu 0xfffe
	s_add_co_ci_u32 s3, s3, _ZN7rocprim17ROCPRIM_400000_NS16block_radix_sortIfLj16ELj2ElLj1ELj1ELj0ELNS0_26block_radix_rank_algorithmE1ELNS0_18block_padding_hintE2ELNS0_4arch9wavefront6targetE0EE19radix_bits_per_passE@rel32@hi+24
	v_lshlrev_b32_e32 v27, 5, v0
	v_sub_co_u32 v7, s19, v5, 1
	v_and_b32_e32 v8, 16, v5
	s_wait_loadcnt 0x0
	ds_store_b64 v23, v[1:2]
	ds_store_b64 v21, v[14:15] offset:128
	s_wait_dscnt 0x0
	; wave barrier
	global_inv scope:SCOPE_SE
	s_load_b32 s15, s[2:3], 0x0
	v_cmp_lt_i32_e32 vcc_lo, v7, v8
	v_add_nc_u32_e32 v24, v21, v3
	v_and_b32_e32 v6, 15, v5
	v_mad_i32_i24 v26, 0xffffffe8, v0, v27
	v_cmp_gt_u32_e64 s2, 0x80, v0
	s_wait_alu 0xfffd
	v_cndmask_b32_e32 v5, v7, v5, vcc_lo
	ds_load_2addr_b64 v[1:4], v24 offset1:1
	v_cmp_eq_u32_e64 s3, 0, v6
	v_cmp_lt_u32_e64 s4, 1, v6
	v_cmp_lt_u32_e64 s5, 3, v6
	;; [unrolled: 1-line block ×3, first 2 shown]
	v_cmp_eq_u32_e64 s7, 15, v0
	v_lshlrev_b32_e32 v28, 2, v5
	v_lshl_add_u32 v25, v0, 3, v26
	s_and_b32 vcc_lo, exec_lo, s8
	v_cmp_gt_u32_e64 s8, 0x70, v0
	v_cmp_gt_u32_e64 s9, 0x60, v0
	;; [unrolled: 1-line block ×7, first 2 shown]
	s_mov_b32 s21, 0
	s_mov_b32 s24, -1
	; wave barrier
	s_wait_loadcnt_dscnt 0x0
	global_inv scope:SCOPE_SE
	s_wait_alu 0xfffe
	s_cbranch_vccz .LBB209_28
; %bb.13:
	v_cmp_lt_i32_e32 vcc_lo, -1, v17
	v_mov_b32_e32 v8, v4
	v_mov_b32_e32 v30, 0
	s_mov_b32 s24, 32
	v_mov_b32_e32 v7, v3
	s_wait_alu 0xfffd
	v_cndmask_b32_e64 v5, -1, 0x80000000, vcc_lo
	v_cmp_lt_i32_e32 vcc_lo, -1, v18
	s_delay_alu instid0(VALU_DEP_2) | instskip(SKIP_2) | instid1(VALU_DEP_1)
	v_xor_b32_e32 v9, v5, v17
	s_wait_alu 0xfffd
	v_cndmask_b32_e64 v6, -1, 0x80000000, vcc_lo
	v_xor_b32_e32 v10, v6, v18
	v_dual_mov_b32 v6, v2 :: v_dual_mov_b32 v5, v1
	s_branch .LBB209_15
.LBB209_14:                             ;   in Loop: Header=BB209_15 Depth=1
	s_wait_alu 0xfffe
	s_and_not1_b32 vcc_lo, exec_lo, s25
	s_wait_alu 0xfffe
	s_cbranch_vccz .LBB209_29
.LBB209_15:                             ; =>This Inner Loop Header: Depth=1
	s_delay_alu instid0(VALU_DEP_1)
	v_dual_mov_b32 v31, v9 :: v_dual_mov_b32 v20, v6
	v_mov_b32_e32 v15, v8
	v_dual_mov_b32 v29, v10 :: v_dual_mov_b32 v14, v7
	v_mov_b32_e32 v19, v5
	s_and_saveexec_b32 s25, s2
	s_cbranch_execz .LBB209_24
; %bb.16:                               ;   in Loop: Header=BB209_15 Depth=1
	ds_store_b32 v22, v30
	s_and_b32 exec_lo, exec_lo, s8
	s_cbranch_execz .LBB209_24
; %bb.17:                               ;   in Loop: Header=BB209_15 Depth=1
	ds_store_b32 v22, v30 offset:64
	s_and_b32 exec_lo, exec_lo, s9
	s_cbranch_execz .LBB209_24
; %bb.18:                               ;   in Loop: Header=BB209_15 Depth=1
	ds_store_b32 v22, v30 offset:128
	s_and_b32 exec_lo, exec_lo, s10
	s_cbranch_execz .LBB209_24
; %bb.19:                               ;   in Loop: Header=BB209_15 Depth=1
	ds_store_b32 v22, v30 offset:192
	s_and_b32 exec_lo, exec_lo, s11
	s_cbranch_execz .LBB209_24
; %bb.20:                               ;   in Loop: Header=BB209_15 Depth=1
	ds_store_b32 v22, v30 offset:256
	s_and_b32 exec_lo, exec_lo, s12
	s_cbranch_execz .LBB209_24
; %bb.21:                               ;   in Loop: Header=BB209_15 Depth=1
	ds_store_b32 v22, v30 offset:320
	s_and_b32 exec_lo, exec_lo, s13
	s_cbranch_execz .LBB209_24
; %bb.22:                               ;   in Loop: Header=BB209_15 Depth=1
	ds_store_b32 v22, v30 offset:384
	s_and_b32 exec_lo, exec_lo, s14
; %bb.23:                               ;   in Loop: Header=BB209_15 Depth=1
	ds_store_b32 v22, v30 offset:448
.LBB209_24:                             ;   in Loop: Header=BB209_15 Depth=1
	s_wait_alu 0xfffe
	s_or_b32 exec_lo, exec_lo, s25
	v_cmp_ne_u32_e32 vcc_lo, 0x7fffffff, v31
	s_wait_kmcnt 0x0
	s_min_u32 s25, s15, s24
	s_wait_alu 0xfffe
	s_lshl_b32 s25, -1, s25
	s_wait_alu 0xfffe
	s_not_b32 s25, s25
	s_wait_alu 0xfffd
	v_cndmask_b32_e32 v5, 0x80000000, v31, vcc_lo
	v_cmp_ne_u32_e32 vcc_lo, 0x7fffffff, v29
	s_delay_alu instid0(VALU_DEP_2) | instskip(SKIP_1) | instid1(VALU_DEP_1)
	v_lshrrev_b32_e32 v5, s21, v5
	s_wait_alu 0xfffe
	v_and_b32_e32 v5, s25, v5
	s_delay_alu instid0(VALU_DEP_1) | instskip(SKIP_1) | instid1(VALU_DEP_2)
	v_lshlrev_b32_e32 v6, 4, v5
	v_lshrrev_b32_e32 v5, 2, v5
	v_and_or_b32 v6, 0x70, v6, v0
	s_delay_alu instid0(VALU_DEP_2) | instskip(NEXT) | instid1(VALU_DEP_1)
	v_and_b32_e32 v5, 0x1ffffffe, v5
	v_lshl_add_u32 v32, v6, 2, v5
	s_wait_alu 0xfffd
	v_cndmask_b32_e32 v5, 0x80000000, v29, vcc_lo
	ds_load_u16 v33, v32
	v_lshrrev_b32_e32 v5, s21, v5
	s_delay_alu instid0(VALU_DEP_1) | instskip(NEXT) | instid1(VALU_DEP_1)
	v_and_b32_e32 v5, s25, v5
	v_lshlrev_b32_e32 v6, 4, v5
	v_lshrrev_b32_e32 v5, 2, v5
	s_delay_alu instid0(VALU_DEP_2) | instskip(NEXT) | instid1(VALU_DEP_2)
	v_and_or_b32 v6, 0x70, v6, v0
	v_and_b32_e32 v5, 0x1ffffffe, v5
	s_wait_dscnt 0x0
	v_add_nc_u16 v7, v33, 1
	s_delay_alu instid0(VALU_DEP_2)
	v_lshl_add_u32 v34, v6, 2, v5
	ds_store_b16 v32, v7
	ds_load_u16 v35, v34
	s_wait_dscnt 0x0
	v_add_nc_u16 v5, v35, 1
	ds_store_b16 v34, v5
	; wave barrier
	s_wait_loadcnt_dscnt 0x0
	global_inv scope:SCOPE_SE
	ds_load_b128 v[9:12], v27
	ds_load_b128 v[5:8], v27 offset:16
	s_wait_dscnt 0x1
	v_add_nc_u32_e32 v36, v10, v9
	s_delay_alu instid0(VALU_DEP_1) | instskip(SKIP_1) | instid1(VALU_DEP_1)
	v_add3_u32 v36, v36, v11, v12
	s_wait_dscnt 0x0
	v_add3_u32 v36, v36, v5, v6
	s_delay_alu instid0(VALU_DEP_1) | instskip(NEXT) | instid1(VALU_DEP_1)
	v_add3_u32 v8, v36, v7, v8
	v_mov_b32_dpp v36, v8 row_shr:1 row_mask:0xf bank_mask:0xf
	s_delay_alu instid0(VALU_DEP_1) | instskip(NEXT) | instid1(VALU_DEP_1)
	v_cndmask_b32_e64 v36, v36, 0, s3
	v_add_nc_u32_e32 v8, v36, v8
	s_delay_alu instid0(VALU_DEP_1) | instskip(NEXT) | instid1(VALU_DEP_1)
	v_mov_b32_dpp v36, v8 row_shr:2 row_mask:0xf bank_mask:0xf
	v_cndmask_b32_e64 v36, 0, v36, s4
	s_delay_alu instid0(VALU_DEP_1) | instskip(NEXT) | instid1(VALU_DEP_1)
	v_add_nc_u32_e32 v8, v8, v36
	v_mov_b32_dpp v36, v8 row_shr:4 row_mask:0xf bank_mask:0xf
	s_delay_alu instid0(VALU_DEP_1) | instskip(NEXT) | instid1(VALU_DEP_1)
	v_cndmask_b32_e64 v36, 0, v36, s5
	v_add_nc_u32_e32 v8, v8, v36
	s_delay_alu instid0(VALU_DEP_1) | instskip(NEXT) | instid1(VALU_DEP_1)
	v_mov_b32_dpp v36, v8 row_shr:8 row_mask:0xf bank_mask:0xf
	v_cndmask_b32_e64 v36, 0, v36, s6
	s_delay_alu instid0(VALU_DEP_1)
	v_add_nc_u32_e32 v8, v8, v36
	s_and_saveexec_b32 s25, s7
; %bb.25:                               ;   in Loop: Header=BB209_15 Depth=1
	ds_store_b32 v30, v8 offset:512
; %bb.26:                               ;   in Loop: Header=BB209_15 Depth=1
	s_wait_alu 0xfffe
	s_or_b32 exec_lo, exec_lo, s25
	ds_bpermute_b32 v8, v28, v8
	; wave barrier
	s_wait_loadcnt_dscnt 0x0
	global_inv scope:SCOPE_SE
	ds_load_b32 v36, v30 offset:512
	s_cmp_gt_u32 s21, 27
	s_mov_b32 s25, -1
	v_cndmask_b32_e64 v8, v8, 0, s19
	s_wait_dscnt 0x0
	s_delay_alu instid0(VALU_DEP_1) | instskip(NEXT) | instid1(VALU_DEP_1)
	v_lshl_add_u32 v8, v36, 16, v8
	v_add_nc_u32_e32 v9, v8, v9
	s_delay_alu instid0(VALU_DEP_1) | instskip(NEXT) | instid1(VALU_DEP_1)
	v_add_nc_u32_e32 v10, v9, v10
	v_add_nc_u32_e32 v11, v10, v11
	s_delay_alu instid0(VALU_DEP_1) | instskip(NEXT) | instid1(VALU_DEP_1)
	v_add_nc_u32_e32 v36, v11, v12
	;; [unrolled: 3-line block ×3, first 2 shown]
	v_add_nc_u32_e32 v39, v38, v7
	v_and_b32_e32 v7, 0xffff, v33
	ds_store_b128 v27, v[8:11]
	ds_store_b128 v27, v[36:39] offset:16
	; wave barrier
	s_wait_loadcnt_dscnt 0x0
	global_inv scope:SCOPE_SE
	ds_load_u16 v5, v32
	ds_load_u16 v6, v34
	v_and_b32_e32 v8, 0xffff, v35
                                        ; implicit-def: $vgpr10
	s_wait_dscnt 0x1
	v_add_nc_u32_e32 v12, v5, v7
	s_wait_dscnt 0x0
	s_delay_alu instid0(VALU_DEP_2)
	v_add_nc_u32_e32 v11, v6, v8
                                        ; implicit-def: $vgpr7_vgpr8
	s_cbranch_scc1 .LBB209_14
; %bb.27:                               ;   in Loop: Header=BB209_15 Depth=1
	s_delay_alu instid0(VALU_DEP_2) | instskip(NEXT) | instid1(VALU_DEP_2)
	v_lshlrev_b32_e32 v5, 2, v12
	v_lshlrev_b32_e32 v6, 2, v11
	s_wait_loadcnt 0x0
	; wave barrier
	global_inv scope:SCOPE_SE
	s_add_co_i32 s21, s21, 4
	ds_store_b32 v5, v31
	ds_store_b32 v6, v29
	v_add_nc_u32_e32 v5, v5, v5
	v_add_nc_u32_e32 v6, v6, v6
	; wave barrier
	s_wait_loadcnt_dscnt 0x0
	global_inv scope:SCOPE_SE
	ds_load_b64 v[9:10], v26
	; wave barrier
	s_wait_loadcnt_dscnt 0x0
	global_inv scope:SCOPE_SE
	ds_store_b64 v5, v[19:20]
	ds_store_b64 v6, v[14:15]
	; wave barrier
	s_wait_loadcnt_dscnt 0x0
	global_inv scope:SCOPE_SE
	ds_load_b128 v[5:8], v25
	s_add_co_i32 s24, s24, -4
	s_mov_b32 s25, 0
	; wave barrier
	s_wait_loadcnt_dscnt 0x0
	global_inv scope:SCOPE_SE
	s_branch .LBB209_14
.LBB209_28:
                                        ; implicit-def: $vgpr7_vgpr8
                                        ; implicit-def: $vgpr9_vgpr10
	s_and_b32 vcc_lo, exec_lo, s24
	s_wait_alu 0xfffe
	s_cbranch_vccnz .LBB209_30
	s_branch .LBB209_46
.LBB209_29:
	v_lshlrev_b32_e32 v5, 2, v12
	v_lshlrev_b32_e32 v6, 2, v11
	s_wait_loadcnt 0x0
	; wave barrier
	global_inv scope:SCOPE_SE
	ds_store_b32 v5, v31
	ds_store_b32 v6, v29
	; wave barrier
	s_wait_loadcnt_dscnt 0x0
	global_inv scope:SCOPE_SE
	ds_load_b64 v[9:10], v26
	v_add_nc_u32_e32 v5, v5, v5
	v_add_nc_u32_e32 v6, v6, v6
	; wave barrier
	s_wait_loadcnt_dscnt 0x0
	global_inv scope:SCOPE_SE
	ds_store_b64 v5, v[19:20]
	ds_store_b64 v6, v[14:15]
	; wave barrier
	s_wait_loadcnt_dscnt 0x0
	global_inv scope:SCOPE_SE
	ds_load_b128 v[5:8], v25
	v_cmp_lt_i32_e32 vcc_lo, -1, v9
	s_wait_alu 0xfffd
	v_cndmask_b32_e64 v11, 0x80000000, -1, vcc_lo
	v_cmp_lt_i32_e32 vcc_lo, -1, v10
	s_delay_alu instid0(VALU_DEP_2) | instskip(SKIP_2) | instid1(VALU_DEP_1)
	v_xor_b32_e32 v9, v11, v9
	s_wait_alu 0xfffd
	v_cndmask_b32_e64 v12, 0x80000000, -1, vcc_lo
	v_xor_b32_e32 v10, v12, v10
	s_branch .LBB209_46
.LBB209_30:
	v_cmp_gt_i32_e32 vcc_lo, 0, v17
	s_wait_dscnt 0x0
	v_mul_i32_i24_e32 v7, -12, v0
	v_cmp_gt_u32_e64 s8, 0x70, v0
	v_cmp_gt_u32_e64 s9, 0x60, v0
	;; [unrolled: 1-line block ×3, first 2 shown]
	s_wait_alu 0xfffd
	v_cndmask_b32_e64 v5, 0x7fffffff, 0, vcc_lo
	v_cmp_gt_i32_e32 vcc_lo, 0, v18
	v_cmp_gt_u32_e64 s11, 64, v0
	v_cmp_gt_u32_e64 s12, 48, v0
	;; [unrolled: 1-line block ×3, first 2 shown]
	v_xor_b32_e32 v5, v5, v17
	s_wait_alu 0xfffd
	v_cndmask_b32_e64 v6, 0x7fffffff, 0, vcc_lo
	v_cmp_gt_u32_e64 s14, 16, v0
	v_dual_mov_b32 v17, 0 :: v_dual_add_nc_u32 v14, v25, v7
	s_mov_b32 s21, 0
	v_xor_b32_e32 v6, v6, v18
	s_mov_b32 s24, 32
	s_branch .LBB209_32
.LBB209_31:                             ;   in Loop: Header=BB209_32 Depth=1
	s_wait_alu 0xfffe
	s_and_not1_b32 vcc_lo, exec_lo, s25
	s_wait_alu 0xfffe
	s_cbranch_vccz .LBB209_45
.LBB209_32:                             ; =>This Inner Loop Header: Depth=1
	s_delay_alu instid0(VALU_DEP_1)
	v_dual_mov_b32 v15, v6 :: v_dual_mov_b32 v18, v5
	v_dual_mov_b32 v10, v4 :: v_dual_mov_b32 v9, v3
	;; [unrolled: 1-line block ×3, first 2 shown]
	s_and_saveexec_b32 s25, s2
	s_cbranch_execz .LBB209_41
; %bb.33:                               ;   in Loop: Header=BB209_32 Depth=1
	ds_store_b32 v14, v17
	s_and_b32 exec_lo, exec_lo, s8
	s_cbranch_execz .LBB209_41
; %bb.34:                               ;   in Loop: Header=BB209_32 Depth=1
	ds_store_b32 v14, v17 offset:64
	s_and_b32 exec_lo, exec_lo, s9
	s_cbranch_execz .LBB209_41
; %bb.35:                               ;   in Loop: Header=BB209_32 Depth=1
	ds_store_b32 v14, v17 offset:128
	;; [unrolled: 4-line block ×6, first 2 shown]
	s_and_b32 exec_lo, exec_lo, s14
; %bb.40:                               ;   in Loop: Header=BB209_32 Depth=1
	ds_store_b32 v14, v17 offset:448
.LBB209_41:                             ;   in Loop: Header=BB209_32 Depth=1
	s_wait_alu 0xfffe
	s_or_b32 exec_lo, exec_lo, s25
	v_cmp_ne_u32_e32 vcc_lo, 0x80000000, v18
	s_wait_kmcnt 0x0
	s_min_u32 s25, s15, s24
	s_wait_alu 0xfffe
	s_lshl_b32 s25, -1, s25
	s_wait_alu 0xfffe
	s_not_b32 s25, s25
	s_wait_alu 0xfffd
	v_cndmask_b32_e32 v1, 0x7fffffff, v18, vcc_lo
	v_cmp_ne_u32_e32 vcc_lo, 0x80000000, v15
	s_delay_alu instid0(VALU_DEP_2) | instskip(SKIP_1) | instid1(VALU_DEP_1)
	v_lshrrev_b32_e32 v1, s21, v1
	s_wait_alu 0xfffe
	v_and_b32_e32 v1, s25, v1
	s_delay_alu instid0(VALU_DEP_1) | instskip(SKIP_1) | instid1(VALU_DEP_2)
	v_lshlrev_b32_e32 v2, 4, v1
	v_lshrrev_b32_e32 v1, 2, v1
	v_and_or_b32 v2, 0x70, v2, v0
	s_delay_alu instid0(VALU_DEP_2) | instskip(NEXT) | instid1(VALU_DEP_1)
	v_and_b32_e32 v1, 0x1ffffffe, v1
	v_lshl_add_u32 v19, v2, 2, v1
	s_wait_alu 0xfffd
	v_cndmask_b32_e32 v1, 0x7fffffff, v15, vcc_lo
	ds_load_u16 v20, v19
	v_lshrrev_b32_e32 v1, s21, v1
	s_delay_alu instid0(VALU_DEP_1) | instskip(NEXT) | instid1(VALU_DEP_1)
	v_and_b32_e32 v1, s25, v1
	v_lshlrev_b32_e32 v2, 4, v1
	v_lshrrev_b32_e32 v1, 2, v1
	s_delay_alu instid0(VALU_DEP_2) | instskip(NEXT) | instid1(VALU_DEP_2)
	v_and_or_b32 v2, 0x70, v2, v0
	v_and_b32_e32 v1, 0x1ffffffe, v1
	s_wait_dscnt 0x0
	v_add_nc_u16 v3, v20, 1
	s_delay_alu instid0(VALU_DEP_2)
	v_lshl_add_u32 v29, v2, 2, v1
	ds_store_b16 v19, v3
	ds_load_u16 v30, v29
	s_wait_dscnt 0x0
	v_add_nc_u16 v1, v30, 1
	ds_store_b16 v29, v1
	; wave barrier
	s_wait_loadcnt_dscnt 0x0
	global_inv scope:SCOPE_SE
	ds_load_b128 v[5:8], v27
	ds_load_b128 v[1:4], v27 offset:16
	s_wait_dscnt 0x1
	v_add_nc_u32_e32 v31, v6, v5
	s_delay_alu instid0(VALU_DEP_1) | instskip(SKIP_1) | instid1(VALU_DEP_1)
	v_add3_u32 v31, v31, v7, v8
	s_wait_dscnt 0x0
	v_add3_u32 v31, v31, v1, v2
	s_delay_alu instid0(VALU_DEP_1) | instskip(NEXT) | instid1(VALU_DEP_1)
	v_add3_u32 v4, v31, v3, v4
	v_mov_b32_dpp v31, v4 row_shr:1 row_mask:0xf bank_mask:0xf
	s_delay_alu instid0(VALU_DEP_1) | instskip(NEXT) | instid1(VALU_DEP_1)
	v_cndmask_b32_e64 v31, v31, 0, s3
	v_add_nc_u32_e32 v4, v31, v4
	s_delay_alu instid0(VALU_DEP_1) | instskip(NEXT) | instid1(VALU_DEP_1)
	v_mov_b32_dpp v31, v4 row_shr:2 row_mask:0xf bank_mask:0xf
	v_cndmask_b32_e64 v31, 0, v31, s4
	s_delay_alu instid0(VALU_DEP_1) | instskip(NEXT) | instid1(VALU_DEP_1)
	v_add_nc_u32_e32 v4, v4, v31
	v_mov_b32_dpp v31, v4 row_shr:4 row_mask:0xf bank_mask:0xf
	s_delay_alu instid0(VALU_DEP_1) | instskip(NEXT) | instid1(VALU_DEP_1)
	v_cndmask_b32_e64 v31, 0, v31, s5
	v_add_nc_u32_e32 v4, v4, v31
	s_delay_alu instid0(VALU_DEP_1) | instskip(NEXT) | instid1(VALU_DEP_1)
	v_mov_b32_dpp v31, v4 row_shr:8 row_mask:0xf bank_mask:0xf
	v_cndmask_b32_e64 v31, 0, v31, s6
	s_delay_alu instid0(VALU_DEP_1)
	v_add_nc_u32_e32 v4, v4, v31
	s_and_saveexec_b32 s25, s7
; %bb.42:                               ;   in Loop: Header=BB209_32 Depth=1
	ds_store_b32 v17, v4 offset:512
; %bb.43:                               ;   in Loop: Header=BB209_32 Depth=1
	s_wait_alu 0xfffe
	s_or_b32 exec_lo, exec_lo, s25
	ds_bpermute_b32 v4, v28, v4
	; wave barrier
	s_wait_loadcnt_dscnt 0x0
	global_inv scope:SCOPE_SE
	ds_load_b32 v31, v17 offset:512
	s_cmp_gt_u32 s21, 27
	s_mov_b32 s25, -1
	v_cndmask_b32_e64 v4, v4, 0, s19
	s_wait_dscnt 0x0
	s_delay_alu instid0(VALU_DEP_1) | instskip(NEXT) | instid1(VALU_DEP_1)
	v_lshl_add_u32 v4, v31, 16, v4
	v_add_nc_u32_e32 v5, v4, v5
	s_delay_alu instid0(VALU_DEP_1) | instskip(NEXT) | instid1(VALU_DEP_1)
	v_add_nc_u32_e32 v6, v5, v6
	v_add_nc_u32_e32 v7, v6, v7
	s_delay_alu instid0(VALU_DEP_1) | instskip(NEXT) | instid1(VALU_DEP_1)
	v_add_nc_u32_e32 v31, v7, v8
	;; [unrolled: 3-line block ×3, first 2 shown]
	v_add_nc_u32_e32 v34, v33, v3
	v_and_b32_e32 v3, 0xffff, v20
	ds_store_b128 v27, v[4:7]
	ds_store_b128 v27, v[31:34] offset:16
	; wave barrier
	s_wait_loadcnt_dscnt 0x0
	global_inv scope:SCOPE_SE
	ds_load_u16 v1, v19
	ds_load_u16 v2, v29
	v_and_b32_e32 v4, 0xffff, v30
                                        ; implicit-def: $vgpr6
	s_wait_dscnt 0x1
	v_add_nc_u32_e32 v8, v1, v3
	s_wait_dscnt 0x0
	s_delay_alu instid0(VALU_DEP_2)
	v_add_nc_u32_e32 v7, v2, v4
                                        ; implicit-def: $vgpr3_vgpr4
	s_cbranch_scc1 .LBB209_31
; %bb.44:                               ;   in Loop: Header=BB209_32 Depth=1
	s_delay_alu instid0(VALU_DEP_2) | instskip(NEXT) | instid1(VALU_DEP_2)
	v_lshlrev_b32_e32 v1, 2, v8
	v_lshlrev_b32_e32 v2, 2, v7
	s_wait_loadcnt 0x0
	; wave barrier
	global_inv scope:SCOPE_SE
	s_add_co_i32 s21, s21, 4
	ds_store_b32 v1, v18
	ds_store_b32 v2, v15
	v_add_nc_u32_e32 v1, v1, v1
	v_add_nc_u32_e32 v2, v2, v2
	; wave barrier
	s_wait_loadcnt_dscnt 0x0
	global_inv scope:SCOPE_SE
	ds_load_b64 v[5:6], v26
	; wave barrier
	s_wait_loadcnt_dscnt 0x0
	global_inv scope:SCOPE_SE
	ds_store_b64 v1, v[11:12]
	ds_store_b64 v2, v[9:10]
	; wave barrier
	s_wait_loadcnt_dscnt 0x0
	global_inv scope:SCOPE_SE
	ds_load_b128 v[1:4], v25
	s_add_co_i32 s24, s24, -4
	s_mov_b32 s25, 0
	; wave barrier
	s_wait_loadcnt_dscnt 0x0
	global_inv scope:SCOPE_SE
	s_branch .LBB209_31
.LBB209_45:
	v_lshlrev_b32_e32 v2, 2, v8
	v_lshlrev_b32_e32 v3, 2, v7
	s_wait_loadcnt 0x0
	; wave barrier
	global_inv scope:SCOPE_SE
	ds_store_b32 v2, v18
	ds_store_b32 v3, v15
	; wave barrier
	s_wait_loadcnt_dscnt 0x0
	global_inv scope:SCOPE_SE
	ds_load_b64 v[0:1], v26
	v_add_nc_u32_e32 v2, v2, v2
	v_add_nc_u32_e32 v3, v3, v3
	; wave barrier
	s_wait_loadcnt_dscnt 0x0
	global_inv scope:SCOPE_SE
	ds_store_b64 v2, v[11:12]
	ds_store_b64 v3, v[9:10]
	; wave barrier
	s_wait_loadcnt_dscnt 0x0
	global_inv scope:SCOPE_SE
	ds_load_b128 v[5:8], v25
	v_cmp_gt_i32_e32 vcc_lo, 0, v0
	s_wait_alu 0xfffd
	v_cndmask_b32_e64 v2, 0x7fffffff, 0, vcc_lo
	v_cmp_gt_i32_e32 vcc_lo, 0, v1
	s_delay_alu instid0(VALU_DEP_2) | instskip(SKIP_2) | instid1(VALU_DEP_1)
	v_xor_b32_e32 v9, v2, v0
	s_wait_alu 0xfffd
	v_cndmask_b32_e64 v3, 0x7fffffff, 0, vcc_lo
	v_xor_b32_e32 v10, v3, v1
.LBB209_46:
	; wave barrier
	s_wait_loadcnt_dscnt 0x0
	global_inv scope:SCOPE_SE
	ds_store_2addr_b32 v21, v9, v10 offset1:1
	; wave barrier
	s_wait_loadcnt_dscnt 0x0
	global_inv scope:SCOPE_SE
	ds_load_b32 v2, v22 offset:64
	v_mov_b32_e32 v17, 0
	s_delay_alu instid0(VALU_DEP_1) | instskip(NEXT) | instid1(VALU_DEP_1)
	v_lshlrev_b64_e32 v[0:1], 2, v[16:17]
	v_add_co_u32 v0, vcc_lo, s22, v0
	s_wait_alu 0xfffd
	s_delay_alu instid0(VALU_DEP_2)
	v_add_co_ci_u32_e64 v1, null, s23, v1, vcc_lo
	s_and_saveexec_b32 s2, s0
	s_cbranch_execz .LBB209_48
; %bb.47:
	ds_load_b32 v3, v22
	s_wait_dscnt 0x0
	global_store_b32 v[0:1], v3, off
.LBB209_48:
	s_wait_alu 0xfffe
	s_or_b32 exec_lo, exec_lo, s2
	s_and_saveexec_b32 s2, s1
	s_cbranch_execz .LBB209_50
; %bb.49:
	s_lshl_b32 s4, s18, 4
	s_mov_b32 s5, 0
	s_wait_alu 0xfffe
	s_lshl_b64 s[4:5], s[4:5], 2
	s_wait_alu 0xfffe
	v_add_co_u32 v0, vcc_lo, v0, s4
	s_wait_alu 0xfffd
	v_add_co_ci_u32_e64 v1, null, s5, v1, vcc_lo
	s_wait_dscnt 0x0
	global_store_b32 v[0:1], v2, off
.LBB209_50:
	s_wait_alu 0xfffe
	s_or_b32 exec_lo, exec_lo, s2
	s_wait_storecnt 0x0
	; wave barrier
	s_wait_loadcnt_dscnt 0x0
	global_inv scope:SCOPE_SE
	ds_store_2addr_b64 v24, v[5:6], v[7:8] offset1:1
	; wave barrier
	s_wait_loadcnt_dscnt 0x0
	global_inv scope:SCOPE_SE
	ds_load_b64 v[0:1], v21 offset:128
	v_mov_b32_e32 v14, 0
	s_delay_alu instid0(VALU_DEP_1) | instskip(NEXT) | instid1(VALU_DEP_1)
	v_lshlrev_b64_e32 v[2:3], 3, v[13:14]
	v_add_co_u32 v2, vcc_lo, s16, v2
	s_wait_alu 0xfffd
	s_delay_alu instid0(VALU_DEP_2)
	v_add_co_ci_u32_e64 v3, null, s17, v3, vcc_lo
	s_and_saveexec_b32 s2, s0
	s_cbranch_execz .LBB209_52
; %bb.51:
	ds_load_b64 v[4:5], v23
	s_wait_dscnt 0x0
	global_store_b64 v[2:3], v[4:5], off
.LBB209_52:
	s_wait_alu 0xfffe
	s_or_b32 exec_lo, exec_lo, s2
	s_and_saveexec_b32 s0, s1
	s_cbranch_execz .LBB209_54
; %bb.53:
	s_lshl_b32 s0, s20, 4
	s_mov_b32 s1, 0
	s_delay_alu instid0(SALU_CYCLE_1) | instskip(NEXT) | instid1(SALU_CYCLE_1)
	s_lshl_b64 s[0:1], s[0:1], 3
	v_add_co_u32 v2, vcc_lo, v2, s0
	s_wait_alu 0xfffd
	v_add_co_ci_u32_e64 v3, null, s1, v3, vcc_lo
	s_wait_dscnt 0x0
	global_store_b64 v[2:3], v[0:1], off
.LBB209_54:
	s_endpgm
	.section	.rodata,"a",@progbits
	.p2align	6, 0x0
	.amdhsa_kernel _ZN2at6native18radixSortKVInPlaceILi2ELin1ELi16ELi2EfljEEvNS_4cuda6detail10TensorInfoIT3_T5_EES6_S6_S6_NS4_IT4_S6_EES6_b
		.amdhsa_group_segment_fixed_size 528
		.amdhsa_private_segment_fixed_size 0
		.amdhsa_kernarg_size 712
		.amdhsa_user_sgpr_count 2
		.amdhsa_user_sgpr_dispatch_ptr 0
		.amdhsa_user_sgpr_queue_ptr 0
		.amdhsa_user_sgpr_kernarg_segment_ptr 1
		.amdhsa_user_sgpr_dispatch_id 0
		.amdhsa_user_sgpr_private_segment_size 0
		.amdhsa_wavefront_size32 1
		.amdhsa_uses_dynamic_stack 0
		.amdhsa_enable_private_segment 0
		.amdhsa_system_sgpr_workgroup_id_x 1
		.amdhsa_system_sgpr_workgroup_id_y 1
		.amdhsa_system_sgpr_workgroup_id_z 1
		.amdhsa_system_sgpr_workgroup_info 0
		.amdhsa_system_vgpr_workitem_id 0
		.amdhsa_next_free_vgpr 40
		.amdhsa_next_free_sgpr 26
		.amdhsa_reserve_vcc 1
		.amdhsa_float_round_mode_32 0
		.amdhsa_float_round_mode_16_64 0
		.amdhsa_float_denorm_mode_32 3
		.amdhsa_float_denorm_mode_16_64 3
		.amdhsa_fp16_overflow 0
		.amdhsa_workgroup_processor_mode 1
		.amdhsa_memory_ordered 1
		.amdhsa_forward_progress 1
		.amdhsa_inst_pref_size 34
		.amdhsa_round_robin_scheduling 0
		.amdhsa_exception_fp_ieee_invalid_op 0
		.amdhsa_exception_fp_denorm_src 0
		.amdhsa_exception_fp_ieee_div_zero 0
		.amdhsa_exception_fp_ieee_overflow 0
		.amdhsa_exception_fp_ieee_underflow 0
		.amdhsa_exception_fp_ieee_inexact 0
		.amdhsa_exception_int_div_zero 0
	.end_amdhsa_kernel
	.section	.text._ZN2at6native18radixSortKVInPlaceILi2ELin1ELi16ELi2EfljEEvNS_4cuda6detail10TensorInfoIT3_T5_EES6_S6_S6_NS4_IT4_S6_EES6_b,"axG",@progbits,_ZN2at6native18radixSortKVInPlaceILi2ELin1ELi16ELi2EfljEEvNS_4cuda6detail10TensorInfoIT3_T5_EES6_S6_S6_NS4_IT4_S6_EES6_b,comdat
.Lfunc_end209:
	.size	_ZN2at6native18radixSortKVInPlaceILi2ELin1ELi16ELi2EfljEEvNS_4cuda6detail10TensorInfoIT3_T5_EES6_S6_S6_NS4_IT4_S6_EES6_b, .Lfunc_end209-_ZN2at6native18radixSortKVInPlaceILi2ELin1ELi16ELi2EfljEEvNS_4cuda6detail10TensorInfoIT3_T5_EES6_S6_S6_NS4_IT4_S6_EES6_b
                                        ; -- End function
	.set _ZN2at6native18radixSortKVInPlaceILi2ELin1ELi16ELi2EfljEEvNS_4cuda6detail10TensorInfoIT3_T5_EES6_S6_S6_NS4_IT4_S6_EES6_b.num_vgpr, 40
	.set _ZN2at6native18radixSortKVInPlaceILi2ELin1ELi16ELi2EfljEEvNS_4cuda6detail10TensorInfoIT3_T5_EES6_S6_S6_NS4_IT4_S6_EES6_b.num_agpr, 0
	.set _ZN2at6native18radixSortKVInPlaceILi2ELin1ELi16ELi2EfljEEvNS_4cuda6detail10TensorInfoIT3_T5_EES6_S6_S6_NS4_IT4_S6_EES6_b.numbered_sgpr, 26
	.set _ZN2at6native18radixSortKVInPlaceILi2ELin1ELi16ELi2EfljEEvNS_4cuda6detail10TensorInfoIT3_T5_EES6_S6_S6_NS4_IT4_S6_EES6_b.num_named_barrier, 0
	.set _ZN2at6native18radixSortKVInPlaceILi2ELin1ELi16ELi2EfljEEvNS_4cuda6detail10TensorInfoIT3_T5_EES6_S6_S6_NS4_IT4_S6_EES6_b.private_seg_size, 0
	.set _ZN2at6native18radixSortKVInPlaceILi2ELin1ELi16ELi2EfljEEvNS_4cuda6detail10TensorInfoIT3_T5_EES6_S6_S6_NS4_IT4_S6_EES6_b.uses_vcc, 1
	.set _ZN2at6native18radixSortKVInPlaceILi2ELin1ELi16ELi2EfljEEvNS_4cuda6detail10TensorInfoIT3_T5_EES6_S6_S6_NS4_IT4_S6_EES6_b.uses_flat_scratch, 0
	.set _ZN2at6native18radixSortKVInPlaceILi2ELin1ELi16ELi2EfljEEvNS_4cuda6detail10TensorInfoIT3_T5_EES6_S6_S6_NS4_IT4_S6_EES6_b.has_dyn_sized_stack, 0
	.set _ZN2at6native18radixSortKVInPlaceILi2ELin1ELi16ELi2EfljEEvNS_4cuda6detail10TensorInfoIT3_T5_EES6_S6_S6_NS4_IT4_S6_EES6_b.has_recursion, 0
	.set _ZN2at6native18radixSortKVInPlaceILi2ELin1ELi16ELi2EfljEEvNS_4cuda6detail10TensorInfoIT3_T5_EES6_S6_S6_NS4_IT4_S6_EES6_b.has_indirect_call, 0
	.section	.AMDGPU.csdata,"",@progbits
; Kernel info:
; codeLenInByte = 4276
; TotalNumSgprs: 28
; NumVgprs: 40
; ScratchSize: 0
; MemoryBound: 0
; FloatMode: 240
; IeeeMode: 1
; LDSByteSize: 528 bytes/workgroup (compile time only)
; SGPRBlocks: 0
; VGPRBlocks: 4
; NumSGPRsForWavesPerEU: 28
; NumVGPRsForWavesPerEU: 40
; Occupancy: 16
; WaveLimiterHint : 1
; COMPUTE_PGM_RSRC2:SCRATCH_EN: 0
; COMPUTE_PGM_RSRC2:USER_SGPR: 2
; COMPUTE_PGM_RSRC2:TRAP_HANDLER: 0
; COMPUTE_PGM_RSRC2:TGID_X_EN: 1
; COMPUTE_PGM_RSRC2:TGID_Y_EN: 1
; COMPUTE_PGM_RSRC2:TGID_Z_EN: 1
; COMPUTE_PGM_RSRC2:TIDIG_COMP_CNT: 0
	.section	.text._ZN2at6native18radixSortKVInPlaceILin1ELin1ELi512ELi8EfljEEvNS_4cuda6detail10TensorInfoIT3_T5_EES6_S6_S6_NS4_IT4_S6_EES6_b,"axG",@progbits,_ZN2at6native18radixSortKVInPlaceILin1ELin1ELi512ELi8EfljEEvNS_4cuda6detail10TensorInfoIT3_T5_EES6_S6_S6_NS4_IT4_S6_EES6_b,comdat
	.protected	_ZN2at6native18radixSortKVInPlaceILin1ELin1ELi512ELi8EfljEEvNS_4cuda6detail10TensorInfoIT3_T5_EES6_S6_S6_NS4_IT4_S6_EES6_b ; -- Begin function _ZN2at6native18radixSortKVInPlaceILin1ELin1ELi512ELi8EfljEEvNS_4cuda6detail10TensorInfoIT3_T5_EES6_S6_S6_NS4_IT4_S6_EES6_b
	.globl	_ZN2at6native18radixSortKVInPlaceILin1ELin1ELi512ELi8EfljEEvNS_4cuda6detail10TensorInfoIT3_T5_EES6_S6_S6_NS4_IT4_S6_EES6_b
	.p2align	8
	.type	_ZN2at6native18radixSortKVInPlaceILin1ELin1ELi512ELi8EfljEEvNS_4cuda6detail10TensorInfoIT3_T5_EES6_S6_S6_NS4_IT4_S6_EES6_b,@function
_ZN2at6native18radixSortKVInPlaceILin1ELin1ELi512ELi8EfljEEvNS_4cuda6detail10TensorInfoIT3_T5_EES6_S6_S6_NS4_IT4_S6_EES6_b: ; @_ZN2at6native18radixSortKVInPlaceILin1ELin1ELi512ELi8EfljEEvNS_4cuda6detail10TensorInfoIT3_T5_EES6_S6_S6_NS4_IT4_S6_EES6_b
; %bb.0:
	s_clause 0x1
	s_load_b64 s[2:3], s[0:1], 0x1c8
	s_load_b96 s[24:26], s[0:1], 0xd8
	s_lshr_b32 s4, ttmp7, 16
	s_wait_kmcnt 0x0
	s_mul_i32 s3, s3, s4
	s_and_b32 s4, ttmp7, 0xffff
	s_delay_alu instid0(SALU_CYCLE_1) | instskip(NEXT) | instid1(SALU_CYCLE_1)
	s_add_co_i32 s3, s3, s4
	s_mul_i32 s2, s3, s2
	s_delay_alu instid0(SALU_CYCLE_1) | instskip(NEXT) | instid1(SALU_CYCLE_1)
	s_add_co_i32 s14, s2, ttmp9
	s_cmp_ge_u32 s14, s24
	s_cbranch_scc1 .LBB210_113
; %bb.1:
	s_load_b32 s4, s[0:1], 0xd0
	s_mov_b32 s3, 0
	s_mov_b32 s2, s14
	s_wait_kmcnt 0x0
	s_cmp_lt_i32 s4, 2
	s_cbranch_scc1 .LBB210_4
; %bb.2:
	s_add_co_i32 s2, s4, -1
	s_delay_alu instid0(SALU_CYCLE_1)
	s_lshl_b64 s[6:7], s[2:3], 2
	s_mov_b32 s2, s14
	s_add_nc_u64 s[8:9], s[0:1], s[6:7]
	s_add_co_i32 s6, s4, 1
	s_add_nc_u64 s[4:5], s[8:9], 8
.LBB210_3:                              ; =>This Inner Loop Header: Depth=1
	s_clause 0x1
	s_load_b32 s7, s[4:5], 0x0
	s_load_b32 s8, s[4:5], 0x64
	s_mov_b32 s11, s2
	s_add_nc_u64 s[4:5], s[4:5], -4
	s_wait_kmcnt 0x0
	s_cvt_f32_u32 s9, s7
	s_sub_co_i32 s10, 0, s7
	s_wait_alu 0xfffe
	s_delay_alu instid0(SALU_CYCLE_1) | instskip(NEXT) | instid1(TRANS32_DEP_1)
	v_rcp_iflag_f32_e32 v1, s9
	v_readfirstlane_b32 s9, v1
	s_mul_f32 s9, s9, 0x4f7ffffe
	s_wait_alu 0xfffe
	s_delay_alu instid0(SALU_CYCLE_2) | instskip(SKIP_1) | instid1(SALU_CYCLE_2)
	s_cvt_u32_f32 s9, s9
	s_wait_alu 0xfffe
	s_mul_i32 s10, s10, s9
	s_delay_alu instid0(SALU_CYCLE_1) | instskip(NEXT) | instid1(SALU_CYCLE_1)
	s_mul_hi_u32 s10, s9, s10
	s_add_co_i32 s9, s9, s10
	s_wait_alu 0xfffe
	s_mul_hi_u32 s2, s2, s9
	s_delay_alu instid0(SALU_CYCLE_1)
	s_mul_i32 s9, s2, s7
	s_add_co_i32 s10, s2, 1
	s_wait_alu 0xfffe
	s_sub_co_i32 s9, s11, s9
	s_wait_alu 0xfffe
	s_sub_co_i32 s12, s9, s7
	s_cmp_ge_u32 s9, s7
	s_cselect_b32 s2, s10, s2
	s_cselect_b32 s9, s12, s9
	s_add_co_i32 s10, s2, 1
	s_wait_alu 0xfffe
	s_cmp_ge_u32 s9, s7
	s_cselect_b32 s2, s10, s2
	s_add_co_i32 s6, s6, -1
	s_mul_i32 s7, s2, s7
	s_delay_alu instid0(SALU_CYCLE_1) | instskip(NEXT) | instid1(SALU_CYCLE_1)
	s_sub_co_i32 s7, s11, s7
	s_mul_i32 s7, s8, s7
	s_delay_alu instid0(SALU_CYCLE_1)
	s_add_co_i32 s3, s7, s3
	s_cmp_gt_u32 s6, 2
	s_cbranch_scc1 .LBB210_3
.LBB210_4:
	s_load_b32 s4, s[0:1], 0x1b8
	s_add_nc_u64 s[34:35], s[0:1], 0x1c8
	s_mov_b32 s13, 0
	s_wait_kmcnt 0x0
	s_cmp_lt_i32 s4, 2
	s_cbranch_scc1 .LBB210_7
; %bb.5:
	s_add_co_i32 s12, s4, -1
	s_delay_alu instid0(SALU_CYCLE_1) | instskip(NEXT) | instid1(SALU_CYCLE_1)
	s_lshl_b64 s[6:7], s[12:13], 2
	s_add_nc_u64 s[8:9], s[0:1], s[6:7]
	s_add_co_i32 s6, s4, 1
	s_wait_alu 0xfffe
	s_add_nc_u64 s[4:5], s[8:9], 0xf0
.LBB210_6:                              ; =>This Inner Loop Header: Depth=1
	s_clause 0x1
	s_load_b32 s7, s[4:5], 0x0
	s_load_b32 s8, s[4:5], 0x64
	s_mov_b32 s11, s14
	s_add_nc_u64 s[4:5], s[4:5], -4
	s_wait_kmcnt 0x0
	s_cvt_f32_u32 s9, s7
	s_sub_co_i32 s10, 0, s7
	s_wait_alu 0xfffe
	s_delay_alu instid0(SALU_CYCLE_1) | instskip(NEXT) | instid1(TRANS32_DEP_1)
	v_rcp_iflag_f32_e32 v1, s9
	v_readfirstlane_b32 s9, v1
	s_mul_f32 s9, s9, 0x4f7ffffe
	s_wait_alu 0xfffe
	s_delay_alu instid0(SALU_CYCLE_2) | instskip(SKIP_1) | instid1(SALU_CYCLE_2)
	s_cvt_u32_f32 s9, s9
	s_wait_alu 0xfffe
	s_mul_i32 s10, s10, s9
	s_delay_alu instid0(SALU_CYCLE_1) | instskip(NEXT) | instid1(SALU_CYCLE_1)
	s_mul_hi_u32 s10, s9, s10
	s_add_co_i32 s9, s9, s10
	s_wait_alu 0xfffe
	s_mul_hi_u32 s9, s14, s9
	s_wait_alu 0xfffe
	s_mul_i32 s10, s9, s7
	s_add_co_i32 s12, s9, 1
	s_sub_co_i32 s10, s14, s10
	s_delay_alu instid0(SALU_CYCLE_1)
	s_sub_co_i32 s14, s10, s7
	s_cmp_ge_u32 s10, s7
	s_cselect_b32 s9, s12, s9
	s_cselect_b32 s10, s14, s10
	s_wait_alu 0xfffe
	s_add_co_i32 s12, s9, 1
	s_cmp_ge_u32 s10, s7
	s_cselect_b32 s14, s12, s9
	s_add_co_i32 s6, s6, -1
	s_mul_i32 s7, s14, s7
	s_delay_alu instid0(SALU_CYCLE_1) | instskip(NEXT) | instid1(SALU_CYCLE_1)
	s_sub_co_i32 s7, s11, s7
	s_mul_i32 s7, s8, s7
	s_delay_alu instid0(SALU_CYCLE_1)
	s_add_co_i32 s13, s7, s13
	s_cmp_gt_u32 s6, 2
	s_cbranch_scc1 .LBB210_6
.LBB210_7:
	s_clause 0x2
	s_load_b32 s4, s[0:1], 0x6c
	s_load_b64 s[28:29], s[0:1], 0x1c0
	s_load_b64 s[16:17], s[0:1], 0x0
	s_mov_b32 s19, 0
	s_wait_kmcnt 0x0
	s_mul_i32 s2, s4, s2
	s_delay_alu instid0(SALU_CYCLE_1) | instskip(SKIP_2) | instid1(SALU_CYCLE_1)
	s_add_co_i32 s18, s2, s3
	s_bitcmp1_b32 s29, 0
	s_cselect_b32 s12, -1, 0
	s_and_b32 s2, s12, exec_lo
	s_cselect_b32 s4, -1, 0x7fffffff
	s_lshl_b64 s[18:19], s[18:19], 2
	s_mov_b32 s5, s4
	s_mov_b32 s6, s4
	;; [unrolled: 1-line block ×7, first 2 shown]
	v_and_b32_e32 v45, 0x3ff, v0
	v_dual_mov_b32 v1, s4 :: v_dual_mov_b32 v4, s7
	v_dual_mov_b32 v2, s5 :: v_dual_mov_b32 v3, s6
	s_wait_alu 0xfffe
	v_mov_b32_e32 v6, s9
	v_mul_lo_u32 v43, s26, v45
	v_cmp_gt_u32_e64 s2, s25, v45
	v_dual_mov_b32 v5, s8 :: v_dual_mov_b32 v8, s11
	v_mov_b32_e32 v7, s10
	v_mov_b32_e32 v9, s4
	s_add_nc_u64 s[30:31], s[16:17], s[18:19]
	s_and_saveexec_b32 s3, s2
	s_cbranch_execz .LBB210_9
; %bb.8:
	v_mov_b32_e32 v44, 0
	s_delay_alu instid0(VALU_DEP_1) | instskip(NEXT) | instid1(VALU_DEP_1)
	v_lshlrev_b64_e32 v[1:2], 2, v[43:44]
	v_add_co_u32 v1, vcc_lo, s30, v1
	s_delay_alu instid0(VALU_DEP_1)
	v_add_co_ci_u32_e64 v2, null, s31, v2, vcc_lo
	global_load_b32 v9, v[1:2], off
	v_dual_mov_b32 v1, s4 :: v_dual_mov_b32 v2, s5
	v_dual_mov_b32 v3, s6 :: v_dual_mov_b32 v4, s7
	;; [unrolled: 1-line block ×4, first 2 shown]
.LBB210_9:
	s_or_b32 exec_lo, exec_lo, s3
	v_add_nc_u32_e32 v15, 0x200, v45
	s_delay_alu instid0(VALU_DEP_1)
	v_cmp_gt_u32_e64 s3, s25, v15
	s_and_saveexec_b32 s4, s3
	s_cbranch_execz .LBB210_11
; %bb.10:
	v_mul_lo_u32 v1, s26, v15
	v_mov_b32_e32 v2, 0
	s_delay_alu instid0(VALU_DEP_1) | instskip(NEXT) | instid1(VALU_DEP_1)
	v_lshlrev_b64_e32 v[1:2], 2, v[1:2]
	v_add_co_u32 v1, vcc_lo, s30, v1
	s_wait_alu 0xfffd
	s_delay_alu instid0(VALU_DEP_2)
	v_add_co_ci_u32_e64 v2, null, s31, v2, vcc_lo
	global_load_b32 v2, v[1:2], off
.LBB210_11:
	s_wait_alu 0xfffe
	s_or_b32 exec_lo, exec_lo, s4
	v_or_b32_e32 v16, 0x400, v45
	s_delay_alu instid0(VALU_DEP_1)
	v_cmp_gt_u32_e64 s4, s25, v16
	s_and_saveexec_b32 s5, s4
	s_cbranch_execz .LBB210_13
; %bb.12:
	v_mul_lo_u32 v10, s26, v16
	v_mov_b32_e32 v11, 0
	s_delay_alu instid0(VALU_DEP_1) | instskip(NEXT) | instid1(VALU_DEP_1)
	v_lshlrev_b64_e32 v[10:11], 2, v[10:11]
	v_add_co_u32 v10, vcc_lo, s30, v10
	s_wait_alu 0xfffd
	s_delay_alu instid0(VALU_DEP_2)
	v_add_co_ci_u32_e64 v11, null, s31, v11, vcc_lo
	global_load_b32 v3, v[10:11], off
.LBB210_13:
	s_wait_alu 0xfffe
	s_or_b32 exec_lo, exec_lo, s5
	v_add_nc_u32_e32 v17, 0x600, v45
	s_delay_alu instid0(VALU_DEP_1)
	v_cmp_gt_u32_e64 s5, s25, v17
	s_and_saveexec_b32 s6, s5
	s_cbranch_execz .LBB210_15
; %bb.14:
	v_mul_lo_u32 v10, s26, v17
	v_mov_b32_e32 v11, 0
	s_delay_alu instid0(VALU_DEP_1) | instskip(NEXT) | instid1(VALU_DEP_1)
	v_lshlrev_b64_e32 v[10:11], 2, v[10:11]
	v_add_co_u32 v10, vcc_lo, s30, v10
	s_wait_alu 0xfffd
	s_delay_alu instid0(VALU_DEP_2)
	v_add_co_ci_u32_e64 v11, null, s31, v11, vcc_lo
	global_load_b32 v4, v[10:11], off
.LBB210_15:
	s_wait_alu 0xfffe
	s_or_b32 exec_lo, exec_lo, s6
	v_or_b32_e32 v18, 0x800, v45
	s_delay_alu instid0(VALU_DEP_1)
	v_cmp_gt_u32_e64 s6, s25, v18
	s_and_saveexec_b32 s7, s6
	s_cbranch_execz .LBB210_17
; %bb.16:
	v_mul_lo_u32 v10, s26, v18
	v_mov_b32_e32 v11, 0
	s_delay_alu instid0(VALU_DEP_1) | instskip(NEXT) | instid1(VALU_DEP_1)
	v_lshlrev_b64_e32 v[10:11], 2, v[10:11]
	v_add_co_u32 v10, vcc_lo, s30, v10
	s_wait_alu 0xfffd
	s_delay_alu instid0(VALU_DEP_2)
	v_add_co_ci_u32_e64 v11, null, s31, v11, vcc_lo
	global_load_b32 v5, v[10:11], off
.LBB210_17:
	s_wait_alu 0xfffe
	s_or_b32 exec_lo, exec_lo, s7
	v_add_nc_u32_e32 v19, 0xa00, v45
	s_delay_alu instid0(VALU_DEP_1)
	v_cmp_gt_u32_e64 s7, s25, v19
	s_and_saveexec_b32 s8, s7
	s_cbranch_execz .LBB210_19
; %bb.18:
	v_mul_lo_u32 v10, s26, v19
	v_mov_b32_e32 v11, 0
	s_delay_alu instid0(VALU_DEP_1) | instskip(NEXT) | instid1(VALU_DEP_1)
	v_lshlrev_b64_e32 v[10:11], 2, v[10:11]
	v_add_co_u32 v10, vcc_lo, s30, v10
	s_wait_alu 0xfffd
	s_delay_alu instid0(VALU_DEP_2)
	v_add_co_ci_u32_e64 v11, null, s31, v11, vcc_lo
	global_load_b32 v6, v[10:11], off
.LBB210_19:
	s_wait_alu 0xfffe
	s_or_b32 exec_lo, exec_lo, s8
	v_or_b32_e32 v20, 0xc00, v45
	s_delay_alu instid0(VALU_DEP_1)
	v_cmp_gt_u32_e64 s8, s25, v20
	s_and_saveexec_b32 s9, s8
	s_cbranch_execz .LBB210_21
; %bb.20:
	v_mul_lo_u32 v10, s26, v20
	v_mov_b32_e32 v11, 0
	s_delay_alu instid0(VALU_DEP_1) | instskip(NEXT) | instid1(VALU_DEP_1)
	v_lshlrev_b64_e32 v[10:11], 2, v[10:11]
	v_add_co_u32 v10, vcc_lo, s30, v10
	s_wait_alu 0xfffd
	s_delay_alu instid0(VALU_DEP_2)
	v_add_co_ci_u32_e64 v11, null, s31, v11, vcc_lo
	global_load_b32 v7, v[10:11], off
.LBB210_21:
	s_wait_alu 0xfffe
	s_or_b32 exec_lo, exec_lo, s9
	s_clause 0x1
	s_load_b32 s9, s[0:1], 0x154
	s_load_b64 s[10:11], s[0:1], 0xe8
	v_add_nc_u32_e32 v21, 0xe00, v45
	s_delay_alu instid0(VALU_DEP_1)
	v_cmp_gt_u32_e64 s0, s25, v21
	s_and_saveexec_b32 s1, s0
	s_cbranch_execz .LBB210_23
; %bb.22:
	v_mul_lo_u32 v10, s26, v21
	v_mov_b32_e32 v11, 0
	s_delay_alu instid0(VALU_DEP_1) | instskip(NEXT) | instid1(VALU_DEP_1)
	v_lshlrev_b64_e32 v[10:11], 2, v[10:11]
	v_add_co_u32 v10, vcc_lo, s30, v10
	s_wait_alu 0xfffd
	s_delay_alu instid0(VALU_DEP_2)
	v_add_co_ci_u32_e64 v11, null, s31, v11, vcc_lo
	global_load_b32 v8, v[10:11], off
.LBB210_23:
	s_or_b32 exec_lo, exec_lo, s1
	v_lshrrev_b32_e32 v1, 5, v15
	v_lshrrev_b32_e32 v24, 5, v45
	;; [unrolled: 1-line block ×3, first 2 shown]
	s_wait_kmcnt 0x0
	s_mul_i32 s1, s9, s14
	v_mul_lo_u32 v40, s28, v45
	v_add_nc_u32_e32 v25, v1, v45
	v_lshrrev_b32_e32 v1, 5, v17
	v_dual_mov_b32 v41, 0 :: v_dual_add_nc_u32 v26, v24, v45
	v_lshlrev_b32_e32 v91, 3, v45
	v_add_nc_u32_e32 v22, v10, v45
	s_delay_alu instid0(VALU_DEP_4) | instskip(SKIP_2) | instid1(VALU_DEP_4)
	v_add_nc_u32_e32 v23, v1, v45
	v_lshrrev_b32_e32 v1, 5, v18
	v_lshlrev_b32_e32 v72, 2, v26
	v_dual_mov_b32 v42, v41 :: v_dual_lshlrev_b32 v73, 2, v22
	s_delay_alu instid0(VALU_DEP_4) | instskip(NEXT) | instid1(VALU_DEP_4)
	v_lshlrev_b32_e32 v74, 2, v23
	v_add_nc_u32_e32 v27, v1, v45
	v_lshrrev_b32_e32 v1, 5, v19
	s_mov_b32 s15, 0
	v_mov_b32_e32 v10, v41
	s_add_co_i32 s14, s1, s13
	v_lshlrev_b32_e32 v75, 2, v27
	v_add_nc_u32_e32 v31, v1, v45
	v_lshrrev_b32_e32 v1, 2, v45
	v_mov_b32_e32 v13, 0
	v_mov_b32_e32 v14, 0
	v_lshlrev_b32_e32 v44, 2, v25
	v_dual_mov_b32 v11, v41 :: v_dual_lshlrev_b32 v76, 2, v31
	v_add_nc_u32_e32 v30, v1, v91
	v_mov_b32_e32 v1, v41
	s_wait_loadcnt 0x0
	ds_store_b32 v72, v9
	ds_store_b32 v44, v2 offset:2048
	ds_store_b32 v73, v3 offset:4096
	v_lshrrev_b32_e32 v2, 5, v20
	v_lshrrev_b32_e32 v3, 5, v21
	v_lshlrev_b32_e32 v79, 2, v30
	ds_store_b32 v74, v4 offset:6144
	ds_store_b32 v75, v5 offset:8192
	v_dual_mov_b32 v2, v41 :: v_dual_add_nc_u32 v29, v2, v45
	v_dual_mov_b32 v9, v41 :: v_dual_add_nc_u32 v28, v3, v45
	v_mov_b32_e32 v3, v41
	s_delay_alu instid0(VALU_DEP_3) | instskip(NEXT) | instid1(VALU_DEP_3)
	v_dual_mov_b32 v4, v41 :: v_dual_lshlrev_b32 v77, 2, v29
	v_lshlrev_b32_e32 v78, 2, v28
	ds_store_b32 v76, v6 offset:10240
	ds_store_b32 v77, v7 offset:12288
	;; [unrolled: 1-line block ×3, first 2 shown]
	s_wait_dscnt 0x0
	s_barrier_signal -1
	s_barrier_wait -1
	global_inv scope:SCOPE_SE
	v_mov_b32_e32 v8, v41
	ds_load_2addr_b32 v[52:53], v79 offset1:1
	ds_load_2addr_b32 v[50:51], v79 offset0:2 offset1:3
	ds_load_2addr_b32 v[48:49], v79 offset0:4 offset1:5
	;; [unrolled: 1-line block ×3, first 2 shown]
	v_dual_mov_b32 v5, v41 :: v_dual_mov_b32 v6, v41
	v_dual_mov_b32 v7, v41 :: v_dual_mov_b32 v12, v41
	s_lshl_b64 s[14:15], s[14:15], 3
	s_wait_loadcnt_dscnt 0x0
	s_add_nc_u64 s[24:25], s[10:11], s[14:15]
	s_barrier_signal -1
	s_barrier_wait -1
	global_inv scope:SCOPE_SE
	s_and_saveexec_b32 s1, s2
	s_cbranch_execnz .LBB210_59
; %bb.24:
	s_or_b32 exec_lo, exec_lo, s1
	s_and_saveexec_b32 s1, s3
	s_cbranch_execnz .LBB210_60
.LBB210_25:
	s_or_b32 exec_lo, exec_lo, s1
	s_and_saveexec_b32 s1, s4
	s_cbranch_execnz .LBB210_61
.LBB210_26:
	s_or_b32 exec_lo, exec_lo, s1
	s_and_saveexec_b32 s1, s5
	s_cbranch_execnz .LBB210_62
.LBB210_27:
	s_or_b32 exec_lo, exec_lo, s1
	s_and_saveexec_b32 s1, s6
	s_cbranch_execnz .LBB210_63
.LBB210_28:
	s_or_b32 exec_lo, exec_lo, s1
	s_and_saveexec_b32 s1, s7
	s_cbranch_execnz .LBB210_64
.LBB210_29:
	s_or_b32 exec_lo, exec_lo, s1
	s_and_saveexec_b32 s1, s8
	s_cbranch_execnz .LBB210_65
.LBB210_30:
	s_or_b32 exec_lo, exec_lo, s1
	s_xor_b32 s1, s12, -1
	s_and_saveexec_b32 s9, s0
	s_cbranch_execz .LBB210_32
.LBB210_31:
	v_mul_lo_u32 v11, s28, v21
	v_mov_b32_e32 v12, 0
	s_delay_alu instid0(VALU_DEP_1) | instskip(SKIP_1) | instid1(VALU_DEP_1)
	v_lshlrev_b64_e32 v[11:12], 3, v[11:12]
	s_wait_alu 0xfffe
	v_add_co_u32 v11, vcc_lo, s24, v11
	s_wait_alu 0xfffd
	s_delay_alu instid0(VALU_DEP_2)
	v_add_co_ci_u32_e64 v12, null, s25, v12, vcc_lo
	global_load_b64 v[11:12], v[11:12], off
.LBB210_32:
	s_wait_alu 0xfffe
	s_or_b32 exec_lo, exec_lo, s9
	v_lshlrev_b32_e32 v80, 3, v26
	v_lshlrev_b32_e32 v83, 3, v23
	v_lshlrev_b32_e32 v88, 3, v30
	v_lshlrev_b32_e32 v81, 3, v25
	v_lshlrev_b32_e32 v84, 3, v27
	v_lshlrev_b32_e32 v82, 3, v22
	v_lshlrev_b32_e32 v85, 3, v31
	v_lshlrev_b32_e32 v86, 3, v29
	v_lshlrev_b32_e32 v87, 3, v28
	s_wait_loadcnt 0x0
	ds_store_b64 v80, v[13:14]
	ds_store_b64 v81, v[41:42] offset:4096
	ds_store_b64 v82, v[9:10] offset:8192
	;; [unrolled: 1-line block ×7, first 2 shown]
	s_wait_dscnt 0x0
	s_barrier_signal -1
	s_barrier_wait -1
	global_inv scope:SCOPE_SE
	ds_load_2addr_b64 v[20:23], v88 offset1:1
	ds_load_2addr_b64 v[16:19], v88 offset0:2 offset1:3
	ds_load_2addr_b64 v[12:15], v88 offset0:4 offset1:5
	ds_load_2addr_b64 v[8:11], v88 offset0:6 offset1:7
	s_and_b32 vcc_lo, exec_lo, s1
	v_bfe_u32 v95, v0, 10, 10
	v_bfe_u32 v96, v0, 20, 10
	v_mbcnt_lo_u32_b32 v93, -1, 0
	v_and_b32_e32 v94, 0x3e0, v45
	v_lshlrev_b32_e32 v89, 2, v91
	v_cmp_gt_u32_e64 s1, 16, v45
	v_cmp_lt_u32_e64 s9, 31, v45
	v_cmp_eq_u32_e64 s10, 0, v45
	v_lshlrev_b32_e32 v90, 2, v24
	v_mul_i32_i24_e32 v92, 0xffffffe4, v45
	s_wait_loadcnt_dscnt 0x0
	s_barrier_signal -1
	s_barrier_wait -1
	global_inv scope:SCOPE_SE
	s_wait_alu 0xfffe
	s_cbranch_vccz .LBB210_66
; %bb.33:
	v_cmp_lt_i32_e32 vcc_lo, -1, v52
	v_or_b32_e32 v7, v93, v94
	v_and_or_b32 v25, 0x1f00, v91, v93
	s_mov_b32 s20, 0
	s_getpc_b64 s[12:13]
	s_sext_i32_i16 s13, s13
	s_add_co_u32 s12, s12, _ZN7rocprim17ROCPRIM_400000_NS16block_radix_sortIfLj512ELj8ElLj1ELj1ELj0ELNS0_26block_radix_rank_algorithmE1ELNS0_18block_padding_hintE2ELNS0_4arch9wavefront6targetE0EE19radix_bits_per_passE@rel32@lo+8
	s_add_co_ci_u32 s13, s13, _ZN7rocprim17ROCPRIM_400000_NS16block_radix_sortIfLj512ELj8ElLj1ELj1ELj0ELNS0_26block_radix_rank_algorithmE1ELNS0_18block_padding_hintE2ELNS0_4arch9wavefront6targetE0EE19radix_bits_per_passE@rel32@hi+16
	s_wait_alu 0xfffd
	v_cndmask_b32_e64 v0, -1, 0x80000000, vcc_lo
	v_cmp_lt_i32_e32 vcc_lo, -1, v53
	v_lshlrev_b32_e32 v26, 5, v7
	s_mov_b32 s21, s20
	s_mov_b32 s22, s20
	v_xor_b32_e32 v0, v0, v52
	s_wait_alu 0xfffd
	v_cndmask_b32_e64 v1, -1, 0x80000000, vcc_lo
	v_cmp_lt_i32_e32 vcc_lo, -1, v50
	s_mov_b32 s23, s20
	v_lshlrev_b32_e32 v97, 2, v25
	s_load_b32 s19, s[12:13], 0x0
	v_xor_b32_e32 v1, v1, v53
	v_cndmask_b32_e64 v2, -1, 0x80000000, vcc_lo
	v_cmp_lt_i32_e32 vcc_lo, -1, v51
	v_add_nc_u32_e32 v98, v97, v97
	v_and_b32_e32 v36, 16, v93
	v_add_nc_u32_e32 v101, v89, v92
	v_xor_b32_e32 v2, v2, v50
	s_wait_alu 0xfffd
	v_cndmask_b32_e64 v3, -1, 0x80000000, vcc_lo
	v_cmp_lt_i32_e32 vcc_lo, -1, v48
	v_cmp_eq_u32_e64 s16, 0, v36
	s_delay_alu instid0(VALU_DEP_3) | instskip(SKIP_3) | instid1(VALU_DEP_2)
	v_xor_b32_e32 v3, v3, v51
	s_wait_alu 0xfffd
	v_cndmask_b32_e64 v4, -1, 0x80000000, vcc_lo
	v_cmp_lt_i32_e32 vcc_lo, -1, v49
	v_xor_b32_e32 v4, v4, v48
	s_wait_alu 0xfffd
	v_cndmask_b32_e64 v5, -1, 0x80000000, vcc_lo
	v_cmp_lt_i32_e32 vcc_lo, -1, v46
	s_delay_alu instid0(VALU_DEP_2) | instskip(SKIP_3) | instid1(VALU_DEP_2)
	v_xor_b32_e32 v5, v5, v49
	s_wait_alu 0xfffd
	v_cndmask_b32_e64 v6, -1, 0x80000000, vcc_lo
	v_cmp_lt_i32_e32 vcc_lo, -1, v47
	v_xor_b32_e32 v6, v6, v46
	s_wait_alu 0xfffd
	v_cndmask_b32_e64 v24, -1, 0x80000000, vcc_lo
	s_delay_alu instid0(VALU_DEP_1)
	v_xor_b32_e32 v7, v24, v47
	ds_store_b128 v26, v[0:3]
	ds_store_b128 v26, v[4:7] offset:16
	v_add_nc_u32_e32 v0, v26, v26
	; wave barrier
	ds_load_2addr_b32 v[64:65], v97 offset1:32
	ds_load_2addr_b32 v[66:67], v97 offset0:64 offset1:96
	ds_load_2addr_b32 v[68:69], v97 offset0:128 offset1:160
	;; [unrolled: 1-line block ×3, first 2 shown]
	s_wait_loadcnt_dscnt 0x0
	s_barrier_signal -1
	s_barrier_wait -1
	global_inv scope:SCOPE_SE
	ds_store_b128 v0, v[20:23]
	ds_store_b128 v0, v[16:19] offset:16
	ds_store_b128 v0, v[12:15] offset:32
	;; [unrolled: 1-line block ×3, first 2 shown]
	; wave barrier
	ds_load_2addr_b64 v[4:7], v98 offset1:32
	ds_load_2addr_b64 v[24:27], v98 offset0:64 offset1:96
	ds_load_2addr_b64 v[28:31], v98 offset0:128 offset1:160
	;; [unrolled: 1-line block ×3, first 2 shown]
	s_wait_loadcnt_dscnt 0x0
	s_barrier_signal -1
	s_barrier_wait -1
	global_inv scope:SCOPE_SE
	s_load_b32 s11, s[34:35], 0xc
	v_and_b32_e32 v2, 15, v93
	s_delay_alu instid0(VALU_DEP_1)
	v_cmp_eq_u32_e64 s12, 0, v2
	v_cmp_lt_u32_e64 s13, 1, v2
	v_cmp_lt_u32_e64 s15, 7, v2
	s_wait_kmcnt 0x0
	s_lshr_b32 s14, s11, 16
	s_and_b32 s11, s11, 0xffff
	v_mad_u32_u24 v0, v96, s14, v95
	v_cmp_lt_u32_e64 s14, 3, v2
	s_wait_alu 0xfffe
	s_delay_alu instid0(VALU_DEP_2) | instskip(SKIP_2) | instid1(VALU_DEP_2)
	v_mad_co_u64_u32 v[0:1], null, v0, s11, v[45:46]
	v_sub_co_u32 v3, s11, v93, 1
	v_min_u32_e32 v1, 0x1e0, v94
	v_cmp_gt_i32_e32 vcc_lo, 0, v3
	s_delay_alu instid0(VALU_DEP_4) | instskip(NEXT) | instid1(VALU_DEP_3)
	v_lshrrev_b32_e32 v0, 3, v0
	v_or_b32_e32 v1, 31, v1
	s_wait_alu 0xfffd
	s_delay_alu instid0(VALU_DEP_2) | instskip(NEXT) | instid1(VALU_DEP_2)
	v_dual_cndmask_b32 v3, v3, v93 :: v_dual_and_b32 v100, 0x1ffffffc, v0
	v_cmp_eq_u32_e64 s17, v45, v1
	s_delay_alu instid0(VALU_DEP_2)
	v_dual_mov_b32 v0, s20 :: v_dual_lshlrev_b32 v99, 2, v3
	v_dual_mov_b32 v1, s21 :: v_dual_mov_b32 v2, s22
	v_mov_b32_e32 v3, s23
	s_mov_b32 s21, 32
	s_branch .LBB210_35
.LBB210_34:                             ;   in Loop: Header=BB210_35 Depth=1
	s_wait_alu 0xfffe
	s_and_not1_b32 vcc_lo, exec_lo, s18
	s_wait_alu 0xfffe
	s_cbranch_vccz .LBB210_67
.LBB210_35:                             ; =>This Inner Loop Header: Depth=1
	v_dual_mov_b32 v102, v64 :: v_dual_mov_b32 v103, v71
	s_wait_alu 0xfffe
	s_min_u32 s18, s19, s21
	ds_store_b128 v89, v[0:3] offset:64
	ds_store_b128 v89, v[0:3] offset:80
	s_wait_alu 0xfffe
	s_lshl_b32 s18, -1, s18
	v_cmp_ne_u32_e32 vcc_lo, 0x7fffffff, v102
	s_wait_alu 0xfffe
	s_not_b32 s22, s18
	s_wait_loadcnt_dscnt 0x0
	s_barrier_signal -1
	s_barrier_wait -1
	s_wait_alu 0xfffd
	v_dual_cndmask_b32 v36, 0x80000000, v102 :: v_dual_mov_b32 v105, v69
	global_inv scope:SCOPE_SE
	; wave barrier
	v_lshrrev_b32_e32 v36, s20, v36
	v_mov_b32_e32 v107, v67
	v_dual_mov_b32 v109, v65 :: v_dual_mov_b32 v106, v68
	v_mov_b32_e32 v108, v66
	s_wait_alu 0xfffe
	v_and_b32_e32 v64, s22, v36
	v_dual_mov_b32 v104, v70 :: v_dual_mov_b32 v59, v25
	v_dual_mov_b32 v58, v24 :: v_dual_mov_b32 v61, v7
	s_delay_alu instid0(VALU_DEP_3)
	v_and_b32_e32 v36, 1, v64
	v_lshlrev_b32_e32 v37, 30, v64
	v_lshlrev_b32_e32 v38, 29, v64
	;; [unrolled: 1-line block ×4, first 2 shown]
	v_add_co_u32 v36, s18, v36, -1
	s_wait_alu 0xf1ff
	v_cndmask_b32_e64 v41, 0, 1, s18
	v_not_b32_e32 v56, v37
	v_cmp_gt_i32_e64 s18, 0, v37
	v_not_b32_e32 v37, v38
	v_lshlrev_b32_e32 v54, 26, v64
	v_cmp_ne_u32_e32 vcc_lo, 0, v41
	v_ashrrev_i32_e32 v56, 31, v56
	v_lshlrev_b32_e32 v55, 25, v64
	v_ashrrev_i32_e32 v37, 31, v37
	v_lshlrev_b32_e32 v41, 24, v64
	s_wait_alu 0xfffd
	v_xor_b32_e32 v36, vcc_lo, v36
	v_cmp_gt_i32_e32 vcc_lo, 0, v38
	v_not_b32_e32 v38, v39
	s_wait_alu 0xf1ff
	v_xor_b32_e32 v56, s18, v56
	v_cmp_gt_i32_e64 s18, 0, v39
	v_and_b32_e32 v36, exec_lo, v36
	v_not_b32_e32 v39, v42
	v_ashrrev_i32_e32 v38, 31, v38
	s_wait_alu 0xfffd
	v_xor_b32_e32 v37, vcc_lo, v37
	v_cmp_gt_i32_e32 vcc_lo, 0, v42
	v_and_b32_e32 v36, v36, v56
	v_not_b32_e32 v42, v54
	v_ashrrev_i32_e32 v39, 31, v39
	s_wait_alu 0xf1ff
	v_xor_b32_e32 v38, s18, v38
	v_cmp_gt_i32_e64 s18, 0, v54
	v_and_b32_e32 v36, v36, v37
	v_not_b32_e32 v37, v55
	v_ashrrev_i32_e32 v42, 31, v42
	s_wait_alu 0xfffd
	v_xor_b32_e32 v39, vcc_lo, v39
	v_cmp_gt_i32_e32 vcc_lo, 0, v55
	v_and_b32_e32 v36, v36, v38
	v_ashrrev_i32_e32 v37, 31, v37
	s_wait_alu 0xf1ff
	v_xor_b32_e32 v42, s18, v42
	v_dual_mov_b32 v55, v29 :: v_dual_mov_b32 v54, v28
	v_dual_mov_b32 v63, v5 :: v_dual_and_b32 v36, v36, v39
	s_wait_alu 0xfffd
	v_xor_b32_e32 v37, vcc_lo, v37
	v_mov_b32_e32 v62, v4
	v_lshlrev_b32_e32 v4, 6, v64
	v_and_b32_e32 v36, v36, v42
	s_delay_alu instid0(VALU_DEP_2) | instskip(NEXT) | instid1(VALU_DEP_2)
	v_dual_mov_b32 v60, v6 :: v_dual_add_nc_u32 v29, v100, v4
	v_and_b32_e32 v57, v36, v37
	v_dual_mov_b32 v37, v35 :: v_dual_mov_b32 v36, v34
	v_not_b32_e32 v38, v41
	v_cmp_gt_i32_e64 s18, 0, v41
	v_dual_mov_b32 v42, v31 :: v_dual_mov_b32 v41, v30
	s_delay_alu instid0(VALU_DEP_3) | instskip(SKIP_1) | instid1(VALU_DEP_1)
	v_ashrrev_i32_e32 v38, 31, v38
	s_wait_alu 0xf1ff
	v_xor_b32_e32 v56, s18, v38
	v_dual_mov_b32 v39, v33 :: v_dual_mov_b32 v38, v32
	s_delay_alu instid0(VALU_DEP_2) | instskip(SKIP_1) | instid1(VALU_DEP_2)
	v_dual_mov_b32 v57, v27 :: v_dual_and_b32 v30, v57, v56
	v_mov_b32_e32 v56, v26
	v_mbcnt_lo_u32_b32 v28, v30, 0
	v_cmp_ne_u32_e64 s18, 0, v30
	s_delay_alu instid0(VALU_DEP_2)
	v_cmp_eq_u32_e32 vcc_lo, 0, v28
	s_and_b32 s23, s18, vcc_lo
	s_wait_alu 0xfffe
	s_and_saveexec_b32 s18, s23
; %bb.36:                               ;   in Loop: Header=BB210_35 Depth=1
	v_bcnt_u32_b32 v4, v30, 0
	ds_store_b32 v29, v4 offset:64
; %bb.37:                               ;   in Loop: Header=BB210_35 Depth=1
	s_wait_alu 0xfffe
	s_or_b32 exec_lo, exec_lo, s18
	v_cmp_ne_u32_e32 vcc_lo, 0x7fffffff, v109
	; wave barrier
	s_wait_alu 0xfffd
	v_cndmask_b32_e32 v4, 0x80000000, v109, vcc_lo
	s_delay_alu instid0(VALU_DEP_1) | instskip(NEXT) | instid1(VALU_DEP_1)
	v_lshrrev_b32_e32 v4, s20, v4
	v_and_b32_e32 v4, s22, v4
	s_delay_alu instid0(VALU_DEP_1)
	v_and_b32_e32 v5, 1, v4
	v_lshlrev_b32_e32 v6, 30, v4
	v_lshlrev_b32_e32 v7, 29, v4
	;; [unrolled: 1-line block ×4, first 2 shown]
	v_add_co_u32 v5, s18, v5, -1
	s_wait_alu 0xf1ff
	v_cndmask_b32_e64 v25, 0, 1, s18
	v_not_b32_e32 v31, v6
	v_cmp_gt_i32_e64 s18, 0, v6
	v_not_b32_e32 v6, v7
	v_lshlrev_b32_e32 v27, 26, v4
	v_cmp_ne_u32_e32 vcc_lo, 0, v25
	v_ashrrev_i32_e32 v31, 31, v31
	v_lshlrev_b32_e32 v30, 25, v4
	v_ashrrev_i32_e32 v6, 31, v6
	v_lshlrev_b32_e32 v25, 24, v4
	s_wait_alu 0xfffd
	v_xor_b32_e32 v5, vcc_lo, v5
	v_cmp_gt_i32_e32 vcc_lo, 0, v7
	v_not_b32_e32 v7, v24
	s_wait_alu 0xf1ff
	v_xor_b32_e32 v31, s18, v31
	v_cmp_gt_i32_e64 s18, 0, v24
	v_and_b32_e32 v5, exec_lo, v5
	v_not_b32_e32 v24, v26
	v_ashrrev_i32_e32 v7, 31, v7
	s_wait_alu 0xfffd
	v_xor_b32_e32 v6, vcc_lo, v6
	v_cmp_gt_i32_e32 vcc_lo, 0, v26
	v_and_b32_e32 v5, v5, v31
	v_not_b32_e32 v26, v27
	v_ashrrev_i32_e32 v24, 31, v24
	s_wait_alu 0xf1ff
	v_xor_b32_e32 v7, s18, v7
	v_cmp_gt_i32_e64 s18, 0, v27
	v_and_b32_e32 v5, v5, v6
	v_not_b32_e32 v6, v30
	v_ashrrev_i32_e32 v26, 31, v26
	s_wait_alu 0xfffd
	v_xor_b32_e32 v24, vcc_lo, v24
	v_cmp_gt_i32_e32 vcc_lo, 0, v30
	v_and_b32_e32 v5, v5, v7
	v_not_b32_e32 v7, v25
	v_ashrrev_i32_e32 v6, 31, v6
	s_wait_alu 0xf1ff
	v_xor_b32_e32 v26, s18, v26
	v_lshlrev_b32_e32 v4, 6, v4
	v_and_b32_e32 v5, v5, v24
	v_cmp_gt_i32_e64 s18, 0, v25
	v_ashrrev_i32_e32 v7, 31, v7
	s_wait_alu 0xfffd
	v_xor_b32_e32 v6, vcc_lo, v6
	v_add_nc_u32_e32 v32, v100, v4
	v_and_b32_e32 v5, v5, v26
	s_wait_alu 0xf1ff
	v_xor_b32_e32 v4, s18, v7
	ds_load_b32 v30, v32 offset:64
	v_and_b32_e32 v5, v5, v6
	; wave barrier
	s_delay_alu instid0(VALU_DEP_1) | instskip(NEXT) | instid1(VALU_DEP_1)
	v_and_b32_e32 v4, v5, v4
	v_mbcnt_lo_u32_b32 v31, v4, 0
	v_cmp_ne_u32_e64 s18, 0, v4
	s_delay_alu instid0(VALU_DEP_2)
	v_cmp_eq_u32_e32 vcc_lo, 0, v31
	s_and_b32 s23, s18, vcc_lo
	s_wait_alu 0xfffe
	s_and_saveexec_b32 s18, s23
	s_cbranch_execz .LBB210_39
; %bb.38:                               ;   in Loop: Header=BB210_35 Depth=1
	s_wait_dscnt 0x0
	v_bcnt_u32_b32 v4, v4, v30
	ds_store_b32 v32, v4 offset:64
.LBB210_39:                             ;   in Loop: Header=BB210_35 Depth=1
	s_wait_alu 0xfffe
	s_or_b32 exec_lo, exec_lo, s18
	v_cmp_ne_u32_e32 vcc_lo, 0x7fffffff, v108
	; wave barrier
	s_wait_alu 0xfffd
	v_cndmask_b32_e32 v4, 0x80000000, v108, vcc_lo
	s_delay_alu instid0(VALU_DEP_1) | instskip(NEXT) | instid1(VALU_DEP_1)
	v_lshrrev_b32_e32 v4, s20, v4
	v_and_b32_e32 v4, s22, v4
	s_delay_alu instid0(VALU_DEP_1)
	v_and_b32_e32 v5, 1, v4
	v_lshlrev_b32_e32 v6, 30, v4
	v_lshlrev_b32_e32 v7, 29, v4
	;; [unrolled: 1-line block ×4, first 2 shown]
	v_add_co_u32 v5, s18, v5, -1
	s_wait_alu 0xf1ff
	v_cndmask_b32_e64 v25, 0, 1, s18
	v_not_b32_e32 v34, v6
	v_cmp_gt_i32_e64 s18, 0, v6
	v_not_b32_e32 v6, v7
	v_lshlrev_b32_e32 v27, 26, v4
	v_cmp_ne_u32_e32 vcc_lo, 0, v25
	v_ashrrev_i32_e32 v34, 31, v34
	v_lshlrev_b32_e32 v33, 25, v4
	v_ashrrev_i32_e32 v6, 31, v6
	v_lshlrev_b32_e32 v25, 24, v4
	s_wait_alu 0xfffd
	v_xor_b32_e32 v5, vcc_lo, v5
	v_cmp_gt_i32_e32 vcc_lo, 0, v7
	v_not_b32_e32 v7, v24
	s_wait_alu 0xf1ff
	v_xor_b32_e32 v34, s18, v34
	v_cmp_gt_i32_e64 s18, 0, v24
	v_and_b32_e32 v5, exec_lo, v5
	v_not_b32_e32 v24, v26
	v_ashrrev_i32_e32 v7, 31, v7
	s_wait_alu 0xfffd
	v_xor_b32_e32 v6, vcc_lo, v6
	v_cmp_gt_i32_e32 vcc_lo, 0, v26
	v_and_b32_e32 v5, v5, v34
	v_not_b32_e32 v26, v27
	v_ashrrev_i32_e32 v24, 31, v24
	s_wait_alu 0xf1ff
	v_xor_b32_e32 v7, s18, v7
	v_cmp_gt_i32_e64 s18, 0, v27
	v_and_b32_e32 v5, v5, v6
	v_not_b32_e32 v6, v33
	v_ashrrev_i32_e32 v26, 31, v26
	s_wait_alu 0xfffd
	v_xor_b32_e32 v24, vcc_lo, v24
	v_cmp_gt_i32_e32 vcc_lo, 0, v33
	v_and_b32_e32 v5, v5, v7
	v_not_b32_e32 v7, v25
	v_ashrrev_i32_e32 v6, 31, v6
	s_wait_alu 0xf1ff
	v_xor_b32_e32 v26, s18, v26
	v_lshlrev_b32_e32 v4, 6, v4
	v_and_b32_e32 v5, v5, v24
	v_cmp_gt_i32_e64 s18, 0, v25
	v_ashrrev_i32_e32 v7, 31, v7
	s_wait_alu 0xfffd
	v_xor_b32_e32 v6, vcc_lo, v6
	v_add_nc_u32_e32 v35, v100, v4
	v_and_b32_e32 v5, v5, v26
	s_wait_alu 0xf1ff
	v_xor_b32_e32 v4, s18, v7
	ds_load_b32 v33, v35 offset:64
	v_and_b32_e32 v5, v5, v6
	; wave barrier
	s_delay_alu instid0(VALU_DEP_1) | instskip(NEXT) | instid1(VALU_DEP_1)
	v_and_b32_e32 v4, v5, v4
	v_mbcnt_lo_u32_b32 v34, v4, 0
	v_cmp_ne_u32_e64 s18, 0, v4
	s_delay_alu instid0(VALU_DEP_2)
	v_cmp_eq_u32_e32 vcc_lo, 0, v34
	s_and_b32 s23, s18, vcc_lo
	s_wait_alu 0xfffe
	s_and_saveexec_b32 s18, s23
	s_cbranch_execz .LBB210_41
; %bb.40:                               ;   in Loop: Header=BB210_35 Depth=1
	s_wait_dscnt 0x0
	v_bcnt_u32_b32 v4, v4, v33
	ds_store_b32 v35, v4 offset:64
.LBB210_41:                             ;   in Loop: Header=BB210_35 Depth=1
	s_wait_alu 0xfffe
	s_or_b32 exec_lo, exec_lo, s18
	v_cmp_ne_u32_e32 vcc_lo, 0x7fffffff, v107
	; wave barrier
	s_wait_alu 0xfffd
	v_cndmask_b32_e32 v4, 0x80000000, v107, vcc_lo
	s_delay_alu instid0(VALU_DEP_1) | instskip(NEXT) | instid1(VALU_DEP_1)
	v_lshrrev_b32_e32 v4, s20, v4
	v_and_b32_e32 v4, s22, v4
	s_delay_alu instid0(VALU_DEP_1)
	v_and_b32_e32 v5, 1, v4
	v_lshlrev_b32_e32 v6, 30, v4
	v_lshlrev_b32_e32 v7, 29, v4
	;; [unrolled: 1-line block ×4, first 2 shown]
	v_add_co_u32 v5, s18, v5, -1
	s_wait_alu 0xf1ff
	v_cndmask_b32_e64 v25, 0, 1, s18
	v_not_b32_e32 v65, v6
	v_cmp_gt_i32_e64 s18, 0, v6
	v_not_b32_e32 v6, v7
	v_lshlrev_b32_e32 v27, 26, v4
	v_cmp_ne_u32_e32 vcc_lo, 0, v25
	v_ashrrev_i32_e32 v65, 31, v65
	v_lshlrev_b32_e32 v64, 25, v4
	v_ashrrev_i32_e32 v6, 31, v6
	v_lshlrev_b32_e32 v25, 24, v4
	s_wait_alu 0xfffd
	v_xor_b32_e32 v5, vcc_lo, v5
	v_cmp_gt_i32_e32 vcc_lo, 0, v7
	v_not_b32_e32 v7, v24
	s_wait_alu 0xf1ff
	v_xor_b32_e32 v65, s18, v65
	v_cmp_gt_i32_e64 s18, 0, v24
	v_and_b32_e32 v5, exec_lo, v5
	v_not_b32_e32 v24, v26
	v_ashrrev_i32_e32 v7, 31, v7
	s_wait_alu 0xfffd
	v_xor_b32_e32 v6, vcc_lo, v6
	v_cmp_gt_i32_e32 vcc_lo, 0, v26
	v_and_b32_e32 v5, v5, v65
	v_not_b32_e32 v26, v27
	v_ashrrev_i32_e32 v24, 31, v24
	s_wait_alu 0xf1ff
	v_xor_b32_e32 v7, s18, v7
	v_cmp_gt_i32_e64 s18, 0, v27
	v_and_b32_e32 v5, v5, v6
	v_not_b32_e32 v6, v64
	v_ashrrev_i32_e32 v26, 31, v26
	s_wait_alu 0xfffd
	v_xor_b32_e32 v24, vcc_lo, v24
	v_cmp_gt_i32_e32 vcc_lo, 0, v64
	v_and_b32_e32 v5, v5, v7
	v_not_b32_e32 v7, v25
	v_ashrrev_i32_e32 v6, 31, v6
	s_wait_alu 0xf1ff
	v_xor_b32_e32 v26, s18, v26
	v_lshlrev_b32_e32 v4, 6, v4
	v_and_b32_e32 v5, v5, v24
	v_cmp_gt_i32_e64 s18, 0, v25
	v_ashrrev_i32_e32 v7, 31, v7
	s_wait_alu 0xfffd
	v_xor_b32_e32 v6, vcc_lo, v6
	v_add_nc_u32_e32 v66, v100, v4
	v_and_b32_e32 v5, v5, v26
	s_wait_alu 0xf1ff
	v_xor_b32_e32 v4, s18, v7
	ds_load_b32 v64, v66 offset:64
	v_and_b32_e32 v5, v5, v6
	; wave barrier
	s_delay_alu instid0(VALU_DEP_1) | instskip(NEXT) | instid1(VALU_DEP_1)
	v_and_b32_e32 v4, v5, v4
	v_mbcnt_lo_u32_b32 v65, v4, 0
	v_cmp_ne_u32_e64 s18, 0, v4
	s_delay_alu instid0(VALU_DEP_2)
	v_cmp_eq_u32_e32 vcc_lo, 0, v65
	s_and_b32 s23, s18, vcc_lo
	s_wait_alu 0xfffe
	s_and_saveexec_b32 s18, s23
	s_cbranch_execz .LBB210_43
; %bb.42:                               ;   in Loop: Header=BB210_35 Depth=1
	s_wait_dscnt 0x0
	v_bcnt_u32_b32 v4, v4, v64
	ds_store_b32 v66, v4 offset:64
.LBB210_43:                             ;   in Loop: Header=BB210_35 Depth=1
	s_wait_alu 0xfffe
	s_or_b32 exec_lo, exec_lo, s18
	v_cmp_ne_u32_e32 vcc_lo, 0x7fffffff, v106
	; wave barrier
	s_wait_alu 0xfffd
	v_cndmask_b32_e32 v4, 0x80000000, v106, vcc_lo
	s_delay_alu instid0(VALU_DEP_1) | instskip(NEXT) | instid1(VALU_DEP_1)
	v_lshrrev_b32_e32 v4, s20, v4
	v_and_b32_e32 v4, s22, v4
	s_delay_alu instid0(VALU_DEP_1)
	v_and_b32_e32 v5, 1, v4
	v_lshlrev_b32_e32 v6, 30, v4
	v_lshlrev_b32_e32 v7, 29, v4
	;; [unrolled: 1-line block ×4, first 2 shown]
	v_add_co_u32 v5, s18, v5, -1
	s_wait_alu 0xf1ff
	v_cndmask_b32_e64 v25, 0, 1, s18
	v_not_b32_e32 v68, v6
	v_cmp_gt_i32_e64 s18, 0, v6
	v_not_b32_e32 v6, v7
	v_lshlrev_b32_e32 v27, 26, v4
	v_cmp_ne_u32_e32 vcc_lo, 0, v25
	v_ashrrev_i32_e32 v68, 31, v68
	v_lshlrev_b32_e32 v67, 25, v4
	v_ashrrev_i32_e32 v6, 31, v6
	v_lshlrev_b32_e32 v25, 24, v4
	s_wait_alu 0xfffd
	v_xor_b32_e32 v5, vcc_lo, v5
	v_cmp_gt_i32_e32 vcc_lo, 0, v7
	v_not_b32_e32 v7, v24
	s_wait_alu 0xf1ff
	v_xor_b32_e32 v68, s18, v68
	v_cmp_gt_i32_e64 s18, 0, v24
	v_and_b32_e32 v5, exec_lo, v5
	v_not_b32_e32 v24, v26
	v_ashrrev_i32_e32 v7, 31, v7
	s_wait_alu 0xfffd
	v_xor_b32_e32 v6, vcc_lo, v6
	v_cmp_gt_i32_e32 vcc_lo, 0, v26
	v_and_b32_e32 v5, v5, v68
	v_not_b32_e32 v26, v27
	v_ashrrev_i32_e32 v24, 31, v24
	s_wait_alu 0xf1ff
	v_xor_b32_e32 v7, s18, v7
	v_cmp_gt_i32_e64 s18, 0, v27
	v_and_b32_e32 v5, v5, v6
	v_not_b32_e32 v6, v67
	v_ashrrev_i32_e32 v26, 31, v26
	s_wait_alu 0xfffd
	v_xor_b32_e32 v24, vcc_lo, v24
	v_cmp_gt_i32_e32 vcc_lo, 0, v67
	v_and_b32_e32 v5, v5, v7
	v_not_b32_e32 v7, v25
	v_ashrrev_i32_e32 v6, 31, v6
	s_wait_alu 0xf1ff
	v_xor_b32_e32 v26, s18, v26
	v_lshlrev_b32_e32 v4, 6, v4
	v_and_b32_e32 v5, v5, v24
	v_cmp_gt_i32_e64 s18, 0, v25
	v_ashrrev_i32_e32 v7, 31, v7
	s_wait_alu 0xfffd
	v_xor_b32_e32 v6, vcc_lo, v6
	v_add_nc_u32_e32 v69, v100, v4
	v_and_b32_e32 v5, v5, v26
	s_wait_alu 0xf1ff
	v_xor_b32_e32 v4, s18, v7
	ds_load_b32 v67, v69 offset:64
	v_and_b32_e32 v5, v5, v6
	; wave barrier
	s_delay_alu instid0(VALU_DEP_1) | instskip(NEXT) | instid1(VALU_DEP_1)
	v_and_b32_e32 v4, v5, v4
	v_mbcnt_lo_u32_b32 v68, v4, 0
	v_cmp_ne_u32_e64 s18, 0, v4
	s_delay_alu instid0(VALU_DEP_2)
	v_cmp_eq_u32_e32 vcc_lo, 0, v68
	s_and_b32 s23, s18, vcc_lo
	s_wait_alu 0xfffe
	s_and_saveexec_b32 s18, s23
	s_cbranch_execz .LBB210_45
; %bb.44:                               ;   in Loop: Header=BB210_35 Depth=1
	s_wait_dscnt 0x0
	v_bcnt_u32_b32 v4, v4, v67
	ds_store_b32 v69, v4 offset:64
.LBB210_45:                             ;   in Loop: Header=BB210_35 Depth=1
	s_wait_alu 0xfffe
	s_or_b32 exec_lo, exec_lo, s18
	v_cmp_ne_u32_e32 vcc_lo, 0x7fffffff, v105
	; wave barrier
	s_wait_alu 0xfffd
	v_cndmask_b32_e32 v4, 0x80000000, v105, vcc_lo
	s_delay_alu instid0(VALU_DEP_1) | instskip(NEXT) | instid1(VALU_DEP_1)
	v_lshrrev_b32_e32 v4, s20, v4
	v_and_b32_e32 v4, s22, v4
	s_delay_alu instid0(VALU_DEP_1)
	v_and_b32_e32 v5, 1, v4
	v_lshlrev_b32_e32 v6, 30, v4
	v_lshlrev_b32_e32 v7, 29, v4
	;; [unrolled: 1-line block ×4, first 2 shown]
	v_add_co_u32 v5, s18, v5, -1
	s_wait_alu 0xf1ff
	v_cndmask_b32_e64 v25, 0, 1, s18
	v_not_b32_e32 v71, v6
	v_cmp_gt_i32_e64 s18, 0, v6
	v_not_b32_e32 v6, v7
	v_lshlrev_b32_e32 v27, 26, v4
	v_cmp_ne_u32_e32 vcc_lo, 0, v25
	v_ashrrev_i32_e32 v71, 31, v71
	v_lshlrev_b32_e32 v70, 25, v4
	v_ashrrev_i32_e32 v6, 31, v6
	v_lshlrev_b32_e32 v25, 24, v4
	s_wait_alu 0xfffd
	v_xor_b32_e32 v5, vcc_lo, v5
	v_cmp_gt_i32_e32 vcc_lo, 0, v7
	v_not_b32_e32 v7, v24
	s_wait_alu 0xf1ff
	v_xor_b32_e32 v71, s18, v71
	v_cmp_gt_i32_e64 s18, 0, v24
	v_and_b32_e32 v5, exec_lo, v5
	v_not_b32_e32 v24, v26
	v_ashrrev_i32_e32 v7, 31, v7
	s_wait_alu 0xfffd
	v_xor_b32_e32 v6, vcc_lo, v6
	v_cmp_gt_i32_e32 vcc_lo, 0, v26
	v_and_b32_e32 v5, v5, v71
	v_not_b32_e32 v26, v27
	v_ashrrev_i32_e32 v24, 31, v24
	s_wait_alu 0xf1ff
	v_xor_b32_e32 v7, s18, v7
	v_cmp_gt_i32_e64 s18, 0, v27
	v_and_b32_e32 v5, v5, v6
	v_not_b32_e32 v6, v70
	v_ashrrev_i32_e32 v26, 31, v26
	s_wait_alu 0xfffd
	v_xor_b32_e32 v24, vcc_lo, v24
	v_cmp_gt_i32_e32 vcc_lo, 0, v70
	v_and_b32_e32 v5, v5, v7
	v_not_b32_e32 v7, v25
	v_ashrrev_i32_e32 v6, 31, v6
	s_wait_alu 0xf1ff
	v_xor_b32_e32 v26, s18, v26
	v_lshlrev_b32_e32 v4, 6, v4
	v_and_b32_e32 v5, v5, v24
	v_cmp_gt_i32_e64 s18, 0, v25
	v_ashrrev_i32_e32 v7, 31, v7
	s_wait_alu 0xfffd
	v_xor_b32_e32 v6, vcc_lo, v6
	v_add_nc_u32_e32 v71, v100, v4
	v_and_b32_e32 v5, v5, v26
	s_wait_alu 0xf1ff
	v_xor_b32_e32 v4, s18, v7
	ds_load_b32 v70, v71 offset:64
	v_and_b32_e32 v5, v5, v6
	; wave barrier
	s_delay_alu instid0(VALU_DEP_1) | instskip(NEXT) | instid1(VALU_DEP_1)
	v_and_b32_e32 v4, v5, v4
	v_mbcnt_lo_u32_b32 v110, v4, 0
	v_cmp_ne_u32_e64 s18, 0, v4
	s_delay_alu instid0(VALU_DEP_2)
	v_cmp_eq_u32_e32 vcc_lo, 0, v110
	s_and_b32 s23, s18, vcc_lo
	s_wait_alu 0xfffe
	s_and_saveexec_b32 s18, s23
	s_cbranch_execz .LBB210_47
; %bb.46:                               ;   in Loop: Header=BB210_35 Depth=1
	s_wait_dscnt 0x0
	v_bcnt_u32_b32 v4, v4, v70
	ds_store_b32 v71, v4 offset:64
.LBB210_47:                             ;   in Loop: Header=BB210_35 Depth=1
	s_wait_alu 0xfffe
	s_or_b32 exec_lo, exec_lo, s18
	v_cmp_ne_u32_e32 vcc_lo, 0x7fffffff, v104
	; wave barrier
	s_wait_alu 0xfffd
	v_cndmask_b32_e32 v4, 0x80000000, v104, vcc_lo
	s_delay_alu instid0(VALU_DEP_1) | instskip(NEXT) | instid1(VALU_DEP_1)
	v_lshrrev_b32_e32 v4, s20, v4
	v_and_b32_e32 v4, s22, v4
	s_delay_alu instid0(VALU_DEP_1)
	v_and_b32_e32 v5, 1, v4
	v_lshlrev_b32_e32 v6, 30, v4
	v_lshlrev_b32_e32 v7, 29, v4
	;; [unrolled: 1-line block ×4, first 2 shown]
	v_add_co_u32 v5, s18, v5, -1
	s_wait_alu 0xf1ff
	v_cndmask_b32_e64 v25, 0, 1, s18
	v_not_b32_e32 v112, v6
	v_cmp_gt_i32_e64 s18, 0, v6
	v_not_b32_e32 v6, v7
	v_lshlrev_b32_e32 v27, 26, v4
	v_cmp_ne_u32_e32 vcc_lo, 0, v25
	v_ashrrev_i32_e32 v112, 31, v112
	v_lshlrev_b32_e32 v111, 25, v4
	v_ashrrev_i32_e32 v6, 31, v6
	v_lshlrev_b32_e32 v25, 24, v4
	s_wait_alu 0xfffd
	v_xor_b32_e32 v5, vcc_lo, v5
	v_cmp_gt_i32_e32 vcc_lo, 0, v7
	v_not_b32_e32 v7, v24
	s_wait_alu 0xf1ff
	v_xor_b32_e32 v112, s18, v112
	v_cmp_gt_i32_e64 s18, 0, v24
	v_and_b32_e32 v5, exec_lo, v5
	v_not_b32_e32 v24, v26
	v_ashrrev_i32_e32 v7, 31, v7
	s_wait_alu 0xfffd
	v_xor_b32_e32 v6, vcc_lo, v6
	v_cmp_gt_i32_e32 vcc_lo, 0, v26
	v_and_b32_e32 v5, v5, v112
	v_not_b32_e32 v26, v27
	v_ashrrev_i32_e32 v24, 31, v24
	s_wait_alu 0xf1ff
	v_xor_b32_e32 v7, s18, v7
	v_cmp_gt_i32_e64 s18, 0, v27
	v_and_b32_e32 v5, v5, v6
	v_not_b32_e32 v6, v111
	v_ashrrev_i32_e32 v26, 31, v26
	s_wait_alu 0xfffd
	v_xor_b32_e32 v24, vcc_lo, v24
	v_cmp_gt_i32_e32 vcc_lo, 0, v111
	v_and_b32_e32 v5, v5, v7
	v_not_b32_e32 v7, v25
	v_ashrrev_i32_e32 v6, 31, v6
	s_wait_alu 0xf1ff
	v_xor_b32_e32 v26, s18, v26
	v_lshlrev_b32_e32 v4, 6, v4
	v_and_b32_e32 v5, v5, v24
	v_cmp_gt_i32_e64 s18, 0, v25
	v_ashrrev_i32_e32 v7, 31, v7
	s_wait_alu 0xfffd
	v_xor_b32_e32 v6, vcc_lo, v6
	v_add_nc_u32_e32 v112, v100, v4
	v_and_b32_e32 v5, v5, v26
	s_wait_alu 0xf1ff
	v_xor_b32_e32 v4, s18, v7
	ds_load_b32 v111, v112 offset:64
	v_and_b32_e32 v5, v5, v6
	; wave barrier
	s_delay_alu instid0(VALU_DEP_1) | instskip(NEXT) | instid1(VALU_DEP_1)
	v_and_b32_e32 v4, v5, v4
	v_mbcnt_lo_u32_b32 v113, v4, 0
	v_cmp_ne_u32_e64 s18, 0, v4
	s_delay_alu instid0(VALU_DEP_2)
	v_cmp_eq_u32_e32 vcc_lo, 0, v113
	s_and_b32 s23, s18, vcc_lo
	s_wait_alu 0xfffe
	s_and_saveexec_b32 s18, s23
	s_cbranch_execz .LBB210_49
; %bb.48:                               ;   in Loop: Header=BB210_35 Depth=1
	s_wait_dscnt 0x0
	v_bcnt_u32_b32 v4, v4, v111
	ds_store_b32 v112, v4 offset:64
.LBB210_49:                             ;   in Loop: Header=BB210_35 Depth=1
	s_wait_alu 0xfffe
	s_or_b32 exec_lo, exec_lo, s18
	v_cmp_ne_u32_e32 vcc_lo, 0x7fffffff, v103
	; wave barrier
	s_wait_alu 0xfffd
	v_cndmask_b32_e32 v4, 0x80000000, v103, vcc_lo
	s_delay_alu instid0(VALU_DEP_1) | instskip(NEXT) | instid1(VALU_DEP_1)
	v_lshrrev_b32_e32 v4, s20, v4
	v_and_b32_e32 v4, s22, v4
	s_delay_alu instid0(VALU_DEP_1)
	v_and_b32_e32 v5, 1, v4
	v_lshlrev_b32_e32 v6, 30, v4
	v_lshlrev_b32_e32 v7, 29, v4
	;; [unrolled: 1-line block ×4, first 2 shown]
	v_add_co_u32 v5, s18, v5, -1
	s_wait_alu 0xf1ff
	v_cndmask_b32_e64 v25, 0, 1, s18
	v_not_b32_e32 v115, v6
	v_cmp_gt_i32_e64 s18, 0, v6
	v_not_b32_e32 v6, v7
	v_lshlrev_b32_e32 v27, 26, v4
	v_cmp_ne_u32_e32 vcc_lo, 0, v25
	v_ashrrev_i32_e32 v115, 31, v115
	v_lshlrev_b32_e32 v114, 25, v4
	v_ashrrev_i32_e32 v6, 31, v6
	v_lshlrev_b32_e32 v25, 24, v4
	s_wait_alu 0xfffd
	v_xor_b32_e32 v5, vcc_lo, v5
	v_cmp_gt_i32_e32 vcc_lo, 0, v7
	v_not_b32_e32 v7, v24
	s_wait_alu 0xf1ff
	v_xor_b32_e32 v115, s18, v115
	v_cmp_gt_i32_e64 s18, 0, v24
	v_and_b32_e32 v5, exec_lo, v5
	v_not_b32_e32 v24, v26
	v_ashrrev_i32_e32 v7, 31, v7
	s_wait_alu 0xfffd
	v_xor_b32_e32 v6, vcc_lo, v6
	v_cmp_gt_i32_e32 vcc_lo, 0, v26
	v_and_b32_e32 v5, v5, v115
	v_not_b32_e32 v26, v27
	v_ashrrev_i32_e32 v24, 31, v24
	s_wait_alu 0xf1ff
	v_xor_b32_e32 v7, s18, v7
	v_cmp_gt_i32_e64 s18, 0, v27
	v_and_b32_e32 v5, v5, v6
	v_not_b32_e32 v6, v114
	v_ashrrev_i32_e32 v26, 31, v26
	s_wait_alu 0xfffd
	v_xor_b32_e32 v24, vcc_lo, v24
	v_cmp_gt_i32_e32 vcc_lo, 0, v114
	v_and_b32_e32 v5, v5, v7
	v_not_b32_e32 v7, v25
	v_ashrrev_i32_e32 v6, 31, v6
	s_wait_alu 0xf1ff
	v_xor_b32_e32 v26, s18, v26
	v_lshlrev_b32_e32 v4, 6, v4
	v_and_b32_e32 v5, v5, v24
	v_cmp_gt_i32_e64 s18, 0, v25
	v_ashrrev_i32_e32 v7, 31, v7
	s_wait_alu 0xfffd
	v_xor_b32_e32 v6, vcc_lo, v6
	v_add_nc_u32_e32 v114, v100, v4
	v_and_b32_e32 v5, v5, v26
	s_wait_alu 0xf1ff
	v_xor_b32_e32 v4, s18, v7
	ds_load_b32 v119, v114 offset:64
	v_and_b32_e32 v5, v5, v6
	; wave barrier
	s_delay_alu instid0(VALU_DEP_1) | instskip(NEXT) | instid1(VALU_DEP_1)
	v_and_b32_e32 v4, v5, v4
	v_mbcnt_lo_u32_b32 v120, v4, 0
	v_cmp_ne_u32_e64 s18, 0, v4
	s_delay_alu instid0(VALU_DEP_2)
	v_cmp_eq_u32_e32 vcc_lo, 0, v120
	s_and_b32 s22, s18, vcc_lo
	s_wait_alu 0xfffe
	s_and_saveexec_b32 s18, s22
	s_cbranch_execz .LBB210_51
; %bb.50:                               ;   in Loop: Header=BB210_35 Depth=1
	s_wait_dscnt 0x0
	v_bcnt_u32_b32 v4, v4, v119
	ds_store_b32 v114, v4 offset:64
.LBB210_51:                             ;   in Loop: Header=BB210_35 Depth=1
	s_wait_alu 0xfffe
	s_or_b32 exec_lo, exec_lo, s18
	; wave barrier
	s_wait_loadcnt_dscnt 0x0
	s_barrier_signal -1
	s_barrier_wait -1
	global_inv scope:SCOPE_SE
	ds_load_b128 v[24:27], v89 offset:64
	ds_load_b128 v[4:7], v89 offset:80
	s_wait_dscnt 0x1
	v_add_nc_u32_e32 v115, v25, v24
	s_delay_alu instid0(VALU_DEP_1) | instskip(SKIP_1) | instid1(VALU_DEP_1)
	v_add3_u32 v115, v115, v26, v27
	s_wait_dscnt 0x0
	v_add3_u32 v115, v115, v4, v5
	s_delay_alu instid0(VALU_DEP_1) | instskip(NEXT) | instid1(VALU_DEP_1)
	v_add3_u32 v7, v115, v6, v7
	v_mov_b32_dpp v115, v7 row_shr:1 row_mask:0xf bank_mask:0xf
	s_delay_alu instid0(VALU_DEP_1) | instskip(NEXT) | instid1(VALU_DEP_1)
	v_cndmask_b32_e64 v115, v115, 0, s12
	v_add_nc_u32_e32 v7, v115, v7
	s_delay_alu instid0(VALU_DEP_1) | instskip(NEXT) | instid1(VALU_DEP_1)
	v_mov_b32_dpp v115, v7 row_shr:2 row_mask:0xf bank_mask:0xf
	v_cndmask_b32_e64 v115, 0, v115, s13
	s_delay_alu instid0(VALU_DEP_1) | instskip(NEXT) | instid1(VALU_DEP_1)
	v_add_nc_u32_e32 v7, v7, v115
	v_mov_b32_dpp v115, v7 row_shr:4 row_mask:0xf bank_mask:0xf
	s_delay_alu instid0(VALU_DEP_1) | instskip(NEXT) | instid1(VALU_DEP_1)
	v_cndmask_b32_e64 v115, 0, v115, s14
	v_add_nc_u32_e32 v7, v7, v115
	s_delay_alu instid0(VALU_DEP_1) | instskip(NEXT) | instid1(VALU_DEP_1)
	v_mov_b32_dpp v115, v7 row_shr:8 row_mask:0xf bank_mask:0xf
	v_cndmask_b32_e64 v115, 0, v115, s15
	s_delay_alu instid0(VALU_DEP_1) | instskip(SKIP_3) | instid1(VALU_DEP_1)
	v_add_nc_u32_e32 v7, v7, v115
	ds_swizzle_b32 v115, v7 offset:swizzle(BROADCAST,32,15)
	s_wait_dscnt 0x0
	v_cndmask_b32_e64 v115, v115, 0, s16
	v_add_nc_u32_e32 v7, v7, v115
	s_and_saveexec_b32 s18, s17
; %bb.52:                               ;   in Loop: Header=BB210_35 Depth=1
	ds_store_b32 v90, v7
; %bb.53:                               ;   in Loop: Header=BB210_35 Depth=1
	s_wait_alu 0xfffe
	s_or_b32 exec_lo, exec_lo, s18
	s_wait_loadcnt_dscnt 0x0
	s_barrier_signal -1
	s_barrier_wait -1
	global_inv scope:SCOPE_SE
	s_and_saveexec_b32 s18, s1
	s_cbranch_execz .LBB210_55
; %bb.54:                               ;   in Loop: Header=BB210_35 Depth=1
	ds_load_b32 v115, v101
	s_wait_dscnt 0x0
	v_mov_b32_dpp v116, v115 row_shr:1 row_mask:0xf bank_mask:0xf
	s_delay_alu instid0(VALU_DEP_1) | instskip(NEXT) | instid1(VALU_DEP_1)
	v_cndmask_b32_e64 v116, v116, 0, s12
	v_add_nc_u32_e32 v115, v116, v115
	s_delay_alu instid0(VALU_DEP_1) | instskip(NEXT) | instid1(VALU_DEP_1)
	v_mov_b32_dpp v116, v115 row_shr:2 row_mask:0xf bank_mask:0xf
	v_cndmask_b32_e64 v116, 0, v116, s13
	s_delay_alu instid0(VALU_DEP_1) | instskip(NEXT) | instid1(VALU_DEP_1)
	v_add_nc_u32_e32 v115, v115, v116
	v_mov_b32_dpp v116, v115 row_shr:4 row_mask:0xf bank_mask:0xf
	s_delay_alu instid0(VALU_DEP_1) | instskip(NEXT) | instid1(VALU_DEP_1)
	v_cndmask_b32_e64 v116, 0, v116, s14
	v_add_nc_u32_e32 v115, v115, v116
	s_delay_alu instid0(VALU_DEP_1) | instskip(NEXT) | instid1(VALU_DEP_1)
	v_mov_b32_dpp v116, v115 row_shr:8 row_mask:0xf bank_mask:0xf
	v_cndmask_b32_e64 v116, 0, v116, s15
	s_delay_alu instid0(VALU_DEP_1)
	v_add_nc_u32_e32 v115, v115, v116
	ds_store_b32 v101, v115
.LBB210_55:                             ;   in Loop: Header=BB210_35 Depth=1
	s_wait_alu 0xfffe
	s_or_b32 exec_lo, exec_lo, s18
	v_mov_b32_e32 v115, 0
	s_wait_loadcnt_dscnt 0x0
	s_barrier_signal -1
	s_barrier_wait -1
	global_inv scope:SCOPE_SE
	s_and_saveexec_b32 s18, s9
; %bb.56:                               ;   in Loop: Header=BB210_35 Depth=1
	v_add_nc_u32_e32 v115, -4, v90
	ds_load_b32 v115, v115
; %bb.57:                               ;   in Loop: Header=BB210_35 Depth=1
	s_wait_alu 0xfffe
	s_or_b32 exec_lo, exec_lo, s18
	s_wait_dscnt 0x0
	v_add_nc_u32_e32 v7, v115, v7
	s_cmp_gt_u32 s20, 23
	s_mov_b32 s18, -1
	ds_bpermute_b32 v7, v99, v7
	s_wait_dscnt 0x0
	v_cndmask_b32_e64 v7, v7, v115, s11
	s_delay_alu instid0(VALU_DEP_1) | instskip(NEXT) | instid1(VALU_DEP_1)
	v_cndmask_b32_e64 v115, v7, 0, s10
	v_add_nc_u32_e32 v116, v115, v24
	s_delay_alu instid0(VALU_DEP_1) | instskip(NEXT) | instid1(VALU_DEP_1)
	v_add_nc_u32_e32 v117, v116, v25
	v_add_nc_u32_e32 v118, v117, v26
	s_delay_alu instid0(VALU_DEP_1) | instskip(NEXT) | instid1(VALU_DEP_1)
	v_add_nc_u32_e32 v24, v118, v27
	;; [unrolled: 3-line block ×3, first 2 shown]
	v_add_nc_u32_e32 v27, v26, v6
	ds_store_b128 v89, v[115:118] offset:64
	ds_store_b128 v89, v[24:27] offset:80
	s_wait_loadcnt_dscnt 0x0
	s_barrier_signal -1
	s_barrier_wait -1
	global_inv scope:SCOPE_SE
	ds_load_b32 v4, v29 offset:64
	ds_load_b32 v5, v32 offset:64
	;; [unrolled: 1-line block ×8, first 2 shown]
	s_wait_dscnt 0x7
	v_add_nc_u32_e32 v118, v4, v28
	s_wait_dscnt 0x6
	v_add3_u32 v117, v31, v30, v5
	s_wait_dscnt 0x5
	v_add3_u32 v116, v34, v33, v6
	;; [unrolled: 2-line block ×7, first 2 shown]
                                        ; implicit-def: $vgpr71
                                        ; implicit-def: $vgpr69
                                        ; implicit-def: $vgpr67
                                        ; implicit-def: $vgpr65
                                        ; implicit-def: $vgpr34_vgpr35
                                        ; implicit-def: $vgpr30_vgpr31
                                        ; implicit-def: $vgpr26_vgpr27
                                        ; implicit-def: $vgpr6_vgpr7
	s_cbranch_scc1 .LBB210_34
; %bb.58:                               ;   in Loop: Header=BB210_35 Depth=1
	v_lshlrev_b32_e32 v4, 2, v118
	v_lshlrev_b32_e32 v5, 2, v117
	;; [unrolled: 1-line block ×3, first 2 shown]
	s_wait_loadcnt 0x0
	s_barrier_signal -1
	s_barrier_wait -1
	global_inv scope:SCOPE_SE
	ds_store_b32 v4, v102
	ds_store_b32 v5, v109
	;; [unrolled: 1-line block ×3, first 2 shown]
	v_lshlrev_b32_e32 v7, 2, v115
	v_add_nc_u32_e32 v4, v4, v4
	v_lshlrev_b32_e32 v24, 2, v114
	v_add_nc_u32_e32 v5, v5, v5
	;; [unrolled: 2-line block ×3, first 2 shown]
	v_lshlrev_b32_e32 v26, 2, v111
	v_lshlrev_b32_e32 v27, 2, v110
	ds_store_b32 v7, v107
	ds_store_b32 v24, v106
	;; [unrolled: 1-line block ×5, first 2 shown]
	s_wait_loadcnt_dscnt 0x0
	s_barrier_signal -1
	s_barrier_wait -1
	global_inv scope:SCOPE_SE
	ds_load_2addr_b32 v[64:65], v97 offset1:32
	ds_load_2addr_b32 v[66:67], v97 offset0:64 offset1:96
	ds_load_2addr_b32 v[68:69], v97 offset0:128 offset1:160
	;; [unrolled: 1-line block ×3, first 2 shown]
	s_wait_loadcnt_dscnt 0x0
	s_barrier_signal -1
	s_barrier_wait -1
	global_inv scope:SCOPE_SE
	ds_store_b64 v4, v[62:63]
	ds_store_b64 v5, v[60:61]
	ds_store_b64 v6, v[58:59]
	v_add_nc_u32_e32 v4, v7, v7
	v_add_nc_u32_e32 v5, v24, v24
	;; [unrolled: 1-line block ×5, first 2 shown]
	ds_store_b64 v4, v[56:57]
	ds_store_b64 v5, v[54:55]
	;; [unrolled: 1-line block ×5, first 2 shown]
	s_wait_loadcnt_dscnt 0x0
	s_barrier_signal -1
	s_barrier_wait -1
	global_inv scope:SCOPE_SE
	ds_load_2addr_b64 v[4:7], v98 offset1:32
	ds_load_2addr_b64 v[24:27], v98 offset0:64 offset1:96
	ds_load_2addr_b64 v[28:31], v98 offset0:128 offset1:160
	;; [unrolled: 1-line block ×3, first 2 shown]
	s_add_co_i32 s20, s20, 8
	s_add_co_i32 s21, s21, -8
	s_mov_b32 s18, 0
	s_wait_loadcnt_dscnt 0x0
	s_barrier_signal -1
	s_barrier_wait -1
	global_inv scope:SCOPE_SE
	s_branch .LBB210_34
.LBB210_59:
	v_lshlrev_b64_e32 v[1:2], 3, v[40:41]
	v_dual_mov_b32 v42, v41 :: v_dual_mov_b32 v9, v41
	v_mov_b32_e32 v10, v41
	v_dual_mov_b32 v4, v41 :: v_dual_mov_b32 v5, v41
	s_wait_alu 0xfffe
	s_delay_alu instid0(VALU_DEP_4)
	v_add_co_u32 v1, vcc_lo, s24, v1
	s_wait_alu 0xfffd
	v_add_co_ci_u32_e64 v2, null, s25, v2, vcc_lo
	v_dual_mov_b32 v6, v41 :: v_dual_mov_b32 v7, v41
	v_dual_mov_b32 v8, v41 :: v_dual_mov_b32 v11, v41
	global_load_b64 v[13:14], v[1:2], off
	v_dual_mov_b32 v1, v41 :: v_dual_mov_b32 v2, v41
	v_dual_mov_b32 v3, v41 :: v_dual_mov_b32 v12, v41
	s_or_b32 exec_lo, exec_lo, s1
	s_and_saveexec_b32 s1, s3
	s_cbranch_execz .LBB210_25
.LBB210_60:
	v_mul_lo_u32 v32, s28, v15
	v_mov_b32_e32 v33, 0
	s_delay_alu instid0(VALU_DEP_1) | instskip(SKIP_1) | instid1(VALU_DEP_1)
	v_lshlrev_b64_e32 v[32:33], 3, v[32:33]
	s_wait_alu 0xfffe
	v_add_co_u32 v32, vcc_lo, s24, v32
	s_wait_alu 0xfffd
	s_delay_alu instid0(VALU_DEP_2)
	v_add_co_ci_u32_e64 v33, null, s25, v33, vcc_lo
	global_load_b64 v[41:42], v[32:33], off
	s_or_b32 exec_lo, exec_lo, s1
	s_and_saveexec_b32 s1, s4
	s_cbranch_execz .LBB210_26
.LBB210_61:
	v_mul_lo_u32 v9, s28, v16
	v_mov_b32_e32 v10, 0
	s_delay_alu instid0(VALU_DEP_1) | instskip(SKIP_1) | instid1(VALU_DEP_1)
	v_lshlrev_b64_e32 v[9:10], 3, v[9:10]
	s_wait_alu 0xfffe
	v_add_co_u32 v9, vcc_lo, s24, v9
	s_wait_alu 0xfffd
	s_delay_alu instid0(VALU_DEP_2)
	v_add_co_ci_u32_e64 v10, null, s25, v10, vcc_lo
	global_load_b64 v[9:10], v[9:10], off
	s_or_b32 exec_lo, exec_lo, s1
	s_and_saveexec_b32 s1, s5
	s_cbranch_execz .LBB210_27
.LBB210_62:
	v_mul_lo_u32 v1, s28, v17
	v_mov_b32_e32 v2, 0
	s_delay_alu instid0(VALU_DEP_1) | instskip(SKIP_1) | instid1(VALU_DEP_1)
	v_lshlrev_b64_e32 v[1:2], 3, v[1:2]
	s_wait_alu 0xfffe
	v_add_co_u32 v1, vcc_lo, s24, v1
	s_wait_alu 0xfffd
	s_delay_alu instid0(VALU_DEP_2)
	v_add_co_ci_u32_e64 v2, null, s25, v2, vcc_lo
	global_load_b64 v[1:2], v[1:2], off
	s_or_b32 exec_lo, exec_lo, s1
	s_and_saveexec_b32 s1, s6
	s_cbranch_execz .LBB210_28
.LBB210_63:
	v_mul_lo_u32 v3, s28, v18
	v_mov_b32_e32 v4, 0
	s_delay_alu instid0(VALU_DEP_1) | instskip(SKIP_1) | instid1(VALU_DEP_1)
	v_lshlrev_b64_e32 v[3:4], 3, v[3:4]
	s_wait_alu 0xfffe
	v_add_co_u32 v3, vcc_lo, s24, v3
	s_wait_alu 0xfffd
	s_delay_alu instid0(VALU_DEP_2)
	v_add_co_ci_u32_e64 v4, null, s25, v4, vcc_lo
	global_load_b64 v[3:4], v[3:4], off
	s_or_b32 exec_lo, exec_lo, s1
	s_and_saveexec_b32 s1, s7
	s_cbranch_execz .LBB210_29
.LBB210_64:
	v_mul_lo_u32 v5, s28, v19
	v_mov_b32_e32 v6, 0
	s_delay_alu instid0(VALU_DEP_1) | instskip(SKIP_1) | instid1(VALU_DEP_1)
	v_lshlrev_b64_e32 v[5:6], 3, v[5:6]
	s_wait_alu 0xfffe
	v_add_co_u32 v5, vcc_lo, s24, v5
	s_wait_alu 0xfffd
	s_delay_alu instid0(VALU_DEP_2)
	v_add_co_ci_u32_e64 v6, null, s25, v6, vcc_lo
	global_load_b64 v[5:6], v[5:6], off
	s_or_b32 exec_lo, exec_lo, s1
	s_and_saveexec_b32 s1, s8
	s_cbranch_execz .LBB210_30
.LBB210_65:
	v_mul_lo_u32 v7, s28, v20
	v_mov_b32_e32 v8, 0
	s_delay_alu instid0(VALU_DEP_1) | instskip(SKIP_1) | instid1(VALU_DEP_1)
	v_lshlrev_b64_e32 v[7:8], 3, v[7:8]
	s_wait_alu 0xfffe
	v_add_co_u32 v7, vcc_lo, s24, v7
	s_wait_alu 0xfffd
	s_delay_alu instid0(VALU_DEP_2)
	v_add_co_ci_u32_e64 v8, null, s25, v8, vcc_lo
	global_load_b64 v[7:8], v[7:8], off
	s_or_b32 exec_lo, exec_lo, s1
	s_xor_b32 s1, s12, -1
	s_and_saveexec_b32 s9, s0
	s_cbranch_execnz .LBB210_31
	s_branch .LBB210_32
.LBB210_66:
                                        ; implicit-def: $vgpr34_vgpr35
                                        ; implicit-def: $vgpr38_vgpr39
                                        ; implicit-def: $vgpr26_vgpr27
                                        ; implicit-def: $vgpr30_vgpr31
                                        ; implicit-def: $vgpr0_vgpr1_vgpr2_vgpr3_vgpr4_vgpr5_vgpr6_vgpr7
	s_cbranch_execnz .LBB210_68
	s_branch .LBB210_95
.LBB210_67:
	v_lshlrev_b32_e32 v24, 2, v118
	v_lshlrev_b32_e32 v27, 2, v115
	;; [unrolled: 1-line block ×8, first 2 shown]
	s_wait_loadcnt 0x0
	s_barrier_signal -1
	s_barrier_wait -1
	global_inv scope:SCOPE_SE
	ds_store_b32 v24, v102
	ds_store_b32 v25, v109
	;; [unrolled: 1-line block ×8, first 2 shown]
	s_wait_loadcnt_dscnt 0x0
	s_barrier_signal -1
	s_barrier_wait -1
	global_inv scope:SCOPE_SE
	ds_load_b128 v[0:3], v89
	ds_load_b128 v[4:7], v89 offset:16
	v_add_nc_u32_e32 v24, v24, v24
	v_add_nc_u32_e32 v25, v25, v25
	;; [unrolled: 1-line block ×3, first 2 shown]
	s_wait_loadcnt_dscnt 0x0
	s_barrier_signal -1
	s_barrier_wait -1
	global_inv scope:SCOPE_SE
	ds_store_b64 v24, v[62:63]
	ds_store_b64 v25, v[60:61]
	;; [unrolled: 1-line block ×3, first 2 shown]
	v_add_nc_u32_e32 v24, v27, v27
	v_add_nc_u32_e32 v25, v28, v28
	;; [unrolled: 1-line block ×5, first 2 shown]
	ds_store_b64 v24, v[56:57]
	ds_store_b64 v25, v[54:55]
	;; [unrolled: 1-line block ×5, first 2 shown]
	v_lshl_add_u32 v32, v45, 5, v89
	s_wait_loadcnt_dscnt 0x0
	s_barrier_signal -1
	s_barrier_wait -1
	v_cmp_lt_i32_e32 vcc_lo, -1, v0
	global_inv scope:SCOPE_SE
	ds_load_b128 v[28:31], v32
	ds_load_b128 v[24:27], v32 offset:16
	ds_load_b128 v[36:39], v32 offset:32
	;; [unrolled: 1-line block ×3, first 2 shown]
	s_wait_alu 0xfffd
	v_cndmask_b32_e64 v41, 0x80000000, -1, vcc_lo
	v_cmp_lt_i32_e32 vcc_lo, -1, v1
	s_delay_alu instid0(VALU_DEP_2) | instskip(SKIP_3) | instid1(VALU_DEP_2)
	v_xor_b32_e32 v0, v41, v0
	s_wait_alu 0xfffd
	v_cndmask_b32_e64 v42, 0x80000000, -1, vcc_lo
	v_cmp_lt_i32_e32 vcc_lo, -1, v2
	v_xor_b32_e32 v1, v42, v1
	s_wait_alu 0xfffd
	v_cndmask_b32_e64 v54, 0x80000000, -1, vcc_lo
	v_cmp_lt_i32_e32 vcc_lo, -1, v3
	s_delay_alu instid0(VALU_DEP_2) | instskip(SKIP_3) | instid1(VALU_DEP_2)
	v_xor_b32_e32 v2, v54, v2
	s_wait_alu 0xfffd
	v_cndmask_b32_e64 v41, 0x80000000, -1, vcc_lo
	v_cmp_lt_i32_e32 vcc_lo, -1, v4
	v_xor_b32_e32 v3, v41, v3
	;; [unrolled: 9-line block ×3, first 2 shown]
	s_wait_alu 0xfffd
	v_cndmask_b32_e64 v55, 0x80000000, -1, vcc_lo
	v_cmp_lt_i32_e32 vcc_lo, -1, v7
	s_delay_alu instid0(VALU_DEP_2) | instskip(SKIP_2) | instid1(VALU_DEP_1)
	v_xor_b32_e32 v6, v55, v6
	s_wait_alu 0xfffd
	v_cndmask_b32_e64 v56, 0x80000000, -1, vcc_lo
	v_xor_b32_e32 v7, v56, v7
	s_branch .LBB210_95
.LBB210_68:
	v_cmp_gt_i32_e32 vcc_lo, 0, v52
	v_or_b32_e32 v7, v93, v94
	s_mov_b32 s20, 0
	s_wait_dscnt 0x2
	v_and_or_b32 v25, 0x1f00, v91, v93
	s_mov_b32 s21, s20
	s_wait_alu 0xfffd
	v_cndmask_b32_e64 v0, 0x7fffffff, 0, vcc_lo
	v_cmp_gt_i32_e32 vcc_lo, 0, v53
	s_mov_b32 s22, s20
	s_mov_b32 s23, s20
	v_lshlrev_b32_e32 v26, 5, v7
	v_xor_b32_e32 v0, v0, v52
	s_wait_alu 0xfffd
	v_cndmask_b32_e64 v1, 0x7fffffff, 0, vcc_lo
	v_cmp_gt_i32_e32 vcc_lo, 0, v50
	s_getpc_b64 s[10:11]
	s_wait_alu 0xfffe
	s_sext_i32_i16 s11, s11
	s_add_co_u32 s10, s10, _ZN7rocprim17ROCPRIM_400000_NS16block_radix_sortIfLj512ELj8ElLj1ELj1ELj0ELNS0_26block_radix_rank_algorithmE1ELNS0_18block_padding_hintE2ELNS0_4arch9wavefront6targetE0EE19radix_bits_per_passE@rel32@lo+12
	s_wait_alu 0xfffe
	s_add_co_ci_u32 s11, s11, _ZN7rocprim17ROCPRIM_400000_NS16block_radix_sortIfLj512ELj8ElLj1ELj1ELj0ELNS0_26block_radix_rank_algorithmE1ELNS0_18block_padding_hintE2ELNS0_4arch9wavefront6targetE0EE19radix_bits_per_passE@rel32@hi+24
	v_cmp_gt_u32_e64 s15, 16, v45
	s_load_b32 s19, s[10:11], 0x0
	v_xor_b32_e32 v1, v1, v53
	v_cndmask_b32_e64 v2, 0x7fffffff, 0, vcc_lo
	v_cmp_gt_i32_e32 vcc_lo, 0, v51
	v_cmp_lt_u32_e64 s16, 31, v45
	v_cmp_eq_u32_e64 s17, 0, v45
	v_add_nc_u32_e32 v53, v89, v92
	v_xor_b32_e32 v2, v2, v50
	s_wait_alu 0xfffd
	v_cndmask_b32_e64 v3, 0x7fffffff, 0, vcc_lo
	v_cmp_gt_i32_e32 vcc_lo, 0, v48
	s_delay_alu instid0(VALU_DEP_2) | instskip(SKIP_4) | instid1(VALU_DEP_3)
	v_xor_b32_e32 v3, v3, v51
	s_wait_alu 0xfffd
	v_cndmask_b32_e64 v4, 0x7fffffff, 0, vcc_lo
	v_cmp_gt_i32_e32 vcc_lo, 0, v49
	v_add_nc_u32_e32 v51, -4, v90
	v_xor_b32_e32 v4, v4, v48
	s_wait_alu 0xfffd
	v_cndmask_b32_e64 v5, 0x7fffffff, 0, vcc_lo
	v_cmp_gt_i32_e32 vcc_lo, 0, v46
	v_lshlrev_b32_e32 v48, 2, v25
	s_delay_alu instid0(VALU_DEP_3) | instskip(SKIP_3) | instid1(VALU_DEP_2)
	v_xor_b32_e32 v5, v5, v49
	s_wait_alu 0xfffd
	v_cndmask_b32_e64 v6, 0x7fffffff, 0, vcc_lo
	v_cmp_gt_i32_e32 vcc_lo, 0, v47
	v_xor_b32_e32 v6, v6, v46
	s_wait_alu 0xfffd
	v_cndmask_b32_e64 v24, 0x7fffffff, 0, vcc_lo
	s_delay_alu instid0(VALU_DEP_1) | instskip(SKIP_4) | instid1(VALU_DEP_2)
	v_xor_b32_e32 v7, v24, v47
	ds_store_b128 v26, v[0:3]
	ds_store_b128 v26, v[4:7] offset:16
	v_sub_co_u32 v3, s10, v93, 1
	v_add_nc_u32_e32 v0, v26, v26
	; wave barrier
	v_cmp_gt_i32_e32 vcc_lo, 0, v3
	v_add_nc_u32_e32 v49, v48, v48
	s_wait_dscnt 0x3
	ds_load_2addr_b32 v[36:37], v48 offset1:32
	ds_load_2addr_b32 v[38:39], v48 offset0:64 offset1:96
	ds_load_2addr_b32 v[41:42], v48 offset0:128 offset1:160
	;; [unrolled: 1-line block ×3, first 2 shown]
	s_wait_loadcnt_dscnt 0x0
	s_barrier_signal -1
	s_barrier_wait -1
	global_inv scope:SCOPE_SE
	ds_store_b128 v0, v[20:23]
	ds_store_b128 v0, v[16:19] offset:16
	ds_store_b128 v0, v[12:15] offset:32
	;; [unrolled: 1-line block ×3, first 2 shown]
	; wave barrier
	ds_load_2addr_b64 v[4:7], v49 offset1:32
	ds_load_2addr_b64 v[8:11], v49 offset0:64 offset1:96
	ds_load_2addr_b64 v[12:15], v49 offset0:128 offset1:160
	;; [unrolled: 1-line block ×3, first 2 shown]
	s_wait_loadcnt_dscnt 0x0
	s_barrier_signal -1
	s_barrier_wait -1
	global_inv scope:SCOPE_SE
	s_load_b32 s1, s[34:35], 0xc
	v_and_b32_e32 v2, 15, v93
	v_and_b32_e32 v20, 16, v93
	s_delay_alu instid0(VALU_DEP_2) | instskip(SKIP_1) | instid1(VALU_DEP_3)
	v_cmp_lt_u32_e64 s11, 3, v2
	v_cmp_lt_u32_e64 s12, 7, v2
	v_cmp_eq_u32_e64 s13, 0, v20
	s_wait_kmcnt 0x0
	s_lshr_b32 s9, s1, 16
	s_and_b32 s1, s1, 0xffff
	s_wait_alu 0xfffe
	v_mad_u32_u24 v0, v96, s9, v95
	v_cmp_lt_u32_e64 s9, 1, v2
	s_delay_alu instid0(VALU_DEP_2) | instskip(SKIP_3) | instid1(VALU_DEP_3)
	v_mad_co_u64_u32 v[0:1], null, v0, s1, v[45:46]
	v_min_u32_e32 v1, 0x1e0, v94
	v_cmp_eq_u32_e64 s1, 0, v2
	v_cndmask_b32_e32 v2, v3, v93, vcc_lo
	v_or_b32_e32 v1, 31, v1
	v_lshrrev_b32_e32 v0, 3, v0
	s_delay_alu instid0(VALU_DEP_3) | instskip(NEXT) | instid1(VALU_DEP_3)
	v_lshlrev_b32_e32 v50, 2, v2
	v_cmp_eq_u32_e64 s14, v45, v1
	s_delay_alu instid0(VALU_DEP_3)
	v_and_b32_e32 v52, 0x1ffffffc, v0
	v_dual_mov_b32 v0, s20 :: v_dual_mov_b32 v1, s21
	v_dual_mov_b32 v2, s22 :: v_dual_mov_b32 v3, s23
	s_mov_b32 s21, 32
	s_branch .LBB210_70
.LBB210_69:                             ;   in Loop: Header=BB210_70 Depth=1
	s_wait_alu 0xfffe
	s_and_not1_b32 vcc_lo, exec_lo, s18
	s_wait_alu 0xfffe
	s_cbranch_vccz .LBB210_94
.LBB210_70:                             ; =>This Inner Loop Header: Depth=1
	v_dual_mov_b32 v54, v36 :: v_dual_mov_b32 v55, v47
	s_wait_alu 0xfffe
	s_min_u32 s18, s19, s21
	ds_store_b128 v89, v[0:3] offset:64
	ds_store_b128 v89, v[0:3] offset:80
	s_wait_alu 0xfffe
	s_lshl_b32 s18, -1, s18
	v_cmp_ne_u32_e32 vcc_lo, 0x80000000, v54
	s_wait_alu 0xfffe
	s_not_b32 s22, s18
	s_wait_loadcnt_dscnt 0x0
	s_barrier_signal -1
	s_barrier_wait -1
	s_wait_alu 0xfffd
	v_dual_cndmask_b32 v20, 0x7fffffff, v54 :: v_dual_mov_b32 v57, v42
	global_inv scope:SCOPE_SE
	; wave barrier
	v_lshrrev_b32_e32 v20, s20, v20
	v_mov_b32_e32 v59, v39
	v_dual_mov_b32 v61, v37 :: v_dual_mov_b32 v58, v41
	v_mov_b32_e32 v60, v38
	s_wait_alu 0xfffe
	v_and_b32_e32 v36, s22, v20
	v_dual_mov_b32 v56, v46 :: v_dual_mov_b32 v31, v9
	v_dual_mov_b32 v30, v8 :: v_dual_mov_b32 v33, v7
	s_delay_alu instid0(VALU_DEP_3)
	v_and_b32_e32 v20, 1, v36
	v_lshlrev_b32_e32 v21, 30, v36
	v_lshlrev_b32_e32 v22, 29, v36
	;; [unrolled: 1-line block ×4, first 2 shown]
	v_add_co_u32 v20, s18, v20, -1
	s_wait_alu 0xf1ff
	v_cndmask_b32_e64 v24, 0, 1, s18
	v_not_b32_e32 v28, v21
	v_cmp_gt_i32_e64 s18, 0, v21
	v_not_b32_e32 v21, v22
	v_lshlrev_b32_e32 v26, 26, v36
	v_cmp_ne_u32_e32 vcc_lo, 0, v24
	v_ashrrev_i32_e32 v28, 31, v28
	v_lshlrev_b32_e32 v27, 25, v36
	v_ashrrev_i32_e32 v21, 31, v21
	v_lshlrev_b32_e32 v24, 24, v36
	s_wait_alu 0xfffd
	v_xor_b32_e32 v20, vcc_lo, v20
	v_cmp_gt_i32_e32 vcc_lo, 0, v22
	v_not_b32_e32 v22, v23
	s_wait_alu 0xf1ff
	v_xor_b32_e32 v28, s18, v28
	v_cmp_gt_i32_e64 s18, 0, v23
	v_and_b32_e32 v20, exec_lo, v20
	v_not_b32_e32 v23, v25
	v_ashrrev_i32_e32 v22, 31, v22
	s_wait_alu 0xfffd
	v_xor_b32_e32 v21, vcc_lo, v21
	v_cmp_gt_i32_e32 vcc_lo, 0, v25
	v_and_b32_e32 v20, v20, v28
	v_not_b32_e32 v25, v26
	v_ashrrev_i32_e32 v23, 31, v23
	s_wait_alu 0xf1ff
	v_xor_b32_e32 v22, s18, v22
	v_cmp_gt_i32_e64 s18, 0, v26
	v_and_b32_e32 v20, v20, v21
	v_not_b32_e32 v21, v27
	v_ashrrev_i32_e32 v25, 31, v25
	s_wait_alu 0xfffd
	v_xor_b32_e32 v23, vcc_lo, v23
	v_cmp_gt_i32_e32 vcc_lo, 0, v27
	v_and_b32_e32 v20, v20, v22
	v_ashrrev_i32_e32 v21, 31, v21
	s_wait_alu 0xf1ff
	v_xor_b32_e32 v25, s18, v25
	v_mov_b32_e32 v27, v13
	v_not_b32_e32 v22, v24
	v_dual_mov_b32 v35, v5 :: v_dual_and_b32 v20, v20, v23
	v_cmp_gt_i32_e64 s18, 0, v24
	s_wait_alu 0xfffd
	v_xor_b32_e32 v21, vcc_lo, v21
	v_ashrrev_i32_e32 v22, 31, v22
	v_dual_mov_b32 v25, v15 :: v_dual_and_b32 v20, v20, v25
	v_mov_b32_e32 v26, v12
	v_mov_b32_e32 v34, v4
	s_wait_alu 0xf1ff
	v_xor_b32_e32 v28, s18, v22
	v_dual_mov_b32 v24, v14 :: v_dual_and_b32 v29, v20, v21
	v_dual_mov_b32 v21, v19 :: v_dual_lshlrev_b32 v4, 6, v36
	v_mov_b32_e32 v23, v17
	s_delay_alu instid0(VALU_DEP_3) | instskip(SKIP_3) | instid1(VALU_DEP_4)
	v_dual_mov_b32 v29, v11 :: v_dual_and_b32 v14, v29, v28
	v_mov_b32_e32 v20, v18
	v_mov_b32_e32 v22, v16
	v_dual_mov_b32 v28, v10 :: v_dual_add_nc_u32 v13, v52, v4
	v_mbcnt_lo_u32_b32 v12, v14, 0
	v_cmp_ne_u32_e64 s18, 0, v14
	v_mov_b32_e32 v32, v6
	s_delay_alu instid0(VALU_DEP_3)
	v_cmp_eq_u32_e32 vcc_lo, 0, v12
	s_and_b32 s23, s18, vcc_lo
	s_wait_alu 0xfffe
	s_and_saveexec_b32 s18, s23
; %bb.71:                               ;   in Loop: Header=BB210_70 Depth=1
	v_bcnt_u32_b32 v4, v14, 0
	ds_store_b32 v13, v4 offset:64
; %bb.72:                               ;   in Loop: Header=BB210_70 Depth=1
	s_wait_alu 0xfffe
	s_or_b32 exec_lo, exec_lo, s18
	v_cmp_ne_u32_e32 vcc_lo, 0x80000000, v61
	; wave barrier
	s_wait_alu 0xfffd
	v_cndmask_b32_e32 v4, 0x7fffffff, v61, vcc_lo
	s_delay_alu instid0(VALU_DEP_1) | instskip(NEXT) | instid1(VALU_DEP_1)
	v_lshrrev_b32_e32 v4, s20, v4
	v_and_b32_e32 v4, s22, v4
	s_delay_alu instid0(VALU_DEP_1)
	v_and_b32_e32 v5, 1, v4
	v_lshlrev_b32_e32 v6, 30, v4
	v_lshlrev_b32_e32 v7, 29, v4
	;; [unrolled: 1-line block ×4, first 2 shown]
	v_add_co_u32 v5, s18, v5, -1
	s_wait_alu 0xf1ff
	v_cndmask_b32_e64 v9, 0, 1, s18
	v_not_b32_e32 v15, v6
	v_cmp_gt_i32_e64 s18, 0, v6
	v_not_b32_e32 v6, v7
	v_lshlrev_b32_e32 v11, 26, v4
	v_cmp_ne_u32_e32 vcc_lo, 0, v9
	v_ashrrev_i32_e32 v15, 31, v15
	v_lshlrev_b32_e32 v14, 25, v4
	v_ashrrev_i32_e32 v6, 31, v6
	v_lshlrev_b32_e32 v9, 24, v4
	s_wait_alu 0xfffd
	v_xor_b32_e32 v5, vcc_lo, v5
	v_cmp_gt_i32_e32 vcc_lo, 0, v7
	v_not_b32_e32 v7, v8
	s_wait_alu 0xf1ff
	v_xor_b32_e32 v15, s18, v15
	v_cmp_gt_i32_e64 s18, 0, v8
	v_and_b32_e32 v5, exec_lo, v5
	v_not_b32_e32 v8, v10
	v_ashrrev_i32_e32 v7, 31, v7
	s_wait_alu 0xfffd
	v_xor_b32_e32 v6, vcc_lo, v6
	v_cmp_gt_i32_e32 vcc_lo, 0, v10
	v_and_b32_e32 v5, v5, v15
	v_not_b32_e32 v10, v11
	v_ashrrev_i32_e32 v8, 31, v8
	s_wait_alu 0xf1ff
	v_xor_b32_e32 v7, s18, v7
	v_cmp_gt_i32_e64 s18, 0, v11
	v_and_b32_e32 v5, v5, v6
	v_not_b32_e32 v6, v14
	v_ashrrev_i32_e32 v10, 31, v10
	s_wait_alu 0xfffd
	v_xor_b32_e32 v8, vcc_lo, v8
	v_cmp_gt_i32_e32 vcc_lo, 0, v14
	v_and_b32_e32 v5, v5, v7
	v_not_b32_e32 v7, v9
	v_ashrrev_i32_e32 v6, 31, v6
	s_wait_alu 0xf1ff
	v_xor_b32_e32 v10, s18, v10
	v_lshlrev_b32_e32 v4, 6, v4
	v_and_b32_e32 v5, v5, v8
	v_cmp_gt_i32_e64 s18, 0, v9
	v_ashrrev_i32_e32 v7, 31, v7
	s_wait_alu 0xfffd
	v_xor_b32_e32 v6, vcc_lo, v6
	v_add_nc_u32_e32 v16, v52, v4
	v_and_b32_e32 v5, v5, v10
	s_wait_alu 0xf1ff
	v_xor_b32_e32 v4, s18, v7
	ds_load_b32 v14, v16 offset:64
	v_and_b32_e32 v5, v5, v6
	; wave barrier
	s_delay_alu instid0(VALU_DEP_1) | instskip(NEXT) | instid1(VALU_DEP_1)
	v_and_b32_e32 v4, v5, v4
	v_mbcnt_lo_u32_b32 v15, v4, 0
	v_cmp_ne_u32_e64 s18, 0, v4
	s_delay_alu instid0(VALU_DEP_2)
	v_cmp_eq_u32_e32 vcc_lo, 0, v15
	s_and_b32 s23, s18, vcc_lo
	s_wait_alu 0xfffe
	s_and_saveexec_b32 s18, s23
	s_cbranch_execz .LBB210_74
; %bb.73:                               ;   in Loop: Header=BB210_70 Depth=1
	s_wait_dscnt 0x0
	v_bcnt_u32_b32 v4, v4, v14
	ds_store_b32 v16, v4 offset:64
.LBB210_74:                             ;   in Loop: Header=BB210_70 Depth=1
	s_wait_alu 0xfffe
	s_or_b32 exec_lo, exec_lo, s18
	v_cmp_ne_u32_e32 vcc_lo, 0x80000000, v60
	; wave barrier
	s_wait_alu 0xfffd
	v_cndmask_b32_e32 v4, 0x7fffffff, v60, vcc_lo
	s_delay_alu instid0(VALU_DEP_1) | instskip(NEXT) | instid1(VALU_DEP_1)
	v_lshrrev_b32_e32 v4, s20, v4
	v_and_b32_e32 v4, s22, v4
	s_delay_alu instid0(VALU_DEP_1)
	v_and_b32_e32 v5, 1, v4
	v_lshlrev_b32_e32 v6, 30, v4
	v_lshlrev_b32_e32 v7, 29, v4
	v_lshlrev_b32_e32 v8, 28, v4
	v_lshlrev_b32_e32 v10, 27, v4
	v_add_co_u32 v5, s18, v5, -1
	s_wait_alu 0xf1ff
	v_cndmask_b32_e64 v9, 0, 1, s18
	v_not_b32_e32 v18, v6
	v_cmp_gt_i32_e64 s18, 0, v6
	v_not_b32_e32 v6, v7
	v_lshlrev_b32_e32 v11, 26, v4
	v_cmp_ne_u32_e32 vcc_lo, 0, v9
	v_ashrrev_i32_e32 v18, 31, v18
	v_lshlrev_b32_e32 v17, 25, v4
	v_ashrrev_i32_e32 v6, 31, v6
	v_lshlrev_b32_e32 v9, 24, v4
	s_wait_alu 0xfffd
	v_xor_b32_e32 v5, vcc_lo, v5
	v_cmp_gt_i32_e32 vcc_lo, 0, v7
	v_not_b32_e32 v7, v8
	s_wait_alu 0xf1ff
	v_xor_b32_e32 v18, s18, v18
	v_cmp_gt_i32_e64 s18, 0, v8
	v_and_b32_e32 v5, exec_lo, v5
	v_not_b32_e32 v8, v10
	v_ashrrev_i32_e32 v7, 31, v7
	s_wait_alu 0xfffd
	v_xor_b32_e32 v6, vcc_lo, v6
	v_cmp_gt_i32_e32 vcc_lo, 0, v10
	v_and_b32_e32 v5, v5, v18
	v_not_b32_e32 v10, v11
	v_ashrrev_i32_e32 v8, 31, v8
	s_wait_alu 0xf1ff
	v_xor_b32_e32 v7, s18, v7
	v_cmp_gt_i32_e64 s18, 0, v11
	v_and_b32_e32 v5, v5, v6
	v_not_b32_e32 v6, v17
	v_ashrrev_i32_e32 v10, 31, v10
	s_wait_alu 0xfffd
	v_xor_b32_e32 v8, vcc_lo, v8
	v_cmp_gt_i32_e32 vcc_lo, 0, v17
	v_and_b32_e32 v5, v5, v7
	v_not_b32_e32 v7, v9
	v_ashrrev_i32_e32 v6, 31, v6
	s_wait_alu 0xf1ff
	v_xor_b32_e32 v10, s18, v10
	v_lshlrev_b32_e32 v4, 6, v4
	v_and_b32_e32 v5, v5, v8
	v_cmp_gt_i32_e64 s18, 0, v9
	v_ashrrev_i32_e32 v7, 31, v7
	s_wait_alu 0xfffd
	v_xor_b32_e32 v6, vcc_lo, v6
	v_add_nc_u32_e32 v19, v52, v4
	v_and_b32_e32 v5, v5, v10
	s_wait_alu 0xf1ff
	v_xor_b32_e32 v4, s18, v7
	ds_load_b32 v17, v19 offset:64
	v_and_b32_e32 v5, v5, v6
	; wave barrier
	s_delay_alu instid0(VALU_DEP_1) | instskip(NEXT) | instid1(VALU_DEP_1)
	v_and_b32_e32 v4, v5, v4
	v_mbcnt_lo_u32_b32 v18, v4, 0
	v_cmp_ne_u32_e64 s18, 0, v4
	s_delay_alu instid0(VALU_DEP_2)
	v_cmp_eq_u32_e32 vcc_lo, 0, v18
	s_and_b32 s23, s18, vcc_lo
	s_wait_alu 0xfffe
	s_and_saveexec_b32 s18, s23
	s_cbranch_execz .LBB210_76
; %bb.75:                               ;   in Loop: Header=BB210_70 Depth=1
	s_wait_dscnt 0x0
	v_bcnt_u32_b32 v4, v4, v17
	ds_store_b32 v19, v4 offset:64
.LBB210_76:                             ;   in Loop: Header=BB210_70 Depth=1
	s_wait_alu 0xfffe
	s_or_b32 exec_lo, exec_lo, s18
	v_cmp_ne_u32_e32 vcc_lo, 0x80000000, v59
	; wave barrier
	s_wait_alu 0xfffd
	v_cndmask_b32_e32 v4, 0x7fffffff, v59, vcc_lo
	s_delay_alu instid0(VALU_DEP_1) | instskip(NEXT) | instid1(VALU_DEP_1)
	v_lshrrev_b32_e32 v4, s20, v4
	v_and_b32_e32 v4, s22, v4
	s_delay_alu instid0(VALU_DEP_1)
	v_and_b32_e32 v5, 1, v4
	v_lshlrev_b32_e32 v6, 30, v4
	v_lshlrev_b32_e32 v7, 29, v4
	;; [unrolled: 1-line block ×4, first 2 shown]
	v_add_co_u32 v5, s18, v5, -1
	s_wait_alu 0xf1ff
	v_cndmask_b32_e64 v9, 0, 1, s18
	v_not_b32_e32 v37, v6
	v_cmp_gt_i32_e64 s18, 0, v6
	v_not_b32_e32 v6, v7
	v_lshlrev_b32_e32 v11, 26, v4
	v_cmp_ne_u32_e32 vcc_lo, 0, v9
	v_ashrrev_i32_e32 v37, 31, v37
	v_lshlrev_b32_e32 v36, 25, v4
	v_ashrrev_i32_e32 v6, 31, v6
	v_lshlrev_b32_e32 v9, 24, v4
	s_wait_alu 0xfffd
	v_xor_b32_e32 v5, vcc_lo, v5
	v_cmp_gt_i32_e32 vcc_lo, 0, v7
	v_not_b32_e32 v7, v8
	s_wait_alu 0xf1ff
	v_xor_b32_e32 v37, s18, v37
	v_cmp_gt_i32_e64 s18, 0, v8
	v_and_b32_e32 v5, exec_lo, v5
	v_not_b32_e32 v8, v10
	v_ashrrev_i32_e32 v7, 31, v7
	s_wait_alu 0xfffd
	v_xor_b32_e32 v6, vcc_lo, v6
	v_cmp_gt_i32_e32 vcc_lo, 0, v10
	v_and_b32_e32 v5, v5, v37
	v_not_b32_e32 v10, v11
	v_ashrrev_i32_e32 v8, 31, v8
	s_wait_alu 0xf1ff
	v_xor_b32_e32 v7, s18, v7
	v_cmp_gt_i32_e64 s18, 0, v11
	v_and_b32_e32 v5, v5, v6
	v_not_b32_e32 v6, v36
	v_ashrrev_i32_e32 v10, 31, v10
	s_wait_alu 0xfffd
	v_xor_b32_e32 v8, vcc_lo, v8
	v_cmp_gt_i32_e32 vcc_lo, 0, v36
	v_and_b32_e32 v5, v5, v7
	v_not_b32_e32 v7, v9
	v_ashrrev_i32_e32 v6, 31, v6
	s_wait_alu 0xf1ff
	v_xor_b32_e32 v10, s18, v10
	v_lshlrev_b32_e32 v4, 6, v4
	v_and_b32_e32 v5, v5, v8
	v_cmp_gt_i32_e64 s18, 0, v9
	v_ashrrev_i32_e32 v7, 31, v7
	s_wait_alu 0xfffd
	v_xor_b32_e32 v6, vcc_lo, v6
	v_add_nc_u32_e32 v38, v52, v4
	v_and_b32_e32 v5, v5, v10
	s_wait_alu 0xf1ff
	v_xor_b32_e32 v4, s18, v7
	ds_load_b32 v36, v38 offset:64
	v_and_b32_e32 v5, v5, v6
	; wave barrier
	s_delay_alu instid0(VALU_DEP_1) | instskip(NEXT) | instid1(VALU_DEP_1)
	v_and_b32_e32 v4, v5, v4
	v_mbcnt_lo_u32_b32 v37, v4, 0
	v_cmp_ne_u32_e64 s18, 0, v4
	s_delay_alu instid0(VALU_DEP_2)
	v_cmp_eq_u32_e32 vcc_lo, 0, v37
	s_and_b32 s23, s18, vcc_lo
	s_wait_alu 0xfffe
	s_and_saveexec_b32 s18, s23
	s_cbranch_execz .LBB210_78
; %bb.77:                               ;   in Loop: Header=BB210_70 Depth=1
	s_wait_dscnt 0x0
	v_bcnt_u32_b32 v4, v4, v36
	ds_store_b32 v38, v4 offset:64
.LBB210_78:                             ;   in Loop: Header=BB210_70 Depth=1
	s_wait_alu 0xfffe
	s_or_b32 exec_lo, exec_lo, s18
	v_cmp_ne_u32_e32 vcc_lo, 0x80000000, v58
	; wave barrier
	s_wait_alu 0xfffd
	v_cndmask_b32_e32 v4, 0x7fffffff, v58, vcc_lo
	s_delay_alu instid0(VALU_DEP_1) | instskip(NEXT) | instid1(VALU_DEP_1)
	v_lshrrev_b32_e32 v4, s20, v4
	v_and_b32_e32 v4, s22, v4
	s_delay_alu instid0(VALU_DEP_1)
	v_and_b32_e32 v5, 1, v4
	v_lshlrev_b32_e32 v6, 30, v4
	v_lshlrev_b32_e32 v7, 29, v4
	;; [unrolled: 1-line block ×4, first 2 shown]
	v_add_co_u32 v5, s18, v5, -1
	s_wait_alu 0xf1ff
	v_cndmask_b32_e64 v9, 0, 1, s18
	v_not_b32_e32 v41, v6
	v_cmp_gt_i32_e64 s18, 0, v6
	v_not_b32_e32 v6, v7
	v_lshlrev_b32_e32 v11, 26, v4
	v_cmp_ne_u32_e32 vcc_lo, 0, v9
	v_ashrrev_i32_e32 v41, 31, v41
	v_lshlrev_b32_e32 v39, 25, v4
	v_ashrrev_i32_e32 v6, 31, v6
	v_lshlrev_b32_e32 v9, 24, v4
	s_wait_alu 0xfffd
	v_xor_b32_e32 v5, vcc_lo, v5
	v_cmp_gt_i32_e32 vcc_lo, 0, v7
	v_not_b32_e32 v7, v8
	s_wait_alu 0xf1ff
	v_xor_b32_e32 v41, s18, v41
	v_cmp_gt_i32_e64 s18, 0, v8
	v_and_b32_e32 v5, exec_lo, v5
	v_not_b32_e32 v8, v10
	v_ashrrev_i32_e32 v7, 31, v7
	s_wait_alu 0xfffd
	v_xor_b32_e32 v6, vcc_lo, v6
	v_cmp_gt_i32_e32 vcc_lo, 0, v10
	v_and_b32_e32 v5, v5, v41
	v_not_b32_e32 v10, v11
	v_ashrrev_i32_e32 v8, 31, v8
	s_wait_alu 0xf1ff
	v_xor_b32_e32 v7, s18, v7
	v_cmp_gt_i32_e64 s18, 0, v11
	v_and_b32_e32 v5, v5, v6
	v_not_b32_e32 v6, v39
	v_ashrrev_i32_e32 v10, 31, v10
	s_wait_alu 0xfffd
	v_xor_b32_e32 v8, vcc_lo, v8
	v_cmp_gt_i32_e32 vcc_lo, 0, v39
	v_and_b32_e32 v5, v5, v7
	v_not_b32_e32 v7, v9
	v_ashrrev_i32_e32 v6, 31, v6
	s_wait_alu 0xf1ff
	v_xor_b32_e32 v10, s18, v10
	v_lshlrev_b32_e32 v4, 6, v4
	v_and_b32_e32 v5, v5, v8
	v_cmp_gt_i32_e64 s18, 0, v9
	v_ashrrev_i32_e32 v7, 31, v7
	s_wait_alu 0xfffd
	v_xor_b32_e32 v6, vcc_lo, v6
	v_add_nc_u32_e32 v42, v52, v4
	v_and_b32_e32 v5, v5, v10
	s_wait_alu 0xf1ff
	v_xor_b32_e32 v4, s18, v7
	ds_load_b32 v39, v42 offset:64
	v_and_b32_e32 v5, v5, v6
	; wave barrier
	s_delay_alu instid0(VALU_DEP_1) | instskip(NEXT) | instid1(VALU_DEP_1)
	v_and_b32_e32 v4, v5, v4
	v_mbcnt_lo_u32_b32 v41, v4, 0
	v_cmp_ne_u32_e64 s18, 0, v4
	s_delay_alu instid0(VALU_DEP_2)
	v_cmp_eq_u32_e32 vcc_lo, 0, v41
	s_and_b32 s23, s18, vcc_lo
	s_wait_alu 0xfffe
	s_and_saveexec_b32 s18, s23
	s_cbranch_execz .LBB210_80
; %bb.79:                               ;   in Loop: Header=BB210_70 Depth=1
	s_wait_dscnt 0x0
	v_bcnt_u32_b32 v4, v4, v39
	ds_store_b32 v42, v4 offset:64
.LBB210_80:                             ;   in Loop: Header=BB210_70 Depth=1
	s_wait_alu 0xfffe
	s_or_b32 exec_lo, exec_lo, s18
	v_cmp_ne_u32_e32 vcc_lo, 0x80000000, v57
	; wave barrier
	s_wait_alu 0xfffd
	v_cndmask_b32_e32 v4, 0x7fffffff, v57, vcc_lo
	s_delay_alu instid0(VALU_DEP_1) | instskip(NEXT) | instid1(VALU_DEP_1)
	v_lshrrev_b32_e32 v4, s20, v4
	v_and_b32_e32 v4, s22, v4
	s_delay_alu instid0(VALU_DEP_1)
	v_and_b32_e32 v5, 1, v4
	v_lshlrev_b32_e32 v6, 30, v4
	v_lshlrev_b32_e32 v7, 29, v4
	v_lshlrev_b32_e32 v8, 28, v4
	v_lshlrev_b32_e32 v10, 27, v4
	v_add_co_u32 v5, s18, v5, -1
	s_wait_alu 0xf1ff
	v_cndmask_b32_e64 v9, 0, 1, s18
	v_not_b32_e32 v47, v6
	v_cmp_gt_i32_e64 s18, 0, v6
	v_not_b32_e32 v6, v7
	v_lshlrev_b32_e32 v11, 26, v4
	v_cmp_ne_u32_e32 vcc_lo, 0, v9
	v_ashrrev_i32_e32 v47, 31, v47
	v_lshlrev_b32_e32 v46, 25, v4
	v_ashrrev_i32_e32 v6, 31, v6
	v_lshlrev_b32_e32 v9, 24, v4
	s_wait_alu 0xfffd
	v_xor_b32_e32 v5, vcc_lo, v5
	v_cmp_gt_i32_e32 vcc_lo, 0, v7
	v_not_b32_e32 v7, v8
	s_wait_alu 0xf1ff
	v_xor_b32_e32 v47, s18, v47
	v_cmp_gt_i32_e64 s18, 0, v8
	v_and_b32_e32 v5, exec_lo, v5
	v_not_b32_e32 v8, v10
	v_ashrrev_i32_e32 v7, 31, v7
	s_wait_alu 0xfffd
	v_xor_b32_e32 v6, vcc_lo, v6
	v_cmp_gt_i32_e32 vcc_lo, 0, v10
	v_and_b32_e32 v5, v5, v47
	v_not_b32_e32 v10, v11
	v_ashrrev_i32_e32 v8, 31, v8
	s_wait_alu 0xf1ff
	v_xor_b32_e32 v7, s18, v7
	v_cmp_gt_i32_e64 s18, 0, v11
	v_and_b32_e32 v5, v5, v6
	v_not_b32_e32 v6, v46
	v_ashrrev_i32_e32 v10, 31, v10
	s_wait_alu 0xfffd
	v_xor_b32_e32 v8, vcc_lo, v8
	v_cmp_gt_i32_e32 vcc_lo, 0, v46
	v_and_b32_e32 v5, v5, v7
	v_not_b32_e32 v7, v9
	v_ashrrev_i32_e32 v6, 31, v6
	s_wait_alu 0xf1ff
	v_xor_b32_e32 v10, s18, v10
	v_lshlrev_b32_e32 v4, 6, v4
	v_and_b32_e32 v5, v5, v8
	v_cmp_gt_i32_e64 s18, 0, v9
	v_ashrrev_i32_e32 v7, 31, v7
	s_wait_alu 0xfffd
	v_xor_b32_e32 v6, vcc_lo, v6
	v_add_nc_u32_e32 v47, v52, v4
	v_and_b32_e32 v5, v5, v10
	s_wait_alu 0xf1ff
	v_xor_b32_e32 v4, s18, v7
	ds_load_b32 v46, v47 offset:64
	v_and_b32_e32 v5, v5, v6
	; wave barrier
	s_delay_alu instid0(VALU_DEP_1) | instskip(NEXT) | instid1(VALU_DEP_1)
	v_and_b32_e32 v4, v5, v4
	v_mbcnt_lo_u32_b32 v62, v4, 0
	v_cmp_ne_u32_e64 s18, 0, v4
	s_delay_alu instid0(VALU_DEP_2)
	v_cmp_eq_u32_e32 vcc_lo, 0, v62
	s_and_b32 s23, s18, vcc_lo
	s_wait_alu 0xfffe
	s_and_saveexec_b32 s18, s23
	s_cbranch_execz .LBB210_82
; %bb.81:                               ;   in Loop: Header=BB210_70 Depth=1
	s_wait_dscnt 0x0
	v_bcnt_u32_b32 v4, v4, v46
	ds_store_b32 v47, v4 offset:64
.LBB210_82:                             ;   in Loop: Header=BB210_70 Depth=1
	s_wait_alu 0xfffe
	s_or_b32 exec_lo, exec_lo, s18
	v_cmp_ne_u32_e32 vcc_lo, 0x80000000, v56
	; wave barrier
	s_wait_alu 0xfffd
	v_cndmask_b32_e32 v4, 0x7fffffff, v56, vcc_lo
	s_delay_alu instid0(VALU_DEP_1) | instskip(NEXT) | instid1(VALU_DEP_1)
	v_lshrrev_b32_e32 v4, s20, v4
	v_and_b32_e32 v4, s22, v4
	s_delay_alu instid0(VALU_DEP_1)
	v_and_b32_e32 v5, 1, v4
	v_lshlrev_b32_e32 v6, 30, v4
	v_lshlrev_b32_e32 v7, 29, v4
	;; [unrolled: 1-line block ×4, first 2 shown]
	v_add_co_u32 v5, s18, v5, -1
	s_wait_alu 0xf1ff
	v_cndmask_b32_e64 v9, 0, 1, s18
	v_not_b32_e32 v64, v6
	v_cmp_gt_i32_e64 s18, 0, v6
	v_not_b32_e32 v6, v7
	v_lshlrev_b32_e32 v11, 26, v4
	v_cmp_ne_u32_e32 vcc_lo, 0, v9
	v_ashrrev_i32_e32 v64, 31, v64
	v_lshlrev_b32_e32 v63, 25, v4
	v_ashrrev_i32_e32 v6, 31, v6
	v_lshlrev_b32_e32 v9, 24, v4
	s_wait_alu 0xfffd
	v_xor_b32_e32 v5, vcc_lo, v5
	v_cmp_gt_i32_e32 vcc_lo, 0, v7
	v_not_b32_e32 v7, v8
	s_wait_alu 0xf1ff
	v_xor_b32_e32 v64, s18, v64
	v_cmp_gt_i32_e64 s18, 0, v8
	v_and_b32_e32 v5, exec_lo, v5
	v_not_b32_e32 v8, v10
	v_ashrrev_i32_e32 v7, 31, v7
	s_wait_alu 0xfffd
	v_xor_b32_e32 v6, vcc_lo, v6
	v_cmp_gt_i32_e32 vcc_lo, 0, v10
	v_and_b32_e32 v5, v5, v64
	v_not_b32_e32 v10, v11
	v_ashrrev_i32_e32 v8, 31, v8
	s_wait_alu 0xf1ff
	v_xor_b32_e32 v7, s18, v7
	v_cmp_gt_i32_e64 s18, 0, v11
	v_and_b32_e32 v5, v5, v6
	v_not_b32_e32 v6, v63
	v_ashrrev_i32_e32 v10, 31, v10
	s_wait_alu 0xfffd
	v_xor_b32_e32 v8, vcc_lo, v8
	v_cmp_gt_i32_e32 vcc_lo, 0, v63
	v_and_b32_e32 v5, v5, v7
	v_not_b32_e32 v7, v9
	v_ashrrev_i32_e32 v6, 31, v6
	s_wait_alu 0xf1ff
	v_xor_b32_e32 v10, s18, v10
	v_lshlrev_b32_e32 v4, 6, v4
	v_and_b32_e32 v5, v5, v8
	v_cmp_gt_i32_e64 s18, 0, v9
	v_ashrrev_i32_e32 v7, 31, v7
	s_wait_alu 0xfffd
	v_xor_b32_e32 v6, vcc_lo, v6
	v_add_nc_u32_e32 v64, v52, v4
	v_and_b32_e32 v5, v5, v10
	s_wait_alu 0xf1ff
	v_xor_b32_e32 v4, s18, v7
	ds_load_b32 v63, v64 offset:64
	v_and_b32_e32 v5, v5, v6
	; wave barrier
	s_delay_alu instid0(VALU_DEP_1) | instskip(NEXT) | instid1(VALU_DEP_1)
	v_and_b32_e32 v4, v5, v4
	v_mbcnt_lo_u32_b32 v65, v4, 0
	v_cmp_ne_u32_e64 s18, 0, v4
	s_delay_alu instid0(VALU_DEP_2)
	v_cmp_eq_u32_e32 vcc_lo, 0, v65
	s_and_b32 s23, s18, vcc_lo
	s_wait_alu 0xfffe
	s_and_saveexec_b32 s18, s23
	s_cbranch_execz .LBB210_84
; %bb.83:                               ;   in Loop: Header=BB210_70 Depth=1
	s_wait_dscnt 0x0
	v_bcnt_u32_b32 v4, v4, v63
	ds_store_b32 v64, v4 offset:64
.LBB210_84:                             ;   in Loop: Header=BB210_70 Depth=1
	s_wait_alu 0xfffe
	s_or_b32 exec_lo, exec_lo, s18
	v_cmp_ne_u32_e32 vcc_lo, 0x80000000, v55
	; wave barrier
	s_wait_alu 0xfffd
	v_cndmask_b32_e32 v4, 0x7fffffff, v55, vcc_lo
	s_delay_alu instid0(VALU_DEP_1) | instskip(NEXT) | instid1(VALU_DEP_1)
	v_lshrrev_b32_e32 v4, s20, v4
	v_and_b32_e32 v4, s22, v4
	s_delay_alu instid0(VALU_DEP_1)
	v_and_b32_e32 v5, 1, v4
	v_lshlrev_b32_e32 v6, 30, v4
	v_lshlrev_b32_e32 v7, 29, v4
	;; [unrolled: 1-line block ×4, first 2 shown]
	v_add_co_u32 v5, s18, v5, -1
	s_wait_alu 0xf1ff
	v_cndmask_b32_e64 v9, 0, 1, s18
	v_not_b32_e32 v67, v6
	v_cmp_gt_i32_e64 s18, 0, v6
	v_not_b32_e32 v6, v7
	v_lshlrev_b32_e32 v11, 26, v4
	v_cmp_ne_u32_e32 vcc_lo, 0, v9
	v_ashrrev_i32_e32 v67, 31, v67
	v_lshlrev_b32_e32 v66, 25, v4
	v_ashrrev_i32_e32 v6, 31, v6
	v_lshlrev_b32_e32 v9, 24, v4
	s_wait_alu 0xfffd
	v_xor_b32_e32 v5, vcc_lo, v5
	v_cmp_gt_i32_e32 vcc_lo, 0, v7
	v_not_b32_e32 v7, v8
	s_wait_alu 0xf1ff
	v_xor_b32_e32 v67, s18, v67
	v_cmp_gt_i32_e64 s18, 0, v8
	v_and_b32_e32 v5, exec_lo, v5
	v_not_b32_e32 v8, v10
	v_ashrrev_i32_e32 v7, 31, v7
	s_wait_alu 0xfffd
	v_xor_b32_e32 v6, vcc_lo, v6
	v_cmp_gt_i32_e32 vcc_lo, 0, v10
	v_and_b32_e32 v5, v5, v67
	v_not_b32_e32 v10, v11
	v_ashrrev_i32_e32 v8, 31, v8
	s_wait_alu 0xf1ff
	v_xor_b32_e32 v7, s18, v7
	v_cmp_gt_i32_e64 s18, 0, v11
	v_and_b32_e32 v5, v5, v6
	v_not_b32_e32 v6, v66
	v_ashrrev_i32_e32 v10, 31, v10
	s_wait_alu 0xfffd
	v_xor_b32_e32 v8, vcc_lo, v8
	v_cmp_gt_i32_e32 vcc_lo, 0, v66
	v_and_b32_e32 v5, v5, v7
	v_not_b32_e32 v7, v9
	v_ashrrev_i32_e32 v6, 31, v6
	s_wait_alu 0xf1ff
	v_xor_b32_e32 v10, s18, v10
	v_lshlrev_b32_e32 v4, 6, v4
	v_and_b32_e32 v5, v5, v8
	v_cmp_gt_i32_e64 s18, 0, v9
	v_ashrrev_i32_e32 v7, 31, v7
	s_wait_alu 0xfffd
	v_xor_b32_e32 v6, vcc_lo, v6
	v_add_nc_u32_e32 v66, v52, v4
	v_and_b32_e32 v5, v5, v10
	s_wait_alu 0xf1ff
	v_xor_b32_e32 v4, s18, v7
	ds_load_b32 v71, v66 offset:64
	v_and_b32_e32 v5, v5, v6
	; wave barrier
	s_delay_alu instid0(VALU_DEP_1) | instskip(NEXT) | instid1(VALU_DEP_1)
	v_and_b32_e32 v4, v5, v4
	v_mbcnt_lo_u32_b32 v91, v4, 0
	v_cmp_ne_u32_e64 s18, 0, v4
	s_delay_alu instid0(VALU_DEP_2)
	v_cmp_eq_u32_e32 vcc_lo, 0, v91
	s_and_b32 s22, s18, vcc_lo
	s_wait_alu 0xfffe
	s_and_saveexec_b32 s18, s22
	s_cbranch_execz .LBB210_86
; %bb.85:                               ;   in Loop: Header=BB210_70 Depth=1
	s_wait_dscnt 0x0
	v_bcnt_u32_b32 v4, v4, v71
	ds_store_b32 v66, v4 offset:64
.LBB210_86:                             ;   in Loop: Header=BB210_70 Depth=1
	s_wait_alu 0xfffe
	s_or_b32 exec_lo, exec_lo, s18
	; wave barrier
	s_wait_loadcnt_dscnt 0x0
	s_barrier_signal -1
	s_barrier_wait -1
	global_inv scope:SCOPE_SE
	ds_load_b128 v[8:11], v89 offset:64
	ds_load_b128 v[4:7], v89 offset:80
	s_wait_dscnt 0x1
	v_add_nc_u32_e32 v67, v9, v8
	s_delay_alu instid0(VALU_DEP_1) | instskip(SKIP_1) | instid1(VALU_DEP_1)
	v_add3_u32 v67, v67, v10, v11
	s_wait_dscnt 0x0
	v_add3_u32 v67, v67, v4, v5
	s_delay_alu instid0(VALU_DEP_1) | instskip(NEXT) | instid1(VALU_DEP_1)
	v_add3_u32 v7, v67, v6, v7
	v_mov_b32_dpp v67, v7 row_shr:1 row_mask:0xf bank_mask:0xf
	s_delay_alu instid0(VALU_DEP_1) | instskip(NEXT) | instid1(VALU_DEP_1)
	v_cndmask_b32_e64 v67, v67, 0, s1
	v_add_nc_u32_e32 v7, v67, v7
	s_delay_alu instid0(VALU_DEP_1) | instskip(NEXT) | instid1(VALU_DEP_1)
	v_mov_b32_dpp v67, v7 row_shr:2 row_mask:0xf bank_mask:0xf
	v_cndmask_b32_e64 v67, 0, v67, s9
	s_delay_alu instid0(VALU_DEP_1) | instskip(NEXT) | instid1(VALU_DEP_1)
	v_add_nc_u32_e32 v7, v7, v67
	v_mov_b32_dpp v67, v7 row_shr:4 row_mask:0xf bank_mask:0xf
	s_delay_alu instid0(VALU_DEP_1) | instskip(NEXT) | instid1(VALU_DEP_1)
	v_cndmask_b32_e64 v67, 0, v67, s11
	v_add_nc_u32_e32 v7, v7, v67
	s_delay_alu instid0(VALU_DEP_1) | instskip(NEXT) | instid1(VALU_DEP_1)
	v_mov_b32_dpp v67, v7 row_shr:8 row_mask:0xf bank_mask:0xf
	v_cndmask_b32_e64 v67, 0, v67, s12
	s_delay_alu instid0(VALU_DEP_1) | instskip(SKIP_3) | instid1(VALU_DEP_1)
	v_add_nc_u32_e32 v7, v7, v67
	ds_swizzle_b32 v67, v7 offset:swizzle(BROADCAST,32,15)
	s_wait_dscnt 0x0
	v_cndmask_b32_e64 v67, v67, 0, s13
	v_add_nc_u32_e32 v7, v7, v67
	s_and_saveexec_b32 s18, s14
; %bb.87:                               ;   in Loop: Header=BB210_70 Depth=1
	ds_store_b32 v90, v7
; %bb.88:                               ;   in Loop: Header=BB210_70 Depth=1
	s_wait_alu 0xfffe
	s_or_b32 exec_lo, exec_lo, s18
	s_wait_loadcnt_dscnt 0x0
	s_barrier_signal -1
	s_barrier_wait -1
	global_inv scope:SCOPE_SE
	s_and_saveexec_b32 s18, s15
	s_cbranch_execz .LBB210_90
; %bb.89:                               ;   in Loop: Header=BB210_70 Depth=1
	ds_load_b32 v67, v53
	s_wait_dscnt 0x0
	v_mov_b32_dpp v68, v67 row_shr:1 row_mask:0xf bank_mask:0xf
	s_delay_alu instid0(VALU_DEP_1) | instskip(NEXT) | instid1(VALU_DEP_1)
	v_cndmask_b32_e64 v68, v68, 0, s1
	v_add_nc_u32_e32 v67, v68, v67
	s_delay_alu instid0(VALU_DEP_1) | instskip(NEXT) | instid1(VALU_DEP_1)
	v_mov_b32_dpp v68, v67 row_shr:2 row_mask:0xf bank_mask:0xf
	v_cndmask_b32_e64 v68, 0, v68, s9
	s_delay_alu instid0(VALU_DEP_1) | instskip(NEXT) | instid1(VALU_DEP_1)
	v_add_nc_u32_e32 v67, v67, v68
	v_mov_b32_dpp v68, v67 row_shr:4 row_mask:0xf bank_mask:0xf
	s_delay_alu instid0(VALU_DEP_1) | instskip(NEXT) | instid1(VALU_DEP_1)
	v_cndmask_b32_e64 v68, 0, v68, s11
	v_add_nc_u32_e32 v67, v67, v68
	s_delay_alu instid0(VALU_DEP_1) | instskip(NEXT) | instid1(VALU_DEP_1)
	v_mov_b32_dpp v68, v67 row_shr:8 row_mask:0xf bank_mask:0xf
	v_cndmask_b32_e64 v68, 0, v68, s12
	s_delay_alu instid0(VALU_DEP_1)
	v_add_nc_u32_e32 v67, v67, v68
	ds_store_b32 v53, v67
.LBB210_90:                             ;   in Loop: Header=BB210_70 Depth=1
	s_wait_alu 0xfffe
	s_or_b32 exec_lo, exec_lo, s18
	v_mov_b32_e32 v67, 0
	s_wait_loadcnt_dscnt 0x0
	s_barrier_signal -1
	s_barrier_wait -1
	global_inv scope:SCOPE_SE
	s_and_saveexec_b32 s18, s16
; %bb.91:                               ;   in Loop: Header=BB210_70 Depth=1
	ds_load_b32 v67, v51
; %bb.92:                               ;   in Loop: Header=BB210_70 Depth=1
	s_wait_alu 0xfffe
	s_or_b32 exec_lo, exec_lo, s18
	s_wait_dscnt 0x0
	v_add_nc_u32_e32 v7, v67, v7
	s_cmp_gt_u32 s20, 23
	s_mov_b32 s18, -1
	ds_bpermute_b32 v7, v50, v7
	s_wait_dscnt 0x0
	v_cndmask_b32_e64 v7, v7, v67, s10
	s_delay_alu instid0(VALU_DEP_1) | instskip(NEXT) | instid1(VALU_DEP_1)
	v_cndmask_b32_e64 v7, v7, 0, s17
	v_add_nc_u32_e32 v8, v7, v8
	s_delay_alu instid0(VALU_DEP_1) | instskip(NEXT) | instid1(VALU_DEP_1)
	v_add_nc_u32_e32 v9, v8, v9
	v_add_nc_u32_e32 v10, v9, v10
	s_delay_alu instid0(VALU_DEP_1) | instskip(NEXT) | instid1(VALU_DEP_1)
	v_add_nc_u32_e32 v67, v10, v11
	;; [unrolled: 3-line block ×3, first 2 shown]
	v_add_nc_u32_e32 v70, v69, v6
	ds_store_b128 v89, v[7:10] offset:64
	ds_store_b128 v89, v[67:70] offset:80
	s_wait_loadcnt_dscnt 0x0
	s_barrier_signal -1
	s_barrier_wait -1
	global_inv scope:SCOPE_SE
	ds_load_b32 v4, v13 offset:64
	ds_load_b32 v5, v16 offset:64
	;; [unrolled: 1-line block ×8, first 2 shown]
	s_wait_dscnt 0x7
	v_add_nc_u32_e32 v70, v4, v12
	s_wait_dscnt 0x6
	v_add3_u32 v69, v15, v14, v5
	s_wait_dscnt 0x5
	v_add3_u32 v68, v18, v17, v6
	;; [unrolled: 2-line block ×7, first 2 shown]
                                        ; implicit-def: $vgpr47
                                        ; implicit-def: $vgpr42
                                        ; implicit-def: $vgpr39
                                        ; implicit-def: $vgpr37
                                        ; implicit-def: $vgpr18_vgpr19
                                        ; implicit-def: $vgpr14_vgpr15
                                        ; implicit-def: $vgpr10_vgpr11
                                        ; implicit-def: $vgpr6_vgpr7
	s_cbranch_scc1 .LBB210_69
; %bb.93:                               ;   in Loop: Header=BB210_70 Depth=1
	v_lshlrev_b32_e32 v4, 2, v70
	v_lshlrev_b32_e32 v5, 2, v69
	;; [unrolled: 1-line block ×3, first 2 shown]
	s_wait_loadcnt 0x0
	s_barrier_signal -1
	s_barrier_wait -1
	global_inv scope:SCOPE_SE
	ds_store_b32 v4, v54
	ds_store_b32 v5, v61
	ds_store_b32 v6, v60
	v_lshlrev_b32_e32 v7, 2, v67
	v_add_nc_u32_e32 v4, v4, v4
	v_lshlrev_b32_e32 v8, 2, v66
	v_add_nc_u32_e32 v5, v5, v5
	;; [unrolled: 2-line block ×3, first 2 shown]
	v_lshlrev_b32_e32 v10, 2, v63
	v_lshlrev_b32_e32 v11, 2, v62
	ds_store_b32 v7, v59
	ds_store_b32 v8, v58
	;; [unrolled: 1-line block ×5, first 2 shown]
	s_wait_loadcnt_dscnt 0x0
	s_barrier_signal -1
	s_barrier_wait -1
	global_inv scope:SCOPE_SE
	ds_load_2addr_b32 v[36:37], v48 offset1:32
	ds_load_2addr_b32 v[38:39], v48 offset0:64 offset1:96
	ds_load_2addr_b32 v[41:42], v48 offset0:128 offset1:160
	;; [unrolled: 1-line block ×3, first 2 shown]
	s_wait_loadcnt_dscnt 0x0
	s_barrier_signal -1
	s_barrier_wait -1
	global_inv scope:SCOPE_SE
	ds_store_b64 v4, v[34:35]
	ds_store_b64 v5, v[32:33]
	ds_store_b64 v6, v[30:31]
	v_add_nc_u32_e32 v4, v7, v7
	v_add_nc_u32_e32 v5, v8, v8
	;; [unrolled: 1-line block ×5, first 2 shown]
	ds_store_b64 v4, v[28:29]
	ds_store_b64 v5, v[26:27]
	;; [unrolled: 1-line block ×5, first 2 shown]
	s_wait_loadcnt_dscnt 0x0
	s_barrier_signal -1
	s_barrier_wait -1
	global_inv scope:SCOPE_SE
	ds_load_2addr_b64 v[4:7], v49 offset1:32
	ds_load_2addr_b64 v[8:11], v49 offset0:64 offset1:96
	ds_load_2addr_b64 v[12:15], v49 offset0:128 offset1:160
	;; [unrolled: 1-line block ×3, first 2 shown]
	s_add_co_i32 s20, s20, 8
	s_add_co_i32 s21, s21, -8
	s_mov_b32 s18, 0
	s_wait_loadcnt_dscnt 0x0
	s_barrier_signal -1
	s_barrier_wait -1
	global_inv scope:SCOPE_SE
	s_branch .LBB210_69
.LBB210_94:
	v_lshlrev_b32_e32 v8, 2, v70
	v_lshlrev_b32_e32 v11, 2, v67
	;; [unrolled: 1-line block ×8, first 2 shown]
	s_wait_loadcnt 0x0
	s_barrier_signal -1
	s_barrier_wait -1
	global_inv scope:SCOPE_SE
	ds_store_b32 v8, v54
	ds_store_b32 v9, v61
	;; [unrolled: 1-line block ×8, first 2 shown]
	s_wait_loadcnt_dscnt 0x0
	s_barrier_signal -1
	s_barrier_wait -1
	global_inv scope:SCOPE_SE
	ds_load_b128 v[0:3], v89
	ds_load_b128 v[4:7], v89 offset:16
	v_add_nc_u32_e32 v8, v8, v8
	v_add_nc_u32_e32 v9, v9, v9
	;; [unrolled: 1-line block ×3, first 2 shown]
	s_wait_loadcnt_dscnt 0x0
	s_barrier_signal -1
	s_barrier_wait -1
	global_inv scope:SCOPE_SE
	ds_store_b64 v8, v[34:35]
	ds_store_b64 v9, v[32:33]
	;; [unrolled: 1-line block ×3, first 2 shown]
	v_add_nc_u32_e32 v8, v11, v11
	v_add_nc_u32_e32 v9, v12, v12
	;; [unrolled: 1-line block ×5, first 2 shown]
	ds_store_b64 v8, v[28:29]
	ds_store_b64 v9, v[26:27]
	;; [unrolled: 1-line block ×5, first 2 shown]
	v_lshl_add_u32 v8, v45, 5, v89
	s_wait_loadcnt_dscnt 0x0
	s_barrier_signal -1
	s_barrier_wait -1
	v_cmp_gt_i32_e32 vcc_lo, 0, v0
	global_inv scope:SCOPE_SE
	ds_load_b128 v[28:31], v8
	ds_load_b128 v[24:27], v8 offset:16
	ds_load_b128 v[36:39], v8 offset:32
	;; [unrolled: 1-line block ×3, first 2 shown]
	s_wait_alu 0xfffd
	v_cndmask_b32_e64 v9, 0x7fffffff, 0, vcc_lo
	v_cmp_gt_i32_e32 vcc_lo, 0, v1
	s_delay_alu instid0(VALU_DEP_2) | instskip(SKIP_3) | instid1(VALU_DEP_2)
	v_xor_b32_e32 v0, v9, v0
	s_wait_alu 0xfffd
	v_cndmask_b32_e64 v10, 0x7fffffff, 0, vcc_lo
	v_cmp_gt_i32_e32 vcc_lo, 0, v2
	v_xor_b32_e32 v1, v10, v1
	s_wait_alu 0xfffd
	v_cndmask_b32_e64 v11, 0x7fffffff, 0, vcc_lo
	v_cmp_gt_i32_e32 vcc_lo, 0, v3
	s_delay_alu instid0(VALU_DEP_2) | instskip(SKIP_3) | instid1(VALU_DEP_2)
	v_xor_b32_e32 v2, v11, v2
	s_wait_alu 0xfffd
	v_cndmask_b32_e64 v8, 0x7fffffff, 0, vcc_lo
	v_cmp_gt_i32_e32 vcc_lo, 0, v4
	v_xor_b32_e32 v3, v8, v3
	;; [unrolled: 9-line block ×3, first 2 shown]
	s_wait_alu 0xfffd
	v_cndmask_b32_e64 v11, 0x7fffffff, 0, vcc_lo
	v_cmp_gt_i32_e32 vcc_lo, 0, v7
	s_delay_alu instid0(VALU_DEP_2) | instskip(SKIP_2) | instid1(VALU_DEP_1)
	v_xor_b32_e32 v6, v11, v6
	s_wait_alu 0xfffd
	v_cndmask_b32_e64 v12, 0x7fffffff, 0, vcc_lo
	v_xor_b32_e32 v7, v12, v7
.LBB210_95:
	s_wait_loadcnt_dscnt 0x0
	s_barrier_signal -1
	s_barrier_wait -1
	global_inv scope:SCOPE_SE
	ds_store_2addr_b32 v79, v0, v1 offset1:1
	ds_store_2addr_b32 v79, v2, v3 offset0:2 offset1:3
	ds_store_2addr_b32 v79, v4, v5 offset0:4 offset1:5
	;; [unrolled: 1-line block ×3, first 2 shown]
	s_wait_loadcnt_dscnt 0x0
	s_barrier_signal -1
	s_barrier_wait -1
	global_inv scope:SCOPE_SE
	ds_load_b32 v8, v44 offset:2048
	ds_load_b32 v7, v73 offset:4096
	;; [unrolled: 1-line block ×7, first 2 shown]
	v_mov_b32_e32 v44, 0
	s_delay_alu instid0(VALU_DEP_1) | instskip(NEXT) | instid1(VALU_DEP_1)
	v_lshlrev_b64_e32 v[0:1], 2, v[43:44]
	v_add_co_u32 v0, vcc_lo, s30, v0
	s_wait_alu 0xfffd
	s_delay_alu instid0(VALU_DEP_2)
	v_add_co_ci_u32_e64 v1, null, s31, v1, vcc_lo
	s_and_saveexec_b32 s1, s2
	s_cbranch_execnz .LBB210_114
; %bb.96:
	s_wait_alu 0xfffe
	s_or_b32 exec_lo, exec_lo, s1
	s_and_saveexec_b32 s1, s3
	s_cbranch_execnz .LBB210_115
.LBB210_97:
	s_wait_alu 0xfffe
	s_or_b32 exec_lo, exec_lo, s1
	s_and_saveexec_b32 s1, s4
	s_cbranch_execnz .LBB210_116
.LBB210_98:
	s_wait_alu 0xfffe
	s_or_b32 exec_lo, exec_lo, s1
	s_and_saveexec_b32 s1, s5
	s_cbranch_execnz .LBB210_117
.LBB210_99:
	s_wait_alu 0xfffe
	s_or_b32 exec_lo, exec_lo, s1
	s_and_saveexec_b32 s1, s6
	s_cbranch_execnz .LBB210_118
.LBB210_100:
	s_wait_alu 0xfffe
	s_or_b32 exec_lo, exec_lo, s1
	s_and_saveexec_b32 s1, s7
	s_cbranch_execnz .LBB210_119
.LBB210_101:
	s_wait_alu 0xfffe
	s_or_b32 exec_lo, exec_lo, s1
	s_and_saveexec_b32 s1, s8
	s_cbranch_execnz .LBB210_120
.LBB210_102:
	s_wait_alu 0xfffe
	s_or_b32 exec_lo, exec_lo, s1
	s_and_saveexec_b32 s1, s0
	s_cbranch_execz .LBB210_104
.LBB210_103:
	s_mul_i32 s10, s26, 0xe00
	s_mov_b32 s11, 0
	s_wait_alu 0xfffe
	s_lshl_b64 s[10:11], s[10:11], 2
	s_wait_alu 0xfffe
	v_add_co_u32 v0, vcc_lo, v0, s10
	s_wait_alu 0xfffd
	v_add_co_ci_u32_e64 v1, null, s11, v1, vcc_lo
	s_wait_dscnt 0x0
	global_store_b32 v[0:1], v2, off
.LBB210_104:
	s_wait_alu 0xfffe
	s_or_b32 exec_lo, exec_lo, s1
	s_wait_storecnt 0x0
	s_wait_loadcnt_dscnt 0x0
	s_barrier_signal -1
	s_barrier_wait -1
	global_inv scope:SCOPE_SE
	ds_store_2addr_b64 v88, v[28:29], v[30:31] offset1:1
	ds_store_2addr_b64 v88, v[24:25], v[26:27] offset0:2 offset1:3
	ds_store_2addr_b64 v88, v[36:37], v[38:39] offset0:4 offset1:5
	;; [unrolled: 1-line block ×3, first 2 shown]
	s_wait_loadcnt_dscnt 0x0
	s_barrier_signal -1
	s_barrier_wait -1
	global_inv scope:SCOPE_SE
	ds_load_b64 v[14:15], v81 offset:4096
	ds_load_b64 v[12:13], v82 offset:8192
	ds_load_b64 v[10:11], v83 offset:12288
	ds_load_b64 v[8:9], v84 offset:16384
	ds_load_b64 v[6:7], v85 offset:20480
	ds_load_b64 v[4:5], v86 offset:24576
	ds_load_b64 v[0:1], v87 offset:28672
	v_mov_b32_e32 v41, 0
	s_delay_alu instid0(VALU_DEP_1) | instskip(NEXT) | instid1(VALU_DEP_1)
	v_lshlrev_b64_e32 v[2:3], 3, v[40:41]
	v_add_co_u32 v2, vcc_lo, s24, v2
	s_wait_alu 0xfffd
	s_delay_alu instid0(VALU_DEP_2)
	v_add_co_ci_u32_e64 v3, null, s25, v3, vcc_lo
	s_and_saveexec_b32 s1, s2
	s_cbranch_execnz .LBB210_121
; %bb.105:
	s_wait_alu 0xfffe
	s_or_b32 exec_lo, exec_lo, s1
	s_and_saveexec_b32 s1, s3
	s_cbranch_execnz .LBB210_122
.LBB210_106:
	s_wait_alu 0xfffe
	s_or_b32 exec_lo, exec_lo, s1
	s_and_saveexec_b32 s1, s4
	s_cbranch_execnz .LBB210_123
.LBB210_107:
	s_wait_alu 0xfffe
	s_or_b32 exec_lo, exec_lo, s1
	s_and_saveexec_b32 s1, s5
	s_cbranch_execnz .LBB210_124
.LBB210_108:
	s_wait_alu 0xfffe
	s_or_b32 exec_lo, exec_lo, s1
	s_and_saveexec_b32 s1, s6
	s_cbranch_execnz .LBB210_125
.LBB210_109:
	s_wait_alu 0xfffe
	s_or_b32 exec_lo, exec_lo, s1
	s_and_saveexec_b32 s1, s7
	s_cbranch_execnz .LBB210_126
.LBB210_110:
	s_wait_alu 0xfffe
	s_or_b32 exec_lo, exec_lo, s1
	s_and_saveexec_b32 s1, s8
	s_cbranch_execnz .LBB210_127
.LBB210_111:
	s_wait_alu 0xfffe
	s_or_b32 exec_lo, exec_lo, s1
	s_and_saveexec_b32 s1, s0
	s_cbranch_execz .LBB210_113
.LBB210_112:
	s_mul_i32 s0, s28, 0xe00
	s_mov_b32 s1, 0
	s_wait_alu 0xfffe
	s_lshl_b64 s[0:1], s[0:1], 3
	s_wait_alu 0xfffe
	v_add_co_u32 v2, vcc_lo, v2, s0
	s_wait_alu 0xfffd
	v_add_co_ci_u32_e64 v3, null, s1, v3, vcc_lo
	s_wait_dscnt 0x0
	global_store_b64 v[2:3], v[0:1], off
.LBB210_113:
	s_nop 0
	s_sendmsg sendmsg(MSG_DEALLOC_VGPRS)
	s_endpgm
.LBB210_114:
	ds_load_b32 v9, v72
	s_wait_dscnt 0x0
	global_store_b32 v[0:1], v9, off
	s_wait_alu 0xfffe
	s_or_b32 exec_lo, exec_lo, s1
	s_and_saveexec_b32 s1, s3
	s_cbranch_execz .LBB210_97
.LBB210_115:
	s_lshl_b32 s10, s26, 9
	s_mov_b32 s11, 0
	s_wait_alu 0xfffe
	s_lshl_b64 s[10:11], s[10:11], 2
	s_wait_alu 0xfffe
	v_add_co_u32 v9, vcc_lo, v0, s10
	s_wait_alu 0xfffd
	v_add_co_ci_u32_e64 v10, null, s11, v1, vcc_lo
	s_wait_dscnt 0x6
	global_store_b32 v[9:10], v8, off
	s_or_b32 exec_lo, exec_lo, s1
	s_and_saveexec_b32 s1, s4
	s_cbranch_execz .LBB210_98
.LBB210_116:
	s_lshl_b32 s10, s26, 10
	s_mov_b32 s11, 0
	s_wait_alu 0xfffe
	s_lshl_b64 s[10:11], s[10:11], 2
	s_wait_dscnt 0x6
	s_wait_alu 0xfffe
	v_add_co_u32 v8, vcc_lo, v0, s10
	s_wait_alu 0xfffd
	v_add_co_ci_u32_e64 v9, null, s11, v1, vcc_lo
	s_wait_dscnt 0x5
	global_store_b32 v[8:9], v7, off
	s_or_b32 exec_lo, exec_lo, s1
	s_and_saveexec_b32 s1, s5
	s_cbranch_execz .LBB210_99
.LBB210_117:
	s_mul_i32 s10, s26, 0x600
	s_mov_b32 s11, 0
	s_wait_alu 0xfffe
	s_lshl_b64 s[10:11], s[10:11], 2
	s_wait_dscnt 0x5
	s_wait_alu 0xfffe
	v_add_co_u32 v7, vcc_lo, v0, s10
	s_wait_alu 0xfffd
	v_add_co_ci_u32_e64 v8, null, s11, v1, vcc_lo
	s_wait_dscnt 0x4
	global_store_b32 v[7:8], v6, off
	s_or_b32 exec_lo, exec_lo, s1
	s_and_saveexec_b32 s1, s6
	s_cbranch_execz .LBB210_100
.LBB210_118:
	s_lshl_b32 s10, s26, 11
	s_mov_b32 s11, 0
	s_wait_alu 0xfffe
	s_lshl_b64 s[10:11], s[10:11], 2
	s_wait_dscnt 0x4
	s_wait_alu 0xfffe
	v_add_co_u32 v6, vcc_lo, v0, s10
	s_wait_alu 0xfffd
	v_add_co_ci_u32_e64 v7, null, s11, v1, vcc_lo
	s_wait_dscnt 0x3
	global_store_b32 v[6:7], v5, off
	s_or_b32 exec_lo, exec_lo, s1
	s_and_saveexec_b32 s1, s7
	s_cbranch_execz .LBB210_101
.LBB210_119:
	s_mul_i32 s10, s26, 0xa00
	s_mov_b32 s11, 0
	s_wait_alu 0xfffe
	s_lshl_b64 s[10:11], s[10:11], 2
	s_wait_dscnt 0x3
	s_wait_alu 0xfffe
	v_add_co_u32 v5, vcc_lo, v0, s10
	s_wait_alu 0xfffd
	v_add_co_ci_u32_e64 v6, null, s11, v1, vcc_lo
	s_wait_dscnt 0x2
	global_store_b32 v[5:6], v4, off
	s_or_b32 exec_lo, exec_lo, s1
	s_and_saveexec_b32 s1, s8
	s_cbranch_execz .LBB210_102
.LBB210_120:
	s_mul_i32 s10, s26, 0xc00
	s_mov_b32 s11, 0
	s_wait_alu 0xfffe
	s_lshl_b64 s[10:11], s[10:11], 2
	s_wait_dscnt 0x2
	s_wait_alu 0xfffe
	v_add_co_u32 v4, vcc_lo, v0, s10
	s_wait_alu 0xfffd
	v_add_co_ci_u32_e64 v5, null, s11, v1, vcc_lo
	s_wait_dscnt 0x1
	global_store_b32 v[4:5], v3, off
	s_or_b32 exec_lo, exec_lo, s1
	s_and_saveexec_b32 s1, s0
	s_cbranch_execnz .LBB210_103
	s_branch .LBB210_104
.LBB210_121:
	ds_load_b64 v[16:17], v80
	s_wait_dscnt 0x0
	global_store_b64 v[2:3], v[16:17], off
	s_wait_alu 0xfffe
	s_or_b32 exec_lo, exec_lo, s1
	s_and_saveexec_b32 s1, s3
	s_cbranch_execz .LBB210_106
.LBB210_122:
	s_lshl_b32 s2, s28, 9
	s_mov_b32 s3, 0
	s_delay_alu instid0(SALU_CYCLE_1) | instskip(NEXT) | instid1(SALU_CYCLE_1)
	s_lshl_b64 s[2:3], s[2:3], 3
	v_add_co_u32 v16, vcc_lo, v2, s2
	s_wait_alu 0xfffd
	v_add_co_ci_u32_e64 v17, null, s3, v3, vcc_lo
	s_wait_dscnt 0x6
	global_store_b64 v[16:17], v[14:15], off
	s_wait_alu 0xfffe
	s_or_b32 exec_lo, exec_lo, s1
	s_and_saveexec_b32 s1, s4
	s_cbranch_execz .LBB210_107
.LBB210_123:
	s_lshl_b32 s2, s28, 10
	s_mov_b32 s3, 0
	s_wait_alu 0xfffe
	s_lshl_b64 s[2:3], s[2:3], 3
	s_wait_dscnt 0x6
	s_wait_alu 0xfffe
	v_add_co_u32 v14, vcc_lo, v2, s2
	s_wait_alu 0xfffd
	v_add_co_ci_u32_e64 v15, null, s3, v3, vcc_lo
	s_wait_dscnt 0x5
	global_store_b64 v[14:15], v[12:13], off
	s_or_b32 exec_lo, exec_lo, s1
	s_and_saveexec_b32 s1, s5
	s_cbranch_execz .LBB210_108
.LBB210_124:
	s_mul_i32 s2, s28, 0x600
	s_mov_b32 s3, 0
	s_wait_alu 0xfffe
	s_lshl_b64 s[2:3], s[2:3], 3
	s_wait_dscnt 0x5
	s_wait_alu 0xfffe
	v_add_co_u32 v12, vcc_lo, v2, s2
	s_wait_alu 0xfffd
	v_add_co_ci_u32_e64 v13, null, s3, v3, vcc_lo
	s_wait_dscnt 0x4
	global_store_b64 v[12:13], v[10:11], off
	s_or_b32 exec_lo, exec_lo, s1
	s_and_saveexec_b32 s1, s6
	s_cbranch_execz .LBB210_109
.LBB210_125:
	s_lshl_b32 s2, s28, 11
	s_mov_b32 s3, 0
	s_wait_alu 0xfffe
	s_lshl_b64 s[2:3], s[2:3], 3
	s_wait_dscnt 0x4
	s_wait_alu 0xfffe
	v_add_co_u32 v10, vcc_lo, v2, s2
	s_wait_alu 0xfffd
	v_add_co_ci_u32_e64 v11, null, s3, v3, vcc_lo
	s_wait_dscnt 0x3
	global_store_b64 v[10:11], v[8:9], off
	s_or_b32 exec_lo, exec_lo, s1
	s_and_saveexec_b32 s1, s7
	s_cbranch_execz .LBB210_110
.LBB210_126:
	s_mul_i32 s2, s28, 0xa00
	s_mov_b32 s3, 0
	s_wait_alu 0xfffe
	s_lshl_b64 s[2:3], s[2:3], 3
	s_wait_dscnt 0x3
	s_wait_alu 0xfffe
	v_add_co_u32 v8, vcc_lo, v2, s2
	s_wait_alu 0xfffd
	v_add_co_ci_u32_e64 v9, null, s3, v3, vcc_lo
	s_wait_dscnt 0x2
	global_store_b64 v[8:9], v[6:7], off
	s_or_b32 exec_lo, exec_lo, s1
	s_and_saveexec_b32 s1, s8
	s_cbranch_execz .LBB210_111
.LBB210_127:
	s_mul_i32 s2, s28, 0xc00
	s_mov_b32 s3, 0
	s_wait_alu 0xfffe
	s_lshl_b64 s[2:3], s[2:3], 3
	s_wait_dscnt 0x2
	s_wait_alu 0xfffe
	v_add_co_u32 v6, vcc_lo, v2, s2
	s_wait_alu 0xfffd
	v_add_co_ci_u32_e64 v7, null, s3, v3, vcc_lo
	s_wait_dscnt 0x1
	global_store_b64 v[6:7], v[4:5], off
	s_or_b32 exec_lo, exec_lo, s1
	s_and_saveexec_b32 s1, s0
	s_cbranch_execnz .LBB210_112
	s_branch .LBB210_113
	.section	.rodata,"a",@progbits
	.p2align	6, 0x0
	.amdhsa_kernel _ZN2at6native18radixSortKVInPlaceILin1ELin1ELi512ELi8EfljEEvNS_4cuda6detail10TensorInfoIT3_T5_EES6_S6_S6_NS4_IT4_S6_EES6_b
		.amdhsa_group_segment_fixed_size 33792
		.amdhsa_private_segment_fixed_size 0
		.amdhsa_kernarg_size 712
		.amdhsa_user_sgpr_count 2
		.amdhsa_user_sgpr_dispatch_ptr 0
		.amdhsa_user_sgpr_queue_ptr 0
		.amdhsa_user_sgpr_kernarg_segment_ptr 1
		.amdhsa_user_sgpr_dispatch_id 0
		.amdhsa_user_sgpr_private_segment_size 0
		.amdhsa_wavefront_size32 1
		.amdhsa_uses_dynamic_stack 0
		.amdhsa_enable_private_segment 0
		.amdhsa_system_sgpr_workgroup_id_x 1
		.amdhsa_system_sgpr_workgroup_id_y 1
		.amdhsa_system_sgpr_workgroup_id_z 1
		.amdhsa_system_sgpr_workgroup_info 0
		.amdhsa_system_vgpr_workitem_id 2
		.amdhsa_next_free_vgpr 121
		.amdhsa_next_free_sgpr 36
		.amdhsa_reserve_vcc 1
		.amdhsa_float_round_mode_32 0
		.amdhsa_float_round_mode_16_64 0
		.amdhsa_float_denorm_mode_32 3
		.amdhsa_float_denorm_mode_16_64 3
		.amdhsa_fp16_overflow 0
		.amdhsa_workgroup_processor_mode 1
		.amdhsa_memory_ordered 1
		.amdhsa_forward_progress 1
		.amdhsa_inst_pref_size 122
		.amdhsa_round_robin_scheduling 0
		.amdhsa_exception_fp_ieee_invalid_op 0
		.amdhsa_exception_fp_denorm_src 0
		.amdhsa_exception_fp_ieee_div_zero 0
		.amdhsa_exception_fp_ieee_overflow 0
		.amdhsa_exception_fp_ieee_underflow 0
		.amdhsa_exception_fp_ieee_inexact 0
		.amdhsa_exception_int_div_zero 0
	.end_amdhsa_kernel
	.section	.text._ZN2at6native18radixSortKVInPlaceILin1ELin1ELi512ELi8EfljEEvNS_4cuda6detail10TensorInfoIT3_T5_EES6_S6_S6_NS4_IT4_S6_EES6_b,"axG",@progbits,_ZN2at6native18radixSortKVInPlaceILin1ELin1ELi512ELi8EfljEEvNS_4cuda6detail10TensorInfoIT3_T5_EES6_S6_S6_NS4_IT4_S6_EES6_b,comdat
.Lfunc_end210:
	.size	_ZN2at6native18radixSortKVInPlaceILin1ELin1ELi512ELi8EfljEEvNS_4cuda6detail10TensorInfoIT3_T5_EES6_S6_S6_NS4_IT4_S6_EES6_b, .Lfunc_end210-_ZN2at6native18radixSortKVInPlaceILin1ELin1ELi512ELi8EfljEEvNS_4cuda6detail10TensorInfoIT3_T5_EES6_S6_S6_NS4_IT4_S6_EES6_b
                                        ; -- End function
	.set _ZN2at6native18radixSortKVInPlaceILin1ELin1ELi512ELi8EfljEEvNS_4cuda6detail10TensorInfoIT3_T5_EES6_S6_S6_NS4_IT4_S6_EES6_b.num_vgpr, 121
	.set _ZN2at6native18radixSortKVInPlaceILin1ELin1ELi512ELi8EfljEEvNS_4cuda6detail10TensorInfoIT3_T5_EES6_S6_S6_NS4_IT4_S6_EES6_b.num_agpr, 0
	.set _ZN2at6native18radixSortKVInPlaceILin1ELin1ELi512ELi8EfljEEvNS_4cuda6detail10TensorInfoIT3_T5_EES6_S6_S6_NS4_IT4_S6_EES6_b.numbered_sgpr, 36
	.set _ZN2at6native18radixSortKVInPlaceILin1ELin1ELi512ELi8EfljEEvNS_4cuda6detail10TensorInfoIT3_T5_EES6_S6_S6_NS4_IT4_S6_EES6_b.num_named_barrier, 0
	.set _ZN2at6native18radixSortKVInPlaceILin1ELin1ELi512ELi8EfljEEvNS_4cuda6detail10TensorInfoIT3_T5_EES6_S6_S6_NS4_IT4_S6_EES6_b.private_seg_size, 0
	.set _ZN2at6native18radixSortKVInPlaceILin1ELin1ELi512ELi8EfljEEvNS_4cuda6detail10TensorInfoIT3_T5_EES6_S6_S6_NS4_IT4_S6_EES6_b.uses_vcc, 1
	.set _ZN2at6native18radixSortKVInPlaceILin1ELin1ELi512ELi8EfljEEvNS_4cuda6detail10TensorInfoIT3_T5_EES6_S6_S6_NS4_IT4_S6_EES6_b.uses_flat_scratch, 0
	.set _ZN2at6native18radixSortKVInPlaceILin1ELin1ELi512ELi8EfljEEvNS_4cuda6detail10TensorInfoIT3_T5_EES6_S6_S6_NS4_IT4_S6_EES6_b.has_dyn_sized_stack, 0
	.set _ZN2at6native18radixSortKVInPlaceILin1ELin1ELi512ELi8EfljEEvNS_4cuda6detail10TensorInfoIT3_T5_EES6_S6_S6_NS4_IT4_S6_EES6_b.has_recursion, 0
	.set _ZN2at6native18radixSortKVInPlaceILin1ELin1ELi512ELi8EfljEEvNS_4cuda6detail10TensorInfoIT3_T5_EES6_S6_S6_NS4_IT4_S6_EES6_b.has_indirect_call, 0
	.section	.AMDGPU.csdata,"",@progbits
; Kernel info:
; codeLenInByte = 15556
; TotalNumSgprs: 38
; NumVgprs: 121
; ScratchSize: 0
; MemoryBound: 0
; FloatMode: 240
; IeeeMode: 1
; LDSByteSize: 33792 bytes/workgroup (compile time only)
; SGPRBlocks: 0
; VGPRBlocks: 15
; NumSGPRsForWavesPerEU: 38
; NumVGPRsForWavesPerEU: 121
; Occupancy: 10
; WaveLimiterHint : 1
; COMPUTE_PGM_RSRC2:SCRATCH_EN: 0
; COMPUTE_PGM_RSRC2:USER_SGPR: 2
; COMPUTE_PGM_RSRC2:TRAP_HANDLER: 0
; COMPUTE_PGM_RSRC2:TGID_X_EN: 1
; COMPUTE_PGM_RSRC2:TGID_Y_EN: 1
; COMPUTE_PGM_RSRC2:TGID_Z_EN: 1
; COMPUTE_PGM_RSRC2:TIDIG_COMP_CNT: 2
	.section	.text._ZN2at6native18radixSortKVInPlaceILin1ELin1ELi256ELi8EfljEEvNS_4cuda6detail10TensorInfoIT3_T5_EES6_S6_S6_NS4_IT4_S6_EES6_b,"axG",@progbits,_ZN2at6native18radixSortKVInPlaceILin1ELin1ELi256ELi8EfljEEvNS_4cuda6detail10TensorInfoIT3_T5_EES6_S6_S6_NS4_IT4_S6_EES6_b,comdat
	.protected	_ZN2at6native18radixSortKVInPlaceILin1ELin1ELi256ELi8EfljEEvNS_4cuda6detail10TensorInfoIT3_T5_EES6_S6_S6_NS4_IT4_S6_EES6_b ; -- Begin function _ZN2at6native18radixSortKVInPlaceILin1ELin1ELi256ELi8EfljEEvNS_4cuda6detail10TensorInfoIT3_T5_EES6_S6_S6_NS4_IT4_S6_EES6_b
	.globl	_ZN2at6native18radixSortKVInPlaceILin1ELin1ELi256ELi8EfljEEvNS_4cuda6detail10TensorInfoIT3_T5_EES6_S6_S6_NS4_IT4_S6_EES6_b
	.p2align	8
	.type	_ZN2at6native18radixSortKVInPlaceILin1ELin1ELi256ELi8EfljEEvNS_4cuda6detail10TensorInfoIT3_T5_EES6_S6_S6_NS4_IT4_S6_EES6_b,@function
_ZN2at6native18radixSortKVInPlaceILin1ELin1ELi256ELi8EfljEEvNS_4cuda6detail10TensorInfoIT3_T5_EES6_S6_S6_NS4_IT4_S6_EES6_b: ; @_ZN2at6native18radixSortKVInPlaceILin1ELin1ELi256ELi8EfljEEvNS_4cuda6detail10TensorInfoIT3_T5_EES6_S6_S6_NS4_IT4_S6_EES6_b
; %bb.0:
	s_clause 0x1
	s_load_b64 s[2:3], s[0:1], 0x1c8
	s_load_b96 s[20:22], s[0:1], 0xd8
	s_lshr_b32 s4, ttmp7, 16
	s_wait_kmcnt 0x0
	s_mul_i32 s3, s3, s4
	s_and_b32 s4, ttmp7, 0xffff
	s_delay_alu instid0(SALU_CYCLE_1) | instskip(NEXT) | instid1(SALU_CYCLE_1)
	s_add_co_i32 s3, s3, s4
	s_mul_i32 s2, s3, s2
	s_delay_alu instid0(SALU_CYCLE_1) | instskip(NEXT) | instid1(SALU_CYCLE_1)
	s_add_co_i32 s14, s2, ttmp9
	s_cmp_ge_u32 s14, s20
	s_cbranch_scc1 .LBB211_113
; %bb.1:
	s_load_b32 s4, s[0:1], 0xd0
	s_mov_b32 s3, 0
	s_mov_b32 s2, s14
	s_wait_kmcnt 0x0
	s_cmp_lt_i32 s4, 2
	s_cbranch_scc1 .LBB211_4
; %bb.2:
	s_add_co_i32 s2, s4, -1
	s_delay_alu instid0(SALU_CYCLE_1)
	s_lshl_b64 s[6:7], s[2:3], 2
	s_mov_b32 s2, s14
	s_add_nc_u64 s[8:9], s[0:1], s[6:7]
	s_add_co_i32 s6, s4, 1
	s_add_nc_u64 s[4:5], s[8:9], 8
.LBB211_3:                              ; =>This Inner Loop Header: Depth=1
	s_clause 0x1
	s_load_b32 s7, s[4:5], 0x0
	s_load_b32 s8, s[4:5], 0x64
	s_mov_b32 s11, s2
	s_add_nc_u64 s[4:5], s[4:5], -4
	s_wait_kmcnt 0x0
	s_cvt_f32_u32 s9, s7
	s_sub_co_i32 s10, 0, s7
	s_wait_alu 0xfffe
	s_delay_alu instid0(SALU_CYCLE_1) | instskip(NEXT) | instid1(TRANS32_DEP_1)
	v_rcp_iflag_f32_e32 v1, s9
	v_readfirstlane_b32 s9, v1
	s_mul_f32 s9, s9, 0x4f7ffffe
	s_wait_alu 0xfffe
	s_delay_alu instid0(SALU_CYCLE_2) | instskip(SKIP_1) | instid1(SALU_CYCLE_2)
	s_cvt_u32_f32 s9, s9
	s_wait_alu 0xfffe
	s_mul_i32 s10, s10, s9
	s_delay_alu instid0(SALU_CYCLE_1) | instskip(NEXT) | instid1(SALU_CYCLE_1)
	s_mul_hi_u32 s10, s9, s10
	s_add_co_i32 s9, s9, s10
	s_wait_alu 0xfffe
	s_mul_hi_u32 s2, s2, s9
	s_delay_alu instid0(SALU_CYCLE_1)
	s_mul_i32 s9, s2, s7
	s_add_co_i32 s10, s2, 1
	s_wait_alu 0xfffe
	s_sub_co_i32 s9, s11, s9
	s_wait_alu 0xfffe
	s_sub_co_i32 s12, s9, s7
	s_cmp_ge_u32 s9, s7
	s_cselect_b32 s2, s10, s2
	s_cselect_b32 s9, s12, s9
	s_add_co_i32 s10, s2, 1
	s_wait_alu 0xfffe
	s_cmp_ge_u32 s9, s7
	s_cselect_b32 s2, s10, s2
	s_add_co_i32 s6, s6, -1
	s_mul_i32 s7, s2, s7
	s_delay_alu instid0(SALU_CYCLE_1) | instskip(NEXT) | instid1(SALU_CYCLE_1)
	s_sub_co_i32 s7, s11, s7
	s_mul_i32 s7, s8, s7
	s_delay_alu instid0(SALU_CYCLE_1)
	s_add_co_i32 s3, s7, s3
	s_cmp_gt_u32 s6, 2
	s_cbranch_scc1 .LBB211_3
.LBB211_4:
	s_load_b32 s4, s[0:1], 0x1b8
	s_add_nc_u64 s[36:37], s[0:1], 0x1c8
	s_mov_b32 s13, 0
	s_wait_kmcnt 0x0
	s_cmp_lt_i32 s4, 2
	s_cbranch_scc1 .LBB211_7
; %bb.5:
	s_add_co_i32 s12, s4, -1
	s_delay_alu instid0(SALU_CYCLE_1) | instskip(NEXT) | instid1(SALU_CYCLE_1)
	s_lshl_b64 s[6:7], s[12:13], 2
	s_add_nc_u64 s[8:9], s[0:1], s[6:7]
	s_add_co_i32 s6, s4, 1
	s_wait_alu 0xfffe
	s_add_nc_u64 s[4:5], s[8:9], 0xf0
.LBB211_6:                              ; =>This Inner Loop Header: Depth=1
	s_clause 0x1
	s_load_b32 s7, s[4:5], 0x0
	s_load_b32 s8, s[4:5], 0x64
	s_mov_b32 s11, s14
	s_add_nc_u64 s[4:5], s[4:5], -4
	s_wait_kmcnt 0x0
	s_cvt_f32_u32 s9, s7
	s_sub_co_i32 s10, 0, s7
	s_wait_alu 0xfffe
	s_delay_alu instid0(SALU_CYCLE_1) | instskip(NEXT) | instid1(TRANS32_DEP_1)
	v_rcp_iflag_f32_e32 v1, s9
	v_readfirstlane_b32 s9, v1
	s_mul_f32 s9, s9, 0x4f7ffffe
	s_wait_alu 0xfffe
	s_delay_alu instid0(SALU_CYCLE_2) | instskip(SKIP_1) | instid1(SALU_CYCLE_2)
	s_cvt_u32_f32 s9, s9
	s_wait_alu 0xfffe
	s_mul_i32 s10, s10, s9
	s_delay_alu instid0(SALU_CYCLE_1) | instskip(NEXT) | instid1(SALU_CYCLE_1)
	s_mul_hi_u32 s10, s9, s10
	s_add_co_i32 s9, s9, s10
	s_wait_alu 0xfffe
	s_mul_hi_u32 s9, s14, s9
	s_wait_alu 0xfffe
	s_mul_i32 s10, s9, s7
	s_add_co_i32 s12, s9, 1
	s_sub_co_i32 s10, s14, s10
	s_delay_alu instid0(SALU_CYCLE_1)
	s_sub_co_i32 s14, s10, s7
	s_cmp_ge_u32 s10, s7
	s_cselect_b32 s9, s12, s9
	s_cselect_b32 s10, s14, s10
	s_wait_alu 0xfffe
	s_add_co_i32 s12, s9, 1
	s_cmp_ge_u32 s10, s7
	s_cselect_b32 s14, s12, s9
	s_add_co_i32 s6, s6, -1
	s_mul_i32 s7, s14, s7
	s_delay_alu instid0(SALU_CYCLE_1) | instskip(NEXT) | instid1(SALU_CYCLE_1)
	s_sub_co_i32 s7, s11, s7
	s_mul_i32 s7, s8, s7
	s_delay_alu instid0(SALU_CYCLE_1)
	s_add_co_i32 s13, s7, s13
	s_cmp_gt_u32 s6, 2
	s_cbranch_scc1 .LBB211_6
.LBB211_7:
	s_clause 0x2
	s_load_b32 s4, s[0:1], 0x6c
	s_load_b64 s[28:29], s[0:1], 0x1c0
	s_load_b64 s[16:17], s[0:1], 0x0
	s_mov_b32 s19, 0
	s_wait_kmcnt 0x0
	s_mul_i32 s2, s4, s2
	s_delay_alu instid0(SALU_CYCLE_1) | instskip(SKIP_2) | instid1(SALU_CYCLE_1)
	s_add_co_i32 s18, s2, s3
	s_bitcmp1_b32 s29, 0
	s_cselect_b32 s12, -1, 0
	s_and_b32 s2, s12, exec_lo
	s_cselect_b32 s4, -1, 0x7fffffff
	s_lshl_b64 s[18:19], s[18:19], 2
	s_mov_b32 s5, s4
	s_mov_b32 s6, s4
	;; [unrolled: 1-line block ×7, first 2 shown]
	v_and_b32_e32 v45, 0x3ff, v0
	v_dual_mov_b32 v1, s4 :: v_dual_mov_b32 v4, s7
	v_dual_mov_b32 v2, s5 :: v_dual_mov_b32 v3, s6
	s_wait_alu 0xfffe
	v_mov_b32_e32 v6, s9
	v_mul_lo_u32 v43, s22, v45
	v_cmp_gt_u32_e64 s2, s21, v45
	v_dual_mov_b32 v5, s8 :: v_dual_mov_b32 v8, s11
	v_mov_b32_e32 v7, s10
	v_mov_b32_e32 v9, s4
	s_add_nc_u64 s[30:31], s[16:17], s[18:19]
	s_and_saveexec_b32 s3, s2
	s_cbranch_execz .LBB211_9
; %bb.8:
	v_mov_b32_e32 v44, 0
	s_delay_alu instid0(VALU_DEP_1) | instskip(NEXT) | instid1(VALU_DEP_1)
	v_lshlrev_b64_e32 v[1:2], 2, v[43:44]
	v_add_co_u32 v1, vcc_lo, s30, v1
	s_delay_alu instid0(VALU_DEP_1)
	v_add_co_ci_u32_e64 v2, null, s31, v2, vcc_lo
	global_load_b32 v9, v[1:2], off
	v_dual_mov_b32 v1, s4 :: v_dual_mov_b32 v2, s5
	v_dual_mov_b32 v3, s6 :: v_dual_mov_b32 v4, s7
	;; [unrolled: 1-line block ×4, first 2 shown]
.LBB211_9:
	s_or_b32 exec_lo, exec_lo, s3
	v_add_nc_u32_e32 v15, 0x100, v45
	s_delay_alu instid0(VALU_DEP_1)
	v_cmp_gt_u32_e64 s3, s21, v15
	s_and_saveexec_b32 s4, s3
	s_cbranch_execz .LBB211_11
; %bb.10:
	v_mul_lo_u32 v1, s22, v15
	v_mov_b32_e32 v2, 0
	s_delay_alu instid0(VALU_DEP_1) | instskip(NEXT) | instid1(VALU_DEP_1)
	v_lshlrev_b64_e32 v[1:2], 2, v[1:2]
	v_add_co_u32 v1, vcc_lo, s30, v1
	s_wait_alu 0xfffd
	s_delay_alu instid0(VALU_DEP_2)
	v_add_co_ci_u32_e64 v2, null, s31, v2, vcc_lo
	global_load_b32 v2, v[1:2], off
.LBB211_11:
	s_wait_alu 0xfffe
	s_or_b32 exec_lo, exec_lo, s4
	v_add_nc_u32_e32 v16, 0x200, v45
	s_delay_alu instid0(VALU_DEP_1)
	v_cmp_gt_u32_e64 s4, s21, v16
	s_and_saveexec_b32 s5, s4
	s_cbranch_execz .LBB211_13
; %bb.12:
	v_mul_lo_u32 v10, s22, v16
	v_mov_b32_e32 v11, 0
	s_delay_alu instid0(VALU_DEP_1) | instskip(NEXT) | instid1(VALU_DEP_1)
	v_lshlrev_b64_e32 v[10:11], 2, v[10:11]
	v_add_co_u32 v10, vcc_lo, s30, v10
	s_wait_alu 0xfffd
	s_delay_alu instid0(VALU_DEP_2)
	v_add_co_ci_u32_e64 v11, null, s31, v11, vcc_lo
	global_load_b32 v3, v[10:11], off
.LBB211_13:
	s_wait_alu 0xfffe
	s_or_b32 exec_lo, exec_lo, s5
	v_add_nc_u32_e32 v17, 0x300, v45
	s_delay_alu instid0(VALU_DEP_1)
	v_cmp_gt_u32_e64 s5, s21, v17
	s_and_saveexec_b32 s6, s5
	s_cbranch_execz .LBB211_15
; %bb.14:
	v_mul_lo_u32 v10, s22, v17
	v_mov_b32_e32 v11, 0
	s_delay_alu instid0(VALU_DEP_1) | instskip(NEXT) | instid1(VALU_DEP_1)
	v_lshlrev_b64_e32 v[10:11], 2, v[10:11]
	v_add_co_u32 v10, vcc_lo, s30, v10
	s_wait_alu 0xfffd
	s_delay_alu instid0(VALU_DEP_2)
	v_add_co_ci_u32_e64 v11, null, s31, v11, vcc_lo
	global_load_b32 v4, v[10:11], off
.LBB211_15:
	s_wait_alu 0xfffe
	s_or_b32 exec_lo, exec_lo, s6
	v_or_b32_e32 v18, 0x400, v45
	s_delay_alu instid0(VALU_DEP_1)
	v_cmp_gt_u32_e64 s6, s21, v18
	s_and_saveexec_b32 s7, s6
	s_cbranch_execz .LBB211_17
; %bb.16:
	v_mul_lo_u32 v10, s22, v18
	v_mov_b32_e32 v11, 0
	s_delay_alu instid0(VALU_DEP_1) | instskip(NEXT) | instid1(VALU_DEP_1)
	v_lshlrev_b64_e32 v[10:11], 2, v[10:11]
	v_add_co_u32 v10, vcc_lo, s30, v10
	s_wait_alu 0xfffd
	s_delay_alu instid0(VALU_DEP_2)
	v_add_co_ci_u32_e64 v11, null, s31, v11, vcc_lo
	global_load_b32 v5, v[10:11], off
.LBB211_17:
	s_wait_alu 0xfffe
	s_or_b32 exec_lo, exec_lo, s7
	v_add_nc_u32_e32 v19, 0x500, v45
	s_delay_alu instid0(VALU_DEP_1)
	v_cmp_gt_u32_e64 s7, s21, v19
	s_and_saveexec_b32 s8, s7
	s_cbranch_execz .LBB211_19
; %bb.18:
	v_mul_lo_u32 v10, s22, v19
	v_mov_b32_e32 v11, 0
	s_delay_alu instid0(VALU_DEP_1) | instskip(NEXT) | instid1(VALU_DEP_1)
	v_lshlrev_b64_e32 v[10:11], 2, v[10:11]
	v_add_co_u32 v10, vcc_lo, s30, v10
	s_wait_alu 0xfffd
	s_delay_alu instid0(VALU_DEP_2)
	v_add_co_ci_u32_e64 v11, null, s31, v11, vcc_lo
	global_load_b32 v6, v[10:11], off
.LBB211_19:
	s_wait_alu 0xfffe
	s_or_b32 exec_lo, exec_lo, s8
	v_add_nc_u32_e32 v20, 0x600, v45
	s_delay_alu instid0(VALU_DEP_1)
	v_cmp_gt_u32_e64 s8, s21, v20
	s_and_saveexec_b32 s9, s8
	s_cbranch_execz .LBB211_21
; %bb.20:
	v_mul_lo_u32 v10, s22, v20
	v_mov_b32_e32 v11, 0
	s_delay_alu instid0(VALU_DEP_1) | instskip(NEXT) | instid1(VALU_DEP_1)
	v_lshlrev_b64_e32 v[10:11], 2, v[10:11]
	v_add_co_u32 v10, vcc_lo, s30, v10
	s_wait_alu 0xfffd
	s_delay_alu instid0(VALU_DEP_2)
	v_add_co_ci_u32_e64 v11, null, s31, v11, vcc_lo
	global_load_b32 v7, v[10:11], off
.LBB211_21:
	s_wait_alu 0xfffe
	s_or_b32 exec_lo, exec_lo, s9
	s_clause 0x1
	s_load_b32 s9, s[0:1], 0x154
	s_load_b64 s[10:11], s[0:1], 0xe8
	v_add_nc_u32_e32 v21, 0x700, v45
	s_delay_alu instid0(VALU_DEP_1)
	v_cmp_gt_u32_e64 s0, s21, v21
	s_and_saveexec_b32 s1, s0
	s_cbranch_execz .LBB211_23
; %bb.22:
	v_mul_lo_u32 v10, s22, v21
	v_mov_b32_e32 v11, 0
	s_delay_alu instid0(VALU_DEP_1) | instskip(NEXT) | instid1(VALU_DEP_1)
	v_lshlrev_b64_e32 v[10:11], 2, v[10:11]
	v_add_co_u32 v10, vcc_lo, s30, v10
	s_wait_alu 0xfffd
	s_delay_alu instid0(VALU_DEP_2)
	v_add_co_ci_u32_e64 v11, null, s31, v11, vcc_lo
	global_load_b32 v8, v[10:11], off
.LBB211_23:
	s_or_b32 exec_lo, exec_lo, s1
	v_lshrrev_b32_e32 v1, 5, v15
	v_lshrrev_b32_e32 v24, 5, v45
	;; [unrolled: 1-line block ×3, first 2 shown]
	s_wait_kmcnt 0x0
	s_mul_i32 s1, s9, s14
	v_mul_lo_u32 v40, s28, v45
	v_add_nc_u32_e32 v25, v1, v45
	v_lshrrev_b32_e32 v1, 5, v17
	v_dual_mov_b32 v41, 0 :: v_dual_add_nc_u32 v26, v24, v45
	v_lshlrev_b32_e32 v91, 3, v45
	v_add_nc_u32_e32 v22, v10, v45
	s_delay_alu instid0(VALU_DEP_4) | instskip(SKIP_2) | instid1(VALU_DEP_4)
	v_add_nc_u32_e32 v23, v1, v45
	v_lshrrev_b32_e32 v1, 5, v18
	v_lshlrev_b32_e32 v72, 2, v26
	v_dual_mov_b32 v42, v41 :: v_dual_lshlrev_b32 v73, 2, v22
	s_delay_alu instid0(VALU_DEP_4) | instskip(NEXT) | instid1(VALU_DEP_4)
	v_lshlrev_b32_e32 v74, 2, v23
	v_add_nc_u32_e32 v27, v1, v45
	v_lshrrev_b32_e32 v1, 5, v19
	s_mov_b32 s15, 0
	v_mov_b32_e32 v10, v41
	s_add_co_i32 s14, s1, s13
	v_lshlrev_b32_e32 v75, 2, v27
	v_add_nc_u32_e32 v31, v1, v45
	v_lshrrev_b32_e32 v1, 2, v45
	v_mov_b32_e32 v13, 0
	v_mov_b32_e32 v14, 0
	v_lshlrev_b32_e32 v44, 2, v25
	v_dual_mov_b32 v11, v41 :: v_dual_lshlrev_b32 v76, 2, v31
	v_add_nc_u32_e32 v30, v1, v91
	v_mov_b32_e32 v1, v41
	s_wait_loadcnt 0x0
	ds_store_b32 v72, v9
	ds_store_b32 v44, v2 offset:1024
	ds_store_b32 v73, v3 offset:2048
	v_lshrrev_b32_e32 v2, 5, v20
	v_lshrrev_b32_e32 v3, 5, v21
	v_lshlrev_b32_e32 v79, 2, v30
	ds_store_b32 v74, v4 offset:3072
	ds_store_b32 v75, v5 offset:4096
	v_dual_mov_b32 v2, v41 :: v_dual_add_nc_u32 v29, v2, v45
	v_dual_mov_b32 v9, v41 :: v_dual_add_nc_u32 v28, v3, v45
	v_mov_b32_e32 v3, v41
	s_delay_alu instid0(VALU_DEP_3) | instskip(NEXT) | instid1(VALU_DEP_3)
	v_dual_mov_b32 v4, v41 :: v_dual_lshlrev_b32 v77, 2, v29
	v_lshlrev_b32_e32 v78, 2, v28
	ds_store_b32 v76, v6 offset:5120
	ds_store_b32 v77, v7 offset:6144
	;; [unrolled: 1-line block ×3, first 2 shown]
	s_wait_dscnt 0x0
	s_barrier_signal -1
	s_barrier_wait -1
	global_inv scope:SCOPE_SE
	v_mov_b32_e32 v8, v41
	ds_load_2addr_b32 v[52:53], v79 offset1:1
	ds_load_2addr_b32 v[50:51], v79 offset0:2 offset1:3
	ds_load_2addr_b32 v[48:49], v79 offset0:4 offset1:5
	;; [unrolled: 1-line block ×3, first 2 shown]
	v_dual_mov_b32 v5, v41 :: v_dual_mov_b32 v6, v41
	v_dual_mov_b32 v7, v41 :: v_dual_mov_b32 v12, v41
	s_lshl_b64 s[14:15], s[14:15], 3
	s_wait_loadcnt_dscnt 0x0
	s_add_nc_u64 s[34:35], s[10:11], s[14:15]
	s_barrier_signal -1
	s_barrier_wait -1
	global_inv scope:SCOPE_SE
	s_and_saveexec_b32 s1, s2
	s_cbranch_execnz .LBB211_59
; %bb.24:
	s_or_b32 exec_lo, exec_lo, s1
	s_and_saveexec_b32 s1, s3
	s_cbranch_execnz .LBB211_60
.LBB211_25:
	s_or_b32 exec_lo, exec_lo, s1
	s_and_saveexec_b32 s1, s4
	s_cbranch_execnz .LBB211_61
.LBB211_26:
	s_or_b32 exec_lo, exec_lo, s1
	s_and_saveexec_b32 s1, s5
	s_cbranch_execnz .LBB211_62
.LBB211_27:
	s_or_b32 exec_lo, exec_lo, s1
	s_and_saveexec_b32 s1, s6
	s_cbranch_execnz .LBB211_63
.LBB211_28:
	s_or_b32 exec_lo, exec_lo, s1
	s_and_saveexec_b32 s1, s7
	s_cbranch_execnz .LBB211_64
.LBB211_29:
	s_or_b32 exec_lo, exec_lo, s1
	s_and_saveexec_b32 s1, s8
	s_cbranch_execnz .LBB211_65
.LBB211_30:
	s_or_b32 exec_lo, exec_lo, s1
	s_xor_b32 s1, s12, -1
	s_and_saveexec_b32 s9, s0
	s_cbranch_execz .LBB211_32
.LBB211_31:
	v_mul_lo_u32 v11, s28, v21
	v_mov_b32_e32 v12, 0
	s_delay_alu instid0(VALU_DEP_1) | instskip(NEXT) | instid1(VALU_DEP_1)
	v_lshlrev_b64_e32 v[11:12], 3, v[11:12]
	v_add_co_u32 v11, vcc_lo, s34, v11
	s_wait_alu 0xfffd
	s_delay_alu instid0(VALU_DEP_2)
	v_add_co_ci_u32_e64 v12, null, s35, v12, vcc_lo
	global_load_b64 v[11:12], v[11:12], off
.LBB211_32:
	s_wait_alu 0xfffe
	s_or_b32 exec_lo, exec_lo, s9
	v_lshlrev_b32_e32 v80, 3, v26
	v_lshlrev_b32_e32 v83, 3, v23
	;; [unrolled: 1-line block ×9, first 2 shown]
	s_wait_loadcnt 0x0
	ds_store_b64 v80, v[13:14]
	ds_store_b64 v81, v[41:42] offset:2048
	ds_store_b64 v82, v[9:10] offset:4096
	;; [unrolled: 1-line block ×7, first 2 shown]
	s_wait_dscnt 0x0
	s_barrier_signal -1
	s_barrier_wait -1
	global_inv scope:SCOPE_SE
	ds_load_2addr_b64 v[20:23], v88 offset1:1
	ds_load_2addr_b64 v[16:19], v88 offset0:2 offset1:3
	ds_load_2addr_b64 v[12:15], v88 offset0:4 offset1:5
	;; [unrolled: 1-line block ×3, first 2 shown]
	s_and_b32 vcc_lo, exec_lo, s1
	v_bfe_u32 v95, v0, 10, 10
	v_bfe_u32 v96, v0, 20, 10
	v_mbcnt_lo_u32_b32 v93, -1, 0
	v_and_b32_e32 v94, 0x3e0, v45
	v_lshlrev_b32_e32 v89, 2, v91
	v_cmp_gt_u32_e64 s1, 8, v45
	v_cmp_lt_u32_e64 s9, 31, v45
	v_cmp_eq_u32_e64 s10, 0, v45
	v_lshlrev_b32_e32 v90, 2, v24
	v_mul_i32_i24_e32 v92, 0xffffffe4, v45
	s_wait_loadcnt_dscnt 0x0
	s_barrier_signal -1
	s_barrier_wait -1
	global_inv scope:SCOPE_SE
	s_wait_alu 0xfffe
	s_cbranch_vccz .LBB211_66
; %bb.33:
	v_cmp_lt_i32_e32 vcc_lo, -1, v52
	v_or_b32_e32 v7, v93, v94
	s_getpc_b64 s[12:13]
	s_sext_i32_i16 s13, s13
	s_add_co_u32 s12, s12, _ZN7rocprim17ROCPRIM_400000_NS16block_radix_sortIfLj256ELj8ElLj1ELj1ELj0ELNS0_26block_radix_rank_algorithmE1ELNS0_18block_padding_hintE2ELNS0_4arch9wavefront6targetE0EE19radix_bits_per_passE@rel32@lo+8
	s_add_co_ci_u32 s13, s13, _ZN7rocprim17ROCPRIM_400000_NS16block_radix_sortIfLj256ELj8ElLj1ELj1ELj0ELNS0_26block_radix_rank_algorithmE1ELNS0_18block_padding_hintE2ELNS0_4arch9wavefront6targetE0EE19radix_bits_per_passE@rel32@hi+16
	v_and_or_b32 v25, 0x1f00, v91, v93
	s_load_b32 s23, s[12:13], 0x0
	v_cndmask_b32_e64 v0, -1, 0x80000000, vcc_lo
	v_cmp_lt_i32_e32 vcc_lo, -1, v53
	v_lshlrev_b32_e32 v26, 5, v7
	s_mov_b32 s24, 0
	v_and_b32_e32 v36, 16, v93
	v_xor_b32_e32 v0, v0, v52
	s_wait_alu 0xfffd
	v_cndmask_b32_e64 v1, -1, 0x80000000, vcc_lo
	v_cmp_lt_i32_e32 vcc_lo, -1, v50
	s_mov_b32 s25, s24
	s_mov_b32 s26, s24
	;; [unrolled: 1-line block ×3, first 2 shown]
	v_xor_b32_e32 v1, v1, v53
	s_wait_alu 0xfffd
	v_cndmask_b32_e64 v2, -1, 0x80000000, vcc_lo
	v_cmp_lt_i32_e32 vcc_lo, -1, v51
	v_lshlrev_b32_e32 v97, 2, v25
	v_and_b32_e32 v37, 7, v93
	v_cmp_eq_u32_e64 s16, 0, v36
	v_xor_b32_e32 v2, v2, v50
	s_wait_alu 0xfffd
	v_cndmask_b32_e64 v3, -1, 0x80000000, vcc_lo
	v_cmp_lt_i32_e32 vcc_lo, -1, v48
	v_add_nc_u32_e32 v98, v97, v97
	v_add_nc_u32_e32 v101, v89, v92
	s_delay_alu instid0(VALU_DEP_4) | instskip(SKIP_3) | instid1(VALU_DEP_2)
	v_xor_b32_e32 v3, v3, v51
	s_wait_alu 0xfffd
	v_cndmask_b32_e64 v4, -1, 0x80000000, vcc_lo
	v_cmp_lt_i32_e32 vcc_lo, -1, v49
	v_xor_b32_e32 v4, v4, v48
	s_wait_alu 0xfffd
	v_cndmask_b32_e64 v5, -1, 0x80000000, vcc_lo
	v_cmp_lt_i32_e32 vcc_lo, -1, v46
	s_delay_alu instid0(VALU_DEP_2) | instskip(SKIP_3) | instid1(VALU_DEP_2)
	v_xor_b32_e32 v5, v5, v49
	s_wait_alu 0xfffd
	v_cndmask_b32_e64 v6, -1, 0x80000000, vcc_lo
	v_cmp_lt_i32_e32 vcc_lo, -1, v47
	v_xor_b32_e32 v6, v6, v46
	s_wait_alu 0xfffd
	v_cndmask_b32_e64 v24, -1, 0x80000000, vcc_lo
	s_delay_alu instid0(VALU_DEP_1)
	v_xor_b32_e32 v7, v24, v47
	ds_store_b128 v26, v[0:3]
	ds_store_b128 v26, v[4:7] offset:16
	v_sub_co_u32 v3, s12, v93, 1
	; wave barrier
	ds_load_2addr_b32 v[64:65], v97 offset1:32
	ds_load_2addr_b32 v[66:67], v97 offset0:64 offset1:96
	ds_load_2addr_b32 v[68:69], v97 offset0:128 offset1:160
	ds_load_2addr_b32 v[70:71], v97 offset0:192 offset1:224
	v_cmp_gt_i32_e32 vcc_lo, 0, v3
	s_wait_loadcnt_dscnt 0x0
	s_barrier_signal -1
	s_barrier_wait -1
	global_inv scope:SCOPE_SE
	s_wait_alu 0xfffd
	v_dual_cndmask_b32 v3, v3, v93 :: v_dual_add_nc_u32 v0, v26, v26
	ds_store_b128 v0, v[20:23]
	ds_store_b128 v0, v[16:19] offset:16
	ds_store_b128 v0, v[12:15] offset:32
	;; [unrolled: 1-line block ×3, first 2 shown]
	; wave barrier
	ds_load_2addr_b64 v[4:7], v98 offset1:32
	ds_load_2addr_b64 v[24:27], v98 offset0:64 offset1:96
	ds_load_2addr_b64 v[28:31], v98 offset0:128 offset1:160
	;; [unrolled: 1-line block ×3, first 2 shown]
	s_wait_loadcnt_dscnt 0x0
	s_barrier_signal -1
	s_barrier_wait -1
	global_inv scope:SCOPE_SE
	s_load_b32 s11, s[36:37], 0xc
	v_and_b32_e32 v2, 15, v93
	v_lshlrev_b32_e32 v99, 2, v3
	s_delay_alu instid0(VALU_DEP_2)
	v_cmp_lt_u32_e64 s13, 1, v2
	v_cmp_lt_u32_e64 s15, 7, v2
	s_wait_kmcnt 0x0
	s_lshr_b32 s14, s11, 16
	s_and_b32 s11, s11, 0xffff
	v_mad_u32_u24 v0, v96, s14, v95
	v_cmp_lt_u32_e64 s14, 3, v2
	s_wait_alu 0xfffe
	s_delay_alu instid0(VALU_DEP_2) | instskip(SKIP_2) | instid1(VALU_DEP_2)
	v_mad_co_u64_u32 v[0:1], null, v0, s11, v[45:46]
	v_min_u32_e32 v1, 0xe0, v94
	v_cmp_eq_u32_e64 s11, 0, v2
	v_or_b32_e32 v1, 31, v1
	s_delay_alu instid0(VALU_DEP_4) | instskip(NEXT) | instid1(VALU_DEP_2)
	v_lshrrev_b32_e32 v0, 3, v0
	v_cmp_eq_u32_e64 s17, v45, v1
	s_delay_alu instid0(VALU_DEP_2)
	v_and_b32_e32 v100, 0x1ffffffc, v0
	v_dual_mov_b32 v0, s24 :: v_dual_mov_b32 v1, s25
	v_mov_b32_e32 v2, s26
	v_cmp_eq_u32_e64 s18, 0, v37
	v_cmp_lt_u32_e64 s19, 1, v37
	v_cmp_lt_u32_e64 s20, 3, v37
	v_mov_b32_e32 v3, s27
	s_mov_b32 s25, 32
	s_branch .LBB211_35
.LBB211_34:                             ;   in Loop: Header=BB211_35 Depth=1
	s_wait_alu 0xfffe
	s_and_not1_b32 vcc_lo, exec_lo, s21
	s_wait_alu 0xfffe
	s_cbranch_vccz .LBB211_67
.LBB211_35:                             ; =>This Inner Loop Header: Depth=1
	v_dual_mov_b32 v102, v64 :: v_dual_mov_b32 v103, v71
	s_wait_alu 0xfffe
	s_min_u32 s21, s23, s25
	ds_store_b128 v89, v[0:3] offset:32
	ds_store_b128 v89, v[0:3] offset:48
	s_wait_alu 0xfffe
	s_lshl_b32 s21, -1, s21
	v_cmp_ne_u32_e32 vcc_lo, 0x7fffffff, v102
	s_wait_alu 0xfffe
	s_not_b32 s26, s21
	s_wait_loadcnt_dscnt 0x0
	s_barrier_signal -1
	s_barrier_wait -1
	s_wait_alu 0xfffd
	v_dual_cndmask_b32 v36, 0x80000000, v102 :: v_dual_mov_b32 v105, v69
	global_inv scope:SCOPE_SE
	; wave barrier
	v_lshrrev_b32_e32 v36, s24, v36
	v_mov_b32_e32 v107, v67
	v_dual_mov_b32 v109, v65 :: v_dual_mov_b32 v106, v68
	v_mov_b32_e32 v108, v66
	s_wait_alu 0xfffe
	v_and_b32_e32 v64, s26, v36
	v_dual_mov_b32 v104, v70 :: v_dual_mov_b32 v59, v25
	v_dual_mov_b32 v58, v24 :: v_dual_mov_b32 v61, v7
	s_delay_alu instid0(VALU_DEP_3)
	v_and_b32_e32 v36, 1, v64
	v_lshlrev_b32_e32 v37, 30, v64
	v_lshlrev_b32_e32 v38, 29, v64
	;; [unrolled: 1-line block ×4, first 2 shown]
	v_add_co_u32 v36, s21, v36, -1
	s_wait_alu 0xf1ff
	v_cndmask_b32_e64 v41, 0, 1, s21
	v_not_b32_e32 v56, v37
	v_cmp_gt_i32_e64 s21, 0, v37
	v_not_b32_e32 v37, v38
	v_lshlrev_b32_e32 v54, 26, v64
	v_cmp_ne_u32_e32 vcc_lo, 0, v41
	v_ashrrev_i32_e32 v56, 31, v56
	v_lshlrev_b32_e32 v55, 25, v64
	v_ashrrev_i32_e32 v37, 31, v37
	v_lshlrev_b32_e32 v41, 24, v64
	s_wait_alu 0xfffd
	v_xor_b32_e32 v36, vcc_lo, v36
	v_cmp_gt_i32_e32 vcc_lo, 0, v38
	v_not_b32_e32 v38, v39
	s_wait_alu 0xf1ff
	v_xor_b32_e32 v56, s21, v56
	v_cmp_gt_i32_e64 s21, 0, v39
	v_and_b32_e32 v36, exec_lo, v36
	v_not_b32_e32 v39, v42
	v_ashrrev_i32_e32 v38, 31, v38
	s_wait_alu 0xfffd
	v_xor_b32_e32 v37, vcc_lo, v37
	v_cmp_gt_i32_e32 vcc_lo, 0, v42
	v_and_b32_e32 v36, v36, v56
	v_not_b32_e32 v42, v54
	v_ashrrev_i32_e32 v39, 31, v39
	s_wait_alu 0xf1ff
	v_xor_b32_e32 v38, s21, v38
	v_cmp_gt_i32_e64 s21, 0, v54
	v_and_b32_e32 v36, v36, v37
	v_not_b32_e32 v37, v55
	v_ashrrev_i32_e32 v42, 31, v42
	s_wait_alu 0xfffd
	v_xor_b32_e32 v39, vcc_lo, v39
	v_cmp_gt_i32_e32 vcc_lo, 0, v55
	v_and_b32_e32 v36, v36, v38
	v_ashrrev_i32_e32 v37, 31, v37
	s_wait_alu 0xf1ff
	v_xor_b32_e32 v42, s21, v42
	v_dual_mov_b32 v55, v29 :: v_dual_mov_b32 v54, v28
	v_dual_mov_b32 v63, v5 :: v_dual_and_b32 v36, v36, v39
	s_wait_alu 0xfffd
	v_xor_b32_e32 v37, vcc_lo, v37
	v_mov_b32_e32 v62, v4
	v_lshlrev_b32_e32 v4, 5, v64
	v_and_b32_e32 v36, v36, v42
	s_delay_alu instid0(VALU_DEP_2) | instskip(NEXT) | instid1(VALU_DEP_2)
	v_dual_mov_b32 v60, v6 :: v_dual_add_nc_u32 v29, v100, v4
	v_and_b32_e32 v57, v36, v37
	v_dual_mov_b32 v37, v35 :: v_dual_mov_b32 v36, v34
	v_not_b32_e32 v38, v41
	v_cmp_gt_i32_e64 s21, 0, v41
	v_dual_mov_b32 v42, v31 :: v_dual_mov_b32 v41, v30
	s_delay_alu instid0(VALU_DEP_3) | instskip(SKIP_1) | instid1(VALU_DEP_1)
	v_ashrrev_i32_e32 v38, 31, v38
	s_wait_alu 0xf1ff
	v_xor_b32_e32 v56, s21, v38
	v_dual_mov_b32 v39, v33 :: v_dual_mov_b32 v38, v32
	s_delay_alu instid0(VALU_DEP_2) | instskip(SKIP_1) | instid1(VALU_DEP_2)
	v_dual_mov_b32 v57, v27 :: v_dual_and_b32 v30, v57, v56
	v_mov_b32_e32 v56, v26
	v_mbcnt_lo_u32_b32 v28, v30, 0
	v_cmp_ne_u32_e64 s21, 0, v30
	s_delay_alu instid0(VALU_DEP_2)
	v_cmp_eq_u32_e32 vcc_lo, 0, v28
	s_and_b32 s27, s21, vcc_lo
	s_wait_alu 0xfffe
	s_and_saveexec_b32 s21, s27
; %bb.36:                               ;   in Loop: Header=BB211_35 Depth=1
	v_bcnt_u32_b32 v4, v30, 0
	ds_store_b32 v29, v4 offset:32
; %bb.37:                               ;   in Loop: Header=BB211_35 Depth=1
	s_wait_alu 0xfffe
	s_or_b32 exec_lo, exec_lo, s21
	v_cmp_ne_u32_e32 vcc_lo, 0x7fffffff, v109
	; wave barrier
	s_wait_alu 0xfffd
	v_cndmask_b32_e32 v4, 0x80000000, v109, vcc_lo
	s_delay_alu instid0(VALU_DEP_1) | instskip(NEXT) | instid1(VALU_DEP_1)
	v_lshrrev_b32_e32 v4, s24, v4
	v_and_b32_e32 v4, s26, v4
	s_delay_alu instid0(VALU_DEP_1)
	v_and_b32_e32 v5, 1, v4
	v_lshlrev_b32_e32 v6, 30, v4
	v_lshlrev_b32_e32 v7, 29, v4
	;; [unrolled: 1-line block ×4, first 2 shown]
	v_add_co_u32 v5, s21, v5, -1
	s_wait_alu 0xf1ff
	v_cndmask_b32_e64 v25, 0, 1, s21
	v_not_b32_e32 v31, v6
	v_cmp_gt_i32_e64 s21, 0, v6
	v_not_b32_e32 v6, v7
	v_lshlrev_b32_e32 v27, 26, v4
	v_cmp_ne_u32_e32 vcc_lo, 0, v25
	v_ashrrev_i32_e32 v31, 31, v31
	v_lshlrev_b32_e32 v30, 25, v4
	v_ashrrev_i32_e32 v6, 31, v6
	v_lshlrev_b32_e32 v25, 24, v4
	s_wait_alu 0xfffd
	v_xor_b32_e32 v5, vcc_lo, v5
	v_cmp_gt_i32_e32 vcc_lo, 0, v7
	v_not_b32_e32 v7, v24
	s_wait_alu 0xf1ff
	v_xor_b32_e32 v31, s21, v31
	v_cmp_gt_i32_e64 s21, 0, v24
	v_and_b32_e32 v5, exec_lo, v5
	v_not_b32_e32 v24, v26
	v_ashrrev_i32_e32 v7, 31, v7
	s_wait_alu 0xfffd
	v_xor_b32_e32 v6, vcc_lo, v6
	v_cmp_gt_i32_e32 vcc_lo, 0, v26
	v_and_b32_e32 v5, v5, v31
	v_not_b32_e32 v26, v27
	v_ashrrev_i32_e32 v24, 31, v24
	s_wait_alu 0xf1ff
	v_xor_b32_e32 v7, s21, v7
	v_cmp_gt_i32_e64 s21, 0, v27
	v_and_b32_e32 v5, v5, v6
	v_not_b32_e32 v6, v30
	v_ashrrev_i32_e32 v26, 31, v26
	s_wait_alu 0xfffd
	v_xor_b32_e32 v24, vcc_lo, v24
	v_cmp_gt_i32_e32 vcc_lo, 0, v30
	v_and_b32_e32 v5, v5, v7
	v_not_b32_e32 v7, v25
	v_ashrrev_i32_e32 v6, 31, v6
	s_wait_alu 0xf1ff
	v_xor_b32_e32 v26, s21, v26
	v_lshlrev_b32_e32 v4, 5, v4
	v_and_b32_e32 v5, v5, v24
	v_cmp_gt_i32_e64 s21, 0, v25
	v_ashrrev_i32_e32 v7, 31, v7
	s_wait_alu 0xfffd
	v_xor_b32_e32 v6, vcc_lo, v6
	v_add_nc_u32_e32 v32, v100, v4
	v_and_b32_e32 v5, v5, v26
	s_wait_alu 0xf1ff
	v_xor_b32_e32 v4, s21, v7
	ds_load_b32 v30, v32 offset:32
	v_and_b32_e32 v5, v5, v6
	; wave barrier
	s_delay_alu instid0(VALU_DEP_1) | instskip(NEXT) | instid1(VALU_DEP_1)
	v_and_b32_e32 v4, v5, v4
	v_mbcnt_lo_u32_b32 v31, v4, 0
	v_cmp_ne_u32_e64 s21, 0, v4
	s_delay_alu instid0(VALU_DEP_2)
	v_cmp_eq_u32_e32 vcc_lo, 0, v31
	s_and_b32 s27, s21, vcc_lo
	s_wait_alu 0xfffe
	s_and_saveexec_b32 s21, s27
	s_cbranch_execz .LBB211_39
; %bb.38:                               ;   in Loop: Header=BB211_35 Depth=1
	s_wait_dscnt 0x0
	v_bcnt_u32_b32 v4, v4, v30
	ds_store_b32 v32, v4 offset:32
.LBB211_39:                             ;   in Loop: Header=BB211_35 Depth=1
	s_wait_alu 0xfffe
	s_or_b32 exec_lo, exec_lo, s21
	v_cmp_ne_u32_e32 vcc_lo, 0x7fffffff, v108
	; wave barrier
	s_wait_alu 0xfffd
	v_cndmask_b32_e32 v4, 0x80000000, v108, vcc_lo
	s_delay_alu instid0(VALU_DEP_1) | instskip(NEXT) | instid1(VALU_DEP_1)
	v_lshrrev_b32_e32 v4, s24, v4
	v_and_b32_e32 v4, s26, v4
	s_delay_alu instid0(VALU_DEP_1)
	v_and_b32_e32 v5, 1, v4
	v_lshlrev_b32_e32 v6, 30, v4
	v_lshlrev_b32_e32 v7, 29, v4
	;; [unrolled: 1-line block ×4, first 2 shown]
	v_add_co_u32 v5, s21, v5, -1
	s_wait_alu 0xf1ff
	v_cndmask_b32_e64 v25, 0, 1, s21
	v_not_b32_e32 v34, v6
	v_cmp_gt_i32_e64 s21, 0, v6
	v_not_b32_e32 v6, v7
	v_lshlrev_b32_e32 v27, 26, v4
	v_cmp_ne_u32_e32 vcc_lo, 0, v25
	v_ashrrev_i32_e32 v34, 31, v34
	v_lshlrev_b32_e32 v33, 25, v4
	v_ashrrev_i32_e32 v6, 31, v6
	v_lshlrev_b32_e32 v25, 24, v4
	s_wait_alu 0xfffd
	v_xor_b32_e32 v5, vcc_lo, v5
	v_cmp_gt_i32_e32 vcc_lo, 0, v7
	v_not_b32_e32 v7, v24
	s_wait_alu 0xf1ff
	v_xor_b32_e32 v34, s21, v34
	v_cmp_gt_i32_e64 s21, 0, v24
	v_and_b32_e32 v5, exec_lo, v5
	v_not_b32_e32 v24, v26
	v_ashrrev_i32_e32 v7, 31, v7
	s_wait_alu 0xfffd
	v_xor_b32_e32 v6, vcc_lo, v6
	v_cmp_gt_i32_e32 vcc_lo, 0, v26
	v_and_b32_e32 v5, v5, v34
	v_not_b32_e32 v26, v27
	v_ashrrev_i32_e32 v24, 31, v24
	s_wait_alu 0xf1ff
	v_xor_b32_e32 v7, s21, v7
	v_cmp_gt_i32_e64 s21, 0, v27
	v_and_b32_e32 v5, v5, v6
	v_not_b32_e32 v6, v33
	v_ashrrev_i32_e32 v26, 31, v26
	s_wait_alu 0xfffd
	v_xor_b32_e32 v24, vcc_lo, v24
	v_cmp_gt_i32_e32 vcc_lo, 0, v33
	v_and_b32_e32 v5, v5, v7
	v_not_b32_e32 v7, v25
	v_ashrrev_i32_e32 v6, 31, v6
	s_wait_alu 0xf1ff
	v_xor_b32_e32 v26, s21, v26
	v_lshlrev_b32_e32 v4, 5, v4
	v_and_b32_e32 v5, v5, v24
	v_cmp_gt_i32_e64 s21, 0, v25
	v_ashrrev_i32_e32 v7, 31, v7
	s_wait_alu 0xfffd
	v_xor_b32_e32 v6, vcc_lo, v6
	v_add_nc_u32_e32 v35, v100, v4
	v_and_b32_e32 v5, v5, v26
	s_wait_alu 0xf1ff
	v_xor_b32_e32 v4, s21, v7
	ds_load_b32 v33, v35 offset:32
	v_and_b32_e32 v5, v5, v6
	; wave barrier
	s_delay_alu instid0(VALU_DEP_1) | instskip(NEXT) | instid1(VALU_DEP_1)
	v_and_b32_e32 v4, v5, v4
	v_mbcnt_lo_u32_b32 v34, v4, 0
	v_cmp_ne_u32_e64 s21, 0, v4
	s_delay_alu instid0(VALU_DEP_2)
	v_cmp_eq_u32_e32 vcc_lo, 0, v34
	s_and_b32 s27, s21, vcc_lo
	s_wait_alu 0xfffe
	s_and_saveexec_b32 s21, s27
	s_cbranch_execz .LBB211_41
; %bb.40:                               ;   in Loop: Header=BB211_35 Depth=1
	s_wait_dscnt 0x0
	v_bcnt_u32_b32 v4, v4, v33
	ds_store_b32 v35, v4 offset:32
.LBB211_41:                             ;   in Loop: Header=BB211_35 Depth=1
	s_wait_alu 0xfffe
	s_or_b32 exec_lo, exec_lo, s21
	v_cmp_ne_u32_e32 vcc_lo, 0x7fffffff, v107
	; wave barrier
	s_wait_alu 0xfffd
	v_cndmask_b32_e32 v4, 0x80000000, v107, vcc_lo
	s_delay_alu instid0(VALU_DEP_1) | instskip(NEXT) | instid1(VALU_DEP_1)
	v_lshrrev_b32_e32 v4, s24, v4
	v_and_b32_e32 v4, s26, v4
	s_delay_alu instid0(VALU_DEP_1)
	v_and_b32_e32 v5, 1, v4
	v_lshlrev_b32_e32 v6, 30, v4
	v_lshlrev_b32_e32 v7, 29, v4
	;; [unrolled: 1-line block ×4, first 2 shown]
	v_add_co_u32 v5, s21, v5, -1
	s_wait_alu 0xf1ff
	v_cndmask_b32_e64 v25, 0, 1, s21
	v_not_b32_e32 v65, v6
	v_cmp_gt_i32_e64 s21, 0, v6
	v_not_b32_e32 v6, v7
	v_lshlrev_b32_e32 v27, 26, v4
	v_cmp_ne_u32_e32 vcc_lo, 0, v25
	v_ashrrev_i32_e32 v65, 31, v65
	v_lshlrev_b32_e32 v64, 25, v4
	v_ashrrev_i32_e32 v6, 31, v6
	v_lshlrev_b32_e32 v25, 24, v4
	s_wait_alu 0xfffd
	v_xor_b32_e32 v5, vcc_lo, v5
	v_cmp_gt_i32_e32 vcc_lo, 0, v7
	v_not_b32_e32 v7, v24
	s_wait_alu 0xf1ff
	v_xor_b32_e32 v65, s21, v65
	v_cmp_gt_i32_e64 s21, 0, v24
	v_and_b32_e32 v5, exec_lo, v5
	v_not_b32_e32 v24, v26
	v_ashrrev_i32_e32 v7, 31, v7
	s_wait_alu 0xfffd
	v_xor_b32_e32 v6, vcc_lo, v6
	v_cmp_gt_i32_e32 vcc_lo, 0, v26
	v_and_b32_e32 v5, v5, v65
	v_not_b32_e32 v26, v27
	v_ashrrev_i32_e32 v24, 31, v24
	s_wait_alu 0xf1ff
	v_xor_b32_e32 v7, s21, v7
	v_cmp_gt_i32_e64 s21, 0, v27
	v_and_b32_e32 v5, v5, v6
	v_not_b32_e32 v6, v64
	v_ashrrev_i32_e32 v26, 31, v26
	s_wait_alu 0xfffd
	v_xor_b32_e32 v24, vcc_lo, v24
	v_cmp_gt_i32_e32 vcc_lo, 0, v64
	v_and_b32_e32 v5, v5, v7
	v_not_b32_e32 v7, v25
	v_ashrrev_i32_e32 v6, 31, v6
	s_wait_alu 0xf1ff
	v_xor_b32_e32 v26, s21, v26
	v_lshlrev_b32_e32 v4, 5, v4
	v_and_b32_e32 v5, v5, v24
	v_cmp_gt_i32_e64 s21, 0, v25
	v_ashrrev_i32_e32 v7, 31, v7
	s_wait_alu 0xfffd
	v_xor_b32_e32 v6, vcc_lo, v6
	v_add_nc_u32_e32 v66, v100, v4
	v_and_b32_e32 v5, v5, v26
	s_wait_alu 0xf1ff
	v_xor_b32_e32 v4, s21, v7
	ds_load_b32 v64, v66 offset:32
	v_and_b32_e32 v5, v5, v6
	; wave barrier
	s_delay_alu instid0(VALU_DEP_1) | instskip(NEXT) | instid1(VALU_DEP_1)
	v_and_b32_e32 v4, v5, v4
	v_mbcnt_lo_u32_b32 v65, v4, 0
	v_cmp_ne_u32_e64 s21, 0, v4
	s_delay_alu instid0(VALU_DEP_2)
	v_cmp_eq_u32_e32 vcc_lo, 0, v65
	s_and_b32 s27, s21, vcc_lo
	s_wait_alu 0xfffe
	s_and_saveexec_b32 s21, s27
	s_cbranch_execz .LBB211_43
; %bb.42:                               ;   in Loop: Header=BB211_35 Depth=1
	s_wait_dscnt 0x0
	v_bcnt_u32_b32 v4, v4, v64
	ds_store_b32 v66, v4 offset:32
.LBB211_43:                             ;   in Loop: Header=BB211_35 Depth=1
	s_wait_alu 0xfffe
	s_or_b32 exec_lo, exec_lo, s21
	v_cmp_ne_u32_e32 vcc_lo, 0x7fffffff, v106
	; wave barrier
	s_wait_alu 0xfffd
	v_cndmask_b32_e32 v4, 0x80000000, v106, vcc_lo
	s_delay_alu instid0(VALU_DEP_1) | instskip(NEXT) | instid1(VALU_DEP_1)
	v_lshrrev_b32_e32 v4, s24, v4
	v_and_b32_e32 v4, s26, v4
	s_delay_alu instid0(VALU_DEP_1)
	v_and_b32_e32 v5, 1, v4
	v_lshlrev_b32_e32 v6, 30, v4
	v_lshlrev_b32_e32 v7, 29, v4
	;; [unrolled: 1-line block ×4, first 2 shown]
	v_add_co_u32 v5, s21, v5, -1
	s_wait_alu 0xf1ff
	v_cndmask_b32_e64 v25, 0, 1, s21
	v_not_b32_e32 v68, v6
	v_cmp_gt_i32_e64 s21, 0, v6
	v_not_b32_e32 v6, v7
	v_lshlrev_b32_e32 v27, 26, v4
	v_cmp_ne_u32_e32 vcc_lo, 0, v25
	v_ashrrev_i32_e32 v68, 31, v68
	v_lshlrev_b32_e32 v67, 25, v4
	v_ashrrev_i32_e32 v6, 31, v6
	v_lshlrev_b32_e32 v25, 24, v4
	s_wait_alu 0xfffd
	v_xor_b32_e32 v5, vcc_lo, v5
	v_cmp_gt_i32_e32 vcc_lo, 0, v7
	v_not_b32_e32 v7, v24
	s_wait_alu 0xf1ff
	v_xor_b32_e32 v68, s21, v68
	v_cmp_gt_i32_e64 s21, 0, v24
	v_and_b32_e32 v5, exec_lo, v5
	v_not_b32_e32 v24, v26
	v_ashrrev_i32_e32 v7, 31, v7
	s_wait_alu 0xfffd
	v_xor_b32_e32 v6, vcc_lo, v6
	v_cmp_gt_i32_e32 vcc_lo, 0, v26
	v_and_b32_e32 v5, v5, v68
	v_not_b32_e32 v26, v27
	v_ashrrev_i32_e32 v24, 31, v24
	s_wait_alu 0xf1ff
	v_xor_b32_e32 v7, s21, v7
	v_cmp_gt_i32_e64 s21, 0, v27
	v_and_b32_e32 v5, v5, v6
	v_not_b32_e32 v6, v67
	v_ashrrev_i32_e32 v26, 31, v26
	s_wait_alu 0xfffd
	v_xor_b32_e32 v24, vcc_lo, v24
	v_cmp_gt_i32_e32 vcc_lo, 0, v67
	v_and_b32_e32 v5, v5, v7
	v_not_b32_e32 v7, v25
	v_ashrrev_i32_e32 v6, 31, v6
	s_wait_alu 0xf1ff
	v_xor_b32_e32 v26, s21, v26
	v_lshlrev_b32_e32 v4, 5, v4
	v_and_b32_e32 v5, v5, v24
	v_cmp_gt_i32_e64 s21, 0, v25
	v_ashrrev_i32_e32 v7, 31, v7
	s_wait_alu 0xfffd
	v_xor_b32_e32 v6, vcc_lo, v6
	v_add_nc_u32_e32 v69, v100, v4
	v_and_b32_e32 v5, v5, v26
	s_wait_alu 0xf1ff
	v_xor_b32_e32 v4, s21, v7
	ds_load_b32 v67, v69 offset:32
	v_and_b32_e32 v5, v5, v6
	; wave barrier
	s_delay_alu instid0(VALU_DEP_1) | instskip(NEXT) | instid1(VALU_DEP_1)
	v_and_b32_e32 v4, v5, v4
	v_mbcnt_lo_u32_b32 v68, v4, 0
	v_cmp_ne_u32_e64 s21, 0, v4
	s_delay_alu instid0(VALU_DEP_2)
	v_cmp_eq_u32_e32 vcc_lo, 0, v68
	s_and_b32 s27, s21, vcc_lo
	s_wait_alu 0xfffe
	s_and_saveexec_b32 s21, s27
	s_cbranch_execz .LBB211_45
; %bb.44:                               ;   in Loop: Header=BB211_35 Depth=1
	s_wait_dscnt 0x0
	v_bcnt_u32_b32 v4, v4, v67
	ds_store_b32 v69, v4 offset:32
.LBB211_45:                             ;   in Loop: Header=BB211_35 Depth=1
	s_wait_alu 0xfffe
	s_or_b32 exec_lo, exec_lo, s21
	v_cmp_ne_u32_e32 vcc_lo, 0x7fffffff, v105
	; wave barrier
	s_wait_alu 0xfffd
	v_cndmask_b32_e32 v4, 0x80000000, v105, vcc_lo
	s_delay_alu instid0(VALU_DEP_1) | instskip(NEXT) | instid1(VALU_DEP_1)
	v_lshrrev_b32_e32 v4, s24, v4
	v_and_b32_e32 v4, s26, v4
	s_delay_alu instid0(VALU_DEP_1)
	v_and_b32_e32 v5, 1, v4
	v_lshlrev_b32_e32 v6, 30, v4
	v_lshlrev_b32_e32 v7, 29, v4
	;; [unrolled: 1-line block ×4, first 2 shown]
	v_add_co_u32 v5, s21, v5, -1
	s_wait_alu 0xf1ff
	v_cndmask_b32_e64 v25, 0, 1, s21
	v_not_b32_e32 v71, v6
	v_cmp_gt_i32_e64 s21, 0, v6
	v_not_b32_e32 v6, v7
	v_lshlrev_b32_e32 v27, 26, v4
	v_cmp_ne_u32_e32 vcc_lo, 0, v25
	v_ashrrev_i32_e32 v71, 31, v71
	v_lshlrev_b32_e32 v70, 25, v4
	v_ashrrev_i32_e32 v6, 31, v6
	v_lshlrev_b32_e32 v25, 24, v4
	s_wait_alu 0xfffd
	v_xor_b32_e32 v5, vcc_lo, v5
	v_cmp_gt_i32_e32 vcc_lo, 0, v7
	v_not_b32_e32 v7, v24
	s_wait_alu 0xf1ff
	v_xor_b32_e32 v71, s21, v71
	v_cmp_gt_i32_e64 s21, 0, v24
	v_and_b32_e32 v5, exec_lo, v5
	v_not_b32_e32 v24, v26
	v_ashrrev_i32_e32 v7, 31, v7
	s_wait_alu 0xfffd
	v_xor_b32_e32 v6, vcc_lo, v6
	v_cmp_gt_i32_e32 vcc_lo, 0, v26
	v_and_b32_e32 v5, v5, v71
	v_not_b32_e32 v26, v27
	v_ashrrev_i32_e32 v24, 31, v24
	s_wait_alu 0xf1ff
	v_xor_b32_e32 v7, s21, v7
	v_cmp_gt_i32_e64 s21, 0, v27
	v_and_b32_e32 v5, v5, v6
	v_not_b32_e32 v6, v70
	v_ashrrev_i32_e32 v26, 31, v26
	s_wait_alu 0xfffd
	v_xor_b32_e32 v24, vcc_lo, v24
	v_cmp_gt_i32_e32 vcc_lo, 0, v70
	v_and_b32_e32 v5, v5, v7
	v_not_b32_e32 v7, v25
	v_ashrrev_i32_e32 v6, 31, v6
	s_wait_alu 0xf1ff
	v_xor_b32_e32 v26, s21, v26
	v_lshlrev_b32_e32 v4, 5, v4
	v_and_b32_e32 v5, v5, v24
	v_cmp_gt_i32_e64 s21, 0, v25
	v_ashrrev_i32_e32 v7, 31, v7
	s_wait_alu 0xfffd
	v_xor_b32_e32 v6, vcc_lo, v6
	v_add_nc_u32_e32 v71, v100, v4
	v_and_b32_e32 v5, v5, v26
	s_wait_alu 0xf1ff
	v_xor_b32_e32 v4, s21, v7
	ds_load_b32 v70, v71 offset:32
	v_and_b32_e32 v5, v5, v6
	; wave barrier
	s_delay_alu instid0(VALU_DEP_1) | instskip(NEXT) | instid1(VALU_DEP_1)
	v_and_b32_e32 v4, v5, v4
	v_mbcnt_lo_u32_b32 v110, v4, 0
	v_cmp_ne_u32_e64 s21, 0, v4
	s_delay_alu instid0(VALU_DEP_2)
	v_cmp_eq_u32_e32 vcc_lo, 0, v110
	s_and_b32 s27, s21, vcc_lo
	s_wait_alu 0xfffe
	s_and_saveexec_b32 s21, s27
	s_cbranch_execz .LBB211_47
; %bb.46:                               ;   in Loop: Header=BB211_35 Depth=1
	s_wait_dscnt 0x0
	v_bcnt_u32_b32 v4, v4, v70
	ds_store_b32 v71, v4 offset:32
.LBB211_47:                             ;   in Loop: Header=BB211_35 Depth=1
	s_wait_alu 0xfffe
	s_or_b32 exec_lo, exec_lo, s21
	v_cmp_ne_u32_e32 vcc_lo, 0x7fffffff, v104
	; wave barrier
	s_wait_alu 0xfffd
	v_cndmask_b32_e32 v4, 0x80000000, v104, vcc_lo
	s_delay_alu instid0(VALU_DEP_1) | instskip(NEXT) | instid1(VALU_DEP_1)
	v_lshrrev_b32_e32 v4, s24, v4
	v_and_b32_e32 v4, s26, v4
	s_delay_alu instid0(VALU_DEP_1)
	v_and_b32_e32 v5, 1, v4
	v_lshlrev_b32_e32 v6, 30, v4
	v_lshlrev_b32_e32 v7, 29, v4
	;; [unrolled: 1-line block ×4, first 2 shown]
	v_add_co_u32 v5, s21, v5, -1
	s_wait_alu 0xf1ff
	v_cndmask_b32_e64 v25, 0, 1, s21
	v_not_b32_e32 v112, v6
	v_cmp_gt_i32_e64 s21, 0, v6
	v_not_b32_e32 v6, v7
	v_lshlrev_b32_e32 v27, 26, v4
	v_cmp_ne_u32_e32 vcc_lo, 0, v25
	v_ashrrev_i32_e32 v112, 31, v112
	v_lshlrev_b32_e32 v111, 25, v4
	v_ashrrev_i32_e32 v6, 31, v6
	v_lshlrev_b32_e32 v25, 24, v4
	s_wait_alu 0xfffd
	v_xor_b32_e32 v5, vcc_lo, v5
	v_cmp_gt_i32_e32 vcc_lo, 0, v7
	v_not_b32_e32 v7, v24
	s_wait_alu 0xf1ff
	v_xor_b32_e32 v112, s21, v112
	v_cmp_gt_i32_e64 s21, 0, v24
	v_and_b32_e32 v5, exec_lo, v5
	v_not_b32_e32 v24, v26
	v_ashrrev_i32_e32 v7, 31, v7
	s_wait_alu 0xfffd
	v_xor_b32_e32 v6, vcc_lo, v6
	v_cmp_gt_i32_e32 vcc_lo, 0, v26
	v_and_b32_e32 v5, v5, v112
	v_not_b32_e32 v26, v27
	v_ashrrev_i32_e32 v24, 31, v24
	s_wait_alu 0xf1ff
	v_xor_b32_e32 v7, s21, v7
	v_cmp_gt_i32_e64 s21, 0, v27
	v_and_b32_e32 v5, v5, v6
	v_not_b32_e32 v6, v111
	v_ashrrev_i32_e32 v26, 31, v26
	s_wait_alu 0xfffd
	v_xor_b32_e32 v24, vcc_lo, v24
	v_cmp_gt_i32_e32 vcc_lo, 0, v111
	v_and_b32_e32 v5, v5, v7
	v_not_b32_e32 v7, v25
	v_ashrrev_i32_e32 v6, 31, v6
	s_wait_alu 0xf1ff
	v_xor_b32_e32 v26, s21, v26
	v_lshlrev_b32_e32 v4, 5, v4
	v_and_b32_e32 v5, v5, v24
	v_cmp_gt_i32_e64 s21, 0, v25
	v_ashrrev_i32_e32 v7, 31, v7
	s_wait_alu 0xfffd
	v_xor_b32_e32 v6, vcc_lo, v6
	v_add_nc_u32_e32 v112, v100, v4
	v_and_b32_e32 v5, v5, v26
	s_wait_alu 0xf1ff
	v_xor_b32_e32 v4, s21, v7
	ds_load_b32 v111, v112 offset:32
	v_and_b32_e32 v5, v5, v6
	; wave barrier
	s_delay_alu instid0(VALU_DEP_1) | instskip(NEXT) | instid1(VALU_DEP_1)
	v_and_b32_e32 v4, v5, v4
	v_mbcnt_lo_u32_b32 v113, v4, 0
	v_cmp_ne_u32_e64 s21, 0, v4
	s_delay_alu instid0(VALU_DEP_2)
	v_cmp_eq_u32_e32 vcc_lo, 0, v113
	s_and_b32 s27, s21, vcc_lo
	s_wait_alu 0xfffe
	s_and_saveexec_b32 s21, s27
	s_cbranch_execz .LBB211_49
; %bb.48:                               ;   in Loop: Header=BB211_35 Depth=1
	s_wait_dscnt 0x0
	v_bcnt_u32_b32 v4, v4, v111
	ds_store_b32 v112, v4 offset:32
.LBB211_49:                             ;   in Loop: Header=BB211_35 Depth=1
	s_wait_alu 0xfffe
	s_or_b32 exec_lo, exec_lo, s21
	v_cmp_ne_u32_e32 vcc_lo, 0x7fffffff, v103
	; wave barrier
	s_wait_alu 0xfffd
	v_cndmask_b32_e32 v4, 0x80000000, v103, vcc_lo
	s_delay_alu instid0(VALU_DEP_1) | instskip(NEXT) | instid1(VALU_DEP_1)
	v_lshrrev_b32_e32 v4, s24, v4
	v_and_b32_e32 v4, s26, v4
	s_delay_alu instid0(VALU_DEP_1)
	v_and_b32_e32 v5, 1, v4
	v_lshlrev_b32_e32 v6, 30, v4
	v_lshlrev_b32_e32 v7, 29, v4
	;; [unrolled: 1-line block ×4, first 2 shown]
	v_add_co_u32 v5, s21, v5, -1
	s_wait_alu 0xf1ff
	v_cndmask_b32_e64 v25, 0, 1, s21
	v_not_b32_e32 v115, v6
	v_cmp_gt_i32_e64 s21, 0, v6
	v_not_b32_e32 v6, v7
	v_lshlrev_b32_e32 v27, 26, v4
	v_cmp_ne_u32_e32 vcc_lo, 0, v25
	v_ashrrev_i32_e32 v115, 31, v115
	v_lshlrev_b32_e32 v114, 25, v4
	v_ashrrev_i32_e32 v6, 31, v6
	v_lshlrev_b32_e32 v25, 24, v4
	s_wait_alu 0xfffd
	v_xor_b32_e32 v5, vcc_lo, v5
	v_cmp_gt_i32_e32 vcc_lo, 0, v7
	v_not_b32_e32 v7, v24
	s_wait_alu 0xf1ff
	v_xor_b32_e32 v115, s21, v115
	v_cmp_gt_i32_e64 s21, 0, v24
	v_and_b32_e32 v5, exec_lo, v5
	v_not_b32_e32 v24, v26
	v_ashrrev_i32_e32 v7, 31, v7
	s_wait_alu 0xfffd
	v_xor_b32_e32 v6, vcc_lo, v6
	v_cmp_gt_i32_e32 vcc_lo, 0, v26
	v_and_b32_e32 v5, v5, v115
	v_not_b32_e32 v26, v27
	v_ashrrev_i32_e32 v24, 31, v24
	s_wait_alu 0xf1ff
	v_xor_b32_e32 v7, s21, v7
	v_cmp_gt_i32_e64 s21, 0, v27
	v_and_b32_e32 v5, v5, v6
	v_not_b32_e32 v6, v114
	v_ashrrev_i32_e32 v26, 31, v26
	s_wait_alu 0xfffd
	v_xor_b32_e32 v24, vcc_lo, v24
	v_cmp_gt_i32_e32 vcc_lo, 0, v114
	v_and_b32_e32 v5, v5, v7
	v_not_b32_e32 v7, v25
	v_ashrrev_i32_e32 v6, 31, v6
	s_wait_alu 0xf1ff
	v_xor_b32_e32 v26, s21, v26
	v_lshlrev_b32_e32 v4, 5, v4
	v_and_b32_e32 v5, v5, v24
	v_cmp_gt_i32_e64 s21, 0, v25
	v_ashrrev_i32_e32 v7, 31, v7
	s_wait_alu 0xfffd
	v_xor_b32_e32 v6, vcc_lo, v6
	v_add_nc_u32_e32 v114, v100, v4
	v_and_b32_e32 v5, v5, v26
	s_wait_alu 0xf1ff
	v_xor_b32_e32 v4, s21, v7
	ds_load_b32 v119, v114 offset:32
	v_and_b32_e32 v5, v5, v6
	; wave barrier
	s_delay_alu instid0(VALU_DEP_1) | instskip(NEXT) | instid1(VALU_DEP_1)
	v_and_b32_e32 v4, v5, v4
	v_mbcnt_lo_u32_b32 v120, v4, 0
	v_cmp_ne_u32_e64 s21, 0, v4
	s_delay_alu instid0(VALU_DEP_2)
	v_cmp_eq_u32_e32 vcc_lo, 0, v120
	s_and_b32 s26, s21, vcc_lo
	s_wait_alu 0xfffe
	s_and_saveexec_b32 s21, s26
	s_cbranch_execz .LBB211_51
; %bb.50:                               ;   in Loop: Header=BB211_35 Depth=1
	s_wait_dscnt 0x0
	v_bcnt_u32_b32 v4, v4, v119
	ds_store_b32 v114, v4 offset:32
.LBB211_51:                             ;   in Loop: Header=BB211_35 Depth=1
	s_wait_alu 0xfffe
	s_or_b32 exec_lo, exec_lo, s21
	; wave barrier
	s_wait_loadcnt_dscnt 0x0
	s_barrier_signal -1
	s_barrier_wait -1
	global_inv scope:SCOPE_SE
	ds_load_b128 v[24:27], v89 offset:32
	ds_load_b128 v[4:7], v89 offset:48
	s_wait_dscnt 0x1
	v_add_nc_u32_e32 v115, v25, v24
	s_delay_alu instid0(VALU_DEP_1) | instskip(SKIP_1) | instid1(VALU_DEP_1)
	v_add3_u32 v115, v115, v26, v27
	s_wait_dscnt 0x0
	v_add3_u32 v115, v115, v4, v5
	s_delay_alu instid0(VALU_DEP_1) | instskip(NEXT) | instid1(VALU_DEP_1)
	v_add3_u32 v7, v115, v6, v7
	v_mov_b32_dpp v115, v7 row_shr:1 row_mask:0xf bank_mask:0xf
	s_delay_alu instid0(VALU_DEP_1) | instskip(NEXT) | instid1(VALU_DEP_1)
	v_cndmask_b32_e64 v115, v115, 0, s11
	v_add_nc_u32_e32 v7, v115, v7
	s_delay_alu instid0(VALU_DEP_1) | instskip(NEXT) | instid1(VALU_DEP_1)
	v_mov_b32_dpp v115, v7 row_shr:2 row_mask:0xf bank_mask:0xf
	v_cndmask_b32_e64 v115, 0, v115, s13
	s_delay_alu instid0(VALU_DEP_1) | instskip(NEXT) | instid1(VALU_DEP_1)
	v_add_nc_u32_e32 v7, v7, v115
	v_mov_b32_dpp v115, v7 row_shr:4 row_mask:0xf bank_mask:0xf
	s_delay_alu instid0(VALU_DEP_1) | instskip(NEXT) | instid1(VALU_DEP_1)
	v_cndmask_b32_e64 v115, 0, v115, s14
	v_add_nc_u32_e32 v7, v7, v115
	s_delay_alu instid0(VALU_DEP_1) | instskip(NEXT) | instid1(VALU_DEP_1)
	v_mov_b32_dpp v115, v7 row_shr:8 row_mask:0xf bank_mask:0xf
	v_cndmask_b32_e64 v115, 0, v115, s15
	s_delay_alu instid0(VALU_DEP_1) | instskip(SKIP_3) | instid1(VALU_DEP_1)
	v_add_nc_u32_e32 v7, v7, v115
	ds_swizzle_b32 v115, v7 offset:swizzle(BROADCAST,32,15)
	s_wait_dscnt 0x0
	v_cndmask_b32_e64 v115, v115, 0, s16
	v_add_nc_u32_e32 v7, v7, v115
	s_and_saveexec_b32 s21, s17
; %bb.52:                               ;   in Loop: Header=BB211_35 Depth=1
	ds_store_b32 v90, v7
; %bb.53:                               ;   in Loop: Header=BB211_35 Depth=1
	s_wait_alu 0xfffe
	s_or_b32 exec_lo, exec_lo, s21
	s_wait_loadcnt_dscnt 0x0
	s_barrier_signal -1
	s_barrier_wait -1
	global_inv scope:SCOPE_SE
	s_and_saveexec_b32 s21, s1
	s_cbranch_execz .LBB211_55
; %bb.54:                               ;   in Loop: Header=BB211_35 Depth=1
	ds_load_b32 v115, v101
	s_wait_dscnt 0x0
	v_mov_b32_dpp v116, v115 row_shr:1 row_mask:0xf bank_mask:0xf
	s_delay_alu instid0(VALU_DEP_1) | instskip(NEXT) | instid1(VALU_DEP_1)
	v_cndmask_b32_e64 v116, v116, 0, s18
	v_add_nc_u32_e32 v115, v116, v115
	s_delay_alu instid0(VALU_DEP_1) | instskip(NEXT) | instid1(VALU_DEP_1)
	v_mov_b32_dpp v116, v115 row_shr:2 row_mask:0xf bank_mask:0xf
	v_cndmask_b32_e64 v116, 0, v116, s19
	s_delay_alu instid0(VALU_DEP_1) | instskip(NEXT) | instid1(VALU_DEP_1)
	v_add_nc_u32_e32 v115, v115, v116
	v_mov_b32_dpp v116, v115 row_shr:4 row_mask:0xf bank_mask:0xf
	s_delay_alu instid0(VALU_DEP_1) | instskip(NEXT) | instid1(VALU_DEP_1)
	v_cndmask_b32_e64 v116, 0, v116, s20
	v_add_nc_u32_e32 v115, v115, v116
	ds_store_b32 v101, v115
.LBB211_55:                             ;   in Loop: Header=BB211_35 Depth=1
	s_wait_alu 0xfffe
	s_or_b32 exec_lo, exec_lo, s21
	v_mov_b32_e32 v115, 0
	s_wait_loadcnt_dscnt 0x0
	s_barrier_signal -1
	s_barrier_wait -1
	global_inv scope:SCOPE_SE
	s_and_saveexec_b32 s21, s9
; %bb.56:                               ;   in Loop: Header=BB211_35 Depth=1
	v_add_nc_u32_e32 v115, -4, v90
	ds_load_b32 v115, v115
; %bb.57:                               ;   in Loop: Header=BB211_35 Depth=1
	s_wait_alu 0xfffe
	s_or_b32 exec_lo, exec_lo, s21
	s_wait_dscnt 0x0
	v_add_nc_u32_e32 v7, v115, v7
	s_cmp_gt_u32 s24, 23
	s_mov_b32 s21, -1
	ds_bpermute_b32 v7, v99, v7
	s_wait_dscnt 0x0
	v_cndmask_b32_e64 v7, v7, v115, s12
	s_delay_alu instid0(VALU_DEP_1) | instskip(NEXT) | instid1(VALU_DEP_1)
	v_cndmask_b32_e64 v115, v7, 0, s10
	v_add_nc_u32_e32 v116, v115, v24
	s_delay_alu instid0(VALU_DEP_1) | instskip(NEXT) | instid1(VALU_DEP_1)
	v_add_nc_u32_e32 v117, v116, v25
	v_add_nc_u32_e32 v118, v117, v26
	s_delay_alu instid0(VALU_DEP_1) | instskip(NEXT) | instid1(VALU_DEP_1)
	v_add_nc_u32_e32 v24, v118, v27
	;; [unrolled: 3-line block ×3, first 2 shown]
	v_add_nc_u32_e32 v27, v26, v6
	ds_store_b128 v89, v[115:118] offset:32
	ds_store_b128 v89, v[24:27] offset:48
	s_wait_loadcnt_dscnt 0x0
	s_barrier_signal -1
	s_barrier_wait -1
	global_inv scope:SCOPE_SE
	ds_load_b32 v4, v29 offset:32
	ds_load_b32 v5, v32 offset:32
	;; [unrolled: 1-line block ×8, first 2 shown]
	s_wait_dscnt 0x7
	v_add_nc_u32_e32 v118, v4, v28
	s_wait_dscnt 0x6
	v_add3_u32 v117, v31, v30, v5
	s_wait_dscnt 0x5
	v_add3_u32 v116, v34, v33, v6
	;; [unrolled: 2-line block ×7, first 2 shown]
                                        ; implicit-def: $vgpr71
                                        ; implicit-def: $vgpr69
                                        ; implicit-def: $vgpr67
                                        ; implicit-def: $vgpr65
                                        ; implicit-def: $vgpr34_vgpr35
                                        ; implicit-def: $vgpr30_vgpr31
                                        ; implicit-def: $vgpr26_vgpr27
                                        ; implicit-def: $vgpr6_vgpr7
	s_cbranch_scc1 .LBB211_34
; %bb.58:                               ;   in Loop: Header=BB211_35 Depth=1
	v_lshlrev_b32_e32 v4, 2, v118
	v_lshlrev_b32_e32 v5, 2, v117
	v_lshlrev_b32_e32 v6, 2, v116
	s_wait_loadcnt 0x0
	s_barrier_signal -1
	s_barrier_wait -1
	global_inv scope:SCOPE_SE
	ds_store_b32 v4, v102
	ds_store_b32 v5, v109
	;; [unrolled: 1-line block ×3, first 2 shown]
	v_lshlrev_b32_e32 v7, 2, v115
	v_add_nc_u32_e32 v4, v4, v4
	v_lshlrev_b32_e32 v24, 2, v114
	v_add_nc_u32_e32 v5, v5, v5
	;; [unrolled: 2-line block ×3, first 2 shown]
	v_lshlrev_b32_e32 v26, 2, v111
	v_lshlrev_b32_e32 v27, 2, v110
	ds_store_b32 v7, v107
	ds_store_b32 v24, v106
	;; [unrolled: 1-line block ×5, first 2 shown]
	s_wait_loadcnt_dscnt 0x0
	s_barrier_signal -1
	s_barrier_wait -1
	global_inv scope:SCOPE_SE
	ds_load_2addr_b32 v[64:65], v97 offset1:32
	ds_load_2addr_b32 v[66:67], v97 offset0:64 offset1:96
	ds_load_2addr_b32 v[68:69], v97 offset0:128 offset1:160
	;; [unrolled: 1-line block ×3, first 2 shown]
	s_wait_loadcnt_dscnt 0x0
	s_barrier_signal -1
	s_barrier_wait -1
	global_inv scope:SCOPE_SE
	ds_store_b64 v4, v[62:63]
	ds_store_b64 v5, v[60:61]
	;; [unrolled: 1-line block ×3, first 2 shown]
	v_add_nc_u32_e32 v4, v7, v7
	v_add_nc_u32_e32 v5, v24, v24
	v_add_nc_u32_e32 v6, v25, v25
	v_add_nc_u32_e32 v7, v26, v26
	v_add_nc_u32_e32 v24, v27, v27
	ds_store_b64 v4, v[56:57]
	ds_store_b64 v5, v[54:55]
	;; [unrolled: 1-line block ×5, first 2 shown]
	s_wait_loadcnt_dscnt 0x0
	s_barrier_signal -1
	s_barrier_wait -1
	global_inv scope:SCOPE_SE
	ds_load_2addr_b64 v[4:7], v98 offset1:32
	ds_load_2addr_b64 v[24:27], v98 offset0:64 offset1:96
	ds_load_2addr_b64 v[28:31], v98 offset0:128 offset1:160
	;; [unrolled: 1-line block ×3, first 2 shown]
	s_add_co_i32 s24, s24, 8
	s_add_co_i32 s25, s25, -8
	s_mov_b32 s21, 0
	s_wait_loadcnt_dscnt 0x0
	s_barrier_signal -1
	s_barrier_wait -1
	global_inv scope:SCOPE_SE
	s_branch .LBB211_34
.LBB211_59:
	v_lshlrev_b64_e32 v[1:2], 3, v[40:41]
	v_dual_mov_b32 v42, v41 :: v_dual_mov_b32 v9, v41
	v_mov_b32_e32 v10, v41
	v_dual_mov_b32 v4, v41 :: v_dual_mov_b32 v5, v41
	s_delay_alu instid0(VALU_DEP_4)
	v_add_co_u32 v1, vcc_lo, s34, v1
	s_wait_alu 0xfffd
	v_add_co_ci_u32_e64 v2, null, s35, v2, vcc_lo
	v_dual_mov_b32 v6, v41 :: v_dual_mov_b32 v7, v41
	v_dual_mov_b32 v8, v41 :: v_dual_mov_b32 v11, v41
	global_load_b64 v[13:14], v[1:2], off
	v_dual_mov_b32 v1, v41 :: v_dual_mov_b32 v2, v41
	v_dual_mov_b32 v3, v41 :: v_dual_mov_b32 v12, v41
	s_or_b32 exec_lo, exec_lo, s1
	s_and_saveexec_b32 s1, s3
	s_cbranch_execz .LBB211_25
.LBB211_60:
	v_mul_lo_u32 v32, s28, v15
	v_mov_b32_e32 v33, 0
	s_delay_alu instid0(VALU_DEP_1) | instskip(NEXT) | instid1(VALU_DEP_1)
	v_lshlrev_b64_e32 v[32:33], 3, v[32:33]
	v_add_co_u32 v32, vcc_lo, s34, v32
	s_wait_alu 0xfffd
	s_delay_alu instid0(VALU_DEP_2)
	v_add_co_ci_u32_e64 v33, null, s35, v33, vcc_lo
	global_load_b64 v[41:42], v[32:33], off
	s_or_b32 exec_lo, exec_lo, s1
	s_and_saveexec_b32 s1, s4
	s_cbranch_execz .LBB211_26
.LBB211_61:
	v_mul_lo_u32 v9, s28, v16
	v_mov_b32_e32 v10, 0
	s_delay_alu instid0(VALU_DEP_1) | instskip(NEXT) | instid1(VALU_DEP_1)
	v_lshlrev_b64_e32 v[9:10], 3, v[9:10]
	v_add_co_u32 v9, vcc_lo, s34, v9
	s_wait_alu 0xfffd
	s_delay_alu instid0(VALU_DEP_2)
	v_add_co_ci_u32_e64 v10, null, s35, v10, vcc_lo
	global_load_b64 v[9:10], v[9:10], off
	s_or_b32 exec_lo, exec_lo, s1
	s_and_saveexec_b32 s1, s5
	s_cbranch_execz .LBB211_27
.LBB211_62:
	v_mul_lo_u32 v1, s28, v17
	v_mov_b32_e32 v2, 0
	s_delay_alu instid0(VALU_DEP_1) | instskip(NEXT) | instid1(VALU_DEP_1)
	v_lshlrev_b64_e32 v[1:2], 3, v[1:2]
	v_add_co_u32 v1, vcc_lo, s34, v1
	s_wait_alu 0xfffd
	s_delay_alu instid0(VALU_DEP_2)
	v_add_co_ci_u32_e64 v2, null, s35, v2, vcc_lo
	global_load_b64 v[1:2], v[1:2], off
	s_or_b32 exec_lo, exec_lo, s1
	s_and_saveexec_b32 s1, s6
	s_cbranch_execz .LBB211_28
.LBB211_63:
	v_mul_lo_u32 v3, s28, v18
	v_mov_b32_e32 v4, 0
	s_delay_alu instid0(VALU_DEP_1) | instskip(NEXT) | instid1(VALU_DEP_1)
	v_lshlrev_b64_e32 v[3:4], 3, v[3:4]
	v_add_co_u32 v3, vcc_lo, s34, v3
	s_wait_alu 0xfffd
	s_delay_alu instid0(VALU_DEP_2)
	v_add_co_ci_u32_e64 v4, null, s35, v4, vcc_lo
	global_load_b64 v[3:4], v[3:4], off
	s_or_b32 exec_lo, exec_lo, s1
	s_and_saveexec_b32 s1, s7
	s_cbranch_execz .LBB211_29
.LBB211_64:
	v_mul_lo_u32 v5, s28, v19
	v_mov_b32_e32 v6, 0
	s_delay_alu instid0(VALU_DEP_1) | instskip(NEXT) | instid1(VALU_DEP_1)
	v_lshlrev_b64_e32 v[5:6], 3, v[5:6]
	v_add_co_u32 v5, vcc_lo, s34, v5
	s_wait_alu 0xfffd
	s_delay_alu instid0(VALU_DEP_2)
	v_add_co_ci_u32_e64 v6, null, s35, v6, vcc_lo
	global_load_b64 v[5:6], v[5:6], off
	s_or_b32 exec_lo, exec_lo, s1
	s_and_saveexec_b32 s1, s8
	s_cbranch_execz .LBB211_30
.LBB211_65:
	v_mul_lo_u32 v7, s28, v20
	v_mov_b32_e32 v8, 0
	s_delay_alu instid0(VALU_DEP_1) | instskip(NEXT) | instid1(VALU_DEP_1)
	v_lshlrev_b64_e32 v[7:8], 3, v[7:8]
	v_add_co_u32 v7, vcc_lo, s34, v7
	s_wait_alu 0xfffd
	s_delay_alu instid0(VALU_DEP_2)
	v_add_co_ci_u32_e64 v8, null, s35, v8, vcc_lo
	global_load_b64 v[7:8], v[7:8], off
	s_or_b32 exec_lo, exec_lo, s1
	s_xor_b32 s1, s12, -1
	s_and_saveexec_b32 s9, s0
	s_cbranch_execnz .LBB211_31
	s_branch .LBB211_32
.LBB211_66:
                                        ; implicit-def: $vgpr34_vgpr35
                                        ; implicit-def: $vgpr38_vgpr39
                                        ; implicit-def: $vgpr26_vgpr27
                                        ; implicit-def: $vgpr30_vgpr31
                                        ; implicit-def: $vgpr0_vgpr1_vgpr2_vgpr3_vgpr4_vgpr5_vgpr6_vgpr7
	s_cbranch_execnz .LBB211_68
	s_branch .LBB211_95
.LBB211_67:
	v_lshlrev_b32_e32 v24, 2, v118
	v_lshlrev_b32_e32 v27, 2, v115
	;; [unrolled: 1-line block ×8, first 2 shown]
	s_wait_loadcnt 0x0
	s_barrier_signal -1
	s_barrier_wait -1
	global_inv scope:SCOPE_SE
	ds_store_b32 v24, v102
	ds_store_b32 v25, v109
	;; [unrolled: 1-line block ×8, first 2 shown]
	s_wait_loadcnt_dscnt 0x0
	s_barrier_signal -1
	s_barrier_wait -1
	global_inv scope:SCOPE_SE
	ds_load_b128 v[0:3], v89
	ds_load_b128 v[4:7], v89 offset:16
	v_add_nc_u32_e32 v24, v24, v24
	v_add_nc_u32_e32 v25, v25, v25
	;; [unrolled: 1-line block ×3, first 2 shown]
	s_wait_loadcnt_dscnt 0x0
	s_barrier_signal -1
	s_barrier_wait -1
	global_inv scope:SCOPE_SE
	ds_store_b64 v24, v[62:63]
	ds_store_b64 v25, v[60:61]
	;; [unrolled: 1-line block ×3, first 2 shown]
	v_add_nc_u32_e32 v24, v27, v27
	v_add_nc_u32_e32 v25, v28, v28
	v_add_nc_u32_e32 v26, v29, v29
	v_add_nc_u32_e32 v27, v30, v30
	v_add_nc_u32_e32 v28, v31, v31
	ds_store_b64 v24, v[56:57]
	ds_store_b64 v25, v[54:55]
	;; [unrolled: 1-line block ×5, first 2 shown]
	v_lshl_add_u32 v32, v45, 5, v89
	s_wait_loadcnt_dscnt 0x0
	s_barrier_signal -1
	s_barrier_wait -1
	v_cmp_lt_i32_e32 vcc_lo, -1, v0
	global_inv scope:SCOPE_SE
	ds_load_b128 v[28:31], v32
	ds_load_b128 v[24:27], v32 offset:16
	ds_load_b128 v[36:39], v32 offset:32
	;; [unrolled: 1-line block ×3, first 2 shown]
	s_wait_alu 0xfffd
	v_cndmask_b32_e64 v41, 0x80000000, -1, vcc_lo
	v_cmp_lt_i32_e32 vcc_lo, -1, v1
	s_delay_alu instid0(VALU_DEP_2) | instskip(SKIP_3) | instid1(VALU_DEP_2)
	v_xor_b32_e32 v0, v41, v0
	s_wait_alu 0xfffd
	v_cndmask_b32_e64 v42, 0x80000000, -1, vcc_lo
	v_cmp_lt_i32_e32 vcc_lo, -1, v2
	v_xor_b32_e32 v1, v42, v1
	s_wait_alu 0xfffd
	v_cndmask_b32_e64 v54, 0x80000000, -1, vcc_lo
	v_cmp_lt_i32_e32 vcc_lo, -1, v3
	s_delay_alu instid0(VALU_DEP_2) | instskip(SKIP_3) | instid1(VALU_DEP_2)
	v_xor_b32_e32 v2, v54, v2
	s_wait_alu 0xfffd
	v_cndmask_b32_e64 v41, 0x80000000, -1, vcc_lo
	v_cmp_lt_i32_e32 vcc_lo, -1, v4
	v_xor_b32_e32 v3, v41, v3
	;; [unrolled: 9-line block ×3, first 2 shown]
	s_wait_alu 0xfffd
	v_cndmask_b32_e64 v55, 0x80000000, -1, vcc_lo
	v_cmp_lt_i32_e32 vcc_lo, -1, v7
	s_delay_alu instid0(VALU_DEP_2) | instskip(SKIP_2) | instid1(VALU_DEP_1)
	v_xor_b32_e32 v6, v55, v6
	s_wait_alu 0xfffd
	v_cndmask_b32_e64 v56, 0x80000000, -1, vcc_lo
	v_xor_b32_e32 v7, v56, v7
	s_branch .LBB211_95
.LBB211_68:
	v_cmp_gt_i32_e32 vcc_lo, 0, v52
	v_or_b32_e32 v7, v93, v94
	s_wait_dscnt 0x2
	v_and_or_b32 v25, 0x1f00, v91, v93
	s_mov_b32 s24, 0
	s_getpc_b64 s[10:11]
	s_wait_alu 0xfffe
	s_sext_i32_i16 s11, s11
	s_add_co_u32 s10, s10, _ZN7rocprim17ROCPRIM_400000_NS16block_radix_sortIfLj256ELj8ElLj1ELj1ELj0ELNS0_26block_radix_rank_algorithmE1ELNS0_18block_padding_hintE2ELNS0_4arch9wavefront6targetE0EE19radix_bits_per_passE@rel32@lo+12
	s_wait_alu 0xfffe
	s_add_co_ci_u32 s11, s11, _ZN7rocprim17ROCPRIM_400000_NS16block_radix_sortIfLj256ELj8ElLj1ELj1ELj0ELNS0_26block_radix_rank_algorithmE1ELNS0_18block_padding_hintE2ELNS0_4arch9wavefront6targetE0EE19radix_bits_per_passE@rel32@hi+24
	s_wait_alu 0xfffd
	v_cndmask_b32_e64 v0, 0x7fffffff, 0, vcc_lo
	v_cmp_gt_i32_e32 vcc_lo, 0, v53
	s_mov_b32 s25, s24
	s_mov_b32 s26, s24
	;; [unrolled: 1-line block ×3, first 2 shown]
	v_xor_b32_e32 v0, v0, v52
	s_wait_alu 0xfffd
	v_cndmask_b32_e64 v1, 0x7fffffff, 0, vcc_lo
	v_cmp_gt_i32_e32 vcc_lo, 0, v50
	v_lshlrev_b32_e32 v26, 5, v7
	s_load_b32 s23, s[10:11], 0x0
	v_cmp_gt_u32_e64 s15, 8, v45
	v_xor_b32_e32 v1, v1, v53
	v_cndmask_b32_e64 v2, 0x7fffffff, 0, vcc_lo
	v_cmp_gt_i32_e32 vcc_lo, 0, v51
	v_cmp_lt_u32_e64 s16, 31, v45
	v_cmp_eq_u32_e64 s17, 0, v45
	v_add_nc_u32_e32 v53, v89, v92
	v_xor_b32_e32 v2, v2, v50
	s_wait_alu 0xfffd
	v_cndmask_b32_e64 v3, 0x7fffffff, 0, vcc_lo
	v_cmp_gt_i32_e32 vcc_lo, 0, v48
	s_delay_alu instid0(VALU_DEP_2) | instskip(SKIP_4) | instid1(VALU_DEP_3)
	v_xor_b32_e32 v3, v3, v51
	s_wait_alu 0xfffd
	v_cndmask_b32_e64 v4, 0x7fffffff, 0, vcc_lo
	v_cmp_gt_i32_e32 vcc_lo, 0, v49
	v_add_nc_u32_e32 v51, -4, v90
	v_xor_b32_e32 v4, v4, v48
	s_wait_alu 0xfffd
	v_cndmask_b32_e64 v5, 0x7fffffff, 0, vcc_lo
	v_cmp_gt_i32_e32 vcc_lo, 0, v46
	v_lshlrev_b32_e32 v48, 2, v25
	s_delay_alu instid0(VALU_DEP_3) | instskip(SKIP_4) | instid1(VALU_DEP_3)
	v_xor_b32_e32 v5, v5, v49
	s_wait_alu 0xfffd
	v_cndmask_b32_e64 v6, 0x7fffffff, 0, vcc_lo
	v_cmp_gt_i32_e32 vcc_lo, 0, v47
	v_add_nc_u32_e32 v49, v48, v48
	v_xor_b32_e32 v6, v6, v46
	s_wait_alu 0xfffd
	v_cndmask_b32_e64 v24, 0x7fffffff, 0, vcc_lo
	s_delay_alu instid0(VALU_DEP_1)
	v_xor_b32_e32 v7, v24, v47
	ds_store_b128 v26, v[0:3]
	ds_store_b128 v26, v[4:7] offset:16
	v_add_nc_u32_e32 v0, v26, v26
	; wave barrier
	s_wait_dscnt 0x3
	ds_load_2addr_b32 v[36:37], v48 offset1:32
	ds_load_2addr_b32 v[38:39], v48 offset0:64 offset1:96
	ds_load_2addr_b32 v[41:42], v48 offset0:128 offset1:160
	;; [unrolled: 1-line block ×3, first 2 shown]
	s_wait_loadcnt_dscnt 0x0
	s_barrier_signal -1
	s_barrier_wait -1
	global_inv scope:SCOPE_SE
	ds_store_b128 v0, v[20:23]
	ds_store_b128 v0, v[16:19] offset:16
	ds_store_b128 v0, v[12:15] offset:32
	ds_store_b128 v0, v[8:11] offset:48
	; wave barrier
	ds_load_2addr_b64 v[4:7], v49 offset1:32
	ds_load_2addr_b64 v[8:11], v49 offset0:64 offset1:96
	ds_load_2addr_b64 v[12:15], v49 offset0:128 offset1:160
	;; [unrolled: 1-line block ×3, first 2 shown]
	s_wait_loadcnt_dscnt 0x0
	s_barrier_signal -1
	s_barrier_wait -1
	global_inv scope:SCOPE_SE
	s_load_b32 s1, s[36:37], 0xc
	v_sub_co_u32 v20, s10, v93, 1
	v_and_b32_e32 v2, 15, v93
	v_and_b32_e32 v3, 16, v93
	s_delay_alu instid0(VALU_DEP_3) | instskip(NEXT) | instid1(VALU_DEP_3)
	v_cmp_gt_i32_e32 vcc_lo, 0, v20
	v_cmp_lt_u32_e64 s11, 3, v2
	v_cmp_lt_u32_e64 s12, 7, v2
	s_delay_alu instid0(VALU_DEP_4)
	v_cmp_eq_u32_e64 s13, 0, v3
	s_wait_kmcnt 0x0
	s_lshr_b32 s9, s1, 16
	s_and_b32 s1, s1, 0xffff
	s_wait_alu 0xfffe
	v_mad_u32_u24 v0, v96, s9, v95
	v_cmp_lt_u32_e64 s9, 1, v2
	s_delay_alu instid0(VALU_DEP_2) | instskip(SKIP_4) | instid1(VALU_DEP_3)
	v_mad_co_u64_u32 v[0:1], null, v0, s1, v[45:46]
	v_min_u32_e32 v1, 0xe0, v94
	v_cmp_eq_u32_e64 s1, 0, v2
	s_wait_alu 0xfffd
	v_cndmask_b32_e32 v2, v20, v93, vcc_lo
	v_or_b32_e32 v1, 31, v1
	v_lshrrev_b32_e32 v0, 3, v0
	s_delay_alu instid0(VALU_DEP_3) | instskip(NEXT) | instid1(VALU_DEP_3)
	v_lshlrev_b32_e32 v50, 2, v2
	v_cmp_eq_u32_e64 s14, v45, v1
	v_and_b32_e32 v1, 7, v93
	s_delay_alu instid0(VALU_DEP_4) | instskip(NEXT) | instid1(VALU_DEP_2)
	v_and_b32_e32 v52, 0x1ffffffc, v0
	v_cmp_eq_u32_e64 s18, 0, v1
	v_cmp_lt_u32_e64 s19, 1, v1
	v_cmp_lt_u32_e64 s20, 3, v1
	v_dual_mov_b32 v0, s24 :: v_dual_mov_b32 v1, s25
	v_dual_mov_b32 v2, s26 :: v_dual_mov_b32 v3, s27
	s_mov_b32 s25, 32
	s_branch .LBB211_70
.LBB211_69:                             ;   in Loop: Header=BB211_70 Depth=1
	s_wait_alu 0xfffe
	s_and_not1_b32 vcc_lo, exec_lo, s21
	s_wait_alu 0xfffe
	s_cbranch_vccz .LBB211_94
.LBB211_70:                             ; =>This Inner Loop Header: Depth=1
	v_dual_mov_b32 v54, v36 :: v_dual_mov_b32 v55, v47
	s_wait_alu 0xfffe
	s_min_u32 s21, s23, s25
	ds_store_b128 v89, v[0:3] offset:32
	ds_store_b128 v89, v[0:3] offset:48
	s_wait_alu 0xfffe
	s_lshl_b32 s21, -1, s21
	v_cmp_ne_u32_e32 vcc_lo, 0x80000000, v54
	s_wait_alu 0xfffe
	s_not_b32 s26, s21
	s_wait_loadcnt_dscnt 0x0
	s_barrier_signal -1
	s_barrier_wait -1
	s_wait_alu 0xfffd
	v_dual_cndmask_b32 v20, 0x7fffffff, v54 :: v_dual_mov_b32 v57, v42
	global_inv scope:SCOPE_SE
	; wave barrier
	v_lshrrev_b32_e32 v20, s24, v20
	v_mov_b32_e32 v59, v39
	v_dual_mov_b32 v61, v37 :: v_dual_mov_b32 v58, v41
	v_mov_b32_e32 v60, v38
	s_wait_alu 0xfffe
	v_and_b32_e32 v36, s26, v20
	v_dual_mov_b32 v56, v46 :: v_dual_mov_b32 v31, v9
	v_dual_mov_b32 v30, v8 :: v_dual_mov_b32 v33, v7
	s_delay_alu instid0(VALU_DEP_3)
	v_and_b32_e32 v20, 1, v36
	v_lshlrev_b32_e32 v21, 30, v36
	v_lshlrev_b32_e32 v22, 29, v36
	;; [unrolled: 1-line block ×4, first 2 shown]
	v_add_co_u32 v20, s21, v20, -1
	s_wait_alu 0xf1ff
	v_cndmask_b32_e64 v24, 0, 1, s21
	v_not_b32_e32 v28, v21
	v_cmp_gt_i32_e64 s21, 0, v21
	v_not_b32_e32 v21, v22
	v_lshlrev_b32_e32 v26, 26, v36
	v_cmp_ne_u32_e32 vcc_lo, 0, v24
	v_ashrrev_i32_e32 v28, 31, v28
	v_lshlrev_b32_e32 v27, 25, v36
	v_ashrrev_i32_e32 v21, 31, v21
	v_lshlrev_b32_e32 v24, 24, v36
	s_wait_alu 0xfffd
	v_xor_b32_e32 v20, vcc_lo, v20
	v_cmp_gt_i32_e32 vcc_lo, 0, v22
	v_not_b32_e32 v22, v23
	s_wait_alu 0xf1ff
	v_xor_b32_e32 v28, s21, v28
	v_cmp_gt_i32_e64 s21, 0, v23
	v_and_b32_e32 v20, exec_lo, v20
	v_not_b32_e32 v23, v25
	v_ashrrev_i32_e32 v22, 31, v22
	s_wait_alu 0xfffd
	v_xor_b32_e32 v21, vcc_lo, v21
	v_cmp_gt_i32_e32 vcc_lo, 0, v25
	v_and_b32_e32 v20, v20, v28
	v_not_b32_e32 v25, v26
	v_ashrrev_i32_e32 v23, 31, v23
	s_wait_alu 0xf1ff
	v_xor_b32_e32 v22, s21, v22
	v_cmp_gt_i32_e64 s21, 0, v26
	v_and_b32_e32 v20, v20, v21
	v_not_b32_e32 v21, v27
	v_ashrrev_i32_e32 v25, 31, v25
	s_wait_alu 0xfffd
	v_xor_b32_e32 v23, vcc_lo, v23
	v_cmp_gt_i32_e32 vcc_lo, 0, v27
	v_and_b32_e32 v20, v20, v22
	v_ashrrev_i32_e32 v21, 31, v21
	s_wait_alu 0xf1ff
	v_xor_b32_e32 v25, s21, v25
	v_mov_b32_e32 v27, v13
	v_not_b32_e32 v22, v24
	v_dual_mov_b32 v35, v5 :: v_dual_and_b32 v20, v20, v23
	v_cmp_gt_i32_e64 s21, 0, v24
	s_wait_alu 0xfffd
	v_xor_b32_e32 v21, vcc_lo, v21
	v_ashrrev_i32_e32 v22, 31, v22
	v_dual_mov_b32 v25, v15 :: v_dual_and_b32 v20, v20, v25
	v_mov_b32_e32 v26, v12
	v_mov_b32_e32 v34, v4
	s_wait_alu 0xf1ff
	v_xor_b32_e32 v28, s21, v22
	v_dual_mov_b32 v24, v14 :: v_dual_and_b32 v29, v20, v21
	v_dual_mov_b32 v21, v19 :: v_dual_lshlrev_b32 v4, 5, v36
	v_mov_b32_e32 v23, v17
	s_delay_alu instid0(VALU_DEP_3) | instskip(SKIP_3) | instid1(VALU_DEP_4)
	v_dual_mov_b32 v29, v11 :: v_dual_and_b32 v14, v29, v28
	v_mov_b32_e32 v20, v18
	v_mov_b32_e32 v22, v16
	v_dual_mov_b32 v28, v10 :: v_dual_add_nc_u32 v13, v52, v4
	v_mbcnt_lo_u32_b32 v12, v14, 0
	v_cmp_ne_u32_e64 s21, 0, v14
	v_mov_b32_e32 v32, v6
	s_delay_alu instid0(VALU_DEP_3)
	v_cmp_eq_u32_e32 vcc_lo, 0, v12
	s_and_b32 s27, s21, vcc_lo
	s_wait_alu 0xfffe
	s_and_saveexec_b32 s21, s27
; %bb.71:                               ;   in Loop: Header=BB211_70 Depth=1
	v_bcnt_u32_b32 v4, v14, 0
	ds_store_b32 v13, v4 offset:32
; %bb.72:                               ;   in Loop: Header=BB211_70 Depth=1
	s_wait_alu 0xfffe
	s_or_b32 exec_lo, exec_lo, s21
	v_cmp_ne_u32_e32 vcc_lo, 0x80000000, v61
	; wave barrier
	s_wait_alu 0xfffd
	v_cndmask_b32_e32 v4, 0x7fffffff, v61, vcc_lo
	s_delay_alu instid0(VALU_DEP_1) | instskip(NEXT) | instid1(VALU_DEP_1)
	v_lshrrev_b32_e32 v4, s24, v4
	v_and_b32_e32 v4, s26, v4
	s_delay_alu instid0(VALU_DEP_1)
	v_and_b32_e32 v5, 1, v4
	v_lshlrev_b32_e32 v6, 30, v4
	v_lshlrev_b32_e32 v7, 29, v4
	;; [unrolled: 1-line block ×4, first 2 shown]
	v_add_co_u32 v5, s21, v5, -1
	s_wait_alu 0xf1ff
	v_cndmask_b32_e64 v9, 0, 1, s21
	v_not_b32_e32 v15, v6
	v_cmp_gt_i32_e64 s21, 0, v6
	v_not_b32_e32 v6, v7
	v_lshlrev_b32_e32 v11, 26, v4
	v_cmp_ne_u32_e32 vcc_lo, 0, v9
	v_ashrrev_i32_e32 v15, 31, v15
	v_lshlrev_b32_e32 v14, 25, v4
	v_ashrrev_i32_e32 v6, 31, v6
	v_lshlrev_b32_e32 v9, 24, v4
	s_wait_alu 0xfffd
	v_xor_b32_e32 v5, vcc_lo, v5
	v_cmp_gt_i32_e32 vcc_lo, 0, v7
	v_not_b32_e32 v7, v8
	s_wait_alu 0xf1ff
	v_xor_b32_e32 v15, s21, v15
	v_cmp_gt_i32_e64 s21, 0, v8
	v_and_b32_e32 v5, exec_lo, v5
	v_not_b32_e32 v8, v10
	v_ashrrev_i32_e32 v7, 31, v7
	s_wait_alu 0xfffd
	v_xor_b32_e32 v6, vcc_lo, v6
	v_cmp_gt_i32_e32 vcc_lo, 0, v10
	v_and_b32_e32 v5, v5, v15
	v_not_b32_e32 v10, v11
	v_ashrrev_i32_e32 v8, 31, v8
	s_wait_alu 0xf1ff
	v_xor_b32_e32 v7, s21, v7
	v_cmp_gt_i32_e64 s21, 0, v11
	v_and_b32_e32 v5, v5, v6
	v_not_b32_e32 v6, v14
	v_ashrrev_i32_e32 v10, 31, v10
	s_wait_alu 0xfffd
	v_xor_b32_e32 v8, vcc_lo, v8
	v_cmp_gt_i32_e32 vcc_lo, 0, v14
	v_and_b32_e32 v5, v5, v7
	v_not_b32_e32 v7, v9
	v_ashrrev_i32_e32 v6, 31, v6
	s_wait_alu 0xf1ff
	v_xor_b32_e32 v10, s21, v10
	v_lshlrev_b32_e32 v4, 5, v4
	v_and_b32_e32 v5, v5, v8
	v_cmp_gt_i32_e64 s21, 0, v9
	v_ashrrev_i32_e32 v7, 31, v7
	s_wait_alu 0xfffd
	v_xor_b32_e32 v6, vcc_lo, v6
	v_add_nc_u32_e32 v16, v52, v4
	v_and_b32_e32 v5, v5, v10
	s_wait_alu 0xf1ff
	v_xor_b32_e32 v4, s21, v7
	ds_load_b32 v14, v16 offset:32
	v_and_b32_e32 v5, v5, v6
	; wave barrier
	s_delay_alu instid0(VALU_DEP_1) | instskip(NEXT) | instid1(VALU_DEP_1)
	v_and_b32_e32 v4, v5, v4
	v_mbcnt_lo_u32_b32 v15, v4, 0
	v_cmp_ne_u32_e64 s21, 0, v4
	s_delay_alu instid0(VALU_DEP_2)
	v_cmp_eq_u32_e32 vcc_lo, 0, v15
	s_and_b32 s27, s21, vcc_lo
	s_wait_alu 0xfffe
	s_and_saveexec_b32 s21, s27
	s_cbranch_execz .LBB211_74
; %bb.73:                               ;   in Loop: Header=BB211_70 Depth=1
	s_wait_dscnt 0x0
	v_bcnt_u32_b32 v4, v4, v14
	ds_store_b32 v16, v4 offset:32
.LBB211_74:                             ;   in Loop: Header=BB211_70 Depth=1
	s_wait_alu 0xfffe
	s_or_b32 exec_lo, exec_lo, s21
	v_cmp_ne_u32_e32 vcc_lo, 0x80000000, v60
	; wave barrier
	s_wait_alu 0xfffd
	v_cndmask_b32_e32 v4, 0x7fffffff, v60, vcc_lo
	s_delay_alu instid0(VALU_DEP_1) | instskip(NEXT) | instid1(VALU_DEP_1)
	v_lshrrev_b32_e32 v4, s24, v4
	v_and_b32_e32 v4, s26, v4
	s_delay_alu instid0(VALU_DEP_1)
	v_and_b32_e32 v5, 1, v4
	v_lshlrev_b32_e32 v6, 30, v4
	v_lshlrev_b32_e32 v7, 29, v4
	;; [unrolled: 1-line block ×4, first 2 shown]
	v_add_co_u32 v5, s21, v5, -1
	s_wait_alu 0xf1ff
	v_cndmask_b32_e64 v9, 0, 1, s21
	v_not_b32_e32 v18, v6
	v_cmp_gt_i32_e64 s21, 0, v6
	v_not_b32_e32 v6, v7
	v_lshlrev_b32_e32 v11, 26, v4
	v_cmp_ne_u32_e32 vcc_lo, 0, v9
	v_ashrrev_i32_e32 v18, 31, v18
	v_lshlrev_b32_e32 v17, 25, v4
	v_ashrrev_i32_e32 v6, 31, v6
	v_lshlrev_b32_e32 v9, 24, v4
	s_wait_alu 0xfffd
	v_xor_b32_e32 v5, vcc_lo, v5
	v_cmp_gt_i32_e32 vcc_lo, 0, v7
	v_not_b32_e32 v7, v8
	s_wait_alu 0xf1ff
	v_xor_b32_e32 v18, s21, v18
	v_cmp_gt_i32_e64 s21, 0, v8
	v_and_b32_e32 v5, exec_lo, v5
	v_not_b32_e32 v8, v10
	v_ashrrev_i32_e32 v7, 31, v7
	s_wait_alu 0xfffd
	v_xor_b32_e32 v6, vcc_lo, v6
	v_cmp_gt_i32_e32 vcc_lo, 0, v10
	v_and_b32_e32 v5, v5, v18
	v_not_b32_e32 v10, v11
	v_ashrrev_i32_e32 v8, 31, v8
	s_wait_alu 0xf1ff
	v_xor_b32_e32 v7, s21, v7
	v_cmp_gt_i32_e64 s21, 0, v11
	v_and_b32_e32 v5, v5, v6
	v_not_b32_e32 v6, v17
	v_ashrrev_i32_e32 v10, 31, v10
	s_wait_alu 0xfffd
	v_xor_b32_e32 v8, vcc_lo, v8
	v_cmp_gt_i32_e32 vcc_lo, 0, v17
	v_and_b32_e32 v5, v5, v7
	v_not_b32_e32 v7, v9
	v_ashrrev_i32_e32 v6, 31, v6
	s_wait_alu 0xf1ff
	v_xor_b32_e32 v10, s21, v10
	v_lshlrev_b32_e32 v4, 5, v4
	v_and_b32_e32 v5, v5, v8
	v_cmp_gt_i32_e64 s21, 0, v9
	v_ashrrev_i32_e32 v7, 31, v7
	s_wait_alu 0xfffd
	v_xor_b32_e32 v6, vcc_lo, v6
	v_add_nc_u32_e32 v19, v52, v4
	v_and_b32_e32 v5, v5, v10
	s_wait_alu 0xf1ff
	v_xor_b32_e32 v4, s21, v7
	ds_load_b32 v17, v19 offset:32
	v_and_b32_e32 v5, v5, v6
	; wave barrier
	s_delay_alu instid0(VALU_DEP_1) | instskip(NEXT) | instid1(VALU_DEP_1)
	v_and_b32_e32 v4, v5, v4
	v_mbcnt_lo_u32_b32 v18, v4, 0
	v_cmp_ne_u32_e64 s21, 0, v4
	s_delay_alu instid0(VALU_DEP_2)
	v_cmp_eq_u32_e32 vcc_lo, 0, v18
	s_and_b32 s27, s21, vcc_lo
	s_wait_alu 0xfffe
	s_and_saveexec_b32 s21, s27
	s_cbranch_execz .LBB211_76
; %bb.75:                               ;   in Loop: Header=BB211_70 Depth=1
	s_wait_dscnt 0x0
	v_bcnt_u32_b32 v4, v4, v17
	ds_store_b32 v19, v4 offset:32
.LBB211_76:                             ;   in Loop: Header=BB211_70 Depth=1
	s_wait_alu 0xfffe
	s_or_b32 exec_lo, exec_lo, s21
	v_cmp_ne_u32_e32 vcc_lo, 0x80000000, v59
	; wave barrier
	s_wait_alu 0xfffd
	v_cndmask_b32_e32 v4, 0x7fffffff, v59, vcc_lo
	s_delay_alu instid0(VALU_DEP_1) | instskip(NEXT) | instid1(VALU_DEP_1)
	v_lshrrev_b32_e32 v4, s24, v4
	v_and_b32_e32 v4, s26, v4
	s_delay_alu instid0(VALU_DEP_1)
	v_and_b32_e32 v5, 1, v4
	v_lshlrev_b32_e32 v6, 30, v4
	v_lshlrev_b32_e32 v7, 29, v4
	;; [unrolled: 1-line block ×4, first 2 shown]
	v_add_co_u32 v5, s21, v5, -1
	s_wait_alu 0xf1ff
	v_cndmask_b32_e64 v9, 0, 1, s21
	v_not_b32_e32 v37, v6
	v_cmp_gt_i32_e64 s21, 0, v6
	v_not_b32_e32 v6, v7
	v_lshlrev_b32_e32 v11, 26, v4
	v_cmp_ne_u32_e32 vcc_lo, 0, v9
	v_ashrrev_i32_e32 v37, 31, v37
	v_lshlrev_b32_e32 v36, 25, v4
	v_ashrrev_i32_e32 v6, 31, v6
	v_lshlrev_b32_e32 v9, 24, v4
	s_wait_alu 0xfffd
	v_xor_b32_e32 v5, vcc_lo, v5
	v_cmp_gt_i32_e32 vcc_lo, 0, v7
	v_not_b32_e32 v7, v8
	s_wait_alu 0xf1ff
	v_xor_b32_e32 v37, s21, v37
	v_cmp_gt_i32_e64 s21, 0, v8
	v_and_b32_e32 v5, exec_lo, v5
	v_not_b32_e32 v8, v10
	v_ashrrev_i32_e32 v7, 31, v7
	s_wait_alu 0xfffd
	v_xor_b32_e32 v6, vcc_lo, v6
	v_cmp_gt_i32_e32 vcc_lo, 0, v10
	v_and_b32_e32 v5, v5, v37
	v_not_b32_e32 v10, v11
	v_ashrrev_i32_e32 v8, 31, v8
	s_wait_alu 0xf1ff
	v_xor_b32_e32 v7, s21, v7
	v_cmp_gt_i32_e64 s21, 0, v11
	v_and_b32_e32 v5, v5, v6
	v_not_b32_e32 v6, v36
	v_ashrrev_i32_e32 v10, 31, v10
	s_wait_alu 0xfffd
	v_xor_b32_e32 v8, vcc_lo, v8
	v_cmp_gt_i32_e32 vcc_lo, 0, v36
	v_and_b32_e32 v5, v5, v7
	v_not_b32_e32 v7, v9
	v_ashrrev_i32_e32 v6, 31, v6
	s_wait_alu 0xf1ff
	v_xor_b32_e32 v10, s21, v10
	v_lshlrev_b32_e32 v4, 5, v4
	v_and_b32_e32 v5, v5, v8
	v_cmp_gt_i32_e64 s21, 0, v9
	v_ashrrev_i32_e32 v7, 31, v7
	s_wait_alu 0xfffd
	v_xor_b32_e32 v6, vcc_lo, v6
	v_add_nc_u32_e32 v38, v52, v4
	v_and_b32_e32 v5, v5, v10
	s_wait_alu 0xf1ff
	v_xor_b32_e32 v4, s21, v7
	ds_load_b32 v36, v38 offset:32
	v_and_b32_e32 v5, v5, v6
	; wave barrier
	s_delay_alu instid0(VALU_DEP_1) | instskip(NEXT) | instid1(VALU_DEP_1)
	v_and_b32_e32 v4, v5, v4
	v_mbcnt_lo_u32_b32 v37, v4, 0
	v_cmp_ne_u32_e64 s21, 0, v4
	s_delay_alu instid0(VALU_DEP_2)
	v_cmp_eq_u32_e32 vcc_lo, 0, v37
	s_and_b32 s27, s21, vcc_lo
	s_wait_alu 0xfffe
	s_and_saveexec_b32 s21, s27
	s_cbranch_execz .LBB211_78
; %bb.77:                               ;   in Loop: Header=BB211_70 Depth=1
	s_wait_dscnt 0x0
	v_bcnt_u32_b32 v4, v4, v36
	ds_store_b32 v38, v4 offset:32
.LBB211_78:                             ;   in Loop: Header=BB211_70 Depth=1
	s_wait_alu 0xfffe
	s_or_b32 exec_lo, exec_lo, s21
	v_cmp_ne_u32_e32 vcc_lo, 0x80000000, v58
	; wave barrier
	s_wait_alu 0xfffd
	v_cndmask_b32_e32 v4, 0x7fffffff, v58, vcc_lo
	s_delay_alu instid0(VALU_DEP_1) | instskip(NEXT) | instid1(VALU_DEP_1)
	v_lshrrev_b32_e32 v4, s24, v4
	v_and_b32_e32 v4, s26, v4
	s_delay_alu instid0(VALU_DEP_1)
	v_and_b32_e32 v5, 1, v4
	v_lshlrev_b32_e32 v6, 30, v4
	v_lshlrev_b32_e32 v7, 29, v4
	;; [unrolled: 1-line block ×4, first 2 shown]
	v_add_co_u32 v5, s21, v5, -1
	s_wait_alu 0xf1ff
	v_cndmask_b32_e64 v9, 0, 1, s21
	v_not_b32_e32 v41, v6
	v_cmp_gt_i32_e64 s21, 0, v6
	v_not_b32_e32 v6, v7
	v_lshlrev_b32_e32 v11, 26, v4
	v_cmp_ne_u32_e32 vcc_lo, 0, v9
	v_ashrrev_i32_e32 v41, 31, v41
	v_lshlrev_b32_e32 v39, 25, v4
	v_ashrrev_i32_e32 v6, 31, v6
	v_lshlrev_b32_e32 v9, 24, v4
	s_wait_alu 0xfffd
	v_xor_b32_e32 v5, vcc_lo, v5
	v_cmp_gt_i32_e32 vcc_lo, 0, v7
	v_not_b32_e32 v7, v8
	s_wait_alu 0xf1ff
	v_xor_b32_e32 v41, s21, v41
	v_cmp_gt_i32_e64 s21, 0, v8
	v_and_b32_e32 v5, exec_lo, v5
	v_not_b32_e32 v8, v10
	v_ashrrev_i32_e32 v7, 31, v7
	s_wait_alu 0xfffd
	v_xor_b32_e32 v6, vcc_lo, v6
	v_cmp_gt_i32_e32 vcc_lo, 0, v10
	v_and_b32_e32 v5, v5, v41
	v_not_b32_e32 v10, v11
	v_ashrrev_i32_e32 v8, 31, v8
	s_wait_alu 0xf1ff
	v_xor_b32_e32 v7, s21, v7
	v_cmp_gt_i32_e64 s21, 0, v11
	v_and_b32_e32 v5, v5, v6
	v_not_b32_e32 v6, v39
	v_ashrrev_i32_e32 v10, 31, v10
	s_wait_alu 0xfffd
	v_xor_b32_e32 v8, vcc_lo, v8
	v_cmp_gt_i32_e32 vcc_lo, 0, v39
	v_and_b32_e32 v5, v5, v7
	v_not_b32_e32 v7, v9
	v_ashrrev_i32_e32 v6, 31, v6
	s_wait_alu 0xf1ff
	v_xor_b32_e32 v10, s21, v10
	v_lshlrev_b32_e32 v4, 5, v4
	v_and_b32_e32 v5, v5, v8
	v_cmp_gt_i32_e64 s21, 0, v9
	v_ashrrev_i32_e32 v7, 31, v7
	s_wait_alu 0xfffd
	v_xor_b32_e32 v6, vcc_lo, v6
	v_add_nc_u32_e32 v42, v52, v4
	v_and_b32_e32 v5, v5, v10
	s_wait_alu 0xf1ff
	v_xor_b32_e32 v4, s21, v7
	ds_load_b32 v39, v42 offset:32
	v_and_b32_e32 v5, v5, v6
	; wave barrier
	s_delay_alu instid0(VALU_DEP_1) | instskip(NEXT) | instid1(VALU_DEP_1)
	v_and_b32_e32 v4, v5, v4
	v_mbcnt_lo_u32_b32 v41, v4, 0
	v_cmp_ne_u32_e64 s21, 0, v4
	s_delay_alu instid0(VALU_DEP_2)
	v_cmp_eq_u32_e32 vcc_lo, 0, v41
	s_and_b32 s27, s21, vcc_lo
	s_wait_alu 0xfffe
	s_and_saveexec_b32 s21, s27
	s_cbranch_execz .LBB211_80
; %bb.79:                               ;   in Loop: Header=BB211_70 Depth=1
	s_wait_dscnt 0x0
	v_bcnt_u32_b32 v4, v4, v39
	ds_store_b32 v42, v4 offset:32
.LBB211_80:                             ;   in Loop: Header=BB211_70 Depth=1
	s_wait_alu 0xfffe
	s_or_b32 exec_lo, exec_lo, s21
	v_cmp_ne_u32_e32 vcc_lo, 0x80000000, v57
	; wave barrier
	s_wait_alu 0xfffd
	v_cndmask_b32_e32 v4, 0x7fffffff, v57, vcc_lo
	s_delay_alu instid0(VALU_DEP_1) | instskip(NEXT) | instid1(VALU_DEP_1)
	v_lshrrev_b32_e32 v4, s24, v4
	v_and_b32_e32 v4, s26, v4
	s_delay_alu instid0(VALU_DEP_1)
	v_and_b32_e32 v5, 1, v4
	v_lshlrev_b32_e32 v6, 30, v4
	v_lshlrev_b32_e32 v7, 29, v4
	;; [unrolled: 1-line block ×4, first 2 shown]
	v_add_co_u32 v5, s21, v5, -1
	s_wait_alu 0xf1ff
	v_cndmask_b32_e64 v9, 0, 1, s21
	v_not_b32_e32 v47, v6
	v_cmp_gt_i32_e64 s21, 0, v6
	v_not_b32_e32 v6, v7
	v_lshlrev_b32_e32 v11, 26, v4
	v_cmp_ne_u32_e32 vcc_lo, 0, v9
	v_ashrrev_i32_e32 v47, 31, v47
	v_lshlrev_b32_e32 v46, 25, v4
	v_ashrrev_i32_e32 v6, 31, v6
	v_lshlrev_b32_e32 v9, 24, v4
	s_wait_alu 0xfffd
	v_xor_b32_e32 v5, vcc_lo, v5
	v_cmp_gt_i32_e32 vcc_lo, 0, v7
	v_not_b32_e32 v7, v8
	s_wait_alu 0xf1ff
	v_xor_b32_e32 v47, s21, v47
	v_cmp_gt_i32_e64 s21, 0, v8
	v_and_b32_e32 v5, exec_lo, v5
	v_not_b32_e32 v8, v10
	v_ashrrev_i32_e32 v7, 31, v7
	s_wait_alu 0xfffd
	v_xor_b32_e32 v6, vcc_lo, v6
	v_cmp_gt_i32_e32 vcc_lo, 0, v10
	v_and_b32_e32 v5, v5, v47
	v_not_b32_e32 v10, v11
	v_ashrrev_i32_e32 v8, 31, v8
	s_wait_alu 0xf1ff
	v_xor_b32_e32 v7, s21, v7
	v_cmp_gt_i32_e64 s21, 0, v11
	v_and_b32_e32 v5, v5, v6
	v_not_b32_e32 v6, v46
	v_ashrrev_i32_e32 v10, 31, v10
	s_wait_alu 0xfffd
	v_xor_b32_e32 v8, vcc_lo, v8
	v_cmp_gt_i32_e32 vcc_lo, 0, v46
	v_and_b32_e32 v5, v5, v7
	v_not_b32_e32 v7, v9
	v_ashrrev_i32_e32 v6, 31, v6
	s_wait_alu 0xf1ff
	v_xor_b32_e32 v10, s21, v10
	v_lshlrev_b32_e32 v4, 5, v4
	v_and_b32_e32 v5, v5, v8
	v_cmp_gt_i32_e64 s21, 0, v9
	v_ashrrev_i32_e32 v7, 31, v7
	s_wait_alu 0xfffd
	v_xor_b32_e32 v6, vcc_lo, v6
	v_add_nc_u32_e32 v47, v52, v4
	v_and_b32_e32 v5, v5, v10
	s_wait_alu 0xf1ff
	v_xor_b32_e32 v4, s21, v7
	ds_load_b32 v46, v47 offset:32
	v_and_b32_e32 v5, v5, v6
	; wave barrier
	s_delay_alu instid0(VALU_DEP_1) | instskip(NEXT) | instid1(VALU_DEP_1)
	v_and_b32_e32 v4, v5, v4
	v_mbcnt_lo_u32_b32 v62, v4, 0
	v_cmp_ne_u32_e64 s21, 0, v4
	s_delay_alu instid0(VALU_DEP_2)
	v_cmp_eq_u32_e32 vcc_lo, 0, v62
	s_and_b32 s27, s21, vcc_lo
	s_wait_alu 0xfffe
	s_and_saveexec_b32 s21, s27
	s_cbranch_execz .LBB211_82
; %bb.81:                               ;   in Loop: Header=BB211_70 Depth=1
	s_wait_dscnt 0x0
	v_bcnt_u32_b32 v4, v4, v46
	ds_store_b32 v47, v4 offset:32
.LBB211_82:                             ;   in Loop: Header=BB211_70 Depth=1
	s_wait_alu 0xfffe
	s_or_b32 exec_lo, exec_lo, s21
	v_cmp_ne_u32_e32 vcc_lo, 0x80000000, v56
	; wave barrier
	s_wait_alu 0xfffd
	v_cndmask_b32_e32 v4, 0x7fffffff, v56, vcc_lo
	s_delay_alu instid0(VALU_DEP_1) | instskip(NEXT) | instid1(VALU_DEP_1)
	v_lshrrev_b32_e32 v4, s24, v4
	v_and_b32_e32 v4, s26, v4
	s_delay_alu instid0(VALU_DEP_1)
	v_and_b32_e32 v5, 1, v4
	v_lshlrev_b32_e32 v6, 30, v4
	v_lshlrev_b32_e32 v7, 29, v4
	;; [unrolled: 1-line block ×4, first 2 shown]
	v_add_co_u32 v5, s21, v5, -1
	s_wait_alu 0xf1ff
	v_cndmask_b32_e64 v9, 0, 1, s21
	v_not_b32_e32 v64, v6
	v_cmp_gt_i32_e64 s21, 0, v6
	v_not_b32_e32 v6, v7
	v_lshlrev_b32_e32 v11, 26, v4
	v_cmp_ne_u32_e32 vcc_lo, 0, v9
	v_ashrrev_i32_e32 v64, 31, v64
	v_lshlrev_b32_e32 v63, 25, v4
	v_ashrrev_i32_e32 v6, 31, v6
	v_lshlrev_b32_e32 v9, 24, v4
	s_wait_alu 0xfffd
	v_xor_b32_e32 v5, vcc_lo, v5
	v_cmp_gt_i32_e32 vcc_lo, 0, v7
	v_not_b32_e32 v7, v8
	s_wait_alu 0xf1ff
	v_xor_b32_e32 v64, s21, v64
	v_cmp_gt_i32_e64 s21, 0, v8
	v_and_b32_e32 v5, exec_lo, v5
	v_not_b32_e32 v8, v10
	v_ashrrev_i32_e32 v7, 31, v7
	s_wait_alu 0xfffd
	v_xor_b32_e32 v6, vcc_lo, v6
	v_cmp_gt_i32_e32 vcc_lo, 0, v10
	v_and_b32_e32 v5, v5, v64
	v_not_b32_e32 v10, v11
	v_ashrrev_i32_e32 v8, 31, v8
	s_wait_alu 0xf1ff
	v_xor_b32_e32 v7, s21, v7
	v_cmp_gt_i32_e64 s21, 0, v11
	v_and_b32_e32 v5, v5, v6
	v_not_b32_e32 v6, v63
	v_ashrrev_i32_e32 v10, 31, v10
	s_wait_alu 0xfffd
	v_xor_b32_e32 v8, vcc_lo, v8
	v_cmp_gt_i32_e32 vcc_lo, 0, v63
	v_and_b32_e32 v5, v5, v7
	v_not_b32_e32 v7, v9
	v_ashrrev_i32_e32 v6, 31, v6
	s_wait_alu 0xf1ff
	v_xor_b32_e32 v10, s21, v10
	v_lshlrev_b32_e32 v4, 5, v4
	v_and_b32_e32 v5, v5, v8
	v_cmp_gt_i32_e64 s21, 0, v9
	v_ashrrev_i32_e32 v7, 31, v7
	s_wait_alu 0xfffd
	v_xor_b32_e32 v6, vcc_lo, v6
	v_add_nc_u32_e32 v64, v52, v4
	v_and_b32_e32 v5, v5, v10
	s_wait_alu 0xf1ff
	v_xor_b32_e32 v4, s21, v7
	ds_load_b32 v63, v64 offset:32
	v_and_b32_e32 v5, v5, v6
	; wave barrier
	s_delay_alu instid0(VALU_DEP_1) | instskip(NEXT) | instid1(VALU_DEP_1)
	v_and_b32_e32 v4, v5, v4
	v_mbcnt_lo_u32_b32 v65, v4, 0
	v_cmp_ne_u32_e64 s21, 0, v4
	s_delay_alu instid0(VALU_DEP_2)
	v_cmp_eq_u32_e32 vcc_lo, 0, v65
	s_and_b32 s27, s21, vcc_lo
	s_wait_alu 0xfffe
	s_and_saveexec_b32 s21, s27
	s_cbranch_execz .LBB211_84
; %bb.83:                               ;   in Loop: Header=BB211_70 Depth=1
	s_wait_dscnt 0x0
	v_bcnt_u32_b32 v4, v4, v63
	ds_store_b32 v64, v4 offset:32
.LBB211_84:                             ;   in Loop: Header=BB211_70 Depth=1
	s_wait_alu 0xfffe
	s_or_b32 exec_lo, exec_lo, s21
	v_cmp_ne_u32_e32 vcc_lo, 0x80000000, v55
	; wave barrier
	s_wait_alu 0xfffd
	v_cndmask_b32_e32 v4, 0x7fffffff, v55, vcc_lo
	s_delay_alu instid0(VALU_DEP_1) | instskip(NEXT) | instid1(VALU_DEP_1)
	v_lshrrev_b32_e32 v4, s24, v4
	v_and_b32_e32 v4, s26, v4
	s_delay_alu instid0(VALU_DEP_1)
	v_and_b32_e32 v5, 1, v4
	v_lshlrev_b32_e32 v6, 30, v4
	v_lshlrev_b32_e32 v7, 29, v4
	;; [unrolled: 1-line block ×4, first 2 shown]
	v_add_co_u32 v5, s21, v5, -1
	s_wait_alu 0xf1ff
	v_cndmask_b32_e64 v9, 0, 1, s21
	v_not_b32_e32 v67, v6
	v_cmp_gt_i32_e64 s21, 0, v6
	v_not_b32_e32 v6, v7
	v_lshlrev_b32_e32 v11, 26, v4
	v_cmp_ne_u32_e32 vcc_lo, 0, v9
	v_ashrrev_i32_e32 v67, 31, v67
	v_lshlrev_b32_e32 v66, 25, v4
	v_ashrrev_i32_e32 v6, 31, v6
	v_lshlrev_b32_e32 v9, 24, v4
	s_wait_alu 0xfffd
	v_xor_b32_e32 v5, vcc_lo, v5
	v_cmp_gt_i32_e32 vcc_lo, 0, v7
	v_not_b32_e32 v7, v8
	s_wait_alu 0xf1ff
	v_xor_b32_e32 v67, s21, v67
	v_cmp_gt_i32_e64 s21, 0, v8
	v_and_b32_e32 v5, exec_lo, v5
	v_not_b32_e32 v8, v10
	v_ashrrev_i32_e32 v7, 31, v7
	s_wait_alu 0xfffd
	v_xor_b32_e32 v6, vcc_lo, v6
	v_cmp_gt_i32_e32 vcc_lo, 0, v10
	v_and_b32_e32 v5, v5, v67
	v_not_b32_e32 v10, v11
	v_ashrrev_i32_e32 v8, 31, v8
	s_wait_alu 0xf1ff
	v_xor_b32_e32 v7, s21, v7
	v_cmp_gt_i32_e64 s21, 0, v11
	v_and_b32_e32 v5, v5, v6
	v_not_b32_e32 v6, v66
	v_ashrrev_i32_e32 v10, 31, v10
	s_wait_alu 0xfffd
	v_xor_b32_e32 v8, vcc_lo, v8
	v_cmp_gt_i32_e32 vcc_lo, 0, v66
	v_and_b32_e32 v5, v5, v7
	v_not_b32_e32 v7, v9
	v_ashrrev_i32_e32 v6, 31, v6
	s_wait_alu 0xf1ff
	v_xor_b32_e32 v10, s21, v10
	v_lshlrev_b32_e32 v4, 5, v4
	v_and_b32_e32 v5, v5, v8
	v_cmp_gt_i32_e64 s21, 0, v9
	v_ashrrev_i32_e32 v7, 31, v7
	s_wait_alu 0xfffd
	v_xor_b32_e32 v6, vcc_lo, v6
	v_add_nc_u32_e32 v66, v52, v4
	v_and_b32_e32 v5, v5, v10
	s_wait_alu 0xf1ff
	v_xor_b32_e32 v4, s21, v7
	ds_load_b32 v71, v66 offset:32
	v_and_b32_e32 v5, v5, v6
	; wave barrier
	s_delay_alu instid0(VALU_DEP_1) | instskip(NEXT) | instid1(VALU_DEP_1)
	v_and_b32_e32 v4, v5, v4
	v_mbcnt_lo_u32_b32 v91, v4, 0
	v_cmp_ne_u32_e64 s21, 0, v4
	s_delay_alu instid0(VALU_DEP_2)
	v_cmp_eq_u32_e32 vcc_lo, 0, v91
	s_and_b32 s26, s21, vcc_lo
	s_wait_alu 0xfffe
	s_and_saveexec_b32 s21, s26
	s_cbranch_execz .LBB211_86
; %bb.85:                               ;   in Loop: Header=BB211_70 Depth=1
	s_wait_dscnt 0x0
	v_bcnt_u32_b32 v4, v4, v71
	ds_store_b32 v66, v4 offset:32
.LBB211_86:                             ;   in Loop: Header=BB211_70 Depth=1
	s_wait_alu 0xfffe
	s_or_b32 exec_lo, exec_lo, s21
	; wave barrier
	s_wait_loadcnt_dscnt 0x0
	s_barrier_signal -1
	s_barrier_wait -1
	global_inv scope:SCOPE_SE
	ds_load_b128 v[8:11], v89 offset:32
	ds_load_b128 v[4:7], v89 offset:48
	s_wait_dscnt 0x1
	v_add_nc_u32_e32 v67, v9, v8
	s_delay_alu instid0(VALU_DEP_1) | instskip(SKIP_1) | instid1(VALU_DEP_1)
	v_add3_u32 v67, v67, v10, v11
	s_wait_dscnt 0x0
	v_add3_u32 v67, v67, v4, v5
	s_delay_alu instid0(VALU_DEP_1) | instskip(NEXT) | instid1(VALU_DEP_1)
	v_add3_u32 v7, v67, v6, v7
	v_mov_b32_dpp v67, v7 row_shr:1 row_mask:0xf bank_mask:0xf
	s_delay_alu instid0(VALU_DEP_1) | instskip(NEXT) | instid1(VALU_DEP_1)
	v_cndmask_b32_e64 v67, v67, 0, s1
	v_add_nc_u32_e32 v7, v67, v7
	s_delay_alu instid0(VALU_DEP_1) | instskip(NEXT) | instid1(VALU_DEP_1)
	v_mov_b32_dpp v67, v7 row_shr:2 row_mask:0xf bank_mask:0xf
	v_cndmask_b32_e64 v67, 0, v67, s9
	s_delay_alu instid0(VALU_DEP_1) | instskip(NEXT) | instid1(VALU_DEP_1)
	v_add_nc_u32_e32 v7, v7, v67
	v_mov_b32_dpp v67, v7 row_shr:4 row_mask:0xf bank_mask:0xf
	s_delay_alu instid0(VALU_DEP_1) | instskip(NEXT) | instid1(VALU_DEP_1)
	v_cndmask_b32_e64 v67, 0, v67, s11
	v_add_nc_u32_e32 v7, v7, v67
	s_delay_alu instid0(VALU_DEP_1) | instskip(NEXT) | instid1(VALU_DEP_1)
	v_mov_b32_dpp v67, v7 row_shr:8 row_mask:0xf bank_mask:0xf
	v_cndmask_b32_e64 v67, 0, v67, s12
	s_delay_alu instid0(VALU_DEP_1) | instskip(SKIP_3) | instid1(VALU_DEP_1)
	v_add_nc_u32_e32 v7, v7, v67
	ds_swizzle_b32 v67, v7 offset:swizzle(BROADCAST,32,15)
	s_wait_dscnt 0x0
	v_cndmask_b32_e64 v67, v67, 0, s13
	v_add_nc_u32_e32 v7, v7, v67
	s_and_saveexec_b32 s21, s14
; %bb.87:                               ;   in Loop: Header=BB211_70 Depth=1
	ds_store_b32 v90, v7
; %bb.88:                               ;   in Loop: Header=BB211_70 Depth=1
	s_wait_alu 0xfffe
	s_or_b32 exec_lo, exec_lo, s21
	s_wait_loadcnt_dscnt 0x0
	s_barrier_signal -1
	s_barrier_wait -1
	global_inv scope:SCOPE_SE
	s_and_saveexec_b32 s21, s15
	s_cbranch_execz .LBB211_90
; %bb.89:                               ;   in Loop: Header=BB211_70 Depth=1
	ds_load_b32 v67, v53
	s_wait_dscnt 0x0
	v_mov_b32_dpp v68, v67 row_shr:1 row_mask:0xf bank_mask:0xf
	s_delay_alu instid0(VALU_DEP_1) | instskip(NEXT) | instid1(VALU_DEP_1)
	v_cndmask_b32_e64 v68, v68, 0, s18
	v_add_nc_u32_e32 v67, v68, v67
	s_delay_alu instid0(VALU_DEP_1) | instskip(NEXT) | instid1(VALU_DEP_1)
	v_mov_b32_dpp v68, v67 row_shr:2 row_mask:0xf bank_mask:0xf
	v_cndmask_b32_e64 v68, 0, v68, s19
	s_delay_alu instid0(VALU_DEP_1) | instskip(NEXT) | instid1(VALU_DEP_1)
	v_add_nc_u32_e32 v67, v67, v68
	v_mov_b32_dpp v68, v67 row_shr:4 row_mask:0xf bank_mask:0xf
	s_delay_alu instid0(VALU_DEP_1) | instskip(NEXT) | instid1(VALU_DEP_1)
	v_cndmask_b32_e64 v68, 0, v68, s20
	v_add_nc_u32_e32 v67, v67, v68
	ds_store_b32 v53, v67
.LBB211_90:                             ;   in Loop: Header=BB211_70 Depth=1
	s_wait_alu 0xfffe
	s_or_b32 exec_lo, exec_lo, s21
	v_mov_b32_e32 v67, 0
	s_wait_loadcnt_dscnt 0x0
	s_barrier_signal -1
	s_barrier_wait -1
	global_inv scope:SCOPE_SE
	s_and_saveexec_b32 s21, s16
; %bb.91:                               ;   in Loop: Header=BB211_70 Depth=1
	ds_load_b32 v67, v51
; %bb.92:                               ;   in Loop: Header=BB211_70 Depth=1
	s_wait_alu 0xfffe
	s_or_b32 exec_lo, exec_lo, s21
	s_wait_dscnt 0x0
	v_add_nc_u32_e32 v7, v67, v7
	s_cmp_gt_u32 s24, 23
	s_mov_b32 s21, -1
	ds_bpermute_b32 v7, v50, v7
	s_wait_dscnt 0x0
	v_cndmask_b32_e64 v7, v7, v67, s10
	s_delay_alu instid0(VALU_DEP_1) | instskip(NEXT) | instid1(VALU_DEP_1)
	v_cndmask_b32_e64 v7, v7, 0, s17
	v_add_nc_u32_e32 v8, v7, v8
	s_delay_alu instid0(VALU_DEP_1) | instskip(NEXT) | instid1(VALU_DEP_1)
	v_add_nc_u32_e32 v9, v8, v9
	v_add_nc_u32_e32 v10, v9, v10
	s_delay_alu instid0(VALU_DEP_1) | instskip(NEXT) | instid1(VALU_DEP_1)
	v_add_nc_u32_e32 v67, v10, v11
	;; [unrolled: 3-line block ×3, first 2 shown]
	v_add_nc_u32_e32 v70, v69, v6
	ds_store_b128 v89, v[7:10] offset:32
	ds_store_b128 v89, v[67:70] offset:48
	s_wait_loadcnt_dscnt 0x0
	s_barrier_signal -1
	s_barrier_wait -1
	global_inv scope:SCOPE_SE
	ds_load_b32 v4, v13 offset:32
	ds_load_b32 v5, v16 offset:32
	;; [unrolled: 1-line block ×8, first 2 shown]
	s_wait_dscnt 0x7
	v_add_nc_u32_e32 v70, v4, v12
	s_wait_dscnt 0x6
	v_add3_u32 v69, v15, v14, v5
	s_wait_dscnt 0x5
	v_add3_u32 v68, v18, v17, v6
	;; [unrolled: 2-line block ×7, first 2 shown]
                                        ; implicit-def: $vgpr47
                                        ; implicit-def: $vgpr42
                                        ; implicit-def: $vgpr39
                                        ; implicit-def: $vgpr37
                                        ; implicit-def: $vgpr18_vgpr19
                                        ; implicit-def: $vgpr14_vgpr15
                                        ; implicit-def: $vgpr10_vgpr11
                                        ; implicit-def: $vgpr6_vgpr7
	s_cbranch_scc1 .LBB211_69
; %bb.93:                               ;   in Loop: Header=BB211_70 Depth=1
	v_lshlrev_b32_e32 v4, 2, v70
	v_lshlrev_b32_e32 v5, 2, v69
	;; [unrolled: 1-line block ×3, first 2 shown]
	s_wait_loadcnt 0x0
	s_barrier_signal -1
	s_barrier_wait -1
	global_inv scope:SCOPE_SE
	ds_store_b32 v4, v54
	ds_store_b32 v5, v61
	;; [unrolled: 1-line block ×3, first 2 shown]
	v_lshlrev_b32_e32 v7, 2, v67
	v_add_nc_u32_e32 v4, v4, v4
	v_lshlrev_b32_e32 v8, 2, v66
	v_add_nc_u32_e32 v5, v5, v5
	;; [unrolled: 2-line block ×3, first 2 shown]
	v_lshlrev_b32_e32 v10, 2, v63
	v_lshlrev_b32_e32 v11, 2, v62
	ds_store_b32 v7, v59
	ds_store_b32 v8, v58
	;; [unrolled: 1-line block ×5, first 2 shown]
	s_wait_loadcnt_dscnt 0x0
	s_barrier_signal -1
	s_barrier_wait -1
	global_inv scope:SCOPE_SE
	ds_load_2addr_b32 v[36:37], v48 offset1:32
	ds_load_2addr_b32 v[38:39], v48 offset0:64 offset1:96
	ds_load_2addr_b32 v[41:42], v48 offset0:128 offset1:160
	;; [unrolled: 1-line block ×3, first 2 shown]
	s_wait_loadcnt_dscnt 0x0
	s_barrier_signal -1
	s_barrier_wait -1
	global_inv scope:SCOPE_SE
	ds_store_b64 v4, v[34:35]
	ds_store_b64 v5, v[32:33]
	;; [unrolled: 1-line block ×3, first 2 shown]
	v_add_nc_u32_e32 v4, v7, v7
	v_add_nc_u32_e32 v5, v8, v8
	;; [unrolled: 1-line block ×5, first 2 shown]
	ds_store_b64 v4, v[28:29]
	ds_store_b64 v5, v[26:27]
	;; [unrolled: 1-line block ×5, first 2 shown]
	s_wait_loadcnt_dscnt 0x0
	s_barrier_signal -1
	s_barrier_wait -1
	global_inv scope:SCOPE_SE
	ds_load_2addr_b64 v[4:7], v49 offset1:32
	ds_load_2addr_b64 v[8:11], v49 offset0:64 offset1:96
	ds_load_2addr_b64 v[12:15], v49 offset0:128 offset1:160
	;; [unrolled: 1-line block ×3, first 2 shown]
	s_add_co_i32 s24, s24, 8
	s_add_co_i32 s25, s25, -8
	s_mov_b32 s21, 0
	s_wait_loadcnt_dscnt 0x0
	s_barrier_signal -1
	s_barrier_wait -1
	global_inv scope:SCOPE_SE
	s_branch .LBB211_69
.LBB211_94:
	v_lshlrev_b32_e32 v8, 2, v70
	v_lshlrev_b32_e32 v11, 2, v67
	;; [unrolled: 1-line block ×8, first 2 shown]
	s_wait_loadcnt 0x0
	s_barrier_signal -1
	s_barrier_wait -1
	global_inv scope:SCOPE_SE
	ds_store_b32 v8, v54
	ds_store_b32 v9, v61
	;; [unrolled: 1-line block ×8, first 2 shown]
	s_wait_loadcnt_dscnt 0x0
	s_barrier_signal -1
	s_barrier_wait -1
	global_inv scope:SCOPE_SE
	ds_load_b128 v[0:3], v89
	ds_load_b128 v[4:7], v89 offset:16
	v_add_nc_u32_e32 v8, v8, v8
	v_add_nc_u32_e32 v9, v9, v9
	v_add_nc_u32_e32 v10, v10, v10
	s_wait_loadcnt_dscnt 0x0
	s_barrier_signal -1
	s_barrier_wait -1
	global_inv scope:SCOPE_SE
	ds_store_b64 v8, v[34:35]
	ds_store_b64 v9, v[32:33]
	;; [unrolled: 1-line block ×3, first 2 shown]
	v_add_nc_u32_e32 v8, v11, v11
	v_add_nc_u32_e32 v9, v12, v12
	;; [unrolled: 1-line block ×5, first 2 shown]
	ds_store_b64 v8, v[28:29]
	ds_store_b64 v9, v[26:27]
	;; [unrolled: 1-line block ×5, first 2 shown]
	v_lshl_add_u32 v8, v45, 5, v89
	s_wait_loadcnt_dscnt 0x0
	s_barrier_signal -1
	s_barrier_wait -1
	v_cmp_gt_i32_e32 vcc_lo, 0, v0
	global_inv scope:SCOPE_SE
	ds_load_b128 v[28:31], v8
	ds_load_b128 v[24:27], v8 offset:16
	ds_load_b128 v[36:39], v8 offset:32
	;; [unrolled: 1-line block ×3, first 2 shown]
	s_wait_alu 0xfffd
	v_cndmask_b32_e64 v9, 0x7fffffff, 0, vcc_lo
	v_cmp_gt_i32_e32 vcc_lo, 0, v1
	s_delay_alu instid0(VALU_DEP_2) | instskip(SKIP_3) | instid1(VALU_DEP_2)
	v_xor_b32_e32 v0, v9, v0
	s_wait_alu 0xfffd
	v_cndmask_b32_e64 v10, 0x7fffffff, 0, vcc_lo
	v_cmp_gt_i32_e32 vcc_lo, 0, v2
	v_xor_b32_e32 v1, v10, v1
	s_wait_alu 0xfffd
	v_cndmask_b32_e64 v11, 0x7fffffff, 0, vcc_lo
	v_cmp_gt_i32_e32 vcc_lo, 0, v3
	s_delay_alu instid0(VALU_DEP_2) | instskip(SKIP_3) | instid1(VALU_DEP_2)
	v_xor_b32_e32 v2, v11, v2
	s_wait_alu 0xfffd
	v_cndmask_b32_e64 v8, 0x7fffffff, 0, vcc_lo
	v_cmp_gt_i32_e32 vcc_lo, 0, v4
	v_xor_b32_e32 v3, v8, v3
	;; [unrolled: 9-line block ×3, first 2 shown]
	s_wait_alu 0xfffd
	v_cndmask_b32_e64 v11, 0x7fffffff, 0, vcc_lo
	v_cmp_gt_i32_e32 vcc_lo, 0, v7
	s_delay_alu instid0(VALU_DEP_2) | instskip(SKIP_2) | instid1(VALU_DEP_1)
	v_xor_b32_e32 v6, v11, v6
	s_wait_alu 0xfffd
	v_cndmask_b32_e64 v12, 0x7fffffff, 0, vcc_lo
	v_xor_b32_e32 v7, v12, v7
.LBB211_95:
	s_wait_loadcnt_dscnt 0x0
	s_barrier_signal -1
	s_barrier_wait -1
	global_inv scope:SCOPE_SE
	ds_store_2addr_b32 v79, v0, v1 offset1:1
	ds_store_2addr_b32 v79, v2, v3 offset0:2 offset1:3
	ds_store_2addr_b32 v79, v4, v5 offset0:4 offset1:5
	;; [unrolled: 1-line block ×3, first 2 shown]
	s_wait_loadcnt_dscnt 0x0
	s_barrier_signal -1
	s_barrier_wait -1
	global_inv scope:SCOPE_SE
	ds_load_b32 v8, v44 offset:1024
	ds_load_b32 v7, v73 offset:2048
	;; [unrolled: 1-line block ×7, first 2 shown]
	v_mov_b32_e32 v44, 0
	s_delay_alu instid0(VALU_DEP_1) | instskip(NEXT) | instid1(VALU_DEP_1)
	v_lshlrev_b64_e32 v[0:1], 2, v[43:44]
	v_add_co_u32 v0, vcc_lo, s30, v0
	s_wait_alu 0xfffd
	s_delay_alu instid0(VALU_DEP_2)
	v_add_co_ci_u32_e64 v1, null, s31, v1, vcc_lo
	s_and_saveexec_b32 s1, s2
	s_cbranch_execnz .LBB211_114
; %bb.96:
	s_wait_alu 0xfffe
	s_or_b32 exec_lo, exec_lo, s1
	s_and_saveexec_b32 s1, s3
	s_cbranch_execnz .LBB211_115
.LBB211_97:
	s_wait_alu 0xfffe
	s_or_b32 exec_lo, exec_lo, s1
	s_and_saveexec_b32 s1, s4
	s_cbranch_execnz .LBB211_116
.LBB211_98:
	s_wait_alu 0xfffe
	s_or_b32 exec_lo, exec_lo, s1
	s_and_saveexec_b32 s1, s5
	s_cbranch_execnz .LBB211_117
.LBB211_99:
	s_wait_alu 0xfffe
	s_or_b32 exec_lo, exec_lo, s1
	s_and_saveexec_b32 s1, s6
	s_cbranch_execnz .LBB211_118
.LBB211_100:
	s_wait_alu 0xfffe
	s_or_b32 exec_lo, exec_lo, s1
	s_and_saveexec_b32 s1, s7
	s_cbranch_execnz .LBB211_119
.LBB211_101:
	s_wait_alu 0xfffe
	s_or_b32 exec_lo, exec_lo, s1
	s_and_saveexec_b32 s1, s8
	s_cbranch_execnz .LBB211_120
.LBB211_102:
	s_wait_alu 0xfffe
	s_or_b32 exec_lo, exec_lo, s1
	s_and_saveexec_b32 s1, s0
	s_cbranch_execz .LBB211_104
.LBB211_103:
	s_mul_i32 s10, s22, 0x700
	s_mov_b32 s11, 0
	s_wait_alu 0xfffe
	s_lshl_b64 s[10:11], s[10:11], 2
	s_wait_alu 0xfffe
	v_add_co_u32 v0, vcc_lo, v0, s10
	s_wait_alu 0xfffd
	v_add_co_ci_u32_e64 v1, null, s11, v1, vcc_lo
	s_wait_dscnt 0x0
	global_store_b32 v[0:1], v2, off
.LBB211_104:
	s_wait_alu 0xfffe
	s_or_b32 exec_lo, exec_lo, s1
	s_wait_storecnt 0x0
	s_wait_loadcnt_dscnt 0x0
	s_barrier_signal -1
	s_barrier_wait -1
	global_inv scope:SCOPE_SE
	ds_store_2addr_b64 v88, v[28:29], v[30:31] offset1:1
	ds_store_2addr_b64 v88, v[24:25], v[26:27] offset0:2 offset1:3
	ds_store_2addr_b64 v88, v[36:37], v[38:39] offset0:4 offset1:5
	;; [unrolled: 1-line block ×3, first 2 shown]
	s_wait_loadcnt_dscnt 0x0
	s_barrier_signal -1
	s_barrier_wait -1
	global_inv scope:SCOPE_SE
	ds_load_b64 v[14:15], v81 offset:2048
	ds_load_b64 v[12:13], v82 offset:4096
	ds_load_b64 v[10:11], v83 offset:6144
	ds_load_b64 v[8:9], v84 offset:8192
	ds_load_b64 v[6:7], v85 offset:10240
	ds_load_b64 v[4:5], v86 offset:12288
	ds_load_b64 v[0:1], v87 offset:14336
	v_mov_b32_e32 v41, 0
	s_delay_alu instid0(VALU_DEP_1) | instskip(NEXT) | instid1(VALU_DEP_1)
	v_lshlrev_b64_e32 v[2:3], 3, v[40:41]
	v_add_co_u32 v2, vcc_lo, s34, v2
	s_wait_alu 0xfffd
	s_delay_alu instid0(VALU_DEP_2)
	v_add_co_ci_u32_e64 v3, null, s35, v3, vcc_lo
	s_and_saveexec_b32 s1, s2
	s_cbranch_execnz .LBB211_121
; %bb.105:
	s_wait_alu 0xfffe
	s_or_b32 exec_lo, exec_lo, s1
	s_and_saveexec_b32 s1, s3
	s_cbranch_execnz .LBB211_122
.LBB211_106:
	s_wait_alu 0xfffe
	s_or_b32 exec_lo, exec_lo, s1
	s_and_saveexec_b32 s1, s4
	s_cbranch_execnz .LBB211_123
.LBB211_107:
	s_wait_alu 0xfffe
	s_or_b32 exec_lo, exec_lo, s1
	s_and_saveexec_b32 s1, s5
	s_cbranch_execnz .LBB211_124
.LBB211_108:
	s_wait_alu 0xfffe
	s_or_b32 exec_lo, exec_lo, s1
	s_and_saveexec_b32 s1, s6
	s_cbranch_execnz .LBB211_125
.LBB211_109:
	s_wait_alu 0xfffe
	s_or_b32 exec_lo, exec_lo, s1
	s_and_saveexec_b32 s1, s7
	s_cbranch_execnz .LBB211_126
.LBB211_110:
	s_wait_alu 0xfffe
	s_or_b32 exec_lo, exec_lo, s1
	s_and_saveexec_b32 s1, s8
	s_cbranch_execnz .LBB211_127
.LBB211_111:
	s_wait_alu 0xfffe
	s_or_b32 exec_lo, exec_lo, s1
	s_and_saveexec_b32 s1, s0
	s_cbranch_execz .LBB211_113
.LBB211_112:
	s_mul_i32 s0, s28, 0x700
	s_mov_b32 s1, 0
	s_wait_alu 0xfffe
	s_lshl_b64 s[0:1], s[0:1], 3
	s_wait_alu 0xfffe
	v_add_co_u32 v2, vcc_lo, v2, s0
	s_wait_alu 0xfffd
	v_add_co_ci_u32_e64 v3, null, s1, v3, vcc_lo
	s_wait_dscnt 0x0
	global_store_b64 v[2:3], v[0:1], off
.LBB211_113:
	s_nop 0
	s_sendmsg sendmsg(MSG_DEALLOC_VGPRS)
	s_endpgm
.LBB211_114:
	ds_load_b32 v9, v72
	s_wait_dscnt 0x0
	global_store_b32 v[0:1], v9, off
	s_wait_alu 0xfffe
	s_or_b32 exec_lo, exec_lo, s1
	s_and_saveexec_b32 s1, s3
	s_cbranch_execz .LBB211_97
.LBB211_115:
	s_lshl_b32 s10, s22, 8
	s_mov_b32 s11, 0
	s_wait_alu 0xfffe
	s_lshl_b64 s[10:11], s[10:11], 2
	s_wait_alu 0xfffe
	v_add_co_u32 v9, vcc_lo, v0, s10
	s_wait_alu 0xfffd
	v_add_co_ci_u32_e64 v10, null, s11, v1, vcc_lo
	s_wait_dscnt 0x6
	global_store_b32 v[9:10], v8, off
	s_or_b32 exec_lo, exec_lo, s1
	s_and_saveexec_b32 s1, s4
	s_cbranch_execz .LBB211_98
.LBB211_116:
	s_lshl_b32 s10, s22, 9
	s_mov_b32 s11, 0
	s_wait_alu 0xfffe
	s_lshl_b64 s[10:11], s[10:11], 2
	s_wait_dscnt 0x6
	s_wait_alu 0xfffe
	v_add_co_u32 v8, vcc_lo, v0, s10
	s_wait_alu 0xfffd
	v_add_co_ci_u32_e64 v9, null, s11, v1, vcc_lo
	s_wait_dscnt 0x5
	global_store_b32 v[8:9], v7, off
	s_or_b32 exec_lo, exec_lo, s1
	s_and_saveexec_b32 s1, s5
	s_cbranch_execz .LBB211_99
.LBB211_117:
	s_mul_i32 s10, s22, 0x300
	s_mov_b32 s11, 0
	s_wait_alu 0xfffe
	s_lshl_b64 s[10:11], s[10:11], 2
	s_wait_dscnt 0x5
	s_wait_alu 0xfffe
	v_add_co_u32 v7, vcc_lo, v0, s10
	s_wait_alu 0xfffd
	v_add_co_ci_u32_e64 v8, null, s11, v1, vcc_lo
	s_wait_dscnt 0x4
	global_store_b32 v[7:8], v6, off
	s_or_b32 exec_lo, exec_lo, s1
	s_and_saveexec_b32 s1, s6
	s_cbranch_execz .LBB211_100
.LBB211_118:
	s_lshl_b32 s10, s22, 10
	s_mov_b32 s11, 0
	s_wait_alu 0xfffe
	s_lshl_b64 s[10:11], s[10:11], 2
	s_wait_dscnt 0x4
	s_wait_alu 0xfffe
	v_add_co_u32 v6, vcc_lo, v0, s10
	s_wait_alu 0xfffd
	v_add_co_ci_u32_e64 v7, null, s11, v1, vcc_lo
	s_wait_dscnt 0x3
	global_store_b32 v[6:7], v5, off
	s_or_b32 exec_lo, exec_lo, s1
	s_and_saveexec_b32 s1, s7
	s_cbranch_execz .LBB211_101
.LBB211_119:
	s_mul_i32 s10, s22, 0x500
	s_mov_b32 s11, 0
	s_wait_alu 0xfffe
	s_lshl_b64 s[10:11], s[10:11], 2
	s_wait_dscnt 0x3
	s_wait_alu 0xfffe
	v_add_co_u32 v5, vcc_lo, v0, s10
	s_wait_alu 0xfffd
	v_add_co_ci_u32_e64 v6, null, s11, v1, vcc_lo
	s_wait_dscnt 0x2
	global_store_b32 v[5:6], v4, off
	s_or_b32 exec_lo, exec_lo, s1
	s_and_saveexec_b32 s1, s8
	s_cbranch_execz .LBB211_102
.LBB211_120:
	s_mul_i32 s10, s22, 0x600
	s_mov_b32 s11, 0
	s_wait_alu 0xfffe
	s_lshl_b64 s[10:11], s[10:11], 2
	s_wait_dscnt 0x2
	s_wait_alu 0xfffe
	v_add_co_u32 v4, vcc_lo, v0, s10
	s_wait_alu 0xfffd
	v_add_co_ci_u32_e64 v5, null, s11, v1, vcc_lo
	s_wait_dscnt 0x1
	global_store_b32 v[4:5], v3, off
	s_or_b32 exec_lo, exec_lo, s1
	s_and_saveexec_b32 s1, s0
	s_cbranch_execnz .LBB211_103
	s_branch .LBB211_104
.LBB211_121:
	ds_load_b64 v[16:17], v80
	s_wait_dscnt 0x0
	global_store_b64 v[2:3], v[16:17], off
	s_wait_alu 0xfffe
	s_or_b32 exec_lo, exec_lo, s1
	s_and_saveexec_b32 s1, s3
	s_cbranch_execz .LBB211_106
.LBB211_122:
	s_lshl_b32 s2, s28, 8
	s_mov_b32 s3, 0
	s_delay_alu instid0(SALU_CYCLE_1) | instskip(NEXT) | instid1(SALU_CYCLE_1)
	s_lshl_b64 s[2:3], s[2:3], 3
	v_add_co_u32 v16, vcc_lo, v2, s2
	s_wait_alu 0xfffd
	v_add_co_ci_u32_e64 v17, null, s3, v3, vcc_lo
	s_wait_dscnt 0x6
	global_store_b64 v[16:17], v[14:15], off
	s_wait_alu 0xfffe
	s_or_b32 exec_lo, exec_lo, s1
	s_and_saveexec_b32 s1, s4
	s_cbranch_execz .LBB211_107
.LBB211_123:
	s_lshl_b32 s2, s28, 9
	s_mov_b32 s3, 0
	s_wait_alu 0xfffe
	s_lshl_b64 s[2:3], s[2:3], 3
	s_wait_dscnt 0x6
	s_wait_alu 0xfffe
	v_add_co_u32 v14, vcc_lo, v2, s2
	s_wait_alu 0xfffd
	v_add_co_ci_u32_e64 v15, null, s3, v3, vcc_lo
	s_wait_dscnt 0x5
	global_store_b64 v[14:15], v[12:13], off
	s_or_b32 exec_lo, exec_lo, s1
	s_and_saveexec_b32 s1, s5
	s_cbranch_execz .LBB211_108
.LBB211_124:
	s_mul_i32 s2, s28, 0x300
	s_mov_b32 s3, 0
	s_wait_alu 0xfffe
	s_lshl_b64 s[2:3], s[2:3], 3
	s_wait_dscnt 0x5
	s_wait_alu 0xfffe
	v_add_co_u32 v12, vcc_lo, v2, s2
	s_wait_alu 0xfffd
	v_add_co_ci_u32_e64 v13, null, s3, v3, vcc_lo
	s_wait_dscnt 0x4
	global_store_b64 v[12:13], v[10:11], off
	s_or_b32 exec_lo, exec_lo, s1
	s_and_saveexec_b32 s1, s6
	s_cbranch_execz .LBB211_109
.LBB211_125:
	s_lshl_b32 s2, s28, 10
	s_mov_b32 s3, 0
	s_wait_alu 0xfffe
	s_lshl_b64 s[2:3], s[2:3], 3
	s_wait_dscnt 0x4
	s_wait_alu 0xfffe
	v_add_co_u32 v10, vcc_lo, v2, s2
	s_wait_alu 0xfffd
	v_add_co_ci_u32_e64 v11, null, s3, v3, vcc_lo
	s_wait_dscnt 0x3
	global_store_b64 v[10:11], v[8:9], off
	s_or_b32 exec_lo, exec_lo, s1
	s_and_saveexec_b32 s1, s7
	s_cbranch_execz .LBB211_110
.LBB211_126:
	s_mul_i32 s2, s28, 0x500
	s_mov_b32 s3, 0
	s_wait_alu 0xfffe
	s_lshl_b64 s[2:3], s[2:3], 3
	s_wait_dscnt 0x3
	s_wait_alu 0xfffe
	v_add_co_u32 v8, vcc_lo, v2, s2
	s_wait_alu 0xfffd
	v_add_co_ci_u32_e64 v9, null, s3, v3, vcc_lo
	s_wait_dscnt 0x2
	global_store_b64 v[8:9], v[6:7], off
	s_or_b32 exec_lo, exec_lo, s1
	s_and_saveexec_b32 s1, s8
	s_cbranch_execz .LBB211_111
.LBB211_127:
	s_mul_i32 s2, s28, 0x600
	s_mov_b32 s3, 0
	s_wait_alu 0xfffe
	s_lshl_b64 s[2:3], s[2:3], 3
	s_wait_dscnt 0x2
	s_wait_alu 0xfffe
	v_add_co_u32 v6, vcc_lo, v2, s2
	s_wait_alu 0xfffd
	v_add_co_ci_u32_e64 v7, null, s3, v3, vcc_lo
	s_wait_dscnt 0x1
	global_store_b64 v[6:7], v[4:5], off
	s_or_b32 exec_lo, exec_lo, s1
	s_and_saveexec_b32 s1, s0
	s_cbranch_execnz .LBB211_112
	s_branch .LBB211_113
	.section	.rodata,"a",@progbits
	.p2align	6, 0x0
	.amdhsa_kernel _ZN2at6native18radixSortKVInPlaceILin1ELin1ELi256ELi8EfljEEvNS_4cuda6detail10TensorInfoIT3_T5_EES6_S6_S6_NS4_IT4_S6_EES6_b
		.amdhsa_group_segment_fixed_size 16896
		.amdhsa_private_segment_fixed_size 0
		.amdhsa_kernarg_size 712
		.amdhsa_user_sgpr_count 2
		.amdhsa_user_sgpr_dispatch_ptr 0
		.amdhsa_user_sgpr_queue_ptr 0
		.amdhsa_user_sgpr_kernarg_segment_ptr 1
		.amdhsa_user_sgpr_dispatch_id 0
		.amdhsa_user_sgpr_private_segment_size 0
		.amdhsa_wavefront_size32 1
		.amdhsa_uses_dynamic_stack 0
		.amdhsa_enable_private_segment 0
		.amdhsa_system_sgpr_workgroup_id_x 1
		.amdhsa_system_sgpr_workgroup_id_y 1
		.amdhsa_system_sgpr_workgroup_id_z 1
		.amdhsa_system_sgpr_workgroup_info 0
		.amdhsa_system_vgpr_workitem_id 2
		.amdhsa_next_free_vgpr 121
		.amdhsa_next_free_sgpr 38
		.amdhsa_reserve_vcc 1
		.amdhsa_float_round_mode_32 0
		.amdhsa_float_round_mode_16_64 0
		.amdhsa_float_denorm_mode_32 3
		.amdhsa_float_denorm_mode_16_64 3
		.amdhsa_fp16_overflow 0
		.amdhsa_workgroup_processor_mode 1
		.amdhsa_memory_ordered 1
		.amdhsa_forward_progress 1
		.amdhsa_inst_pref_size 122
		.amdhsa_round_robin_scheduling 0
		.amdhsa_exception_fp_ieee_invalid_op 0
		.amdhsa_exception_fp_denorm_src 0
		.amdhsa_exception_fp_ieee_div_zero 0
		.amdhsa_exception_fp_ieee_overflow 0
		.amdhsa_exception_fp_ieee_underflow 0
		.amdhsa_exception_fp_ieee_inexact 0
		.amdhsa_exception_int_div_zero 0
	.end_amdhsa_kernel
	.section	.text._ZN2at6native18radixSortKVInPlaceILin1ELin1ELi256ELi8EfljEEvNS_4cuda6detail10TensorInfoIT3_T5_EES6_S6_S6_NS4_IT4_S6_EES6_b,"axG",@progbits,_ZN2at6native18radixSortKVInPlaceILin1ELin1ELi256ELi8EfljEEvNS_4cuda6detail10TensorInfoIT3_T5_EES6_S6_S6_NS4_IT4_S6_EES6_b,comdat
.Lfunc_end211:
	.size	_ZN2at6native18radixSortKVInPlaceILin1ELin1ELi256ELi8EfljEEvNS_4cuda6detail10TensorInfoIT3_T5_EES6_S6_S6_NS4_IT4_S6_EES6_b, .Lfunc_end211-_ZN2at6native18radixSortKVInPlaceILin1ELin1ELi256ELi8EfljEEvNS_4cuda6detail10TensorInfoIT3_T5_EES6_S6_S6_NS4_IT4_S6_EES6_b
                                        ; -- End function
	.set _ZN2at6native18radixSortKVInPlaceILin1ELin1ELi256ELi8EfljEEvNS_4cuda6detail10TensorInfoIT3_T5_EES6_S6_S6_NS4_IT4_S6_EES6_b.num_vgpr, 121
	.set _ZN2at6native18radixSortKVInPlaceILin1ELin1ELi256ELi8EfljEEvNS_4cuda6detail10TensorInfoIT3_T5_EES6_S6_S6_NS4_IT4_S6_EES6_b.num_agpr, 0
	.set _ZN2at6native18radixSortKVInPlaceILin1ELin1ELi256ELi8EfljEEvNS_4cuda6detail10TensorInfoIT3_T5_EES6_S6_S6_NS4_IT4_S6_EES6_b.numbered_sgpr, 38
	.set _ZN2at6native18radixSortKVInPlaceILin1ELin1ELi256ELi8EfljEEvNS_4cuda6detail10TensorInfoIT3_T5_EES6_S6_S6_NS4_IT4_S6_EES6_b.num_named_barrier, 0
	.set _ZN2at6native18radixSortKVInPlaceILin1ELin1ELi256ELi8EfljEEvNS_4cuda6detail10TensorInfoIT3_T5_EES6_S6_S6_NS4_IT4_S6_EES6_b.private_seg_size, 0
	.set _ZN2at6native18radixSortKVInPlaceILin1ELin1ELi256ELi8EfljEEvNS_4cuda6detail10TensorInfoIT3_T5_EES6_S6_S6_NS4_IT4_S6_EES6_b.uses_vcc, 1
	.set _ZN2at6native18radixSortKVInPlaceILin1ELin1ELi256ELi8EfljEEvNS_4cuda6detail10TensorInfoIT3_T5_EES6_S6_S6_NS4_IT4_S6_EES6_b.uses_flat_scratch, 0
	.set _ZN2at6native18radixSortKVInPlaceILin1ELin1ELi256ELi8EfljEEvNS_4cuda6detail10TensorInfoIT3_T5_EES6_S6_S6_NS4_IT4_S6_EES6_b.has_dyn_sized_stack, 0
	.set _ZN2at6native18radixSortKVInPlaceILin1ELin1ELi256ELi8EfljEEvNS_4cuda6detail10TensorInfoIT3_T5_EES6_S6_S6_NS4_IT4_S6_EES6_b.has_recursion, 0
	.set _ZN2at6native18radixSortKVInPlaceILin1ELin1ELi256ELi8EfljEEvNS_4cuda6detail10TensorInfoIT3_T5_EES6_S6_S6_NS4_IT4_S6_EES6_b.has_indirect_call, 0
	.section	.AMDGPU.csdata,"",@progbits
; Kernel info:
; codeLenInByte = 15528
; TotalNumSgprs: 40
; NumVgprs: 121
; ScratchSize: 0
; MemoryBound: 0
; FloatMode: 240
; IeeeMode: 1
; LDSByteSize: 16896 bytes/workgroup (compile time only)
; SGPRBlocks: 0
; VGPRBlocks: 15
; NumSGPRsForWavesPerEU: 40
; NumVGPRsForWavesPerEU: 121
; Occupancy: 10
; WaveLimiterHint : 1
; COMPUTE_PGM_RSRC2:SCRATCH_EN: 0
; COMPUTE_PGM_RSRC2:USER_SGPR: 2
; COMPUTE_PGM_RSRC2:TRAP_HANDLER: 0
; COMPUTE_PGM_RSRC2:TGID_X_EN: 1
; COMPUTE_PGM_RSRC2:TGID_Y_EN: 1
; COMPUTE_PGM_RSRC2:TGID_Z_EN: 1
; COMPUTE_PGM_RSRC2:TIDIG_COMP_CNT: 2
	.section	.text._ZN2at6native18radixSortKVInPlaceILin1ELin1ELi128ELi8EfljEEvNS_4cuda6detail10TensorInfoIT3_T5_EES6_S6_S6_NS4_IT4_S6_EES6_b,"axG",@progbits,_ZN2at6native18radixSortKVInPlaceILin1ELin1ELi128ELi8EfljEEvNS_4cuda6detail10TensorInfoIT3_T5_EES6_S6_S6_NS4_IT4_S6_EES6_b,comdat
	.protected	_ZN2at6native18radixSortKVInPlaceILin1ELin1ELi128ELi8EfljEEvNS_4cuda6detail10TensorInfoIT3_T5_EES6_S6_S6_NS4_IT4_S6_EES6_b ; -- Begin function _ZN2at6native18radixSortKVInPlaceILin1ELin1ELi128ELi8EfljEEvNS_4cuda6detail10TensorInfoIT3_T5_EES6_S6_S6_NS4_IT4_S6_EES6_b
	.globl	_ZN2at6native18radixSortKVInPlaceILin1ELin1ELi128ELi8EfljEEvNS_4cuda6detail10TensorInfoIT3_T5_EES6_S6_S6_NS4_IT4_S6_EES6_b
	.p2align	8
	.type	_ZN2at6native18radixSortKVInPlaceILin1ELin1ELi128ELi8EfljEEvNS_4cuda6detail10TensorInfoIT3_T5_EES6_S6_S6_NS4_IT4_S6_EES6_b,@function
_ZN2at6native18radixSortKVInPlaceILin1ELin1ELi128ELi8EfljEEvNS_4cuda6detail10TensorInfoIT3_T5_EES6_S6_S6_NS4_IT4_S6_EES6_b: ; @_ZN2at6native18radixSortKVInPlaceILin1ELin1ELi128ELi8EfljEEvNS_4cuda6detail10TensorInfoIT3_T5_EES6_S6_S6_NS4_IT4_S6_EES6_b
; %bb.0:
	s_clause 0x1
	s_load_b64 s[2:3], s[0:1], 0x1c8
	s_load_b96 s[20:22], s[0:1], 0xd8
	s_lshr_b32 s4, ttmp7, 16
	s_wait_kmcnt 0x0
	s_mul_i32 s3, s3, s4
	s_and_b32 s4, ttmp7, 0xffff
	s_delay_alu instid0(SALU_CYCLE_1) | instskip(NEXT) | instid1(SALU_CYCLE_1)
	s_add_co_i32 s3, s3, s4
	s_mul_i32 s2, s3, s2
	s_delay_alu instid0(SALU_CYCLE_1) | instskip(NEXT) | instid1(SALU_CYCLE_1)
	s_add_co_i32 s14, s2, ttmp9
	s_cmp_ge_u32 s14, s20
	s_cbranch_scc1 .LBB212_113
; %bb.1:
	s_load_b32 s4, s[0:1], 0xd0
	s_mov_b32 s3, 0
	s_mov_b32 s2, s14
	s_wait_kmcnt 0x0
	s_cmp_lt_i32 s4, 2
	s_cbranch_scc1 .LBB212_4
; %bb.2:
	s_add_co_i32 s2, s4, -1
	s_delay_alu instid0(SALU_CYCLE_1)
	s_lshl_b64 s[6:7], s[2:3], 2
	s_mov_b32 s2, s14
	s_add_nc_u64 s[8:9], s[0:1], s[6:7]
	s_add_co_i32 s6, s4, 1
	s_add_nc_u64 s[4:5], s[8:9], 8
.LBB212_3:                              ; =>This Inner Loop Header: Depth=1
	s_clause 0x1
	s_load_b32 s7, s[4:5], 0x0
	s_load_b32 s8, s[4:5], 0x64
	s_mov_b32 s11, s2
	s_add_nc_u64 s[4:5], s[4:5], -4
	s_wait_kmcnt 0x0
	s_cvt_f32_u32 s9, s7
	s_sub_co_i32 s10, 0, s7
	s_wait_alu 0xfffe
	s_delay_alu instid0(SALU_CYCLE_1) | instskip(NEXT) | instid1(TRANS32_DEP_1)
	v_rcp_iflag_f32_e32 v1, s9
	v_readfirstlane_b32 s9, v1
	s_mul_f32 s9, s9, 0x4f7ffffe
	s_wait_alu 0xfffe
	s_delay_alu instid0(SALU_CYCLE_2) | instskip(SKIP_1) | instid1(SALU_CYCLE_2)
	s_cvt_u32_f32 s9, s9
	s_wait_alu 0xfffe
	s_mul_i32 s10, s10, s9
	s_delay_alu instid0(SALU_CYCLE_1) | instskip(NEXT) | instid1(SALU_CYCLE_1)
	s_mul_hi_u32 s10, s9, s10
	s_add_co_i32 s9, s9, s10
	s_wait_alu 0xfffe
	s_mul_hi_u32 s2, s2, s9
	s_delay_alu instid0(SALU_CYCLE_1)
	s_mul_i32 s9, s2, s7
	s_add_co_i32 s10, s2, 1
	s_wait_alu 0xfffe
	s_sub_co_i32 s9, s11, s9
	s_wait_alu 0xfffe
	s_sub_co_i32 s12, s9, s7
	s_cmp_ge_u32 s9, s7
	s_cselect_b32 s2, s10, s2
	s_cselect_b32 s9, s12, s9
	s_add_co_i32 s10, s2, 1
	s_wait_alu 0xfffe
	s_cmp_ge_u32 s9, s7
	s_cselect_b32 s2, s10, s2
	s_add_co_i32 s6, s6, -1
	s_mul_i32 s7, s2, s7
	s_delay_alu instid0(SALU_CYCLE_1) | instskip(NEXT) | instid1(SALU_CYCLE_1)
	s_sub_co_i32 s7, s11, s7
	s_mul_i32 s7, s8, s7
	s_delay_alu instid0(SALU_CYCLE_1)
	s_add_co_i32 s3, s7, s3
	s_cmp_gt_u32 s6, 2
	s_cbranch_scc1 .LBB212_3
.LBB212_4:
	s_load_b32 s4, s[0:1], 0x1b8
	s_add_nc_u64 s[36:37], s[0:1], 0x1c8
	s_mov_b32 s13, 0
	s_wait_kmcnt 0x0
	s_cmp_lt_i32 s4, 2
	s_cbranch_scc1 .LBB212_7
; %bb.5:
	s_add_co_i32 s12, s4, -1
	s_delay_alu instid0(SALU_CYCLE_1) | instskip(NEXT) | instid1(SALU_CYCLE_1)
	s_lshl_b64 s[6:7], s[12:13], 2
	s_add_nc_u64 s[8:9], s[0:1], s[6:7]
	s_add_co_i32 s6, s4, 1
	s_wait_alu 0xfffe
	s_add_nc_u64 s[4:5], s[8:9], 0xf0
.LBB212_6:                              ; =>This Inner Loop Header: Depth=1
	s_clause 0x1
	s_load_b32 s7, s[4:5], 0x0
	s_load_b32 s8, s[4:5], 0x64
	s_mov_b32 s11, s14
	s_add_nc_u64 s[4:5], s[4:5], -4
	s_wait_kmcnt 0x0
	s_cvt_f32_u32 s9, s7
	s_sub_co_i32 s10, 0, s7
	s_wait_alu 0xfffe
	s_delay_alu instid0(SALU_CYCLE_1) | instskip(NEXT) | instid1(TRANS32_DEP_1)
	v_rcp_iflag_f32_e32 v1, s9
	v_readfirstlane_b32 s9, v1
	s_mul_f32 s9, s9, 0x4f7ffffe
	s_wait_alu 0xfffe
	s_delay_alu instid0(SALU_CYCLE_2) | instskip(SKIP_1) | instid1(SALU_CYCLE_2)
	s_cvt_u32_f32 s9, s9
	s_wait_alu 0xfffe
	s_mul_i32 s10, s10, s9
	s_delay_alu instid0(SALU_CYCLE_1) | instskip(NEXT) | instid1(SALU_CYCLE_1)
	s_mul_hi_u32 s10, s9, s10
	s_add_co_i32 s9, s9, s10
	s_wait_alu 0xfffe
	s_mul_hi_u32 s9, s14, s9
	s_wait_alu 0xfffe
	s_mul_i32 s10, s9, s7
	s_add_co_i32 s12, s9, 1
	s_sub_co_i32 s10, s14, s10
	s_delay_alu instid0(SALU_CYCLE_1)
	s_sub_co_i32 s14, s10, s7
	s_cmp_ge_u32 s10, s7
	s_cselect_b32 s9, s12, s9
	s_cselect_b32 s10, s14, s10
	s_wait_alu 0xfffe
	s_add_co_i32 s12, s9, 1
	s_cmp_ge_u32 s10, s7
	s_cselect_b32 s14, s12, s9
	s_add_co_i32 s6, s6, -1
	s_mul_i32 s7, s14, s7
	s_delay_alu instid0(SALU_CYCLE_1) | instskip(NEXT) | instid1(SALU_CYCLE_1)
	s_sub_co_i32 s7, s11, s7
	s_mul_i32 s7, s8, s7
	s_delay_alu instid0(SALU_CYCLE_1)
	s_add_co_i32 s13, s7, s13
	s_cmp_gt_u32 s6, 2
	s_cbranch_scc1 .LBB212_6
.LBB212_7:
	s_clause 0x2
	s_load_b32 s4, s[0:1], 0x6c
	s_load_b64 s[28:29], s[0:1], 0x1c0
	s_load_b64 s[16:17], s[0:1], 0x0
	s_mov_b32 s19, 0
	s_wait_kmcnt 0x0
	s_mul_i32 s2, s4, s2
	s_delay_alu instid0(SALU_CYCLE_1) | instskip(SKIP_2) | instid1(SALU_CYCLE_1)
	s_add_co_i32 s18, s2, s3
	s_bitcmp1_b32 s29, 0
	s_cselect_b32 s12, -1, 0
	s_and_b32 s2, s12, exec_lo
	s_cselect_b32 s4, -1, 0x7fffffff
	s_lshl_b64 s[18:19], s[18:19], 2
	s_mov_b32 s5, s4
	s_mov_b32 s6, s4
	;; [unrolled: 1-line block ×7, first 2 shown]
	v_and_b32_e32 v45, 0x3ff, v0
	v_dual_mov_b32 v1, s4 :: v_dual_mov_b32 v4, s7
	v_dual_mov_b32 v2, s5 :: v_dual_mov_b32 v3, s6
	s_wait_alu 0xfffe
	v_mov_b32_e32 v6, s9
	v_mul_lo_u32 v43, s22, v45
	v_cmp_gt_u32_e64 s2, s21, v45
	v_dual_mov_b32 v5, s8 :: v_dual_mov_b32 v8, s11
	v_mov_b32_e32 v7, s10
	v_mov_b32_e32 v9, s4
	s_add_nc_u64 s[30:31], s[16:17], s[18:19]
	s_and_saveexec_b32 s3, s2
	s_cbranch_execz .LBB212_9
; %bb.8:
	v_mov_b32_e32 v44, 0
	s_delay_alu instid0(VALU_DEP_1) | instskip(NEXT) | instid1(VALU_DEP_1)
	v_lshlrev_b64_e32 v[1:2], 2, v[43:44]
	v_add_co_u32 v1, vcc_lo, s30, v1
	s_delay_alu instid0(VALU_DEP_1)
	v_add_co_ci_u32_e64 v2, null, s31, v2, vcc_lo
	global_load_b32 v9, v[1:2], off
	v_dual_mov_b32 v1, s4 :: v_dual_mov_b32 v2, s5
	v_dual_mov_b32 v3, s6 :: v_dual_mov_b32 v4, s7
	;; [unrolled: 1-line block ×4, first 2 shown]
.LBB212_9:
	s_or_b32 exec_lo, exec_lo, s3
	v_add_nc_u32_e32 v15, 0x80, v45
	s_delay_alu instid0(VALU_DEP_1)
	v_cmp_gt_u32_e64 s3, s21, v15
	s_and_saveexec_b32 s4, s3
	s_cbranch_execz .LBB212_11
; %bb.10:
	v_mul_lo_u32 v1, s22, v15
	v_mov_b32_e32 v2, 0
	s_delay_alu instid0(VALU_DEP_1) | instskip(NEXT) | instid1(VALU_DEP_1)
	v_lshlrev_b64_e32 v[1:2], 2, v[1:2]
	v_add_co_u32 v1, vcc_lo, s30, v1
	s_wait_alu 0xfffd
	s_delay_alu instid0(VALU_DEP_2)
	v_add_co_ci_u32_e64 v2, null, s31, v2, vcc_lo
	global_load_b32 v2, v[1:2], off
.LBB212_11:
	s_wait_alu 0xfffe
	s_or_b32 exec_lo, exec_lo, s4
	v_add_nc_u32_e32 v16, 0x100, v45
	s_delay_alu instid0(VALU_DEP_1)
	v_cmp_gt_u32_e64 s4, s21, v16
	s_and_saveexec_b32 s5, s4
	s_cbranch_execz .LBB212_13
; %bb.12:
	v_mul_lo_u32 v10, s22, v16
	v_mov_b32_e32 v11, 0
	s_delay_alu instid0(VALU_DEP_1) | instskip(NEXT) | instid1(VALU_DEP_1)
	v_lshlrev_b64_e32 v[10:11], 2, v[10:11]
	v_add_co_u32 v10, vcc_lo, s30, v10
	s_wait_alu 0xfffd
	s_delay_alu instid0(VALU_DEP_2)
	v_add_co_ci_u32_e64 v11, null, s31, v11, vcc_lo
	global_load_b32 v3, v[10:11], off
.LBB212_13:
	s_wait_alu 0xfffe
	;; [unrolled: 18-line block ×6, first 2 shown]
	s_or_b32 exec_lo, exec_lo, s9
	s_clause 0x1
	s_load_b32 s9, s[0:1], 0x154
	s_load_b64 s[10:11], s[0:1], 0xe8
	v_add_nc_u32_e32 v21, 0x380, v45
	s_delay_alu instid0(VALU_DEP_1)
	v_cmp_gt_u32_e64 s0, s21, v21
	s_and_saveexec_b32 s1, s0
	s_cbranch_execz .LBB212_23
; %bb.22:
	v_mul_lo_u32 v10, s22, v21
	v_mov_b32_e32 v11, 0
	s_delay_alu instid0(VALU_DEP_1) | instskip(NEXT) | instid1(VALU_DEP_1)
	v_lshlrev_b64_e32 v[10:11], 2, v[10:11]
	v_add_co_u32 v10, vcc_lo, s30, v10
	s_wait_alu 0xfffd
	s_delay_alu instid0(VALU_DEP_2)
	v_add_co_ci_u32_e64 v11, null, s31, v11, vcc_lo
	global_load_b32 v8, v[10:11], off
.LBB212_23:
	s_or_b32 exec_lo, exec_lo, s1
	v_lshrrev_b32_e32 v1, 5, v15
	v_lshrrev_b32_e32 v24, 5, v45
	;; [unrolled: 1-line block ×3, first 2 shown]
	s_wait_kmcnt 0x0
	s_mul_i32 s1, s9, s14
	v_mul_lo_u32 v40, s28, v45
	v_add_nc_u32_e32 v25, v1, v45
	v_lshrrev_b32_e32 v1, 5, v17
	v_dual_mov_b32 v41, 0 :: v_dual_add_nc_u32 v26, v24, v45
	v_lshlrev_b32_e32 v91, 3, v45
	v_add_nc_u32_e32 v22, v10, v45
	s_delay_alu instid0(VALU_DEP_4) | instskip(SKIP_2) | instid1(VALU_DEP_4)
	v_add_nc_u32_e32 v23, v1, v45
	v_lshrrev_b32_e32 v1, 5, v18
	v_lshlrev_b32_e32 v72, 2, v26
	v_dual_mov_b32 v42, v41 :: v_dual_lshlrev_b32 v73, 2, v22
	s_delay_alu instid0(VALU_DEP_4) | instskip(NEXT) | instid1(VALU_DEP_4)
	v_lshlrev_b32_e32 v74, 2, v23
	v_add_nc_u32_e32 v27, v1, v45
	v_lshrrev_b32_e32 v1, 5, v19
	s_mov_b32 s15, 0
	v_mov_b32_e32 v10, v41
	s_add_co_i32 s14, s1, s13
	v_lshlrev_b32_e32 v75, 2, v27
	v_add_nc_u32_e32 v31, v1, v45
	v_lshrrev_b32_e32 v1, 2, v45
	v_mov_b32_e32 v13, 0
	v_mov_b32_e32 v14, 0
	v_lshlrev_b32_e32 v44, 2, v25
	v_dual_mov_b32 v11, v41 :: v_dual_lshlrev_b32 v76, 2, v31
	v_add_nc_u32_e32 v30, v1, v91
	v_mov_b32_e32 v1, v41
	s_wait_loadcnt 0x0
	ds_store_b32 v72, v9
	ds_store_b32 v44, v2 offset:512
	ds_store_b32 v73, v3 offset:1024
	v_lshrrev_b32_e32 v2, 5, v20
	v_lshrrev_b32_e32 v3, 5, v21
	v_lshlrev_b32_e32 v79, 2, v30
	ds_store_b32 v74, v4 offset:1536
	ds_store_b32 v75, v5 offset:2048
	v_dual_mov_b32 v2, v41 :: v_dual_add_nc_u32 v29, v2, v45
	v_dual_mov_b32 v9, v41 :: v_dual_add_nc_u32 v28, v3, v45
	v_mov_b32_e32 v3, v41
	s_delay_alu instid0(VALU_DEP_3) | instskip(NEXT) | instid1(VALU_DEP_3)
	v_dual_mov_b32 v4, v41 :: v_dual_lshlrev_b32 v77, 2, v29
	v_lshlrev_b32_e32 v78, 2, v28
	ds_store_b32 v76, v6 offset:2560
	ds_store_b32 v77, v7 offset:3072
	;; [unrolled: 1-line block ×3, first 2 shown]
	s_wait_dscnt 0x0
	s_barrier_signal -1
	s_barrier_wait -1
	global_inv scope:SCOPE_SE
	v_mov_b32_e32 v8, v41
	ds_load_2addr_b32 v[52:53], v79 offset1:1
	ds_load_2addr_b32 v[50:51], v79 offset0:2 offset1:3
	ds_load_2addr_b32 v[48:49], v79 offset0:4 offset1:5
	ds_load_2addr_b32 v[46:47], v79 offset0:6 offset1:7
	v_dual_mov_b32 v5, v41 :: v_dual_mov_b32 v6, v41
	v_dual_mov_b32 v7, v41 :: v_dual_mov_b32 v12, v41
	s_lshl_b64 s[14:15], s[14:15], 3
	s_wait_loadcnt_dscnt 0x0
	s_add_nc_u64 s[34:35], s[10:11], s[14:15]
	s_barrier_signal -1
	s_barrier_wait -1
	global_inv scope:SCOPE_SE
	s_and_saveexec_b32 s1, s2
	s_cbranch_execnz .LBB212_59
; %bb.24:
	s_or_b32 exec_lo, exec_lo, s1
	s_and_saveexec_b32 s1, s3
	s_cbranch_execnz .LBB212_60
.LBB212_25:
	s_or_b32 exec_lo, exec_lo, s1
	s_and_saveexec_b32 s1, s4
	s_cbranch_execnz .LBB212_61
.LBB212_26:
	s_or_b32 exec_lo, exec_lo, s1
	s_and_saveexec_b32 s1, s5
	s_cbranch_execnz .LBB212_62
.LBB212_27:
	s_or_b32 exec_lo, exec_lo, s1
	s_and_saveexec_b32 s1, s6
	s_cbranch_execnz .LBB212_63
.LBB212_28:
	s_or_b32 exec_lo, exec_lo, s1
	s_and_saveexec_b32 s1, s7
	s_cbranch_execnz .LBB212_64
.LBB212_29:
	s_or_b32 exec_lo, exec_lo, s1
	s_and_saveexec_b32 s1, s8
	s_cbranch_execnz .LBB212_65
.LBB212_30:
	s_or_b32 exec_lo, exec_lo, s1
	s_xor_b32 s1, s12, -1
	s_and_saveexec_b32 s9, s0
	s_cbranch_execz .LBB212_32
.LBB212_31:
	v_mul_lo_u32 v11, s28, v21
	v_mov_b32_e32 v12, 0
	s_delay_alu instid0(VALU_DEP_1) | instskip(NEXT) | instid1(VALU_DEP_1)
	v_lshlrev_b64_e32 v[11:12], 3, v[11:12]
	v_add_co_u32 v11, vcc_lo, s34, v11
	s_wait_alu 0xfffd
	s_delay_alu instid0(VALU_DEP_2)
	v_add_co_ci_u32_e64 v12, null, s35, v12, vcc_lo
	global_load_b64 v[11:12], v[11:12], off
.LBB212_32:
	s_wait_alu 0xfffe
	s_or_b32 exec_lo, exec_lo, s9
	v_lshlrev_b32_e32 v80, 3, v26
	v_lshlrev_b32_e32 v83, 3, v23
	;; [unrolled: 1-line block ×9, first 2 shown]
	s_wait_loadcnt 0x0
	ds_store_b64 v80, v[13:14]
	ds_store_b64 v81, v[41:42] offset:1024
	ds_store_b64 v82, v[9:10] offset:2048
	;; [unrolled: 1-line block ×7, first 2 shown]
	s_wait_dscnt 0x0
	s_barrier_signal -1
	s_barrier_wait -1
	global_inv scope:SCOPE_SE
	ds_load_2addr_b64 v[20:23], v88 offset1:1
	ds_load_2addr_b64 v[16:19], v88 offset0:2 offset1:3
	ds_load_2addr_b64 v[12:15], v88 offset0:4 offset1:5
	ds_load_2addr_b64 v[8:11], v88 offset0:6 offset1:7
	s_and_b32 vcc_lo, exec_lo, s1
	v_bfe_u32 v95, v0, 10, 10
	v_bfe_u32 v96, v0, 20, 10
	v_mbcnt_lo_u32_b32 v93, -1, 0
	v_and_b32_e32 v94, 0x3e0, v45
	v_lshlrev_b32_e32 v89, 2, v91
	v_cmp_gt_u32_e64 s1, 4, v45
	v_cmp_lt_u32_e64 s9, 31, v45
	v_cmp_eq_u32_e64 s10, 0, v45
	v_lshlrev_b32_e32 v90, 2, v24
	v_mul_i32_i24_e32 v92, 0xffffffe4, v45
	s_wait_loadcnt_dscnt 0x0
	s_barrier_signal -1
	s_barrier_wait -1
	global_inv scope:SCOPE_SE
	s_wait_alu 0xfffe
	s_cbranch_vccz .LBB212_66
; %bb.33:
	v_cmp_lt_i32_e32 vcc_lo, -1, v52
	v_or_b32_e32 v7, v93, v94
	s_getpc_b64 s[12:13]
	s_sext_i32_i16 s13, s13
	s_add_co_u32 s12, s12, _ZN7rocprim17ROCPRIM_400000_NS16block_radix_sortIfLj128ELj8ElLj1ELj1ELj0ELNS0_26block_radix_rank_algorithmE1ELNS0_18block_padding_hintE2ELNS0_4arch9wavefront6targetE0EE19radix_bits_per_passE@rel32@lo+8
	s_add_co_ci_u32 s13, s13, _ZN7rocprim17ROCPRIM_400000_NS16block_radix_sortIfLj128ELj8ElLj1ELj1ELj0ELNS0_26block_radix_rank_algorithmE1ELNS0_18block_padding_hintE2ELNS0_4arch9wavefront6targetE0EE19radix_bits_per_passE@rel32@hi+16
	v_and_or_b32 v25, 0x1f00, v91, v93
	s_load_b32 s21, s[12:13], 0x0
	v_cndmask_b32_e64 v0, -1, 0x80000000, vcc_lo
	v_cmp_lt_i32_e32 vcc_lo, -1, v53
	v_lshlrev_b32_e32 v26, 5, v7
	s_mov_b32 s24, 0
	v_and_b32_e32 v36, 16, v93
	v_xor_b32_e32 v0, v0, v52
	s_wait_alu 0xfffd
	v_cndmask_b32_e64 v1, -1, 0x80000000, vcc_lo
	v_cmp_lt_i32_e32 vcc_lo, -1, v50
	s_mov_b32 s25, s24
	s_mov_b32 s26, s24
	;; [unrolled: 1-line block ×3, first 2 shown]
	v_xor_b32_e32 v1, v1, v53
	s_wait_alu 0xfffd
	v_cndmask_b32_e64 v2, -1, 0x80000000, vcc_lo
	v_cmp_lt_i32_e32 vcc_lo, -1, v51
	v_lshlrev_b32_e32 v97, 2, v25
	v_and_b32_e32 v37, 3, v93
	v_cmp_eq_u32_e64 s16, 0, v36
	v_xor_b32_e32 v2, v2, v50
	s_wait_alu 0xfffd
	v_cndmask_b32_e64 v3, -1, 0x80000000, vcc_lo
	v_cmp_lt_i32_e32 vcc_lo, -1, v48
	v_add_nc_u32_e32 v98, v97, v97
	v_add_nc_u32_e32 v101, v89, v92
	s_mov_b32 s23, 32
	v_xor_b32_e32 v3, v3, v51
	s_wait_alu 0xfffd
	v_cndmask_b32_e64 v4, -1, 0x80000000, vcc_lo
	v_cmp_lt_i32_e32 vcc_lo, -1, v49
	s_delay_alu instid0(VALU_DEP_2) | instskip(SKIP_3) | instid1(VALU_DEP_2)
	v_xor_b32_e32 v4, v4, v48
	s_wait_alu 0xfffd
	v_cndmask_b32_e64 v5, -1, 0x80000000, vcc_lo
	v_cmp_lt_i32_e32 vcc_lo, -1, v46
	v_xor_b32_e32 v5, v5, v49
	s_wait_alu 0xfffd
	v_cndmask_b32_e64 v6, -1, 0x80000000, vcc_lo
	v_cmp_lt_i32_e32 vcc_lo, -1, v47
	s_delay_alu instid0(VALU_DEP_2) | instskip(SKIP_2) | instid1(VALU_DEP_1)
	v_xor_b32_e32 v6, v6, v46
	s_wait_alu 0xfffd
	v_cndmask_b32_e64 v24, -1, 0x80000000, vcc_lo
	v_xor_b32_e32 v7, v24, v47
	ds_store_b128 v26, v[0:3]
	ds_store_b128 v26, v[4:7] offset:16
	v_sub_co_u32 v3, s12, v93, 1
	; wave barrier
	ds_load_2addr_b32 v[64:65], v97 offset1:32
	ds_load_2addr_b32 v[66:67], v97 offset0:64 offset1:96
	ds_load_2addr_b32 v[68:69], v97 offset0:128 offset1:160
	;; [unrolled: 1-line block ×3, first 2 shown]
	v_cmp_gt_i32_e32 vcc_lo, 0, v3
	s_wait_loadcnt_dscnt 0x0
	s_barrier_signal -1
	s_barrier_wait -1
	global_inv scope:SCOPE_SE
	s_wait_alu 0xfffd
	v_dual_cndmask_b32 v3, v3, v93 :: v_dual_add_nc_u32 v0, v26, v26
	ds_store_b128 v0, v[20:23]
	ds_store_b128 v0, v[16:19] offset:16
	ds_store_b128 v0, v[12:15] offset:32
	;; [unrolled: 1-line block ×3, first 2 shown]
	; wave barrier
	ds_load_2addr_b64 v[4:7], v98 offset1:32
	ds_load_2addr_b64 v[24:27], v98 offset0:64 offset1:96
	ds_load_2addr_b64 v[28:31], v98 offset0:128 offset1:160
	ds_load_2addr_b64 v[32:35], v98 offset0:192 offset1:224
	s_wait_loadcnt_dscnt 0x0
	s_barrier_signal -1
	s_barrier_wait -1
	global_inv scope:SCOPE_SE
	s_load_b32 s11, s[36:37], 0xc
	v_and_b32_e32 v2, 15, v93
	v_lshlrev_b32_e32 v99, 2, v3
	s_delay_alu instid0(VALU_DEP_2)
	v_cmp_lt_u32_e64 s13, 1, v2
	v_cmp_lt_u32_e64 s15, 7, v2
	s_wait_kmcnt 0x0
	s_lshr_b32 s14, s11, 16
	s_and_b32 s11, s11, 0xffff
	v_mad_u32_u24 v0, v96, s14, v95
	v_cmp_lt_u32_e64 s14, 3, v2
	s_wait_alu 0xfffe
	s_delay_alu instid0(VALU_DEP_2) | instskip(SKIP_2) | instid1(VALU_DEP_2)
	v_mad_co_u64_u32 v[0:1], null, v0, s11, v[45:46]
	v_min_u32_e32 v1, 0x60, v94
	v_cmp_eq_u32_e64 s11, 0, v2
	v_or_b32_e32 v1, 31, v1
	s_delay_alu instid0(VALU_DEP_4) | instskip(NEXT) | instid1(VALU_DEP_2)
	v_lshrrev_b32_e32 v0, 3, v0
	v_cmp_eq_u32_e64 s17, v45, v1
	s_delay_alu instid0(VALU_DEP_2)
	v_and_b32_e32 v100, 0x1ffffffc, v0
	v_dual_mov_b32 v0, s24 :: v_dual_mov_b32 v1, s25
	v_mov_b32_e32 v2, s26
	v_cmp_eq_u32_e64 s18, 0, v37
	v_cmp_lt_u32_e64 s19, 1, v37
	v_mov_b32_e32 v3, s27
	s_branch .LBB212_35
.LBB212_34:                             ;   in Loop: Header=BB212_35 Depth=1
	s_wait_alu 0xfffe
	s_and_not1_b32 vcc_lo, exec_lo, s20
	s_wait_alu 0xfffe
	s_cbranch_vccz .LBB212_67
.LBB212_35:                             ; =>This Inner Loop Header: Depth=1
	v_dual_mov_b32 v102, v64 :: v_dual_mov_b32 v103, v71
	s_min_u32 s20, s21, s23
	ds_store_b128 v89, v[0:3] offset:16
	ds_store_b128 v89, v[0:3] offset:32
	s_wait_alu 0xfffe
	s_lshl_b32 s20, -1, s20
	v_cmp_ne_u32_e32 vcc_lo, 0x7fffffff, v102
	s_wait_alu 0xfffe
	s_not_b32 s25, s20
	s_wait_loadcnt_dscnt 0x0
	s_barrier_signal -1
	s_barrier_wait -1
	s_wait_alu 0xfffd
	v_dual_cndmask_b32 v36, 0x80000000, v102 :: v_dual_mov_b32 v105, v69
	global_inv scope:SCOPE_SE
	; wave barrier
	v_lshrrev_b32_e32 v36, s24, v36
	v_mov_b32_e32 v107, v67
	v_dual_mov_b32 v109, v65 :: v_dual_mov_b32 v106, v68
	v_mov_b32_e32 v108, v66
	s_wait_alu 0xfffe
	v_and_b32_e32 v64, s25, v36
	v_dual_mov_b32 v104, v70 :: v_dual_mov_b32 v59, v25
	v_dual_mov_b32 v58, v24 :: v_dual_mov_b32 v61, v7
	s_delay_alu instid0(VALU_DEP_3)
	v_and_b32_e32 v36, 1, v64
	v_lshlrev_b32_e32 v37, 30, v64
	v_lshlrev_b32_e32 v38, 29, v64
	;; [unrolled: 1-line block ×4, first 2 shown]
	v_add_co_u32 v36, s20, v36, -1
	s_wait_alu 0xf1ff
	v_cndmask_b32_e64 v41, 0, 1, s20
	v_not_b32_e32 v56, v37
	v_cmp_gt_i32_e64 s20, 0, v37
	v_not_b32_e32 v37, v38
	v_lshlrev_b32_e32 v54, 26, v64
	v_cmp_ne_u32_e32 vcc_lo, 0, v41
	v_ashrrev_i32_e32 v56, 31, v56
	v_lshlrev_b32_e32 v55, 25, v64
	v_ashrrev_i32_e32 v37, 31, v37
	v_lshlrev_b32_e32 v41, 24, v64
	s_wait_alu 0xfffd
	v_xor_b32_e32 v36, vcc_lo, v36
	v_cmp_gt_i32_e32 vcc_lo, 0, v38
	v_not_b32_e32 v38, v39
	s_wait_alu 0xf1ff
	v_xor_b32_e32 v56, s20, v56
	v_cmp_gt_i32_e64 s20, 0, v39
	v_and_b32_e32 v36, exec_lo, v36
	v_not_b32_e32 v39, v42
	v_ashrrev_i32_e32 v38, 31, v38
	s_wait_alu 0xfffd
	v_xor_b32_e32 v37, vcc_lo, v37
	v_cmp_gt_i32_e32 vcc_lo, 0, v42
	v_and_b32_e32 v36, v36, v56
	v_not_b32_e32 v42, v54
	v_ashrrev_i32_e32 v39, 31, v39
	s_wait_alu 0xf1ff
	v_xor_b32_e32 v38, s20, v38
	v_cmp_gt_i32_e64 s20, 0, v54
	v_and_b32_e32 v36, v36, v37
	v_not_b32_e32 v37, v55
	v_ashrrev_i32_e32 v42, 31, v42
	s_wait_alu 0xfffd
	v_xor_b32_e32 v39, vcc_lo, v39
	v_cmp_gt_i32_e32 vcc_lo, 0, v55
	v_and_b32_e32 v36, v36, v38
	v_ashrrev_i32_e32 v37, 31, v37
	s_wait_alu 0xf1ff
	v_xor_b32_e32 v42, s20, v42
	v_dual_mov_b32 v55, v29 :: v_dual_mov_b32 v54, v28
	v_dual_mov_b32 v63, v5 :: v_dual_and_b32 v36, v36, v39
	s_wait_alu 0xfffd
	v_xor_b32_e32 v37, vcc_lo, v37
	v_mov_b32_e32 v62, v4
	v_lshlrev_b32_e32 v4, 4, v64
	v_and_b32_e32 v36, v36, v42
	s_delay_alu instid0(VALU_DEP_2) | instskip(NEXT) | instid1(VALU_DEP_2)
	v_dual_mov_b32 v60, v6 :: v_dual_add_nc_u32 v29, v100, v4
	v_and_b32_e32 v57, v36, v37
	v_dual_mov_b32 v37, v35 :: v_dual_mov_b32 v36, v34
	v_not_b32_e32 v38, v41
	v_cmp_gt_i32_e64 s20, 0, v41
	v_dual_mov_b32 v42, v31 :: v_dual_mov_b32 v41, v30
	s_delay_alu instid0(VALU_DEP_3) | instskip(SKIP_1) | instid1(VALU_DEP_1)
	v_ashrrev_i32_e32 v38, 31, v38
	s_wait_alu 0xf1ff
	v_xor_b32_e32 v56, s20, v38
	v_dual_mov_b32 v39, v33 :: v_dual_mov_b32 v38, v32
	s_delay_alu instid0(VALU_DEP_2) | instskip(SKIP_1) | instid1(VALU_DEP_2)
	v_dual_mov_b32 v57, v27 :: v_dual_and_b32 v30, v57, v56
	v_mov_b32_e32 v56, v26
	v_mbcnt_lo_u32_b32 v28, v30, 0
	v_cmp_ne_u32_e64 s20, 0, v30
	s_delay_alu instid0(VALU_DEP_2)
	v_cmp_eq_u32_e32 vcc_lo, 0, v28
	s_and_b32 s26, s20, vcc_lo
	s_wait_alu 0xfffe
	s_and_saveexec_b32 s20, s26
; %bb.36:                               ;   in Loop: Header=BB212_35 Depth=1
	v_bcnt_u32_b32 v4, v30, 0
	ds_store_b32 v29, v4 offset:16
; %bb.37:                               ;   in Loop: Header=BB212_35 Depth=1
	s_wait_alu 0xfffe
	s_or_b32 exec_lo, exec_lo, s20
	v_cmp_ne_u32_e32 vcc_lo, 0x7fffffff, v109
	; wave barrier
	s_wait_alu 0xfffd
	v_cndmask_b32_e32 v4, 0x80000000, v109, vcc_lo
	s_delay_alu instid0(VALU_DEP_1) | instskip(NEXT) | instid1(VALU_DEP_1)
	v_lshrrev_b32_e32 v4, s24, v4
	v_and_b32_e32 v4, s25, v4
	s_delay_alu instid0(VALU_DEP_1)
	v_and_b32_e32 v5, 1, v4
	v_lshlrev_b32_e32 v6, 30, v4
	v_lshlrev_b32_e32 v7, 29, v4
	;; [unrolled: 1-line block ×4, first 2 shown]
	v_add_co_u32 v5, s20, v5, -1
	s_wait_alu 0xf1ff
	v_cndmask_b32_e64 v25, 0, 1, s20
	v_not_b32_e32 v31, v6
	v_cmp_gt_i32_e64 s20, 0, v6
	v_not_b32_e32 v6, v7
	v_lshlrev_b32_e32 v27, 26, v4
	v_cmp_ne_u32_e32 vcc_lo, 0, v25
	v_ashrrev_i32_e32 v31, 31, v31
	v_lshlrev_b32_e32 v30, 25, v4
	v_ashrrev_i32_e32 v6, 31, v6
	v_lshlrev_b32_e32 v25, 24, v4
	s_wait_alu 0xfffd
	v_xor_b32_e32 v5, vcc_lo, v5
	v_cmp_gt_i32_e32 vcc_lo, 0, v7
	v_not_b32_e32 v7, v24
	s_wait_alu 0xf1ff
	v_xor_b32_e32 v31, s20, v31
	v_cmp_gt_i32_e64 s20, 0, v24
	v_and_b32_e32 v5, exec_lo, v5
	v_not_b32_e32 v24, v26
	v_ashrrev_i32_e32 v7, 31, v7
	s_wait_alu 0xfffd
	v_xor_b32_e32 v6, vcc_lo, v6
	v_cmp_gt_i32_e32 vcc_lo, 0, v26
	v_and_b32_e32 v5, v5, v31
	v_not_b32_e32 v26, v27
	v_ashrrev_i32_e32 v24, 31, v24
	s_wait_alu 0xf1ff
	v_xor_b32_e32 v7, s20, v7
	v_cmp_gt_i32_e64 s20, 0, v27
	v_and_b32_e32 v5, v5, v6
	v_not_b32_e32 v6, v30
	v_ashrrev_i32_e32 v26, 31, v26
	s_wait_alu 0xfffd
	v_xor_b32_e32 v24, vcc_lo, v24
	v_cmp_gt_i32_e32 vcc_lo, 0, v30
	v_and_b32_e32 v5, v5, v7
	v_not_b32_e32 v7, v25
	v_ashrrev_i32_e32 v6, 31, v6
	s_wait_alu 0xf1ff
	v_xor_b32_e32 v26, s20, v26
	v_lshlrev_b32_e32 v4, 4, v4
	v_and_b32_e32 v5, v5, v24
	v_cmp_gt_i32_e64 s20, 0, v25
	v_ashrrev_i32_e32 v7, 31, v7
	s_wait_alu 0xfffd
	v_xor_b32_e32 v6, vcc_lo, v6
	v_add_nc_u32_e32 v32, v100, v4
	v_and_b32_e32 v5, v5, v26
	s_wait_alu 0xf1ff
	v_xor_b32_e32 v4, s20, v7
	ds_load_b32 v30, v32 offset:16
	v_and_b32_e32 v5, v5, v6
	; wave barrier
	s_delay_alu instid0(VALU_DEP_1) | instskip(NEXT) | instid1(VALU_DEP_1)
	v_and_b32_e32 v4, v5, v4
	v_mbcnt_lo_u32_b32 v31, v4, 0
	v_cmp_ne_u32_e64 s20, 0, v4
	s_delay_alu instid0(VALU_DEP_2)
	v_cmp_eq_u32_e32 vcc_lo, 0, v31
	s_and_b32 s26, s20, vcc_lo
	s_wait_alu 0xfffe
	s_and_saveexec_b32 s20, s26
	s_cbranch_execz .LBB212_39
; %bb.38:                               ;   in Loop: Header=BB212_35 Depth=1
	s_wait_dscnt 0x0
	v_bcnt_u32_b32 v4, v4, v30
	ds_store_b32 v32, v4 offset:16
.LBB212_39:                             ;   in Loop: Header=BB212_35 Depth=1
	s_wait_alu 0xfffe
	s_or_b32 exec_lo, exec_lo, s20
	v_cmp_ne_u32_e32 vcc_lo, 0x7fffffff, v108
	; wave barrier
	s_wait_alu 0xfffd
	v_cndmask_b32_e32 v4, 0x80000000, v108, vcc_lo
	s_delay_alu instid0(VALU_DEP_1) | instskip(NEXT) | instid1(VALU_DEP_1)
	v_lshrrev_b32_e32 v4, s24, v4
	v_and_b32_e32 v4, s25, v4
	s_delay_alu instid0(VALU_DEP_1)
	v_and_b32_e32 v5, 1, v4
	v_lshlrev_b32_e32 v6, 30, v4
	v_lshlrev_b32_e32 v7, 29, v4
	;; [unrolled: 1-line block ×4, first 2 shown]
	v_add_co_u32 v5, s20, v5, -1
	s_wait_alu 0xf1ff
	v_cndmask_b32_e64 v25, 0, 1, s20
	v_not_b32_e32 v34, v6
	v_cmp_gt_i32_e64 s20, 0, v6
	v_not_b32_e32 v6, v7
	v_lshlrev_b32_e32 v27, 26, v4
	v_cmp_ne_u32_e32 vcc_lo, 0, v25
	v_ashrrev_i32_e32 v34, 31, v34
	v_lshlrev_b32_e32 v33, 25, v4
	v_ashrrev_i32_e32 v6, 31, v6
	v_lshlrev_b32_e32 v25, 24, v4
	s_wait_alu 0xfffd
	v_xor_b32_e32 v5, vcc_lo, v5
	v_cmp_gt_i32_e32 vcc_lo, 0, v7
	v_not_b32_e32 v7, v24
	s_wait_alu 0xf1ff
	v_xor_b32_e32 v34, s20, v34
	v_cmp_gt_i32_e64 s20, 0, v24
	v_and_b32_e32 v5, exec_lo, v5
	v_not_b32_e32 v24, v26
	v_ashrrev_i32_e32 v7, 31, v7
	s_wait_alu 0xfffd
	v_xor_b32_e32 v6, vcc_lo, v6
	v_cmp_gt_i32_e32 vcc_lo, 0, v26
	v_and_b32_e32 v5, v5, v34
	v_not_b32_e32 v26, v27
	v_ashrrev_i32_e32 v24, 31, v24
	s_wait_alu 0xf1ff
	v_xor_b32_e32 v7, s20, v7
	v_cmp_gt_i32_e64 s20, 0, v27
	v_and_b32_e32 v5, v5, v6
	v_not_b32_e32 v6, v33
	v_ashrrev_i32_e32 v26, 31, v26
	s_wait_alu 0xfffd
	v_xor_b32_e32 v24, vcc_lo, v24
	v_cmp_gt_i32_e32 vcc_lo, 0, v33
	v_and_b32_e32 v5, v5, v7
	v_not_b32_e32 v7, v25
	v_ashrrev_i32_e32 v6, 31, v6
	s_wait_alu 0xf1ff
	v_xor_b32_e32 v26, s20, v26
	v_lshlrev_b32_e32 v4, 4, v4
	v_and_b32_e32 v5, v5, v24
	v_cmp_gt_i32_e64 s20, 0, v25
	v_ashrrev_i32_e32 v7, 31, v7
	s_wait_alu 0xfffd
	v_xor_b32_e32 v6, vcc_lo, v6
	v_add_nc_u32_e32 v35, v100, v4
	v_and_b32_e32 v5, v5, v26
	s_wait_alu 0xf1ff
	v_xor_b32_e32 v4, s20, v7
	ds_load_b32 v33, v35 offset:16
	v_and_b32_e32 v5, v5, v6
	; wave barrier
	s_delay_alu instid0(VALU_DEP_1) | instskip(NEXT) | instid1(VALU_DEP_1)
	v_and_b32_e32 v4, v5, v4
	v_mbcnt_lo_u32_b32 v34, v4, 0
	v_cmp_ne_u32_e64 s20, 0, v4
	s_delay_alu instid0(VALU_DEP_2)
	v_cmp_eq_u32_e32 vcc_lo, 0, v34
	s_and_b32 s26, s20, vcc_lo
	s_wait_alu 0xfffe
	s_and_saveexec_b32 s20, s26
	s_cbranch_execz .LBB212_41
; %bb.40:                               ;   in Loop: Header=BB212_35 Depth=1
	s_wait_dscnt 0x0
	v_bcnt_u32_b32 v4, v4, v33
	ds_store_b32 v35, v4 offset:16
.LBB212_41:                             ;   in Loop: Header=BB212_35 Depth=1
	s_wait_alu 0xfffe
	s_or_b32 exec_lo, exec_lo, s20
	v_cmp_ne_u32_e32 vcc_lo, 0x7fffffff, v107
	; wave barrier
	s_wait_alu 0xfffd
	v_cndmask_b32_e32 v4, 0x80000000, v107, vcc_lo
	s_delay_alu instid0(VALU_DEP_1) | instskip(NEXT) | instid1(VALU_DEP_1)
	v_lshrrev_b32_e32 v4, s24, v4
	v_and_b32_e32 v4, s25, v4
	s_delay_alu instid0(VALU_DEP_1)
	v_and_b32_e32 v5, 1, v4
	v_lshlrev_b32_e32 v6, 30, v4
	v_lshlrev_b32_e32 v7, 29, v4
	v_lshlrev_b32_e32 v24, 28, v4
	v_lshlrev_b32_e32 v26, 27, v4
	v_add_co_u32 v5, s20, v5, -1
	s_wait_alu 0xf1ff
	v_cndmask_b32_e64 v25, 0, 1, s20
	v_not_b32_e32 v65, v6
	v_cmp_gt_i32_e64 s20, 0, v6
	v_not_b32_e32 v6, v7
	v_lshlrev_b32_e32 v27, 26, v4
	v_cmp_ne_u32_e32 vcc_lo, 0, v25
	v_ashrrev_i32_e32 v65, 31, v65
	v_lshlrev_b32_e32 v64, 25, v4
	v_ashrrev_i32_e32 v6, 31, v6
	v_lshlrev_b32_e32 v25, 24, v4
	s_wait_alu 0xfffd
	v_xor_b32_e32 v5, vcc_lo, v5
	v_cmp_gt_i32_e32 vcc_lo, 0, v7
	v_not_b32_e32 v7, v24
	s_wait_alu 0xf1ff
	v_xor_b32_e32 v65, s20, v65
	v_cmp_gt_i32_e64 s20, 0, v24
	v_and_b32_e32 v5, exec_lo, v5
	v_not_b32_e32 v24, v26
	v_ashrrev_i32_e32 v7, 31, v7
	s_wait_alu 0xfffd
	v_xor_b32_e32 v6, vcc_lo, v6
	v_cmp_gt_i32_e32 vcc_lo, 0, v26
	v_and_b32_e32 v5, v5, v65
	v_not_b32_e32 v26, v27
	v_ashrrev_i32_e32 v24, 31, v24
	s_wait_alu 0xf1ff
	v_xor_b32_e32 v7, s20, v7
	v_cmp_gt_i32_e64 s20, 0, v27
	v_and_b32_e32 v5, v5, v6
	v_not_b32_e32 v6, v64
	v_ashrrev_i32_e32 v26, 31, v26
	s_wait_alu 0xfffd
	v_xor_b32_e32 v24, vcc_lo, v24
	v_cmp_gt_i32_e32 vcc_lo, 0, v64
	v_and_b32_e32 v5, v5, v7
	v_not_b32_e32 v7, v25
	v_ashrrev_i32_e32 v6, 31, v6
	s_wait_alu 0xf1ff
	v_xor_b32_e32 v26, s20, v26
	v_lshlrev_b32_e32 v4, 4, v4
	v_and_b32_e32 v5, v5, v24
	v_cmp_gt_i32_e64 s20, 0, v25
	v_ashrrev_i32_e32 v7, 31, v7
	s_wait_alu 0xfffd
	v_xor_b32_e32 v6, vcc_lo, v6
	v_add_nc_u32_e32 v66, v100, v4
	v_and_b32_e32 v5, v5, v26
	s_wait_alu 0xf1ff
	v_xor_b32_e32 v4, s20, v7
	ds_load_b32 v64, v66 offset:16
	v_and_b32_e32 v5, v5, v6
	; wave barrier
	s_delay_alu instid0(VALU_DEP_1) | instskip(NEXT) | instid1(VALU_DEP_1)
	v_and_b32_e32 v4, v5, v4
	v_mbcnt_lo_u32_b32 v65, v4, 0
	v_cmp_ne_u32_e64 s20, 0, v4
	s_delay_alu instid0(VALU_DEP_2)
	v_cmp_eq_u32_e32 vcc_lo, 0, v65
	s_and_b32 s26, s20, vcc_lo
	s_wait_alu 0xfffe
	s_and_saveexec_b32 s20, s26
	s_cbranch_execz .LBB212_43
; %bb.42:                               ;   in Loop: Header=BB212_35 Depth=1
	s_wait_dscnt 0x0
	v_bcnt_u32_b32 v4, v4, v64
	ds_store_b32 v66, v4 offset:16
.LBB212_43:                             ;   in Loop: Header=BB212_35 Depth=1
	s_wait_alu 0xfffe
	s_or_b32 exec_lo, exec_lo, s20
	v_cmp_ne_u32_e32 vcc_lo, 0x7fffffff, v106
	; wave barrier
	s_wait_alu 0xfffd
	v_cndmask_b32_e32 v4, 0x80000000, v106, vcc_lo
	s_delay_alu instid0(VALU_DEP_1) | instskip(NEXT) | instid1(VALU_DEP_1)
	v_lshrrev_b32_e32 v4, s24, v4
	v_and_b32_e32 v4, s25, v4
	s_delay_alu instid0(VALU_DEP_1)
	v_and_b32_e32 v5, 1, v4
	v_lshlrev_b32_e32 v6, 30, v4
	v_lshlrev_b32_e32 v7, 29, v4
	;; [unrolled: 1-line block ×4, first 2 shown]
	v_add_co_u32 v5, s20, v5, -1
	s_wait_alu 0xf1ff
	v_cndmask_b32_e64 v25, 0, 1, s20
	v_not_b32_e32 v68, v6
	v_cmp_gt_i32_e64 s20, 0, v6
	v_not_b32_e32 v6, v7
	v_lshlrev_b32_e32 v27, 26, v4
	v_cmp_ne_u32_e32 vcc_lo, 0, v25
	v_ashrrev_i32_e32 v68, 31, v68
	v_lshlrev_b32_e32 v67, 25, v4
	v_ashrrev_i32_e32 v6, 31, v6
	v_lshlrev_b32_e32 v25, 24, v4
	s_wait_alu 0xfffd
	v_xor_b32_e32 v5, vcc_lo, v5
	v_cmp_gt_i32_e32 vcc_lo, 0, v7
	v_not_b32_e32 v7, v24
	s_wait_alu 0xf1ff
	v_xor_b32_e32 v68, s20, v68
	v_cmp_gt_i32_e64 s20, 0, v24
	v_and_b32_e32 v5, exec_lo, v5
	v_not_b32_e32 v24, v26
	v_ashrrev_i32_e32 v7, 31, v7
	s_wait_alu 0xfffd
	v_xor_b32_e32 v6, vcc_lo, v6
	v_cmp_gt_i32_e32 vcc_lo, 0, v26
	v_and_b32_e32 v5, v5, v68
	v_not_b32_e32 v26, v27
	v_ashrrev_i32_e32 v24, 31, v24
	s_wait_alu 0xf1ff
	v_xor_b32_e32 v7, s20, v7
	v_cmp_gt_i32_e64 s20, 0, v27
	v_and_b32_e32 v5, v5, v6
	v_not_b32_e32 v6, v67
	v_ashrrev_i32_e32 v26, 31, v26
	s_wait_alu 0xfffd
	v_xor_b32_e32 v24, vcc_lo, v24
	v_cmp_gt_i32_e32 vcc_lo, 0, v67
	v_and_b32_e32 v5, v5, v7
	v_not_b32_e32 v7, v25
	v_ashrrev_i32_e32 v6, 31, v6
	s_wait_alu 0xf1ff
	v_xor_b32_e32 v26, s20, v26
	v_lshlrev_b32_e32 v4, 4, v4
	v_and_b32_e32 v5, v5, v24
	v_cmp_gt_i32_e64 s20, 0, v25
	v_ashrrev_i32_e32 v7, 31, v7
	s_wait_alu 0xfffd
	v_xor_b32_e32 v6, vcc_lo, v6
	v_add_nc_u32_e32 v69, v100, v4
	v_and_b32_e32 v5, v5, v26
	s_wait_alu 0xf1ff
	v_xor_b32_e32 v4, s20, v7
	ds_load_b32 v67, v69 offset:16
	v_and_b32_e32 v5, v5, v6
	; wave barrier
	s_delay_alu instid0(VALU_DEP_1) | instskip(NEXT) | instid1(VALU_DEP_1)
	v_and_b32_e32 v4, v5, v4
	v_mbcnt_lo_u32_b32 v68, v4, 0
	v_cmp_ne_u32_e64 s20, 0, v4
	s_delay_alu instid0(VALU_DEP_2)
	v_cmp_eq_u32_e32 vcc_lo, 0, v68
	s_and_b32 s26, s20, vcc_lo
	s_wait_alu 0xfffe
	s_and_saveexec_b32 s20, s26
	s_cbranch_execz .LBB212_45
; %bb.44:                               ;   in Loop: Header=BB212_35 Depth=1
	s_wait_dscnt 0x0
	v_bcnt_u32_b32 v4, v4, v67
	ds_store_b32 v69, v4 offset:16
.LBB212_45:                             ;   in Loop: Header=BB212_35 Depth=1
	s_wait_alu 0xfffe
	s_or_b32 exec_lo, exec_lo, s20
	v_cmp_ne_u32_e32 vcc_lo, 0x7fffffff, v105
	; wave barrier
	s_wait_alu 0xfffd
	v_cndmask_b32_e32 v4, 0x80000000, v105, vcc_lo
	s_delay_alu instid0(VALU_DEP_1) | instskip(NEXT) | instid1(VALU_DEP_1)
	v_lshrrev_b32_e32 v4, s24, v4
	v_and_b32_e32 v4, s25, v4
	s_delay_alu instid0(VALU_DEP_1)
	v_and_b32_e32 v5, 1, v4
	v_lshlrev_b32_e32 v6, 30, v4
	v_lshlrev_b32_e32 v7, 29, v4
	;; [unrolled: 1-line block ×4, first 2 shown]
	v_add_co_u32 v5, s20, v5, -1
	s_wait_alu 0xf1ff
	v_cndmask_b32_e64 v25, 0, 1, s20
	v_not_b32_e32 v71, v6
	v_cmp_gt_i32_e64 s20, 0, v6
	v_not_b32_e32 v6, v7
	v_lshlrev_b32_e32 v27, 26, v4
	v_cmp_ne_u32_e32 vcc_lo, 0, v25
	v_ashrrev_i32_e32 v71, 31, v71
	v_lshlrev_b32_e32 v70, 25, v4
	v_ashrrev_i32_e32 v6, 31, v6
	v_lshlrev_b32_e32 v25, 24, v4
	s_wait_alu 0xfffd
	v_xor_b32_e32 v5, vcc_lo, v5
	v_cmp_gt_i32_e32 vcc_lo, 0, v7
	v_not_b32_e32 v7, v24
	s_wait_alu 0xf1ff
	v_xor_b32_e32 v71, s20, v71
	v_cmp_gt_i32_e64 s20, 0, v24
	v_and_b32_e32 v5, exec_lo, v5
	v_not_b32_e32 v24, v26
	v_ashrrev_i32_e32 v7, 31, v7
	s_wait_alu 0xfffd
	v_xor_b32_e32 v6, vcc_lo, v6
	v_cmp_gt_i32_e32 vcc_lo, 0, v26
	v_and_b32_e32 v5, v5, v71
	v_not_b32_e32 v26, v27
	v_ashrrev_i32_e32 v24, 31, v24
	s_wait_alu 0xf1ff
	v_xor_b32_e32 v7, s20, v7
	v_cmp_gt_i32_e64 s20, 0, v27
	v_and_b32_e32 v5, v5, v6
	v_not_b32_e32 v6, v70
	v_ashrrev_i32_e32 v26, 31, v26
	s_wait_alu 0xfffd
	v_xor_b32_e32 v24, vcc_lo, v24
	v_cmp_gt_i32_e32 vcc_lo, 0, v70
	v_and_b32_e32 v5, v5, v7
	v_not_b32_e32 v7, v25
	v_ashrrev_i32_e32 v6, 31, v6
	s_wait_alu 0xf1ff
	v_xor_b32_e32 v26, s20, v26
	v_lshlrev_b32_e32 v4, 4, v4
	v_and_b32_e32 v5, v5, v24
	v_cmp_gt_i32_e64 s20, 0, v25
	v_ashrrev_i32_e32 v7, 31, v7
	s_wait_alu 0xfffd
	v_xor_b32_e32 v6, vcc_lo, v6
	v_add_nc_u32_e32 v71, v100, v4
	v_and_b32_e32 v5, v5, v26
	s_wait_alu 0xf1ff
	v_xor_b32_e32 v4, s20, v7
	ds_load_b32 v70, v71 offset:16
	v_and_b32_e32 v5, v5, v6
	; wave barrier
	s_delay_alu instid0(VALU_DEP_1) | instskip(NEXT) | instid1(VALU_DEP_1)
	v_and_b32_e32 v4, v5, v4
	v_mbcnt_lo_u32_b32 v110, v4, 0
	v_cmp_ne_u32_e64 s20, 0, v4
	s_delay_alu instid0(VALU_DEP_2)
	v_cmp_eq_u32_e32 vcc_lo, 0, v110
	s_and_b32 s26, s20, vcc_lo
	s_wait_alu 0xfffe
	s_and_saveexec_b32 s20, s26
	s_cbranch_execz .LBB212_47
; %bb.46:                               ;   in Loop: Header=BB212_35 Depth=1
	s_wait_dscnt 0x0
	v_bcnt_u32_b32 v4, v4, v70
	ds_store_b32 v71, v4 offset:16
.LBB212_47:                             ;   in Loop: Header=BB212_35 Depth=1
	s_wait_alu 0xfffe
	s_or_b32 exec_lo, exec_lo, s20
	v_cmp_ne_u32_e32 vcc_lo, 0x7fffffff, v104
	; wave barrier
	s_wait_alu 0xfffd
	v_cndmask_b32_e32 v4, 0x80000000, v104, vcc_lo
	s_delay_alu instid0(VALU_DEP_1) | instskip(NEXT) | instid1(VALU_DEP_1)
	v_lshrrev_b32_e32 v4, s24, v4
	v_and_b32_e32 v4, s25, v4
	s_delay_alu instid0(VALU_DEP_1)
	v_and_b32_e32 v5, 1, v4
	v_lshlrev_b32_e32 v6, 30, v4
	v_lshlrev_b32_e32 v7, 29, v4
	;; [unrolled: 1-line block ×4, first 2 shown]
	v_add_co_u32 v5, s20, v5, -1
	s_wait_alu 0xf1ff
	v_cndmask_b32_e64 v25, 0, 1, s20
	v_not_b32_e32 v112, v6
	v_cmp_gt_i32_e64 s20, 0, v6
	v_not_b32_e32 v6, v7
	v_lshlrev_b32_e32 v27, 26, v4
	v_cmp_ne_u32_e32 vcc_lo, 0, v25
	v_ashrrev_i32_e32 v112, 31, v112
	v_lshlrev_b32_e32 v111, 25, v4
	v_ashrrev_i32_e32 v6, 31, v6
	v_lshlrev_b32_e32 v25, 24, v4
	s_wait_alu 0xfffd
	v_xor_b32_e32 v5, vcc_lo, v5
	v_cmp_gt_i32_e32 vcc_lo, 0, v7
	v_not_b32_e32 v7, v24
	s_wait_alu 0xf1ff
	v_xor_b32_e32 v112, s20, v112
	v_cmp_gt_i32_e64 s20, 0, v24
	v_and_b32_e32 v5, exec_lo, v5
	v_not_b32_e32 v24, v26
	v_ashrrev_i32_e32 v7, 31, v7
	s_wait_alu 0xfffd
	v_xor_b32_e32 v6, vcc_lo, v6
	v_cmp_gt_i32_e32 vcc_lo, 0, v26
	v_and_b32_e32 v5, v5, v112
	v_not_b32_e32 v26, v27
	v_ashrrev_i32_e32 v24, 31, v24
	s_wait_alu 0xf1ff
	v_xor_b32_e32 v7, s20, v7
	v_cmp_gt_i32_e64 s20, 0, v27
	v_and_b32_e32 v5, v5, v6
	v_not_b32_e32 v6, v111
	v_ashrrev_i32_e32 v26, 31, v26
	s_wait_alu 0xfffd
	v_xor_b32_e32 v24, vcc_lo, v24
	v_cmp_gt_i32_e32 vcc_lo, 0, v111
	v_and_b32_e32 v5, v5, v7
	v_not_b32_e32 v7, v25
	v_ashrrev_i32_e32 v6, 31, v6
	s_wait_alu 0xf1ff
	v_xor_b32_e32 v26, s20, v26
	v_lshlrev_b32_e32 v4, 4, v4
	v_and_b32_e32 v5, v5, v24
	v_cmp_gt_i32_e64 s20, 0, v25
	v_ashrrev_i32_e32 v7, 31, v7
	s_wait_alu 0xfffd
	v_xor_b32_e32 v6, vcc_lo, v6
	v_add_nc_u32_e32 v112, v100, v4
	v_and_b32_e32 v5, v5, v26
	s_wait_alu 0xf1ff
	v_xor_b32_e32 v4, s20, v7
	ds_load_b32 v111, v112 offset:16
	v_and_b32_e32 v5, v5, v6
	; wave barrier
	s_delay_alu instid0(VALU_DEP_1) | instskip(NEXT) | instid1(VALU_DEP_1)
	v_and_b32_e32 v4, v5, v4
	v_mbcnt_lo_u32_b32 v113, v4, 0
	v_cmp_ne_u32_e64 s20, 0, v4
	s_delay_alu instid0(VALU_DEP_2)
	v_cmp_eq_u32_e32 vcc_lo, 0, v113
	s_and_b32 s26, s20, vcc_lo
	s_wait_alu 0xfffe
	s_and_saveexec_b32 s20, s26
	s_cbranch_execz .LBB212_49
; %bb.48:                               ;   in Loop: Header=BB212_35 Depth=1
	s_wait_dscnt 0x0
	v_bcnt_u32_b32 v4, v4, v111
	ds_store_b32 v112, v4 offset:16
.LBB212_49:                             ;   in Loop: Header=BB212_35 Depth=1
	s_wait_alu 0xfffe
	s_or_b32 exec_lo, exec_lo, s20
	v_cmp_ne_u32_e32 vcc_lo, 0x7fffffff, v103
	; wave barrier
	s_wait_alu 0xfffd
	v_cndmask_b32_e32 v4, 0x80000000, v103, vcc_lo
	s_delay_alu instid0(VALU_DEP_1) | instskip(NEXT) | instid1(VALU_DEP_1)
	v_lshrrev_b32_e32 v4, s24, v4
	v_and_b32_e32 v4, s25, v4
	s_delay_alu instid0(VALU_DEP_1)
	v_and_b32_e32 v5, 1, v4
	v_lshlrev_b32_e32 v6, 30, v4
	v_lshlrev_b32_e32 v7, 29, v4
	;; [unrolled: 1-line block ×4, first 2 shown]
	v_add_co_u32 v5, s20, v5, -1
	s_wait_alu 0xf1ff
	v_cndmask_b32_e64 v25, 0, 1, s20
	v_not_b32_e32 v115, v6
	v_cmp_gt_i32_e64 s20, 0, v6
	v_not_b32_e32 v6, v7
	v_lshlrev_b32_e32 v27, 26, v4
	v_cmp_ne_u32_e32 vcc_lo, 0, v25
	v_ashrrev_i32_e32 v115, 31, v115
	v_lshlrev_b32_e32 v114, 25, v4
	v_ashrrev_i32_e32 v6, 31, v6
	v_lshlrev_b32_e32 v25, 24, v4
	s_wait_alu 0xfffd
	v_xor_b32_e32 v5, vcc_lo, v5
	v_cmp_gt_i32_e32 vcc_lo, 0, v7
	v_not_b32_e32 v7, v24
	s_wait_alu 0xf1ff
	v_xor_b32_e32 v115, s20, v115
	v_cmp_gt_i32_e64 s20, 0, v24
	v_and_b32_e32 v5, exec_lo, v5
	v_not_b32_e32 v24, v26
	v_ashrrev_i32_e32 v7, 31, v7
	s_wait_alu 0xfffd
	v_xor_b32_e32 v6, vcc_lo, v6
	v_cmp_gt_i32_e32 vcc_lo, 0, v26
	v_and_b32_e32 v5, v5, v115
	v_not_b32_e32 v26, v27
	v_ashrrev_i32_e32 v24, 31, v24
	s_wait_alu 0xf1ff
	v_xor_b32_e32 v7, s20, v7
	v_cmp_gt_i32_e64 s20, 0, v27
	v_and_b32_e32 v5, v5, v6
	v_not_b32_e32 v6, v114
	v_ashrrev_i32_e32 v26, 31, v26
	s_wait_alu 0xfffd
	v_xor_b32_e32 v24, vcc_lo, v24
	v_cmp_gt_i32_e32 vcc_lo, 0, v114
	v_and_b32_e32 v5, v5, v7
	v_not_b32_e32 v7, v25
	v_ashrrev_i32_e32 v6, 31, v6
	s_wait_alu 0xf1ff
	v_xor_b32_e32 v26, s20, v26
	v_lshlrev_b32_e32 v4, 4, v4
	v_and_b32_e32 v5, v5, v24
	v_cmp_gt_i32_e64 s20, 0, v25
	v_ashrrev_i32_e32 v7, 31, v7
	s_wait_alu 0xfffd
	v_xor_b32_e32 v6, vcc_lo, v6
	v_add_nc_u32_e32 v114, v100, v4
	v_and_b32_e32 v5, v5, v26
	s_wait_alu 0xf1ff
	v_xor_b32_e32 v4, s20, v7
	ds_load_b32 v119, v114 offset:16
	v_and_b32_e32 v5, v5, v6
	; wave barrier
	s_delay_alu instid0(VALU_DEP_1) | instskip(NEXT) | instid1(VALU_DEP_1)
	v_and_b32_e32 v4, v5, v4
	v_mbcnt_lo_u32_b32 v120, v4, 0
	v_cmp_ne_u32_e64 s20, 0, v4
	s_delay_alu instid0(VALU_DEP_2)
	v_cmp_eq_u32_e32 vcc_lo, 0, v120
	s_and_b32 s25, s20, vcc_lo
	s_wait_alu 0xfffe
	s_and_saveexec_b32 s20, s25
	s_cbranch_execz .LBB212_51
; %bb.50:                               ;   in Loop: Header=BB212_35 Depth=1
	s_wait_dscnt 0x0
	v_bcnt_u32_b32 v4, v4, v119
	ds_store_b32 v114, v4 offset:16
.LBB212_51:                             ;   in Loop: Header=BB212_35 Depth=1
	s_wait_alu 0xfffe
	s_or_b32 exec_lo, exec_lo, s20
	; wave barrier
	s_wait_loadcnt_dscnt 0x0
	s_barrier_signal -1
	s_barrier_wait -1
	global_inv scope:SCOPE_SE
	ds_load_b128 v[24:27], v89 offset:16
	ds_load_b128 v[4:7], v89 offset:32
	s_wait_dscnt 0x1
	v_add_nc_u32_e32 v115, v25, v24
	s_delay_alu instid0(VALU_DEP_1) | instskip(SKIP_1) | instid1(VALU_DEP_1)
	v_add3_u32 v115, v115, v26, v27
	s_wait_dscnt 0x0
	v_add3_u32 v115, v115, v4, v5
	s_delay_alu instid0(VALU_DEP_1) | instskip(NEXT) | instid1(VALU_DEP_1)
	v_add3_u32 v7, v115, v6, v7
	v_mov_b32_dpp v115, v7 row_shr:1 row_mask:0xf bank_mask:0xf
	s_delay_alu instid0(VALU_DEP_1) | instskip(NEXT) | instid1(VALU_DEP_1)
	v_cndmask_b32_e64 v115, v115, 0, s11
	v_add_nc_u32_e32 v7, v115, v7
	s_delay_alu instid0(VALU_DEP_1) | instskip(NEXT) | instid1(VALU_DEP_1)
	v_mov_b32_dpp v115, v7 row_shr:2 row_mask:0xf bank_mask:0xf
	v_cndmask_b32_e64 v115, 0, v115, s13
	s_delay_alu instid0(VALU_DEP_1) | instskip(NEXT) | instid1(VALU_DEP_1)
	v_add_nc_u32_e32 v7, v7, v115
	v_mov_b32_dpp v115, v7 row_shr:4 row_mask:0xf bank_mask:0xf
	s_delay_alu instid0(VALU_DEP_1) | instskip(NEXT) | instid1(VALU_DEP_1)
	v_cndmask_b32_e64 v115, 0, v115, s14
	v_add_nc_u32_e32 v7, v7, v115
	s_delay_alu instid0(VALU_DEP_1) | instskip(NEXT) | instid1(VALU_DEP_1)
	v_mov_b32_dpp v115, v7 row_shr:8 row_mask:0xf bank_mask:0xf
	v_cndmask_b32_e64 v115, 0, v115, s15
	s_delay_alu instid0(VALU_DEP_1) | instskip(SKIP_3) | instid1(VALU_DEP_1)
	v_add_nc_u32_e32 v7, v7, v115
	ds_swizzle_b32 v115, v7 offset:swizzle(BROADCAST,32,15)
	s_wait_dscnt 0x0
	v_cndmask_b32_e64 v115, v115, 0, s16
	v_add_nc_u32_e32 v7, v7, v115
	s_and_saveexec_b32 s20, s17
; %bb.52:                               ;   in Loop: Header=BB212_35 Depth=1
	ds_store_b32 v90, v7
; %bb.53:                               ;   in Loop: Header=BB212_35 Depth=1
	s_wait_alu 0xfffe
	s_or_b32 exec_lo, exec_lo, s20
	s_wait_loadcnt_dscnt 0x0
	s_barrier_signal -1
	s_barrier_wait -1
	global_inv scope:SCOPE_SE
	s_and_saveexec_b32 s20, s1
	s_cbranch_execz .LBB212_55
; %bb.54:                               ;   in Loop: Header=BB212_35 Depth=1
	ds_load_b32 v115, v101
	s_wait_dscnt 0x0
	v_mov_b32_dpp v116, v115 row_shr:1 row_mask:0xf bank_mask:0xf
	s_delay_alu instid0(VALU_DEP_1) | instskip(NEXT) | instid1(VALU_DEP_1)
	v_cndmask_b32_e64 v116, v116, 0, s18
	v_add_nc_u32_e32 v115, v116, v115
	s_delay_alu instid0(VALU_DEP_1) | instskip(NEXT) | instid1(VALU_DEP_1)
	v_mov_b32_dpp v116, v115 row_shr:2 row_mask:0xf bank_mask:0xf
	v_cndmask_b32_e64 v116, 0, v116, s19
	s_delay_alu instid0(VALU_DEP_1)
	v_add_nc_u32_e32 v115, v115, v116
	ds_store_b32 v101, v115
.LBB212_55:                             ;   in Loop: Header=BB212_35 Depth=1
	s_wait_alu 0xfffe
	s_or_b32 exec_lo, exec_lo, s20
	v_mov_b32_e32 v115, 0
	s_wait_loadcnt_dscnt 0x0
	s_barrier_signal -1
	s_barrier_wait -1
	global_inv scope:SCOPE_SE
	s_and_saveexec_b32 s20, s9
; %bb.56:                               ;   in Loop: Header=BB212_35 Depth=1
	v_add_nc_u32_e32 v115, -4, v90
	ds_load_b32 v115, v115
; %bb.57:                               ;   in Loop: Header=BB212_35 Depth=1
	s_wait_alu 0xfffe
	s_or_b32 exec_lo, exec_lo, s20
	s_wait_dscnt 0x0
	v_add_nc_u32_e32 v7, v115, v7
	s_cmp_gt_u32 s24, 23
	s_mov_b32 s20, -1
	ds_bpermute_b32 v7, v99, v7
	s_wait_dscnt 0x0
	v_cndmask_b32_e64 v7, v7, v115, s12
	s_delay_alu instid0(VALU_DEP_1) | instskip(NEXT) | instid1(VALU_DEP_1)
	v_cndmask_b32_e64 v115, v7, 0, s10
	v_add_nc_u32_e32 v116, v115, v24
	s_delay_alu instid0(VALU_DEP_1) | instskip(NEXT) | instid1(VALU_DEP_1)
	v_add_nc_u32_e32 v117, v116, v25
	v_add_nc_u32_e32 v118, v117, v26
	s_delay_alu instid0(VALU_DEP_1) | instskip(NEXT) | instid1(VALU_DEP_1)
	v_add_nc_u32_e32 v24, v118, v27
	;; [unrolled: 3-line block ×3, first 2 shown]
	v_add_nc_u32_e32 v27, v26, v6
	ds_store_b128 v89, v[115:118] offset:16
	ds_store_b128 v89, v[24:27] offset:32
	s_wait_loadcnt_dscnt 0x0
	s_barrier_signal -1
	s_barrier_wait -1
	global_inv scope:SCOPE_SE
	ds_load_b32 v4, v29 offset:16
	ds_load_b32 v5, v32 offset:16
	;; [unrolled: 1-line block ×8, first 2 shown]
	s_wait_dscnt 0x7
	v_add_nc_u32_e32 v118, v4, v28
	s_wait_dscnt 0x6
	v_add3_u32 v117, v31, v30, v5
	s_wait_dscnt 0x5
	v_add3_u32 v116, v34, v33, v6
	;; [unrolled: 2-line block ×7, first 2 shown]
                                        ; implicit-def: $vgpr71
                                        ; implicit-def: $vgpr69
                                        ; implicit-def: $vgpr67
                                        ; implicit-def: $vgpr65
                                        ; implicit-def: $vgpr34_vgpr35
                                        ; implicit-def: $vgpr30_vgpr31
                                        ; implicit-def: $vgpr26_vgpr27
                                        ; implicit-def: $vgpr6_vgpr7
	s_cbranch_scc1 .LBB212_34
; %bb.58:                               ;   in Loop: Header=BB212_35 Depth=1
	v_lshlrev_b32_e32 v4, 2, v118
	v_lshlrev_b32_e32 v5, 2, v117
	v_lshlrev_b32_e32 v6, 2, v116
	s_wait_loadcnt 0x0
	s_barrier_signal -1
	s_barrier_wait -1
	global_inv scope:SCOPE_SE
	ds_store_b32 v4, v102
	ds_store_b32 v5, v109
	ds_store_b32 v6, v108
	v_lshlrev_b32_e32 v7, 2, v115
	v_add_nc_u32_e32 v4, v4, v4
	v_lshlrev_b32_e32 v24, 2, v114
	v_add_nc_u32_e32 v5, v5, v5
	;; [unrolled: 2-line block ×3, first 2 shown]
	v_lshlrev_b32_e32 v26, 2, v111
	v_lshlrev_b32_e32 v27, 2, v110
	ds_store_b32 v7, v107
	ds_store_b32 v24, v106
	;; [unrolled: 1-line block ×5, first 2 shown]
	s_wait_loadcnt_dscnt 0x0
	s_barrier_signal -1
	s_barrier_wait -1
	global_inv scope:SCOPE_SE
	ds_load_2addr_b32 v[64:65], v97 offset1:32
	ds_load_2addr_b32 v[66:67], v97 offset0:64 offset1:96
	ds_load_2addr_b32 v[68:69], v97 offset0:128 offset1:160
	;; [unrolled: 1-line block ×3, first 2 shown]
	s_wait_loadcnt_dscnt 0x0
	s_barrier_signal -1
	s_barrier_wait -1
	global_inv scope:SCOPE_SE
	ds_store_b64 v4, v[62:63]
	ds_store_b64 v5, v[60:61]
	;; [unrolled: 1-line block ×3, first 2 shown]
	v_add_nc_u32_e32 v4, v7, v7
	v_add_nc_u32_e32 v5, v24, v24
	;; [unrolled: 1-line block ×5, first 2 shown]
	ds_store_b64 v4, v[56:57]
	ds_store_b64 v5, v[54:55]
	;; [unrolled: 1-line block ×5, first 2 shown]
	s_wait_loadcnt_dscnt 0x0
	s_barrier_signal -1
	s_barrier_wait -1
	global_inv scope:SCOPE_SE
	ds_load_2addr_b64 v[4:7], v98 offset1:32
	ds_load_2addr_b64 v[24:27], v98 offset0:64 offset1:96
	ds_load_2addr_b64 v[28:31], v98 offset0:128 offset1:160
	;; [unrolled: 1-line block ×3, first 2 shown]
	s_add_co_i32 s24, s24, 8
	s_add_co_i32 s23, s23, -8
	s_mov_b32 s20, 0
	s_wait_loadcnt_dscnt 0x0
	s_barrier_signal -1
	s_barrier_wait -1
	global_inv scope:SCOPE_SE
	s_branch .LBB212_34
.LBB212_59:
	v_lshlrev_b64_e32 v[1:2], 3, v[40:41]
	v_dual_mov_b32 v42, v41 :: v_dual_mov_b32 v9, v41
	v_mov_b32_e32 v10, v41
	v_dual_mov_b32 v4, v41 :: v_dual_mov_b32 v5, v41
	s_delay_alu instid0(VALU_DEP_4)
	v_add_co_u32 v1, vcc_lo, s34, v1
	s_wait_alu 0xfffd
	v_add_co_ci_u32_e64 v2, null, s35, v2, vcc_lo
	v_dual_mov_b32 v6, v41 :: v_dual_mov_b32 v7, v41
	v_dual_mov_b32 v8, v41 :: v_dual_mov_b32 v11, v41
	global_load_b64 v[13:14], v[1:2], off
	v_dual_mov_b32 v1, v41 :: v_dual_mov_b32 v2, v41
	v_dual_mov_b32 v3, v41 :: v_dual_mov_b32 v12, v41
	s_or_b32 exec_lo, exec_lo, s1
	s_and_saveexec_b32 s1, s3
	s_cbranch_execz .LBB212_25
.LBB212_60:
	v_mul_lo_u32 v32, s28, v15
	v_mov_b32_e32 v33, 0
	s_delay_alu instid0(VALU_DEP_1) | instskip(NEXT) | instid1(VALU_DEP_1)
	v_lshlrev_b64_e32 v[32:33], 3, v[32:33]
	v_add_co_u32 v32, vcc_lo, s34, v32
	s_wait_alu 0xfffd
	s_delay_alu instid0(VALU_DEP_2)
	v_add_co_ci_u32_e64 v33, null, s35, v33, vcc_lo
	global_load_b64 v[41:42], v[32:33], off
	s_or_b32 exec_lo, exec_lo, s1
	s_and_saveexec_b32 s1, s4
	s_cbranch_execz .LBB212_26
.LBB212_61:
	v_mul_lo_u32 v9, s28, v16
	v_mov_b32_e32 v10, 0
	s_delay_alu instid0(VALU_DEP_1) | instskip(NEXT) | instid1(VALU_DEP_1)
	v_lshlrev_b64_e32 v[9:10], 3, v[9:10]
	v_add_co_u32 v9, vcc_lo, s34, v9
	s_wait_alu 0xfffd
	s_delay_alu instid0(VALU_DEP_2)
	v_add_co_ci_u32_e64 v10, null, s35, v10, vcc_lo
	global_load_b64 v[9:10], v[9:10], off
	s_or_b32 exec_lo, exec_lo, s1
	s_and_saveexec_b32 s1, s5
	s_cbranch_execz .LBB212_27
.LBB212_62:
	v_mul_lo_u32 v1, s28, v17
	v_mov_b32_e32 v2, 0
	s_delay_alu instid0(VALU_DEP_1) | instskip(NEXT) | instid1(VALU_DEP_1)
	v_lshlrev_b64_e32 v[1:2], 3, v[1:2]
	v_add_co_u32 v1, vcc_lo, s34, v1
	s_wait_alu 0xfffd
	s_delay_alu instid0(VALU_DEP_2)
	v_add_co_ci_u32_e64 v2, null, s35, v2, vcc_lo
	global_load_b64 v[1:2], v[1:2], off
	s_or_b32 exec_lo, exec_lo, s1
	s_and_saveexec_b32 s1, s6
	s_cbranch_execz .LBB212_28
.LBB212_63:
	v_mul_lo_u32 v3, s28, v18
	v_mov_b32_e32 v4, 0
	s_delay_alu instid0(VALU_DEP_1) | instskip(NEXT) | instid1(VALU_DEP_1)
	v_lshlrev_b64_e32 v[3:4], 3, v[3:4]
	v_add_co_u32 v3, vcc_lo, s34, v3
	s_wait_alu 0xfffd
	s_delay_alu instid0(VALU_DEP_2)
	v_add_co_ci_u32_e64 v4, null, s35, v4, vcc_lo
	global_load_b64 v[3:4], v[3:4], off
	s_or_b32 exec_lo, exec_lo, s1
	s_and_saveexec_b32 s1, s7
	s_cbranch_execz .LBB212_29
.LBB212_64:
	v_mul_lo_u32 v5, s28, v19
	v_mov_b32_e32 v6, 0
	s_delay_alu instid0(VALU_DEP_1) | instskip(NEXT) | instid1(VALU_DEP_1)
	v_lshlrev_b64_e32 v[5:6], 3, v[5:6]
	v_add_co_u32 v5, vcc_lo, s34, v5
	s_wait_alu 0xfffd
	s_delay_alu instid0(VALU_DEP_2)
	v_add_co_ci_u32_e64 v6, null, s35, v6, vcc_lo
	global_load_b64 v[5:6], v[5:6], off
	s_or_b32 exec_lo, exec_lo, s1
	s_and_saveexec_b32 s1, s8
	s_cbranch_execz .LBB212_30
.LBB212_65:
	v_mul_lo_u32 v7, s28, v20
	v_mov_b32_e32 v8, 0
	s_delay_alu instid0(VALU_DEP_1) | instskip(NEXT) | instid1(VALU_DEP_1)
	v_lshlrev_b64_e32 v[7:8], 3, v[7:8]
	v_add_co_u32 v7, vcc_lo, s34, v7
	s_wait_alu 0xfffd
	s_delay_alu instid0(VALU_DEP_2)
	v_add_co_ci_u32_e64 v8, null, s35, v8, vcc_lo
	global_load_b64 v[7:8], v[7:8], off
	s_or_b32 exec_lo, exec_lo, s1
	s_xor_b32 s1, s12, -1
	s_and_saveexec_b32 s9, s0
	s_cbranch_execnz .LBB212_31
	s_branch .LBB212_32
.LBB212_66:
                                        ; implicit-def: $vgpr34_vgpr35
                                        ; implicit-def: $vgpr38_vgpr39
                                        ; implicit-def: $vgpr26_vgpr27
                                        ; implicit-def: $vgpr30_vgpr31
                                        ; implicit-def: $vgpr0_vgpr1_vgpr2_vgpr3_vgpr4_vgpr5_vgpr6_vgpr7
	s_cbranch_execnz .LBB212_68
	s_branch .LBB212_95
.LBB212_67:
	v_lshlrev_b32_e32 v24, 2, v118
	v_lshlrev_b32_e32 v27, 2, v115
	;; [unrolled: 1-line block ×8, first 2 shown]
	s_wait_loadcnt 0x0
	s_barrier_signal -1
	s_barrier_wait -1
	global_inv scope:SCOPE_SE
	ds_store_b32 v24, v102
	ds_store_b32 v25, v109
	;; [unrolled: 1-line block ×8, first 2 shown]
	s_wait_loadcnt_dscnt 0x0
	s_barrier_signal -1
	s_barrier_wait -1
	global_inv scope:SCOPE_SE
	ds_load_b128 v[0:3], v89
	ds_load_b128 v[4:7], v89 offset:16
	v_add_nc_u32_e32 v24, v24, v24
	v_add_nc_u32_e32 v25, v25, v25
	;; [unrolled: 1-line block ×3, first 2 shown]
	s_wait_loadcnt_dscnt 0x0
	s_barrier_signal -1
	s_barrier_wait -1
	global_inv scope:SCOPE_SE
	ds_store_b64 v24, v[62:63]
	ds_store_b64 v25, v[60:61]
	;; [unrolled: 1-line block ×3, first 2 shown]
	v_add_nc_u32_e32 v24, v27, v27
	v_add_nc_u32_e32 v25, v28, v28
	;; [unrolled: 1-line block ×5, first 2 shown]
	ds_store_b64 v24, v[56:57]
	ds_store_b64 v25, v[54:55]
	;; [unrolled: 1-line block ×5, first 2 shown]
	v_lshl_add_u32 v32, v45, 5, v89
	s_wait_loadcnt_dscnt 0x0
	s_barrier_signal -1
	s_barrier_wait -1
	v_cmp_lt_i32_e32 vcc_lo, -1, v0
	global_inv scope:SCOPE_SE
	ds_load_b128 v[28:31], v32
	ds_load_b128 v[24:27], v32 offset:16
	ds_load_b128 v[36:39], v32 offset:32
	;; [unrolled: 1-line block ×3, first 2 shown]
	s_wait_alu 0xfffd
	v_cndmask_b32_e64 v41, 0x80000000, -1, vcc_lo
	v_cmp_lt_i32_e32 vcc_lo, -1, v1
	s_delay_alu instid0(VALU_DEP_2) | instskip(SKIP_3) | instid1(VALU_DEP_2)
	v_xor_b32_e32 v0, v41, v0
	s_wait_alu 0xfffd
	v_cndmask_b32_e64 v42, 0x80000000, -1, vcc_lo
	v_cmp_lt_i32_e32 vcc_lo, -1, v2
	v_xor_b32_e32 v1, v42, v1
	s_wait_alu 0xfffd
	v_cndmask_b32_e64 v54, 0x80000000, -1, vcc_lo
	v_cmp_lt_i32_e32 vcc_lo, -1, v3
	s_delay_alu instid0(VALU_DEP_2) | instskip(SKIP_3) | instid1(VALU_DEP_2)
	v_xor_b32_e32 v2, v54, v2
	s_wait_alu 0xfffd
	v_cndmask_b32_e64 v41, 0x80000000, -1, vcc_lo
	v_cmp_lt_i32_e32 vcc_lo, -1, v4
	v_xor_b32_e32 v3, v41, v3
	;; [unrolled: 9-line block ×3, first 2 shown]
	s_wait_alu 0xfffd
	v_cndmask_b32_e64 v55, 0x80000000, -1, vcc_lo
	v_cmp_lt_i32_e32 vcc_lo, -1, v7
	s_delay_alu instid0(VALU_DEP_2) | instskip(SKIP_2) | instid1(VALU_DEP_1)
	v_xor_b32_e32 v6, v55, v6
	s_wait_alu 0xfffd
	v_cndmask_b32_e64 v56, 0x80000000, -1, vcc_lo
	v_xor_b32_e32 v7, v56, v7
	s_branch .LBB212_95
.LBB212_68:
	v_cmp_gt_i32_e32 vcc_lo, 0, v52
	v_or_b32_e32 v7, v93, v94
	s_wait_dscnt 0x2
	v_and_or_b32 v25, 0x1f00, v91, v93
	s_mov_b32 s24, 0
	s_getpc_b64 s[10:11]
	s_wait_alu 0xfffe
	s_sext_i32_i16 s11, s11
	s_add_co_u32 s10, s10, _ZN7rocprim17ROCPRIM_400000_NS16block_radix_sortIfLj128ELj8ElLj1ELj1ELj0ELNS0_26block_radix_rank_algorithmE1ELNS0_18block_padding_hintE2ELNS0_4arch9wavefront6targetE0EE19radix_bits_per_passE@rel32@lo+12
	s_wait_alu 0xfffe
	s_add_co_ci_u32 s11, s11, _ZN7rocprim17ROCPRIM_400000_NS16block_radix_sortIfLj128ELj8ElLj1ELj1ELj0ELNS0_26block_radix_rank_algorithmE1ELNS0_18block_padding_hintE2ELNS0_4arch9wavefront6targetE0EE19radix_bits_per_passE@rel32@hi+24
	s_wait_alu 0xfffd
	v_cndmask_b32_e64 v0, 0x7fffffff, 0, vcc_lo
	v_cmp_gt_i32_e32 vcc_lo, 0, v53
	s_mov_b32 s25, s24
	s_mov_b32 s26, s24
	;; [unrolled: 1-line block ×3, first 2 shown]
	v_xor_b32_e32 v0, v0, v52
	s_wait_alu 0xfffd
	v_cndmask_b32_e64 v1, 0x7fffffff, 0, vcc_lo
	v_cmp_gt_i32_e32 vcc_lo, 0, v50
	v_lshlrev_b32_e32 v26, 5, v7
	s_load_b32 s21, s[10:11], 0x0
	v_cmp_gt_u32_e64 s15, 4, v45
	v_xor_b32_e32 v1, v1, v53
	v_cndmask_b32_e64 v2, 0x7fffffff, 0, vcc_lo
	v_cmp_gt_i32_e32 vcc_lo, 0, v51
	v_cmp_lt_u32_e64 s16, 31, v45
	v_cmp_eq_u32_e64 s17, 0, v45
	v_add_nc_u32_e32 v53, v89, v92
	v_xor_b32_e32 v2, v2, v50
	s_wait_alu 0xfffd
	v_cndmask_b32_e64 v3, 0x7fffffff, 0, vcc_lo
	v_cmp_gt_i32_e32 vcc_lo, 0, v48
	s_mov_b32 s23, 32
	s_delay_alu instid0(VALU_DEP_2) | instskip(SKIP_4) | instid1(VALU_DEP_3)
	v_xor_b32_e32 v3, v3, v51
	s_wait_alu 0xfffd
	v_cndmask_b32_e64 v4, 0x7fffffff, 0, vcc_lo
	v_cmp_gt_i32_e32 vcc_lo, 0, v49
	v_add_nc_u32_e32 v51, -4, v90
	v_xor_b32_e32 v4, v4, v48
	s_wait_alu 0xfffd
	v_cndmask_b32_e64 v5, 0x7fffffff, 0, vcc_lo
	v_cmp_gt_i32_e32 vcc_lo, 0, v46
	v_lshlrev_b32_e32 v48, 2, v25
	s_delay_alu instid0(VALU_DEP_3) | instskip(SKIP_4) | instid1(VALU_DEP_3)
	v_xor_b32_e32 v5, v5, v49
	s_wait_alu 0xfffd
	v_cndmask_b32_e64 v6, 0x7fffffff, 0, vcc_lo
	v_cmp_gt_i32_e32 vcc_lo, 0, v47
	v_add_nc_u32_e32 v49, v48, v48
	v_xor_b32_e32 v6, v6, v46
	s_wait_alu 0xfffd
	v_cndmask_b32_e64 v24, 0x7fffffff, 0, vcc_lo
	s_delay_alu instid0(VALU_DEP_1)
	v_xor_b32_e32 v7, v24, v47
	ds_store_b128 v26, v[0:3]
	ds_store_b128 v26, v[4:7] offset:16
	v_add_nc_u32_e32 v0, v26, v26
	; wave barrier
	s_wait_dscnt 0x3
	ds_load_2addr_b32 v[36:37], v48 offset1:32
	ds_load_2addr_b32 v[38:39], v48 offset0:64 offset1:96
	ds_load_2addr_b32 v[41:42], v48 offset0:128 offset1:160
	;; [unrolled: 1-line block ×3, first 2 shown]
	s_wait_loadcnt_dscnt 0x0
	s_barrier_signal -1
	s_barrier_wait -1
	global_inv scope:SCOPE_SE
	ds_store_b128 v0, v[20:23]
	ds_store_b128 v0, v[16:19] offset:16
	ds_store_b128 v0, v[12:15] offset:32
	;; [unrolled: 1-line block ×3, first 2 shown]
	; wave barrier
	ds_load_2addr_b64 v[4:7], v49 offset1:32
	ds_load_2addr_b64 v[8:11], v49 offset0:64 offset1:96
	ds_load_2addr_b64 v[12:15], v49 offset0:128 offset1:160
	;; [unrolled: 1-line block ×3, first 2 shown]
	s_wait_loadcnt_dscnt 0x0
	s_barrier_signal -1
	s_barrier_wait -1
	global_inv scope:SCOPE_SE
	s_load_b32 s1, s[36:37], 0xc
	v_sub_co_u32 v20, s10, v93, 1
	v_and_b32_e32 v2, 15, v93
	v_and_b32_e32 v3, 16, v93
	s_delay_alu instid0(VALU_DEP_3) | instskip(NEXT) | instid1(VALU_DEP_3)
	v_cmp_gt_i32_e32 vcc_lo, 0, v20
	v_cmp_lt_u32_e64 s11, 3, v2
	v_cmp_lt_u32_e64 s12, 7, v2
	s_delay_alu instid0(VALU_DEP_4)
	v_cmp_eq_u32_e64 s13, 0, v3
	s_wait_kmcnt 0x0
	s_lshr_b32 s9, s1, 16
	s_and_b32 s1, s1, 0xffff
	s_wait_alu 0xfffe
	v_mad_u32_u24 v0, v96, s9, v95
	v_cmp_lt_u32_e64 s9, 1, v2
	s_delay_alu instid0(VALU_DEP_2) | instskip(SKIP_4) | instid1(VALU_DEP_3)
	v_mad_co_u64_u32 v[0:1], null, v0, s1, v[45:46]
	v_min_u32_e32 v1, 0x60, v94
	v_cmp_eq_u32_e64 s1, 0, v2
	s_wait_alu 0xfffd
	v_cndmask_b32_e32 v2, v20, v93, vcc_lo
	v_or_b32_e32 v1, 31, v1
	v_lshrrev_b32_e32 v0, 3, v0
	s_delay_alu instid0(VALU_DEP_3) | instskip(NEXT) | instid1(VALU_DEP_3)
	v_lshlrev_b32_e32 v50, 2, v2
	v_cmp_eq_u32_e64 s14, v45, v1
	v_and_b32_e32 v1, 3, v93
	s_delay_alu instid0(VALU_DEP_4) | instskip(NEXT) | instid1(VALU_DEP_2)
	v_and_b32_e32 v52, 0x1ffffffc, v0
	v_cmp_eq_u32_e64 s18, 0, v1
	v_cmp_lt_u32_e64 s19, 1, v1
	v_dual_mov_b32 v0, s24 :: v_dual_mov_b32 v1, s25
	v_dual_mov_b32 v2, s26 :: v_dual_mov_b32 v3, s27
	s_branch .LBB212_70
.LBB212_69:                             ;   in Loop: Header=BB212_70 Depth=1
	s_wait_alu 0xfffe
	s_and_not1_b32 vcc_lo, exec_lo, s20
	s_wait_alu 0xfffe
	s_cbranch_vccz .LBB212_94
.LBB212_70:                             ; =>This Inner Loop Header: Depth=1
	v_dual_mov_b32 v54, v36 :: v_dual_mov_b32 v55, v47
	s_min_u32 s20, s21, s23
	ds_store_b128 v89, v[0:3] offset:16
	ds_store_b128 v89, v[0:3] offset:32
	s_wait_alu 0xfffe
	s_lshl_b32 s20, -1, s20
	v_cmp_ne_u32_e32 vcc_lo, 0x80000000, v54
	s_wait_alu 0xfffe
	s_not_b32 s25, s20
	s_wait_loadcnt_dscnt 0x0
	s_barrier_signal -1
	s_barrier_wait -1
	s_wait_alu 0xfffd
	v_dual_cndmask_b32 v20, 0x7fffffff, v54 :: v_dual_mov_b32 v57, v42
	global_inv scope:SCOPE_SE
	; wave barrier
	v_lshrrev_b32_e32 v20, s24, v20
	v_mov_b32_e32 v59, v39
	v_dual_mov_b32 v61, v37 :: v_dual_mov_b32 v58, v41
	v_mov_b32_e32 v60, v38
	s_wait_alu 0xfffe
	v_and_b32_e32 v36, s25, v20
	v_dual_mov_b32 v56, v46 :: v_dual_mov_b32 v31, v9
	v_dual_mov_b32 v30, v8 :: v_dual_mov_b32 v33, v7
	s_delay_alu instid0(VALU_DEP_3)
	v_and_b32_e32 v20, 1, v36
	v_lshlrev_b32_e32 v21, 30, v36
	v_lshlrev_b32_e32 v22, 29, v36
	;; [unrolled: 1-line block ×4, first 2 shown]
	v_add_co_u32 v20, s20, v20, -1
	s_wait_alu 0xf1ff
	v_cndmask_b32_e64 v24, 0, 1, s20
	v_not_b32_e32 v28, v21
	v_cmp_gt_i32_e64 s20, 0, v21
	v_not_b32_e32 v21, v22
	v_lshlrev_b32_e32 v26, 26, v36
	v_cmp_ne_u32_e32 vcc_lo, 0, v24
	v_ashrrev_i32_e32 v28, 31, v28
	v_lshlrev_b32_e32 v27, 25, v36
	v_ashrrev_i32_e32 v21, 31, v21
	v_lshlrev_b32_e32 v24, 24, v36
	s_wait_alu 0xfffd
	v_xor_b32_e32 v20, vcc_lo, v20
	v_cmp_gt_i32_e32 vcc_lo, 0, v22
	v_not_b32_e32 v22, v23
	s_wait_alu 0xf1ff
	v_xor_b32_e32 v28, s20, v28
	v_cmp_gt_i32_e64 s20, 0, v23
	v_and_b32_e32 v20, exec_lo, v20
	v_not_b32_e32 v23, v25
	v_ashrrev_i32_e32 v22, 31, v22
	s_wait_alu 0xfffd
	v_xor_b32_e32 v21, vcc_lo, v21
	v_cmp_gt_i32_e32 vcc_lo, 0, v25
	v_and_b32_e32 v20, v20, v28
	v_not_b32_e32 v25, v26
	v_ashrrev_i32_e32 v23, 31, v23
	s_wait_alu 0xf1ff
	v_xor_b32_e32 v22, s20, v22
	v_cmp_gt_i32_e64 s20, 0, v26
	v_and_b32_e32 v20, v20, v21
	v_not_b32_e32 v21, v27
	v_ashrrev_i32_e32 v25, 31, v25
	s_wait_alu 0xfffd
	v_xor_b32_e32 v23, vcc_lo, v23
	v_cmp_gt_i32_e32 vcc_lo, 0, v27
	v_and_b32_e32 v20, v20, v22
	v_ashrrev_i32_e32 v21, 31, v21
	s_wait_alu 0xf1ff
	v_xor_b32_e32 v25, s20, v25
	v_mov_b32_e32 v27, v13
	v_not_b32_e32 v22, v24
	v_dual_mov_b32 v35, v5 :: v_dual_and_b32 v20, v20, v23
	v_cmp_gt_i32_e64 s20, 0, v24
	s_wait_alu 0xfffd
	v_xor_b32_e32 v21, vcc_lo, v21
	v_ashrrev_i32_e32 v22, 31, v22
	v_dual_mov_b32 v25, v15 :: v_dual_and_b32 v20, v20, v25
	v_mov_b32_e32 v26, v12
	v_mov_b32_e32 v34, v4
	s_wait_alu 0xf1ff
	v_xor_b32_e32 v28, s20, v22
	v_dual_mov_b32 v24, v14 :: v_dual_and_b32 v29, v20, v21
	v_dual_mov_b32 v21, v19 :: v_dual_lshlrev_b32 v4, 4, v36
	v_mov_b32_e32 v23, v17
	s_delay_alu instid0(VALU_DEP_3) | instskip(SKIP_3) | instid1(VALU_DEP_4)
	v_dual_mov_b32 v29, v11 :: v_dual_and_b32 v14, v29, v28
	v_mov_b32_e32 v20, v18
	v_mov_b32_e32 v22, v16
	v_dual_mov_b32 v28, v10 :: v_dual_add_nc_u32 v13, v52, v4
	v_mbcnt_lo_u32_b32 v12, v14, 0
	v_cmp_ne_u32_e64 s20, 0, v14
	v_mov_b32_e32 v32, v6
	s_delay_alu instid0(VALU_DEP_3)
	v_cmp_eq_u32_e32 vcc_lo, 0, v12
	s_and_b32 s26, s20, vcc_lo
	s_wait_alu 0xfffe
	s_and_saveexec_b32 s20, s26
; %bb.71:                               ;   in Loop: Header=BB212_70 Depth=1
	v_bcnt_u32_b32 v4, v14, 0
	ds_store_b32 v13, v4 offset:16
; %bb.72:                               ;   in Loop: Header=BB212_70 Depth=1
	s_wait_alu 0xfffe
	s_or_b32 exec_lo, exec_lo, s20
	v_cmp_ne_u32_e32 vcc_lo, 0x80000000, v61
	; wave barrier
	s_wait_alu 0xfffd
	v_cndmask_b32_e32 v4, 0x7fffffff, v61, vcc_lo
	s_delay_alu instid0(VALU_DEP_1) | instskip(NEXT) | instid1(VALU_DEP_1)
	v_lshrrev_b32_e32 v4, s24, v4
	v_and_b32_e32 v4, s25, v4
	s_delay_alu instid0(VALU_DEP_1)
	v_and_b32_e32 v5, 1, v4
	v_lshlrev_b32_e32 v6, 30, v4
	v_lshlrev_b32_e32 v7, 29, v4
	;; [unrolled: 1-line block ×4, first 2 shown]
	v_add_co_u32 v5, s20, v5, -1
	s_wait_alu 0xf1ff
	v_cndmask_b32_e64 v9, 0, 1, s20
	v_not_b32_e32 v15, v6
	v_cmp_gt_i32_e64 s20, 0, v6
	v_not_b32_e32 v6, v7
	v_lshlrev_b32_e32 v11, 26, v4
	v_cmp_ne_u32_e32 vcc_lo, 0, v9
	v_ashrrev_i32_e32 v15, 31, v15
	v_lshlrev_b32_e32 v14, 25, v4
	v_ashrrev_i32_e32 v6, 31, v6
	v_lshlrev_b32_e32 v9, 24, v4
	s_wait_alu 0xfffd
	v_xor_b32_e32 v5, vcc_lo, v5
	v_cmp_gt_i32_e32 vcc_lo, 0, v7
	v_not_b32_e32 v7, v8
	s_wait_alu 0xf1ff
	v_xor_b32_e32 v15, s20, v15
	v_cmp_gt_i32_e64 s20, 0, v8
	v_and_b32_e32 v5, exec_lo, v5
	v_not_b32_e32 v8, v10
	v_ashrrev_i32_e32 v7, 31, v7
	s_wait_alu 0xfffd
	v_xor_b32_e32 v6, vcc_lo, v6
	v_cmp_gt_i32_e32 vcc_lo, 0, v10
	v_and_b32_e32 v5, v5, v15
	v_not_b32_e32 v10, v11
	v_ashrrev_i32_e32 v8, 31, v8
	s_wait_alu 0xf1ff
	v_xor_b32_e32 v7, s20, v7
	v_cmp_gt_i32_e64 s20, 0, v11
	v_and_b32_e32 v5, v5, v6
	v_not_b32_e32 v6, v14
	v_ashrrev_i32_e32 v10, 31, v10
	s_wait_alu 0xfffd
	v_xor_b32_e32 v8, vcc_lo, v8
	v_cmp_gt_i32_e32 vcc_lo, 0, v14
	v_and_b32_e32 v5, v5, v7
	v_not_b32_e32 v7, v9
	v_ashrrev_i32_e32 v6, 31, v6
	s_wait_alu 0xf1ff
	v_xor_b32_e32 v10, s20, v10
	v_lshlrev_b32_e32 v4, 4, v4
	v_and_b32_e32 v5, v5, v8
	v_cmp_gt_i32_e64 s20, 0, v9
	v_ashrrev_i32_e32 v7, 31, v7
	s_wait_alu 0xfffd
	v_xor_b32_e32 v6, vcc_lo, v6
	v_add_nc_u32_e32 v16, v52, v4
	v_and_b32_e32 v5, v5, v10
	s_wait_alu 0xf1ff
	v_xor_b32_e32 v4, s20, v7
	ds_load_b32 v14, v16 offset:16
	v_and_b32_e32 v5, v5, v6
	; wave barrier
	s_delay_alu instid0(VALU_DEP_1) | instskip(NEXT) | instid1(VALU_DEP_1)
	v_and_b32_e32 v4, v5, v4
	v_mbcnt_lo_u32_b32 v15, v4, 0
	v_cmp_ne_u32_e64 s20, 0, v4
	s_delay_alu instid0(VALU_DEP_2)
	v_cmp_eq_u32_e32 vcc_lo, 0, v15
	s_and_b32 s26, s20, vcc_lo
	s_wait_alu 0xfffe
	s_and_saveexec_b32 s20, s26
	s_cbranch_execz .LBB212_74
; %bb.73:                               ;   in Loop: Header=BB212_70 Depth=1
	s_wait_dscnt 0x0
	v_bcnt_u32_b32 v4, v4, v14
	ds_store_b32 v16, v4 offset:16
.LBB212_74:                             ;   in Loop: Header=BB212_70 Depth=1
	s_wait_alu 0xfffe
	s_or_b32 exec_lo, exec_lo, s20
	v_cmp_ne_u32_e32 vcc_lo, 0x80000000, v60
	; wave barrier
	s_wait_alu 0xfffd
	v_cndmask_b32_e32 v4, 0x7fffffff, v60, vcc_lo
	s_delay_alu instid0(VALU_DEP_1) | instskip(NEXT) | instid1(VALU_DEP_1)
	v_lshrrev_b32_e32 v4, s24, v4
	v_and_b32_e32 v4, s25, v4
	s_delay_alu instid0(VALU_DEP_1)
	v_and_b32_e32 v5, 1, v4
	v_lshlrev_b32_e32 v6, 30, v4
	v_lshlrev_b32_e32 v7, 29, v4
	;; [unrolled: 1-line block ×4, first 2 shown]
	v_add_co_u32 v5, s20, v5, -1
	s_wait_alu 0xf1ff
	v_cndmask_b32_e64 v9, 0, 1, s20
	v_not_b32_e32 v18, v6
	v_cmp_gt_i32_e64 s20, 0, v6
	v_not_b32_e32 v6, v7
	v_lshlrev_b32_e32 v11, 26, v4
	v_cmp_ne_u32_e32 vcc_lo, 0, v9
	v_ashrrev_i32_e32 v18, 31, v18
	v_lshlrev_b32_e32 v17, 25, v4
	v_ashrrev_i32_e32 v6, 31, v6
	v_lshlrev_b32_e32 v9, 24, v4
	s_wait_alu 0xfffd
	v_xor_b32_e32 v5, vcc_lo, v5
	v_cmp_gt_i32_e32 vcc_lo, 0, v7
	v_not_b32_e32 v7, v8
	s_wait_alu 0xf1ff
	v_xor_b32_e32 v18, s20, v18
	v_cmp_gt_i32_e64 s20, 0, v8
	v_and_b32_e32 v5, exec_lo, v5
	v_not_b32_e32 v8, v10
	v_ashrrev_i32_e32 v7, 31, v7
	s_wait_alu 0xfffd
	v_xor_b32_e32 v6, vcc_lo, v6
	v_cmp_gt_i32_e32 vcc_lo, 0, v10
	v_and_b32_e32 v5, v5, v18
	v_not_b32_e32 v10, v11
	v_ashrrev_i32_e32 v8, 31, v8
	s_wait_alu 0xf1ff
	v_xor_b32_e32 v7, s20, v7
	v_cmp_gt_i32_e64 s20, 0, v11
	v_and_b32_e32 v5, v5, v6
	v_not_b32_e32 v6, v17
	v_ashrrev_i32_e32 v10, 31, v10
	s_wait_alu 0xfffd
	v_xor_b32_e32 v8, vcc_lo, v8
	v_cmp_gt_i32_e32 vcc_lo, 0, v17
	v_and_b32_e32 v5, v5, v7
	v_not_b32_e32 v7, v9
	v_ashrrev_i32_e32 v6, 31, v6
	s_wait_alu 0xf1ff
	v_xor_b32_e32 v10, s20, v10
	v_lshlrev_b32_e32 v4, 4, v4
	v_and_b32_e32 v5, v5, v8
	v_cmp_gt_i32_e64 s20, 0, v9
	v_ashrrev_i32_e32 v7, 31, v7
	s_wait_alu 0xfffd
	v_xor_b32_e32 v6, vcc_lo, v6
	v_add_nc_u32_e32 v19, v52, v4
	v_and_b32_e32 v5, v5, v10
	s_wait_alu 0xf1ff
	v_xor_b32_e32 v4, s20, v7
	ds_load_b32 v17, v19 offset:16
	v_and_b32_e32 v5, v5, v6
	; wave barrier
	s_delay_alu instid0(VALU_DEP_1) | instskip(NEXT) | instid1(VALU_DEP_1)
	v_and_b32_e32 v4, v5, v4
	v_mbcnt_lo_u32_b32 v18, v4, 0
	v_cmp_ne_u32_e64 s20, 0, v4
	s_delay_alu instid0(VALU_DEP_2)
	v_cmp_eq_u32_e32 vcc_lo, 0, v18
	s_and_b32 s26, s20, vcc_lo
	s_wait_alu 0xfffe
	s_and_saveexec_b32 s20, s26
	s_cbranch_execz .LBB212_76
; %bb.75:                               ;   in Loop: Header=BB212_70 Depth=1
	s_wait_dscnt 0x0
	v_bcnt_u32_b32 v4, v4, v17
	ds_store_b32 v19, v4 offset:16
.LBB212_76:                             ;   in Loop: Header=BB212_70 Depth=1
	s_wait_alu 0xfffe
	s_or_b32 exec_lo, exec_lo, s20
	v_cmp_ne_u32_e32 vcc_lo, 0x80000000, v59
	; wave barrier
	s_wait_alu 0xfffd
	v_cndmask_b32_e32 v4, 0x7fffffff, v59, vcc_lo
	s_delay_alu instid0(VALU_DEP_1) | instskip(NEXT) | instid1(VALU_DEP_1)
	v_lshrrev_b32_e32 v4, s24, v4
	v_and_b32_e32 v4, s25, v4
	s_delay_alu instid0(VALU_DEP_1)
	v_and_b32_e32 v5, 1, v4
	v_lshlrev_b32_e32 v6, 30, v4
	v_lshlrev_b32_e32 v7, 29, v4
	;; [unrolled: 1-line block ×4, first 2 shown]
	v_add_co_u32 v5, s20, v5, -1
	s_wait_alu 0xf1ff
	v_cndmask_b32_e64 v9, 0, 1, s20
	v_not_b32_e32 v37, v6
	v_cmp_gt_i32_e64 s20, 0, v6
	v_not_b32_e32 v6, v7
	v_lshlrev_b32_e32 v11, 26, v4
	v_cmp_ne_u32_e32 vcc_lo, 0, v9
	v_ashrrev_i32_e32 v37, 31, v37
	v_lshlrev_b32_e32 v36, 25, v4
	v_ashrrev_i32_e32 v6, 31, v6
	v_lshlrev_b32_e32 v9, 24, v4
	s_wait_alu 0xfffd
	v_xor_b32_e32 v5, vcc_lo, v5
	v_cmp_gt_i32_e32 vcc_lo, 0, v7
	v_not_b32_e32 v7, v8
	s_wait_alu 0xf1ff
	v_xor_b32_e32 v37, s20, v37
	v_cmp_gt_i32_e64 s20, 0, v8
	v_and_b32_e32 v5, exec_lo, v5
	v_not_b32_e32 v8, v10
	v_ashrrev_i32_e32 v7, 31, v7
	s_wait_alu 0xfffd
	v_xor_b32_e32 v6, vcc_lo, v6
	v_cmp_gt_i32_e32 vcc_lo, 0, v10
	v_and_b32_e32 v5, v5, v37
	v_not_b32_e32 v10, v11
	v_ashrrev_i32_e32 v8, 31, v8
	s_wait_alu 0xf1ff
	v_xor_b32_e32 v7, s20, v7
	v_cmp_gt_i32_e64 s20, 0, v11
	v_and_b32_e32 v5, v5, v6
	v_not_b32_e32 v6, v36
	v_ashrrev_i32_e32 v10, 31, v10
	s_wait_alu 0xfffd
	v_xor_b32_e32 v8, vcc_lo, v8
	v_cmp_gt_i32_e32 vcc_lo, 0, v36
	v_and_b32_e32 v5, v5, v7
	v_not_b32_e32 v7, v9
	v_ashrrev_i32_e32 v6, 31, v6
	s_wait_alu 0xf1ff
	v_xor_b32_e32 v10, s20, v10
	v_lshlrev_b32_e32 v4, 4, v4
	v_and_b32_e32 v5, v5, v8
	v_cmp_gt_i32_e64 s20, 0, v9
	v_ashrrev_i32_e32 v7, 31, v7
	s_wait_alu 0xfffd
	v_xor_b32_e32 v6, vcc_lo, v6
	v_add_nc_u32_e32 v38, v52, v4
	v_and_b32_e32 v5, v5, v10
	s_wait_alu 0xf1ff
	v_xor_b32_e32 v4, s20, v7
	ds_load_b32 v36, v38 offset:16
	v_and_b32_e32 v5, v5, v6
	; wave barrier
	s_delay_alu instid0(VALU_DEP_1) | instskip(NEXT) | instid1(VALU_DEP_1)
	v_and_b32_e32 v4, v5, v4
	v_mbcnt_lo_u32_b32 v37, v4, 0
	v_cmp_ne_u32_e64 s20, 0, v4
	s_delay_alu instid0(VALU_DEP_2)
	v_cmp_eq_u32_e32 vcc_lo, 0, v37
	s_and_b32 s26, s20, vcc_lo
	s_wait_alu 0xfffe
	s_and_saveexec_b32 s20, s26
	s_cbranch_execz .LBB212_78
; %bb.77:                               ;   in Loop: Header=BB212_70 Depth=1
	s_wait_dscnt 0x0
	v_bcnt_u32_b32 v4, v4, v36
	ds_store_b32 v38, v4 offset:16
.LBB212_78:                             ;   in Loop: Header=BB212_70 Depth=1
	s_wait_alu 0xfffe
	s_or_b32 exec_lo, exec_lo, s20
	v_cmp_ne_u32_e32 vcc_lo, 0x80000000, v58
	; wave barrier
	s_wait_alu 0xfffd
	v_cndmask_b32_e32 v4, 0x7fffffff, v58, vcc_lo
	s_delay_alu instid0(VALU_DEP_1) | instskip(NEXT) | instid1(VALU_DEP_1)
	v_lshrrev_b32_e32 v4, s24, v4
	v_and_b32_e32 v4, s25, v4
	s_delay_alu instid0(VALU_DEP_1)
	v_and_b32_e32 v5, 1, v4
	v_lshlrev_b32_e32 v6, 30, v4
	v_lshlrev_b32_e32 v7, 29, v4
	;; [unrolled: 1-line block ×4, first 2 shown]
	v_add_co_u32 v5, s20, v5, -1
	s_wait_alu 0xf1ff
	v_cndmask_b32_e64 v9, 0, 1, s20
	v_not_b32_e32 v41, v6
	v_cmp_gt_i32_e64 s20, 0, v6
	v_not_b32_e32 v6, v7
	v_lshlrev_b32_e32 v11, 26, v4
	v_cmp_ne_u32_e32 vcc_lo, 0, v9
	v_ashrrev_i32_e32 v41, 31, v41
	v_lshlrev_b32_e32 v39, 25, v4
	v_ashrrev_i32_e32 v6, 31, v6
	v_lshlrev_b32_e32 v9, 24, v4
	s_wait_alu 0xfffd
	v_xor_b32_e32 v5, vcc_lo, v5
	v_cmp_gt_i32_e32 vcc_lo, 0, v7
	v_not_b32_e32 v7, v8
	s_wait_alu 0xf1ff
	v_xor_b32_e32 v41, s20, v41
	v_cmp_gt_i32_e64 s20, 0, v8
	v_and_b32_e32 v5, exec_lo, v5
	v_not_b32_e32 v8, v10
	v_ashrrev_i32_e32 v7, 31, v7
	s_wait_alu 0xfffd
	v_xor_b32_e32 v6, vcc_lo, v6
	v_cmp_gt_i32_e32 vcc_lo, 0, v10
	v_and_b32_e32 v5, v5, v41
	v_not_b32_e32 v10, v11
	v_ashrrev_i32_e32 v8, 31, v8
	s_wait_alu 0xf1ff
	v_xor_b32_e32 v7, s20, v7
	v_cmp_gt_i32_e64 s20, 0, v11
	v_and_b32_e32 v5, v5, v6
	v_not_b32_e32 v6, v39
	v_ashrrev_i32_e32 v10, 31, v10
	s_wait_alu 0xfffd
	v_xor_b32_e32 v8, vcc_lo, v8
	v_cmp_gt_i32_e32 vcc_lo, 0, v39
	v_and_b32_e32 v5, v5, v7
	v_not_b32_e32 v7, v9
	v_ashrrev_i32_e32 v6, 31, v6
	s_wait_alu 0xf1ff
	v_xor_b32_e32 v10, s20, v10
	v_lshlrev_b32_e32 v4, 4, v4
	v_and_b32_e32 v5, v5, v8
	v_cmp_gt_i32_e64 s20, 0, v9
	v_ashrrev_i32_e32 v7, 31, v7
	s_wait_alu 0xfffd
	v_xor_b32_e32 v6, vcc_lo, v6
	v_add_nc_u32_e32 v42, v52, v4
	v_and_b32_e32 v5, v5, v10
	s_wait_alu 0xf1ff
	v_xor_b32_e32 v4, s20, v7
	ds_load_b32 v39, v42 offset:16
	v_and_b32_e32 v5, v5, v6
	; wave barrier
	s_delay_alu instid0(VALU_DEP_1) | instskip(NEXT) | instid1(VALU_DEP_1)
	v_and_b32_e32 v4, v5, v4
	v_mbcnt_lo_u32_b32 v41, v4, 0
	v_cmp_ne_u32_e64 s20, 0, v4
	s_delay_alu instid0(VALU_DEP_2)
	v_cmp_eq_u32_e32 vcc_lo, 0, v41
	s_and_b32 s26, s20, vcc_lo
	s_wait_alu 0xfffe
	s_and_saveexec_b32 s20, s26
	s_cbranch_execz .LBB212_80
; %bb.79:                               ;   in Loop: Header=BB212_70 Depth=1
	s_wait_dscnt 0x0
	v_bcnt_u32_b32 v4, v4, v39
	ds_store_b32 v42, v4 offset:16
.LBB212_80:                             ;   in Loop: Header=BB212_70 Depth=1
	s_wait_alu 0xfffe
	s_or_b32 exec_lo, exec_lo, s20
	v_cmp_ne_u32_e32 vcc_lo, 0x80000000, v57
	; wave barrier
	s_wait_alu 0xfffd
	v_cndmask_b32_e32 v4, 0x7fffffff, v57, vcc_lo
	s_delay_alu instid0(VALU_DEP_1) | instskip(NEXT) | instid1(VALU_DEP_1)
	v_lshrrev_b32_e32 v4, s24, v4
	v_and_b32_e32 v4, s25, v4
	s_delay_alu instid0(VALU_DEP_1)
	v_and_b32_e32 v5, 1, v4
	v_lshlrev_b32_e32 v6, 30, v4
	v_lshlrev_b32_e32 v7, 29, v4
	;; [unrolled: 1-line block ×4, first 2 shown]
	v_add_co_u32 v5, s20, v5, -1
	s_wait_alu 0xf1ff
	v_cndmask_b32_e64 v9, 0, 1, s20
	v_not_b32_e32 v47, v6
	v_cmp_gt_i32_e64 s20, 0, v6
	v_not_b32_e32 v6, v7
	v_lshlrev_b32_e32 v11, 26, v4
	v_cmp_ne_u32_e32 vcc_lo, 0, v9
	v_ashrrev_i32_e32 v47, 31, v47
	v_lshlrev_b32_e32 v46, 25, v4
	v_ashrrev_i32_e32 v6, 31, v6
	v_lshlrev_b32_e32 v9, 24, v4
	s_wait_alu 0xfffd
	v_xor_b32_e32 v5, vcc_lo, v5
	v_cmp_gt_i32_e32 vcc_lo, 0, v7
	v_not_b32_e32 v7, v8
	s_wait_alu 0xf1ff
	v_xor_b32_e32 v47, s20, v47
	v_cmp_gt_i32_e64 s20, 0, v8
	v_and_b32_e32 v5, exec_lo, v5
	v_not_b32_e32 v8, v10
	v_ashrrev_i32_e32 v7, 31, v7
	s_wait_alu 0xfffd
	v_xor_b32_e32 v6, vcc_lo, v6
	v_cmp_gt_i32_e32 vcc_lo, 0, v10
	v_and_b32_e32 v5, v5, v47
	v_not_b32_e32 v10, v11
	v_ashrrev_i32_e32 v8, 31, v8
	s_wait_alu 0xf1ff
	v_xor_b32_e32 v7, s20, v7
	v_cmp_gt_i32_e64 s20, 0, v11
	v_and_b32_e32 v5, v5, v6
	v_not_b32_e32 v6, v46
	v_ashrrev_i32_e32 v10, 31, v10
	s_wait_alu 0xfffd
	v_xor_b32_e32 v8, vcc_lo, v8
	v_cmp_gt_i32_e32 vcc_lo, 0, v46
	v_and_b32_e32 v5, v5, v7
	v_not_b32_e32 v7, v9
	v_ashrrev_i32_e32 v6, 31, v6
	s_wait_alu 0xf1ff
	v_xor_b32_e32 v10, s20, v10
	v_lshlrev_b32_e32 v4, 4, v4
	v_and_b32_e32 v5, v5, v8
	v_cmp_gt_i32_e64 s20, 0, v9
	v_ashrrev_i32_e32 v7, 31, v7
	s_wait_alu 0xfffd
	v_xor_b32_e32 v6, vcc_lo, v6
	v_add_nc_u32_e32 v47, v52, v4
	v_and_b32_e32 v5, v5, v10
	s_wait_alu 0xf1ff
	v_xor_b32_e32 v4, s20, v7
	ds_load_b32 v46, v47 offset:16
	v_and_b32_e32 v5, v5, v6
	; wave barrier
	s_delay_alu instid0(VALU_DEP_1) | instskip(NEXT) | instid1(VALU_DEP_1)
	v_and_b32_e32 v4, v5, v4
	v_mbcnt_lo_u32_b32 v62, v4, 0
	v_cmp_ne_u32_e64 s20, 0, v4
	s_delay_alu instid0(VALU_DEP_2)
	v_cmp_eq_u32_e32 vcc_lo, 0, v62
	s_and_b32 s26, s20, vcc_lo
	s_wait_alu 0xfffe
	s_and_saveexec_b32 s20, s26
	s_cbranch_execz .LBB212_82
; %bb.81:                               ;   in Loop: Header=BB212_70 Depth=1
	s_wait_dscnt 0x0
	v_bcnt_u32_b32 v4, v4, v46
	ds_store_b32 v47, v4 offset:16
.LBB212_82:                             ;   in Loop: Header=BB212_70 Depth=1
	s_wait_alu 0xfffe
	s_or_b32 exec_lo, exec_lo, s20
	v_cmp_ne_u32_e32 vcc_lo, 0x80000000, v56
	; wave barrier
	s_wait_alu 0xfffd
	v_cndmask_b32_e32 v4, 0x7fffffff, v56, vcc_lo
	s_delay_alu instid0(VALU_DEP_1) | instskip(NEXT) | instid1(VALU_DEP_1)
	v_lshrrev_b32_e32 v4, s24, v4
	v_and_b32_e32 v4, s25, v4
	s_delay_alu instid0(VALU_DEP_1)
	v_and_b32_e32 v5, 1, v4
	v_lshlrev_b32_e32 v6, 30, v4
	v_lshlrev_b32_e32 v7, 29, v4
	;; [unrolled: 1-line block ×4, first 2 shown]
	v_add_co_u32 v5, s20, v5, -1
	s_wait_alu 0xf1ff
	v_cndmask_b32_e64 v9, 0, 1, s20
	v_not_b32_e32 v64, v6
	v_cmp_gt_i32_e64 s20, 0, v6
	v_not_b32_e32 v6, v7
	v_lshlrev_b32_e32 v11, 26, v4
	v_cmp_ne_u32_e32 vcc_lo, 0, v9
	v_ashrrev_i32_e32 v64, 31, v64
	v_lshlrev_b32_e32 v63, 25, v4
	v_ashrrev_i32_e32 v6, 31, v6
	v_lshlrev_b32_e32 v9, 24, v4
	s_wait_alu 0xfffd
	v_xor_b32_e32 v5, vcc_lo, v5
	v_cmp_gt_i32_e32 vcc_lo, 0, v7
	v_not_b32_e32 v7, v8
	s_wait_alu 0xf1ff
	v_xor_b32_e32 v64, s20, v64
	v_cmp_gt_i32_e64 s20, 0, v8
	v_and_b32_e32 v5, exec_lo, v5
	v_not_b32_e32 v8, v10
	v_ashrrev_i32_e32 v7, 31, v7
	s_wait_alu 0xfffd
	v_xor_b32_e32 v6, vcc_lo, v6
	v_cmp_gt_i32_e32 vcc_lo, 0, v10
	v_and_b32_e32 v5, v5, v64
	v_not_b32_e32 v10, v11
	v_ashrrev_i32_e32 v8, 31, v8
	s_wait_alu 0xf1ff
	v_xor_b32_e32 v7, s20, v7
	v_cmp_gt_i32_e64 s20, 0, v11
	v_and_b32_e32 v5, v5, v6
	v_not_b32_e32 v6, v63
	v_ashrrev_i32_e32 v10, 31, v10
	s_wait_alu 0xfffd
	v_xor_b32_e32 v8, vcc_lo, v8
	v_cmp_gt_i32_e32 vcc_lo, 0, v63
	v_and_b32_e32 v5, v5, v7
	v_not_b32_e32 v7, v9
	v_ashrrev_i32_e32 v6, 31, v6
	s_wait_alu 0xf1ff
	v_xor_b32_e32 v10, s20, v10
	v_lshlrev_b32_e32 v4, 4, v4
	v_and_b32_e32 v5, v5, v8
	v_cmp_gt_i32_e64 s20, 0, v9
	v_ashrrev_i32_e32 v7, 31, v7
	s_wait_alu 0xfffd
	v_xor_b32_e32 v6, vcc_lo, v6
	v_add_nc_u32_e32 v64, v52, v4
	v_and_b32_e32 v5, v5, v10
	s_wait_alu 0xf1ff
	v_xor_b32_e32 v4, s20, v7
	ds_load_b32 v63, v64 offset:16
	v_and_b32_e32 v5, v5, v6
	; wave barrier
	s_delay_alu instid0(VALU_DEP_1) | instskip(NEXT) | instid1(VALU_DEP_1)
	v_and_b32_e32 v4, v5, v4
	v_mbcnt_lo_u32_b32 v65, v4, 0
	v_cmp_ne_u32_e64 s20, 0, v4
	s_delay_alu instid0(VALU_DEP_2)
	v_cmp_eq_u32_e32 vcc_lo, 0, v65
	s_and_b32 s26, s20, vcc_lo
	s_wait_alu 0xfffe
	s_and_saveexec_b32 s20, s26
	s_cbranch_execz .LBB212_84
; %bb.83:                               ;   in Loop: Header=BB212_70 Depth=1
	s_wait_dscnt 0x0
	v_bcnt_u32_b32 v4, v4, v63
	ds_store_b32 v64, v4 offset:16
.LBB212_84:                             ;   in Loop: Header=BB212_70 Depth=1
	s_wait_alu 0xfffe
	s_or_b32 exec_lo, exec_lo, s20
	v_cmp_ne_u32_e32 vcc_lo, 0x80000000, v55
	; wave barrier
	s_wait_alu 0xfffd
	v_cndmask_b32_e32 v4, 0x7fffffff, v55, vcc_lo
	s_delay_alu instid0(VALU_DEP_1) | instskip(NEXT) | instid1(VALU_DEP_1)
	v_lshrrev_b32_e32 v4, s24, v4
	v_and_b32_e32 v4, s25, v4
	s_delay_alu instid0(VALU_DEP_1)
	v_and_b32_e32 v5, 1, v4
	v_lshlrev_b32_e32 v6, 30, v4
	v_lshlrev_b32_e32 v7, 29, v4
	;; [unrolled: 1-line block ×4, first 2 shown]
	v_add_co_u32 v5, s20, v5, -1
	s_wait_alu 0xf1ff
	v_cndmask_b32_e64 v9, 0, 1, s20
	v_not_b32_e32 v67, v6
	v_cmp_gt_i32_e64 s20, 0, v6
	v_not_b32_e32 v6, v7
	v_lshlrev_b32_e32 v11, 26, v4
	v_cmp_ne_u32_e32 vcc_lo, 0, v9
	v_ashrrev_i32_e32 v67, 31, v67
	v_lshlrev_b32_e32 v66, 25, v4
	v_ashrrev_i32_e32 v6, 31, v6
	v_lshlrev_b32_e32 v9, 24, v4
	s_wait_alu 0xfffd
	v_xor_b32_e32 v5, vcc_lo, v5
	v_cmp_gt_i32_e32 vcc_lo, 0, v7
	v_not_b32_e32 v7, v8
	s_wait_alu 0xf1ff
	v_xor_b32_e32 v67, s20, v67
	v_cmp_gt_i32_e64 s20, 0, v8
	v_and_b32_e32 v5, exec_lo, v5
	v_not_b32_e32 v8, v10
	v_ashrrev_i32_e32 v7, 31, v7
	s_wait_alu 0xfffd
	v_xor_b32_e32 v6, vcc_lo, v6
	v_cmp_gt_i32_e32 vcc_lo, 0, v10
	v_and_b32_e32 v5, v5, v67
	v_not_b32_e32 v10, v11
	v_ashrrev_i32_e32 v8, 31, v8
	s_wait_alu 0xf1ff
	v_xor_b32_e32 v7, s20, v7
	v_cmp_gt_i32_e64 s20, 0, v11
	v_and_b32_e32 v5, v5, v6
	v_not_b32_e32 v6, v66
	v_ashrrev_i32_e32 v10, 31, v10
	s_wait_alu 0xfffd
	v_xor_b32_e32 v8, vcc_lo, v8
	v_cmp_gt_i32_e32 vcc_lo, 0, v66
	v_and_b32_e32 v5, v5, v7
	v_not_b32_e32 v7, v9
	v_ashrrev_i32_e32 v6, 31, v6
	s_wait_alu 0xf1ff
	v_xor_b32_e32 v10, s20, v10
	v_lshlrev_b32_e32 v4, 4, v4
	v_and_b32_e32 v5, v5, v8
	v_cmp_gt_i32_e64 s20, 0, v9
	v_ashrrev_i32_e32 v7, 31, v7
	s_wait_alu 0xfffd
	v_xor_b32_e32 v6, vcc_lo, v6
	v_add_nc_u32_e32 v66, v52, v4
	v_and_b32_e32 v5, v5, v10
	s_wait_alu 0xf1ff
	v_xor_b32_e32 v4, s20, v7
	ds_load_b32 v71, v66 offset:16
	v_and_b32_e32 v5, v5, v6
	; wave barrier
	s_delay_alu instid0(VALU_DEP_1) | instskip(NEXT) | instid1(VALU_DEP_1)
	v_and_b32_e32 v4, v5, v4
	v_mbcnt_lo_u32_b32 v91, v4, 0
	v_cmp_ne_u32_e64 s20, 0, v4
	s_delay_alu instid0(VALU_DEP_2)
	v_cmp_eq_u32_e32 vcc_lo, 0, v91
	s_and_b32 s25, s20, vcc_lo
	s_wait_alu 0xfffe
	s_and_saveexec_b32 s20, s25
	s_cbranch_execz .LBB212_86
; %bb.85:                               ;   in Loop: Header=BB212_70 Depth=1
	s_wait_dscnt 0x0
	v_bcnt_u32_b32 v4, v4, v71
	ds_store_b32 v66, v4 offset:16
.LBB212_86:                             ;   in Loop: Header=BB212_70 Depth=1
	s_wait_alu 0xfffe
	s_or_b32 exec_lo, exec_lo, s20
	; wave barrier
	s_wait_loadcnt_dscnt 0x0
	s_barrier_signal -1
	s_barrier_wait -1
	global_inv scope:SCOPE_SE
	ds_load_b128 v[8:11], v89 offset:16
	ds_load_b128 v[4:7], v89 offset:32
	s_wait_dscnt 0x1
	v_add_nc_u32_e32 v67, v9, v8
	s_delay_alu instid0(VALU_DEP_1) | instskip(SKIP_1) | instid1(VALU_DEP_1)
	v_add3_u32 v67, v67, v10, v11
	s_wait_dscnt 0x0
	v_add3_u32 v67, v67, v4, v5
	s_delay_alu instid0(VALU_DEP_1) | instskip(NEXT) | instid1(VALU_DEP_1)
	v_add3_u32 v7, v67, v6, v7
	v_mov_b32_dpp v67, v7 row_shr:1 row_mask:0xf bank_mask:0xf
	s_delay_alu instid0(VALU_DEP_1) | instskip(NEXT) | instid1(VALU_DEP_1)
	v_cndmask_b32_e64 v67, v67, 0, s1
	v_add_nc_u32_e32 v7, v67, v7
	s_delay_alu instid0(VALU_DEP_1) | instskip(NEXT) | instid1(VALU_DEP_1)
	v_mov_b32_dpp v67, v7 row_shr:2 row_mask:0xf bank_mask:0xf
	v_cndmask_b32_e64 v67, 0, v67, s9
	s_delay_alu instid0(VALU_DEP_1) | instskip(NEXT) | instid1(VALU_DEP_1)
	v_add_nc_u32_e32 v7, v7, v67
	v_mov_b32_dpp v67, v7 row_shr:4 row_mask:0xf bank_mask:0xf
	s_delay_alu instid0(VALU_DEP_1) | instskip(NEXT) | instid1(VALU_DEP_1)
	v_cndmask_b32_e64 v67, 0, v67, s11
	v_add_nc_u32_e32 v7, v7, v67
	s_delay_alu instid0(VALU_DEP_1) | instskip(NEXT) | instid1(VALU_DEP_1)
	v_mov_b32_dpp v67, v7 row_shr:8 row_mask:0xf bank_mask:0xf
	v_cndmask_b32_e64 v67, 0, v67, s12
	s_delay_alu instid0(VALU_DEP_1) | instskip(SKIP_3) | instid1(VALU_DEP_1)
	v_add_nc_u32_e32 v7, v7, v67
	ds_swizzle_b32 v67, v7 offset:swizzle(BROADCAST,32,15)
	s_wait_dscnt 0x0
	v_cndmask_b32_e64 v67, v67, 0, s13
	v_add_nc_u32_e32 v7, v7, v67
	s_and_saveexec_b32 s20, s14
; %bb.87:                               ;   in Loop: Header=BB212_70 Depth=1
	ds_store_b32 v90, v7
; %bb.88:                               ;   in Loop: Header=BB212_70 Depth=1
	s_wait_alu 0xfffe
	s_or_b32 exec_lo, exec_lo, s20
	s_wait_loadcnt_dscnt 0x0
	s_barrier_signal -1
	s_barrier_wait -1
	global_inv scope:SCOPE_SE
	s_and_saveexec_b32 s20, s15
	s_cbranch_execz .LBB212_90
; %bb.89:                               ;   in Loop: Header=BB212_70 Depth=1
	ds_load_b32 v67, v53
	s_wait_dscnt 0x0
	v_mov_b32_dpp v68, v67 row_shr:1 row_mask:0xf bank_mask:0xf
	s_delay_alu instid0(VALU_DEP_1) | instskip(NEXT) | instid1(VALU_DEP_1)
	v_cndmask_b32_e64 v68, v68, 0, s18
	v_add_nc_u32_e32 v67, v68, v67
	s_delay_alu instid0(VALU_DEP_1) | instskip(NEXT) | instid1(VALU_DEP_1)
	v_mov_b32_dpp v68, v67 row_shr:2 row_mask:0xf bank_mask:0xf
	v_cndmask_b32_e64 v68, 0, v68, s19
	s_delay_alu instid0(VALU_DEP_1)
	v_add_nc_u32_e32 v67, v67, v68
	ds_store_b32 v53, v67
.LBB212_90:                             ;   in Loop: Header=BB212_70 Depth=1
	s_wait_alu 0xfffe
	s_or_b32 exec_lo, exec_lo, s20
	v_mov_b32_e32 v67, 0
	s_wait_loadcnt_dscnt 0x0
	s_barrier_signal -1
	s_barrier_wait -1
	global_inv scope:SCOPE_SE
	s_and_saveexec_b32 s20, s16
; %bb.91:                               ;   in Loop: Header=BB212_70 Depth=1
	ds_load_b32 v67, v51
; %bb.92:                               ;   in Loop: Header=BB212_70 Depth=1
	s_wait_alu 0xfffe
	s_or_b32 exec_lo, exec_lo, s20
	s_wait_dscnt 0x0
	v_add_nc_u32_e32 v7, v67, v7
	s_cmp_gt_u32 s24, 23
	s_mov_b32 s20, -1
	ds_bpermute_b32 v7, v50, v7
	s_wait_dscnt 0x0
	v_cndmask_b32_e64 v7, v7, v67, s10
	s_delay_alu instid0(VALU_DEP_1) | instskip(NEXT) | instid1(VALU_DEP_1)
	v_cndmask_b32_e64 v7, v7, 0, s17
	v_add_nc_u32_e32 v8, v7, v8
	s_delay_alu instid0(VALU_DEP_1) | instskip(NEXT) | instid1(VALU_DEP_1)
	v_add_nc_u32_e32 v9, v8, v9
	v_add_nc_u32_e32 v10, v9, v10
	s_delay_alu instid0(VALU_DEP_1) | instskip(NEXT) | instid1(VALU_DEP_1)
	v_add_nc_u32_e32 v67, v10, v11
	;; [unrolled: 3-line block ×3, first 2 shown]
	v_add_nc_u32_e32 v70, v69, v6
	ds_store_b128 v89, v[7:10] offset:16
	ds_store_b128 v89, v[67:70] offset:32
	s_wait_loadcnt_dscnt 0x0
	s_barrier_signal -1
	s_barrier_wait -1
	global_inv scope:SCOPE_SE
	ds_load_b32 v4, v13 offset:16
	ds_load_b32 v5, v16 offset:16
	;; [unrolled: 1-line block ×8, first 2 shown]
	s_wait_dscnt 0x7
	v_add_nc_u32_e32 v70, v4, v12
	s_wait_dscnt 0x6
	v_add3_u32 v69, v15, v14, v5
	s_wait_dscnt 0x5
	v_add3_u32 v68, v18, v17, v6
	;; [unrolled: 2-line block ×7, first 2 shown]
                                        ; implicit-def: $vgpr47
                                        ; implicit-def: $vgpr42
                                        ; implicit-def: $vgpr39
                                        ; implicit-def: $vgpr37
                                        ; implicit-def: $vgpr18_vgpr19
                                        ; implicit-def: $vgpr14_vgpr15
                                        ; implicit-def: $vgpr10_vgpr11
                                        ; implicit-def: $vgpr6_vgpr7
	s_cbranch_scc1 .LBB212_69
; %bb.93:                               ;   in Loop: Header=BB212_70 Depth=1
	v_lshlrev_b32_e32 v4, 2, v70
	v_lshlrev_b32_e32 v5, 2, v69
	;; [unrolled: 1-line block ×3, first 2 shown]
	s_wait_loadcnt 0x0
	s_barrier_signal -1
	s_barrier_wait -1
	global_inv scope:SCOPE_SE
	ds_store_b32 v4, v54
	ds_store_b32 v5, v61
	ds_store_b32 v6, v60
	v_lshlrev_b32_e32 v7, 2, v67
	v_add_nc_u32_e32 v4, v4, v4
	v_lshlrev_b32_e32 v8, 2, v66
	v_add_nc_u32_e32 v5, v5, v5
	;; [unrolled: 2-line block ×3, first 2 shown]
	v_lshlrev_b32_e32 v10, 2, v63
	v_lshlrev_b32_e32 v11, 2, v62
	ds_store_b32 v7, v59
	ds_store_b32 v8, v58
	;; [unrolled: 1-line block ×5, first 2 shown]
	s_wait_loadcnt_dscnt 0x0
	s_barrier_signal -1
	s_barrier_wait -1
	global_inv scope:SCOPE_SE
	ds_load_2addr_b32 v[36:37], v48 offset1:32
	ds_load_2addr_b32 v[38:39], v48 offset0:64 offset1:96
	ds_load_2addr_b32 v[41:42], v48 offset0:128 offset1:160
	;; [unrolled: 1-line block ×3, first 2 shown]
	s_wait_loadcnt_dscnt 0x0
	s_barrier_signal -1
	s_barrier_wait -1
	global_inv scope:SCOPE_SE
	ds_store_b64 v4, v[34:35]
	ds_store_b64 v5, v[32:33]
	;; [unrolled: 1-line block ×3, first 2 shown]
	v_add_nc_u32_e32 v4, v7, v7
	v_add_nc_u32_e32 v5, v8, v8
	;; [unrolled: 1-line block ×5, first 2 shown]
	ds_store_b64 v4, v[28:29]
	ds_store_b64 v5, v[26:27]
	;; [unrolled: 1-line block ×5, first 2 shown]
	s_wait_loadcnt_dscnt 0x0
	s_barrier_signal -1
	s_barrier_wait -1
	global_inv scope:SCOPE_SE
	ds_load_2addr_b64 v[4:7], v49 offset1:32
	ds_load_2addr_b64 v[8:11], v49 offset0:64 offset1:96
	ds_load_2addr_b64 v[12:15], v49 offset0:128 offset1:160
	;; [unrolled: 1-line block ×3, first 2 shown]
	s_add_co_i32 s24, s24, 8
	s_add_co_i32 s23, s23, -8
	s_mov_b32 s20, 0
	s_wait_loadcnt_dscnt 0x0
	s_barrier_signal -1
	s_barrier_wait -1
	global_inv scope:SCOPE_SE
	s_branch .LBB212_69
.LBB212_94:
	v_lshlrev_b32_e32 v8, 2, v70
	v_lshlrev_b32_e32 v11, 2, v67
	;; [unrolled: 1-line block ×8, first 2 shown]
	s_wait_loadcnt 0x0
	s_barrier_signal -1
	s_barrier_wait -1
	global_inv scope:SCOPE_SE
	ds_store_b32 v8, v54
	ds_store_b32 v9, v61
	;; [unrolled: 1-line block ×8, first 2 shown]
	s_wait_loadcnt_dscnt 0x0
	s_barrier_signal -1
	s_barrier_wait -1
	global_inv scope:SCOPE_SE
	ds_load_b128 v[0:3], v89
	ds_load_b128 v[4:7], v89 offset:16
	v_add_nc_u32_e32 v8, v8, v8
	v_add_nc_u32_e32 v9, v9, v9
	;; [unrolled: 1-line block ×3, first 2 shown]
	s_wait_loadcnt_dscnt 0x0
	s_barrier_signal -1
	s_barrier_wait -1
	global_inv scope:SCOPE_SE
	ds_store_b64 v8, v[34:35]
	ds_store_b64 v9, v[32:33]
	;; [unrolled: 1-line block ×3, first 2 shown]
	v_add_nc_u32_e32 v8, v11, v11
	v_add_nc_u32_e32 v9, v12, v12
	;; [unrolled: 1-line block ×5, first 2 shown]
	ds_store_b64 v8, v[28:29]
	ds_store_b64 v9, v[26:27]
	;; [unrolled: 1-line block ×5, first 2 shown]
	v_lshl_add_u32 v8, v45, 5, v89
	s_wait_loadcnt_dscnt 0x0
	s_barrier_signal -1
	s_barrier_wait -1
	v_cmp_gt_i32_e32 vcc_lo, 0, v0
	global_inv scope:SCOPE_SE
	ds_load_b128 v[28:31], v8
	ds_load_b128 v[24:27], v8 offset:16
	ds_load_b128 v[36:39], v8 offset:32
	;; [unrolled: 1-line block ×3, first 2 shown]
	s_wait_alu 0xfffd
	v_cndmask_b32_e64 v9, 0x7fffffff, 0, vcc_lo
	v_cmp_gt_i32_e32 vcc_lo, 0, v1
	s_delay_alu instid0(VALU_DEP_2) | instskip(SKIP_3) | instid1(VALU_DEP_2)
	v_xor_b32_e32 v0, v9, v0
	s_wait_alu 0xfffd
	v_cndmask_b32_e64 v10, 0x7fffffff, 0, vcc_lo
	v_cmp_gt_i32_e32 vcc_lo, 0, v2
	v_xor_b32_e32 v1, v10, v1
	s_wait_alu 0xfffd
	v_cndmask_b32_e64 v11, 0x7fffffff, 0, vcc_lo
	v_cmp_gt_i32_e32 vcc_lo, 0, v3
	s_delay_alu instid0(VALU_DEP_2) | instskip(SKIP_3) | instid1(VALU_DEP_2)
	v_xor_b32_e32 v2, v11, v2
	s_wait_alu 0xfffd
	v_cndmask_b32_e64 v8, 0x7fffffff, 0, vcc_lo
	v_cmp_gt_i32_e32 vcc_lo, 0, v4
	v_xor_b32_e32 v3, v8, v3
	;; [unrolled: 9-line block ×3, first 2 shown]
	s_wait_alu 0xfffd
	v_cndmask_b32_e64 v11, 0x7fffffff, 0, vcc_lo
	v_cmp_gt_i32_e32 vcc_lo, 0, v7
	s_delay_alu instid0(VALU_DEP_2) | instskip(SKIP_2) | instid1(VALU_DEP_1)
	v_xor_b32_e32 v6, v11, v6
	s_wait_alu 0xfffd
	v_cndmask_b32_e64 v12, 0x7fffffff, 0, vcc_lo
	v_xor_b32_e32 v7, v12, v7
.LBB212_95:
	s_wait_loadcnt_dscnt 0x0
	s_barrier_signal -1
	s_barrier_wait -1
	global_inv scope:SCOPE_SE
	ds_store_2addr_b32 v79, v0, v1 offset1:1
	ds_store_2addr_b32 v79, v2, v3 offset0:2 offset1:3
	ds_store_2addr_b32 v79, v4, v5 offset0:4 offset1:5
	ds_store_2addr_b32 v79, v6, v7 offset0:6 offset1:7
	s_wait_loadcnt_dscnt 0x0
	s_barrier_signal -1
	s_barrier_wait -1
	global_inv scope:SCOPE_SE
	ds_load_b32 v8, v44 offset:512
	ds_load_b32 v7, v73 offset:1024
	ds_load_b32 v6, v74 offset:1536
	ds_load_b32 v5, v75 offset:2048
	ds_load_b32 v4, v76 offset:2560
	ds_load_b32 v3, v77 offset:3072
	ds_load_b32 v2, v78 offset:3584
	v_mov_b32_e32 v44, 0
	s_delay_alu instid0(VALU_DEP_1) | instskip(NEXT) | instid1(VALU_DEP_1)
	v_lshlrev_b64_e32 v[0:1], 2, v[43:44]
	v_add_co_u32 v0, vcc_lo, s30, v0
	s_wait_alu 0xfffd
	s_delay_alu instid0(VALU_DEP_2)
	v_add_co_ci_u32_e64 v1, null, s31, v1, vcc_lo
	s_and_saveexec_b32 s1, s2
	s_cbranch_execnz .LBB212_114
; %bb.96:
	s_wait_alu 0xfffe
	s_or_b32 exec_lo, exec_lo, s1
	s_and_saveexec_b32 s1, s3
	s_cbranch_execnz .LBB212_115
.LBB212_97:
	s_wait_alu 0xfffe
	s_or_b32 exec_lo, exec_lo, s1
	s_and_saveexec_b32 s1, s4
	s_cbranch_execnz .LBB212_116
.LBB212_98:
	s_wait_alu 0xfffe
	s_or_b32 exec_lo, exec_lo, s1
	s_and_saveexec_b32 s1, s5
	s_cbranch_execnz .LBB212_117
.LBB212_99:
	s_wait_alu 0xfffe
	s_or_b32 exec_lo, exec_lo, s1
	s_and_saveexec_b32 s1, s6
	s_cbranch_execnz .LBB212_118
.LBB212_100:
	s_wait_alu 0xfffe
	s_or_b32 exec_lo, exec_lo, s1
	s_and_saveexec_b32 s1, s7
	s_cbranch_execnz .LBB212_119
.LBB212_101:
	s_wait_alu 0xfffe
	s_or_b32 exec_lo, exec_lo, s1
	s_and_saveexec_b32 s1, s8
	s_cbranch_execnz .LBB212_120
.LBB212_102:
	s_wait_alu 0xfffe
	s_or_b32 exec_lo, exec_lo, s1
	s_and_saveexec_b32 s1, s0
	s_cbranch_execz .LBB212_104
.LBB212_103:
	s_mul_i32 s10, s22, 0x380
	s_mov_b32 s11, 0
	s_wait_alu 0xfffe
	s_lshl_b64 s[10:11], s[10:11], 2
	s_wait_alu 0xfffe
	v_add_co_u32 v0, vcc_lo, v0, s10
	s_wait_alu 0xfffd
	v_add_co_ci_u32_e64 v1, null, s11, v1, vcc_lo
	s_wait_dscnt 0x0
	global_store_b32 v[0:1], v2, off
.LBB212_104:
	s_wait_alu 0xfffe
	s_or_b32 exec_lo, exec_lo, s1
	s_wait_storecnt 0x0
	s_wait_loadcnt_dscnt 0x0
	s_barrier_signal -1
	s_barrier_wait -1
	global_inv scope:SCOPE_SE
	ds_store_2addr_b64 v88, v[28:29], v[30:31] offset1:1
	ds_store_2addr_b64 v88, v[24:25], v[26:27] offset0:2 offset1:3
	ds_store_2addr_b64 v88, v[36:37], v[38:39] offset0:4 offset1:5
	;; [unrolled: 1-line block ×3, first 2 shown]
	s_wait_loadcnt_dscnt 0x0
	s_barrier_signal -1
	s_barrier_wait -1
	global_inv scope:SCOPE_SE
	ds_load_b64 v[14:15], v81 offset:1024
	ds_load_b64 v[12:13], v82 offset:2048
	;; [unrolled: 1-line block ×7, first 2 shown]
	v_mov_b32_e32 v41, 0
	s_delay_alu instid0(VALU_DEP_1) | instskip(NEXT) | instid1(VALU_DEP_1)
	v_lshlrev_b64_e32 v[2:3], 3, v[40:41]
	v_add_co_u32 v2, vcc_lo, s34, v2
	s_wait_alu 0xfffd
	s_delay_alu instid0(VALU_DEP_2)
	v_add_co_ci_u32_e64 v3, null, s35, v3, vcc_lo
	s_and_saveexec_b32 s1, s2
	s_cbranch_execnz .LBB212_121
; %bb.105:
	s_wait_alu 0xfffe
	s_or_b32 exec_lo, exec_lo, s1
	s_and_saveexec_b32 s1, s3
	s_cbranch_execnz .LBB212_122
.LBB212_106:
	s_wait_alu 0xfffe
	s_or_b32 exec_lo, exec_lo, s1
	s_and_saveexec_b32 s1, s4
	s_cbranch_execnz .LBB212_123
.LBB212_107:
	s_wait_alu 0xfffe
	s_or_b32 exec_lo, exec_lo, s1
	s_and_saveexec_b32 s1, s5
	s_cbranch_execnz .LBB212_124
.LBB212_108:
	s_wait_alu 0xfffe
	s_or_b32 exec_lo, exec_lo, s1
	s_and_saveexec_b32 s1, s6
	s_cbranch_execnz .LBB212_125
.LBB212_109:
	s_wait_alu 0xfffe
	s_or_b32 exec_lo, exec_lo, s1
	s_and_saveexec_b32 s1, s7
	s_cbranch_execnz .LBB212_126
.LBB212_110:
	s_wait_alu 0xfffe
	s_or_b32 exec_lo, exec_lo, s1
	s_and_saveexec_b32 s1, s8
	s_cbranch_execnz .LBB212_127
.LBB212_111:
	s_wait_alu 0xfffe
	s_or_b32 exec_lo, exec_lo, s1
	s_and_saveexec_b32 s1, s0
	s_cbranch_execz .LBB212_113
.LBB212_112:
	s_mul_i32 s0, s28, 0x380
	s_mov_b32 s1, 0
	s_wait_alu 0xfffe
	s_lshl_b64 s[0:1], s[0:1], 3
	s_wait_alu 0xfffe
	v_add_co_u32 v2, vcc_lo, v2, s0
	s_wait_alu 0xfffd
	v_add_co_ci_u32_e64 v3, null, s1, v3, vcc_lo
	s_wait_dscnt 0x0
	global_store_b64 v[2:3], v[0:1], off
.LBB212_113:
	s_nop 0
	s_sendmsg sendmsg(MSG_DEALLOC_VGPRS)
	s_endpgm
.LBB212_114:
	ds_load_b32 v9, v72
	s_wait_dscnt 0x0
	global_store_b32 v[0:1], v9, off
	s_wait_alu 0xfffe
	s_or_b32 exec_lo, exec_lo, s1
	s_and_saveexec_b32 s1, s3
	s_cbranch_execz .LBB212_97
.LBB212_115:
	s_lshl_b32 s10, s22, 7
	s_mov_b32 s11, 0
	s_wait_alu 0xfffe
	s_lshl_b64 s[10:11], s[10:11], 2
	s_wait_alu 0xfffe
	v_add_co_u32 v9, vcc_lo, v0, s10
	s_wait_alu 0xfffd
	v_add_co_ci_u32_e64 v10, null, s11, v1, vcc_lo
	s_wait_dscnt 0x6
	global_store_b32 v[9:10], v8, off
	s_or_b32 exec_lo, exec_lo, s1
	s_and_saveexec_b32 s1, s4
	s_cbranch_execz .LBB212_98
.LBB212_116:
	s_lshl_b32 s10, s22, 8
	s_mov_b32 s11, 0
	s_wait_alu 0xfffe
	s_lshl_b64 s[10:11], s[10:11], 2
	s_wait_dscnt 0x6
	s_wait_alu 0xfffe
	v_add_co_u32 v8, vcc_lo, v0, s10
	s_wait_alu 0xfffd
	v_add_co_ci_u32_e64 v9, null, s11, v1, vcc_lo
	s_wait_dscnt 0x5
	global_store_b32 v[8:9], v7, off
	s_or_b32 exec_lo, exec_lo, s1
	s_and_saveexec_b32 s1, s5
	s_cbranch_execz .LBB212_99
.LBB212_117:
	s_mul_i32 s10, s22, 0x180
	s_mov_b32 s11, 0
	s_wait_alu 0xfffe
	s_lshl_b64 s[10:11], s[10:11], 2
	s_wait_dscnt 0x5
	s_wait_alu 0xfffe
	v_add_co_u32 v7, vcc_lo, v0, s10
	s_wait_alu 0xfffd
	v_add_co_ci_u32_e64 v8, null, s11, v1, vcc_lo
	s_wait_dscnt 0x4
	global_store_b32 v[7:8], v6, off
	s_or_b32 exec_lo, exec_lo, s1
	s_and_saveexec_b32 s1, s6
	s_cbranch_execz .LBB212_100
.LBB212_118:
	s_lshl_b32 s10, s22, 9
	s_mov_b32 s11, 0
	s_wait_alu 0xfffe
	s_lshl_b64 s[10:11], s[10:11], 2
	s_wait_dscnt 0x4
	s_wait_alu 0xfffe
	v_add_co_u32 v6, vcc_lo, v0, s10
	s_wait_alu 0xfffd
	v_add_co_ci_u32_e64 v7, null, s11, v1, vcc_lo
	s_wait_dscnt 0x3
	global_store_b32 v[6:7], v5, off
	s_or_b32 exec_lo, exec_lo, s1
	s_and_saveexec_b32 s1, s7
	s_cbranch_execz .LBB212_101
.LBB212_119:
	s_mul_i32 s10, s22, 0x280
	s_mov_b32 s11, 0
	s_wait_alu 0xfffe
	s_lshl_b64 s[10:11], s[10:11], 2
	s_wait_dscnt 0x3
	s_wait_alu 0xfffe
	v_add_co_u32 v5, vcc_lo, v0, s10
	s_wait_alu 0xfffd
	v_add_co_ci_u32_e64 v6, null, s11, v1, vcc_lo
	s_wait_dscnt 0x2
	global_store_b32 v[5:6], v4, off
	s_or_b32 exec_lo, exec_lo, s1
	s_and_saveexec_b32 s1, s8
	s_cbranch_execz .LBB212_102
.LBB212_120:
	s_mul_i32 s10, s22, 0x300
	s_mov_b32 s11, 0
	s_wait_alu 0xfffe
	s_lshl_b64 s[10:11], s[10:11], 2
	s_wait_dscnt 0x2
	s_wait_alu 0xfffe
	v_add_co_u32 v4, vcc_lo, v0, s10
	s_wait_alu 0xfffd
	v_add_co_ci_u32_e64 v5, null, s11, v1, vcc_lo
	s_wait_dscnt 0x1
	global_store_b32 v[4:5], v3, off
	s_or_b32 exec_lo, exec_lo, s1
	s_and_saveexec_b32 s1, s0
	s_cbranch_execnz .LBB212_103
	s_branch .LBB212_104
.LBB212_121:
	ds_load_b64 v[16:17], v80
	s_wait_dscnt 0x0
	global_store_b64 v[2:3], v[16:17], off
	s_wait_alu 0xfffe
	s_or_b32 exec_lo, exec_lo, s1
	s_and_saveexec_b32 s1, s3
	s_cbranch_execz .LBB212_106
.LBB212_122:
	s_lshl_b32 s2, s28, 7
	s_mov_b32 s3, 0
	s_delay_alu instid0(SALU_CYCLE_1) | instskip(NEXT) | instid1(SALU_CYCLE_1)
	s_lshl_b64 s[2:3], s[2:3], 3
	v_add_co_u32 v16, vcc_lo, v2, s2
	s_wait_alu 0xfffd
	v_add_co_ci_u32_e64 v17, null, s3, v3, vcc_lo
	s_wait_dscnt 0x6
	global_store_b64 v[16:17], v[14:15], off
	s_wait_alu 0xfffe
	s_or_b32 exec_lo, exec_lo, s1
	s_and_saveexec_b32 s1, s4
	s_cbranch_execz .LBB212_107
.LBB212_123:
	s_lshl_b32 s2, s28, 8
	s_mov_b32 s3, 0
	s_wait_alu 0xfffe
	s_lshl_b64 s[2:3], s[2:3], 3
	s_wait_dscnt 0x6
	s_wait_alu 0xfffe
	v_add_co_u32 v14, vcc_lo, v2, s2
	s_wait_alu 0xfffd
	v_add_co_ci_u32_e64 v15, null, s3, v3, vcc_lo
	s_wait_dscnt 0x5
	global_store_b64 v[14:15], v[12:13], off
	s_or_b32 exec_lo, exec_lo, s1
	s_and_saveexec_b32 s1, s5
	s_cbranch_execz .LBB212_108
.LBB212_124:
	s_mul_i32 s2, s28, 0x180
	s_mov_b32 s3, 0
	s_wait_alu 0xfffe
	s_lshl_b64 s[2:3], s[2:3], 3
	s_wait_dscnt 0x5
	s_wait_alu 0xfffe
	v_add_co_u32 v12, vcc_lo, v2, s2
	s_wait_alu 0xfffd
	v_add_co_ci_u32_e64 v13, null, s3, v3, vcc_lo
	s_wait_dscnt 0x4
	global_store_b64 v[12:13], v[10:11], off
	s_or_b32 exec_lo, exec_lo, s1
	s_and_saveexec_b32 s1, s6
	s_cbranch_execz .LBB212_109
.LBB212_125:
	s_lshl_b32 s2, s28, 9
	s_mov_b32 s3, 0
	s_wait_alu 0xfffe
	s_lshl_b64 s[2:3], s[2:3], 3
	s_wait_dscnt 0x4
	s_wait_alu 0xfffe
	v_add_co_u32 v10, vcc_lo, v2, s2
	s_wait_alu 0xfffd
	v_add_co_ci_u32_e64 v11, null, s3, v3, vcc_lo
	s_wait_dscnt 0x3
	global_store_b64 v[10:11], v[8:9], off
	s_or_b32 exec_lo, exec_lo, s1
	s_and_saveexec_b32 s1, s7
	s_cbranch_execz .LBB212_110
.LBB212_126:
	s_mul_i32 s2, s28, 0x280
	s_mov_b32 s3, 0
	s_wait_alu 0xfffe
	s_lshl_b64 s[2:3], s[2:3], 3
	s_wait_dscnt 0x3
	s_wait_alu 0xfffe
	v_add_co_u32 v8, vcc_lo, v2, s2
	s_wait_alu 0xfffd
	v_add_co_ci_u32_e64 v9, null, s3, v3, vcc_lo
	s_wait_dscnt 0x2
	global_store_b64 v[8:9], v[6:7], off
	s_or_b32 exec_lo, exec_lo, s1
	s_and_saveexec_b32 s1, s8
	s_cbranch_execz .LBB212_111
.LBB212_127:
	s_mul_i32 s2, s28, 0x300
	s_mov_b32 s3, 0
	s_wait_alu 0xfffe
	s_lshl_b64 s[2:3], s[2:3], 3
	s_wait_dscnt 0x2
	s_wait_alu 0xfffe
	v_add_co_u32 v6, vcc_lo, v2, s2
	s_wait_alu 0xfffd
	v_add_co_ci_u32_e64 v7, null, s3, v3, vcc_lo
	s_wait_dscnt 0x1
	global_store_b64 v[6:7], v[4:5], off
	s_or_b32 exec_lo, exec_lo, s1
	s_and_saveexec_b32 s1, s0
	s_cbranch_execnz .LBB212_112
	s_branch .LBB212_113
	.section	.rodata,"a",@progbits
	.p2align	6, 0x0
	.amdhsa_kernel _ZN2at6native18radixSortKVInPlaceILin1ELin1ELi128ELi8EfljEEvNS_4cuda6detail10TensorInfoIT3_T5_EES6_S6_S6_NS4_IT4_S6_EES6_b
		.amdhsa_group_segment_fixed_size 8448
		.amdhsa_private_segment_fixed_size 0
		.amdhsa_kernarg_size 712
		.amdhsa_user_sgpr_count 2
		.amdhsa_user_sgpr_dispatch_ptr 0
		.amdhsa_user_sgpr_queue_ptr 0
		.amdhsa_user_sgpr_kernarg_segment_ptr 1
		.amdhsa_user_sgpr_dispatch_id 0
		.amdhsa_user_sgpr_private_segment_size 0
		.amdhsa_wavefront_size32 1
		.amdhsa_uses_dynamic_stack 0
		.amdhsa_enable_private_segment 0
		.amdhsa_system_sgpr_workgroup_id_x 1
		.amdhsa_system_sgpr_workgroup_id_y 1
		.amdhsa_system_sgpr_workgroup_id_z 1
		.amdhsa_system_sgpr_workgroup_info 0
		.amdhsa_system_vgpr_workitem_id 2
		.amdhsa_next_free_vgpr 121
		.amdhsa_next_free_sgpr 38
		.amdhsa_reserve_vcc 1
		.amdhsa_float_round_mode_32 0
		.amdhsa_float_round_mode_16_64 0
		.amdhsa_float_denorm_mode_32 3
		.amdhsa_float_denorm_mode_16_64 3
		.amdhsa_fp16_overflow 0
		.amdhsa_workgroup_processor_mode 1
		.amdhsa_memory_ordered 1
		.amdhsa_forward_progress 1
		.amdhsa_inst_pref_size 121
		.amdhsa_round_robin_scheduling 0
		.amdhsa_exception_fp_ieee_invalid_op 0
		.amdhsa_exception_fp_denorm_src 0
		.amdhsa_exception_fp_ieee_div_zero 0
		.amdhsa_exception_fp_ieee_overflow 0
		.amdhsa_exception_fp_ieee_underflow 0
		.amdhsa_exception_fp_ieee_inexact 0
		.amdhsa_exception_int_div_zero 0
	.end_amdhsa_kernel
	.section	.text._ZN2at6native18radixSortKVInPlaceILin1ELin1ELi128ELi8EfljEEvNS_4cuda6detail10TensorInfoIT3_T5_EES6_S6_S6_NS4_IT4_S6_EES6_b,"axG",@progbits,_ZN2at6native18radixSortKVInPlaceILin1ELin1ELi128ELi8EfljEEvNS_4cuda6detail10TensorInfoIT3_T5_EES6_S6_S6_NS4_IT4_S6_EES6_b,comdat
.Lfunc_end212:
	.size	_ZN2at6native18radixSortKVInPlaceILin1ELin1ELi128ELi8EfljEEvNS_4cuda6detail10TensorInfoIT3_T5_EES6_S6_S6_NS4_IT4_S6_EES6_b, .Lfunc_end212-_ZN2at6native18radixSortKVInPlaceILin1ELin1ELi128ELi8EfljEEvNS_4cuda6detail10TensorInfoIT3_T5_EES6_S6_S6_NS4_IT4_S6_EES6_b
                                        ; -- End function
	.set _ZN2at6native18radixSortKVInPlaceILin1ELin1ELi128ELi8EfljEEvNS_4cuda6detail10TensorInfoIT3_T5_EES6_S6_S6_NS4_IT4_S6_EES6_b.num_vgpr, 121
	.set _ZN2at6native18radixSortKVInPlaceILin1ELin1ELi128ELi8EfljEEvNS_4cuda6detail10TensorInfoIT3_T5_EES6_S6_S6_NS4_IT4_S6_EES6_b.num_agpr, 0
	.set _ZN2at6native18radixSortKVInPlaceILin1ELin1ELi128ELi8EfljEEvNS_4cuda6detail10TensorInfoIT3_T5_EES6_S6_S6_NS4_IT4_S6_EES6_b.numbered_sgpr, 38
	.set _ZN2at6native18radixSortKVInPlaceILin1ELin1ELi128ELi8EfljEEvNS_4cuda6detail10TensorInfoIT3_T5_EES6_S6_S6_NS4_IT4_S6_EES6_b.num_named_barrier, 0
	.set _ZN2at6native18radixSortKVInPlaceILin1ELin1ELi128ELi8EfljEEvNS_4cuda6detail10TensorInfoIT3_T5_EES6_S6_S6_NS4_IT4_S6_EES6_b.private_seg_size, 0
	.set _ZN2at6native18radixSortKVInPlaceILin1ELin1ELi128ELi8EfljEEvNS_4cuda6detail10TensorInfoIT3_T5_EES6_S6_S6_NS4_IT4_S6_EES6_b.uses_vcc, 1
	.set _ZN2at6native18radixSortKVInPlaceILin1ELin1ELi128ELi8EfljEEvNS_4cuda6detail10TensorInfoIT3_T5_EES6_S6_S6_NS4_IT4_S6_EES6_b.uses_flat_scratch, 0
	.set _ZN2at6native18radixSortKVInPlaceILin1ELin1ELi128ELi8EfljEEvNS_4cuda6detail10TensorInfoIT3_T5_EES6_S6_S6_NS4_IT4_S6_EES6_b.has_dyn_sized_stack, 0
	.set _ZN2at6native18radixSortKVInPlaceILin1ELin1ELi128ELi8EfljEEvNS_4cuda6detail10TensorInfoIT3_T5_EES6_S6_S6_NS4_IT4_S6_EES6_b.has_recursion, 0
	.set _ZN2at6native18radixSortKVInPlaceILin1ELin1ELi128ELi8EfljEEvNS_4cuda6detail10TensorInfoIT3_T5_EES6_S6_S6_NS4_IT4_S6_EES6_b.has_indirect_call, 0
	.section	.AMDGPU.csdata,"",@progbits
; Kernel info:
; codeLenInByte = 15452
; TotalNumSgprs: 40
; NumVgprs: 121
; ScratchSize: 0
; MemoryBound: 0
; FloatMode: 240
; IeeeMode: 1
; LDSByteSize: 8448 bytes/workgroup (compile time only)
; SGPRBlocks: 0
; VGPRBlocks: 15
; NumSGPRsForWavesPerEU: 40
; NumVGPRsForWavesPerEU: 121
; Occupancy: 10
; WaveLimiterHint : 1
; COMPUTE_PGM_RSRC2:SCRATCH_EN: 0
; COMPUTE_PGM_RSRC2:USER_SGPR: 2
; COMPUTE_PGM_RSRC2:TRAP_HANDLER: 0
; COMPUTE_PGM_RSRC2:TGID_X_EN: 1
; COMPUTE_PGM_RSRC2:TGID_Y_EN: 1
; COMPUTE_PGM_RSRC2:TGID_Z_EN: 1
; COMPUTE_PGM_RSRC2:TIDIG_COMP_CNT: 2
	.section	.text._ZN2at6native18radixSortKVInPlaceILin1ELin1ELi32ELi4EfljEEvNS_4cuda6detail10TensorInfoIT3_T5_EES6_S6_S6_NS4_IT4_S6_EES6_b,"axG",@progbits,_ZN2at6native18radixSortKVInPlaceILin1ELin1ELi32ELi4EfljEEvNS_4cuda6detail10TensorInfoIT3_T5_EES6_S6_S6_NS4_IT4_S6_EES6_b,comdat
	.protected	_ZN2at6native18radixSortKVInPlaceILin1ELin1ELi32ELi4EfljEEvNS_4cuda6detail10TensorInfoIT3_T5_EES6_S6_S6_NS4_IT4_S6_EES6_b ; -- Begin function _ZN2at6native18radixSortKVInPlaceILin1ELin1ELi32ELi4EfljEEvNS_4cuda6detail10TensorInfoIT3_T5_EES6_S6_S6_NS4_IT4_S6_EES6_b
	.globl	_ZN2at6native18radixSortKVInPlaceILin1ELin1ELi32ELi4EfljEEvNS_4cuda6detail10TensorInfoIT3_T5_EES6_S6_S6_NS4_IT4_S6_EES6_b
	.p2align	8
	.type	_ZN2at6native18radixSortKVInPlaceILin1ELin1ELi32ELi4EfljEEvNS_4cuda6detail10TensorInfoIT3_T5_EES6_S6_S6_NS4_IT4_S6_EES6_b,@function
_ZN2at6native18radixSortKVInPlaceILin1ELin1ELi32ELi4EfljEEvNS_4cuda6detail10TensorInfoIT3_T5_EES6_S6_S6_NS4_IT4_S6_EES6_b: ; @_ZN2at6native18radixSortKVInPlaceILin1ELin1ELi32ELi4EfljEEvNS_4cuda6detail10TensorInfoIT3_T5_EES6_S6_S6_NS4_IT4_S6_EES6_b
; %bb.0:
	s_clause 0x1
	s_load_b64 s[2:3], s[0:1], 0x1c8
	s_load_b96 s[12:14], s[0:1], 0xd8
	s_lshr_b32 s4, ttmp7, 16
	s_wait_kmcnt 0x0
	s_mul_i32 s3, s3, s4
	s_and_b32 s4, ttmp7, 0xffff
	s_delay_alu instid0(SALU_CYCLE_1) | instskip(NEXT) | instid1(SALU_CYCLE_1)
	s_add_co_i32 s3, s3, s4
	s_mul_i32 s2, s3, s2
	s_delay_alu instid0(SALU_CYCLE_1) | instskip(NEXT) | instid1(SALU_CYCLE_1)
	s_add_co_i32 s10, s2, ttmp9
	s_cmp_ge_u32 s10, s12
	s_cbranch_scc1 .LBB213_65
; %bb.1:
	s_load_b32 s4, s[0:1], 0xd0
	s_mov_b32 s3, 0
	s_mov_b32 s2, s10
	s_wait_kmcnt 0x0
	s_cmp_lt_i32 s4, 2
	s_cbranch_scc1 .LBB213_4
; %bb.2:
	s_add_co_i32 s2, s4, -1
	s_delay_alu instid0(SALU_CYCLE_1)
	s_lshl_b64 s[6:7], s[2:3], 2
	s_mov_b32 s2, s10
	s_add_nc_u64 s[8:9], s[0:1], s[6:7]
	s_add_co_i32 s6, s4, 1
	s_add_nc_u64 s[4:5], s[8:9], 8
.LBB213_3:                              ; =>This Inner Loop Header: Depth=1
	s_clause 0x1
	s_load_b32 s7, s[4:5], 0x0
	s_load_b32 s8, s[4:5], 0x64
	s_mov_b32 s12, s2
	s_add_nc_u64 s[4:5], s[4:5], -4
	s_wait_kmcnt 0x0
	s_cvt_f32_u32 s9, s7
	s_sub_co_i32 s11, 0, s7
	s_wait_alu 0xfffe
	s_delay_alu instid0(SALU_CYCLE_1) | instskip(NEXT) | instid1(TRANS32_DEP_1)
	v_rcp_iflag_f32_e32 v1, s9
	v_readfirstlane_b32 s9, v1
	s_mul_f32 s9, s9, 0x4f7ffffe
	s_wait_alu 0xfffe
	s_delay_alu instid0(SALU_CYCLE_2) | instskip(SKIP_1) | instid1(SALU_CYCLE_2)
	s_cvt_u32_f32 s9, s9
	s_wait_alu 0xfffe
	s_mul_i32 s11, s11, s9
	s_delay_alu instid0(SALU_CYCLE_1) | instskip(NEXT) | instid1(SALU_CYCLE_1)
	s_mul_hi_u32 s11, s9, s11
	s_add_co_i32 s9, s9, s11
	s_wait_alu 0xfffe
	s_mul_hi_u32 s2, s2, s9
	s_delay_alu instid0(SALU_CYCLE_1)
	s_mul_i32 s9, s2, s7
	s_add_co_i32 s11, s2, 1
	s_wait_alu 0xfffe
	s_sub_co_i32 s9, s12, s9
	s_wait_alu 0xfffe
	s_sub_co_i32 s15, s9, s7
	s_cmp_ge_u32 s9, s7
	s_cselect_b32 s2, s11, s2
	s_cselect_b32 s9, s15, s9
	s_add_co_i32 s11, s2, 1
	s_wait_alu 0xfffe
	s_cmp_ge_u32 s9, s7
	s_cselect_b32 s2, s11, s2
	s_add_co_i32 s6, s6, -1
	s_mul_i32 s7, s2, s7
	s_delay_alu instid0(SALU_CYCLE_1) | instskip(NEXT) | instid1(SALU_CYCLE_1)
	s_sub_co_i32 s7, s12, s7
	s_mul_i32 s7, s8, s7
	s_delay_alu instid0(SALU_CYCLE_1)
	s_add_co_i32 s3, s7, s3
	s_cmp_gt_u32 s6, 2
	s_cbranch_scc1 .LBB213_3
.LBB213_4:
	s_load_b32 s4, s[0:1], 0x1b8
	s_add_nc_u64 s[22:23], s[0:1], 0x1c8
	s_mov_b32 s9, 0
	s_wait_kmcnt 0x0
	s_cmp_lt_i32 s4, 2
	s_cbranch_scc1 .LBB213_7
; %bb.5:
	s_add_co_i32 s8, s4, -1
	s_wait_alu 0xfffe
	s_lshl_b64 s[6:7], s[8:9], 2
	s_delay_alu instid0(SALU_CYCLE_1)
	s_add_nc_u64 s[16:17], s[0:1], s[6:7]
	s_add_co_i32 s6, s4, 1
	s_add_nc_u64 s[4:5], s[16:17], 0xf0
.LBB213_6:                              ; =>This Inner Loop Header: Depth=1
	s_clause 0x1
	s_load_b32 s7, s[4:5], 0x0
	s_load_b32 s8, s[4:5], 0x64
	s_mov_b32 s15, s10
	s_add_nc_u64 s[4:5], s[4:5], -4
	s_wait_kmcnt 0x0
	s_cvt_f32_u32 s11, s7
	s_sub_co_i32 s12, 0, s7
	s_wait_alu 0xfffe
	s_delay_alu instid0(SALU_CYCLE_1) | instskip(NEXT) | instid1(TRANS32_DEP_1)
	v_rcp_iflag_f32_e32 v1, s11
	v_readfirstlane_b32 s11, v1
	s_mul_f32 s11, s11, 0x4f7ffffe
	s_wait_alu 0xfffe
	s_delay_alu instid0(SALU_CYCLE_2) | instskip(SKIP_1) | instid1(SALU_CYCLE_2)
	s_cvt_u32_f32 s11, s11
	s_wait_alu 0xfffe
	s_mul_i32 s12, s12, s11
	s_delay_alu instid0(SALU_CYCLE_1) | instskip(NEXT) | instid1(SALU_CYCLE_1)
	s_mul_hi_u32 s12, s11, s12
	s_add_co_i32 s11, s11, s12
	s_wait_alu 0xfffe
	s_mul_hi_u32 s10, s10, s11
	s_wait_alu 0xfffe
	s_mul_i32 s11, s10, s7
	s_add_co_i32 s12, s10, 1
	s_wait_alu 0xfffe
	s_sub_co_i32 s11, s15, s11
	s_wait_alu 0xfffe
	s_sub_co_i32 s16, s11, s7
	s_cmp_ge_u32 s11, s7
	s_cselect_b32 s10, s12, s10
	s_cselect_b32 s11, s16, s11
	s_wait_alu 0xfffe
	s_add_co_i32 s12, s10, 1
	s_cmp_ge_u32 s11, s7
	s_cselect_b32 s10, s12, s10
	s_add_co_i32 s6, s6, -1
	s_wait_alu 0xfffe
	s_mul_i32 s7, s10, s7
	s_delay_alu instid0(SALU_CYCLE_1) | instskip(NEXT) | instid1(SALU_CYCLE_1)
	s_sub_co_i32 s7, s15, s7
	s_mul_i32 s7, s8, s7
	s_delay_alu instid0(SALU_CYCLE_1)
	s_add_co_i32 s9, s7, s9
	s_cmp_gt_u32 s6, 2
	s_cbranch_scc1 .LBB213_6
.LBB213_7:
	s_clause 0x2
	s_load_b32 s4, s[0:1], 0x6c
	s_load_b64 s[16:17], s[0:1], 0x1c0
	s_load_b64 s[18:19], s[0:1], 0x0
	s_mov_b32 s21, 0
	s_wait_kmcnt 0x0
	s_mul_i32 s2, s4, s2
	s_delay_alu instid0(SALU_CYCLE_1)
	s_add_co_i32 s20, s2, s3
	s_bitcmp1_b32 s17, 0
	s_cselect_b32 s8, -1, 0
	s_wait_alu 0xfffe
	s_and_b32 s2, s8, exec_lo
	s_cselect_b32 s4, -1, 0x7fffffff
	s_lshl_b64 s[20:21], s[20:21], 2
	s_mov_b32 s5, s4
	s_mov_b32 s6, s4
	;; [unrolled: 1-line block ×3, first 2 shown]
	v_and_b32_e32 v21, 0x3ff, v0
	v_dual_mov_b32 v1, s4 :: v_dual_mov_b32 v4, s7
	v_dual_mov_b32 v2, s5 :: v_dual_mov_b32 v3, s6
	v_mov_b32_e32 v6, s4
	s_delay_alu instid0(VALU_DEP_4)
	v_mul_lo_u32 v17, s14, v21
	v_cmp_gt_u32_e64 s2, s13, v21
	s_add_nc_u64 s[18:19], s[18:19], s[20:21]
	s_and_saveexec_b32 s3, s2
	s_cbranch_execz .LBB213_9
; %bb.8:
	v_mov_b32_e32 v18, 0
	s_delay_alu instid0(VALU_DEP_1) | instskip(NEXT) | instid1(VALU_DEP_1)
	v_lshlrev_b64_e32 v[1:2], 2, v[17:18]
	v_add_co_u32 v1, vcc_lo, s18, v1
	s_delay_alu instid0(VALU_DEP_1)
	v_add_co_ci_u32_e64 v2, null, s19, v2, vcc_lo
	global_load_b32 v6, v[1:2], off
	v_dual_mov_b32 v1, s4 :: v_dual_mov_b32 v2, s5
	v_dual_mov_b32 v3, s6 :: v_dual_mov_b32 v4, s7
.LBB213_9:
	s_or_b32 exec_lo, exec_lo, s3
	v_add_nc_u32_e32 v5, 32, v21
	s_delay_alu instid0(VALU_DEP_1)
	v_cmp_gt_u32_e64 s3, s13, v5
	s_and_saveexec_b32 s4, s3
	s_cbranch_execz .LBB213_11
; %bb.10:
	v_mul_lo_u32 v1, s14, v5
	v_mov_b32_e32 v2, 0
	s_delay_alu instid0(VALU_DEP_1) | instskip(NEXT) | instid1(VALU_DEP_1)
	v_lshlrev_b64_e32 v[1:2], 2, v[1:2]
	v_add_co_u32 v1, vcc_lo, s18, v1
	s_wait_alu 0xfffd
	s_delay_alu instid0(VALU_DEP_2)
	v_add_co_ci_u32_e64 v2, null, s19, v2, vcc_lo
	global_load_b32 v2, v[1:2], off
.LBB213_11:
	s_wait_alu 0xfffe
	s_or_b32 exec_lo, exec_lo, s4
	v_add_nc_u32_e32 v9, 64, v21
	s_delay_alu instid0(VALU_DEP_1)
	v_cmp_gt_u32_e64 s4, s13, v9
	s_and_saveexec_b32 s5, s4
	s_cbranch_execz .LBB213_13
; %bb.12:
	v_mul_lo_u32 v7, s14, v9
	v_mov_b32_e32 v8, 0
	s_delay_alu instid0(VALU_DEP_1) | instskip(NEXT) | instid1(VALU_DEP_1)
	v_lshlrev_b64_e32 v[7:8], 2, v[7:8]
	v_add_co_u32 v7, vcc_lo, s18, v7
	s_wait_alu 0xfffd
	s_delay_alu instid0(VALU_DEP_2)
	v_add_co_ci_u32_e64 v8, null, s19, v8, vcc_lo
	global_load_b32 v3, v[7:8], off
.LBB213_13:
	s_wait_alu 0xfffe
	s_or_b32 exec_lo, exec_lo, s5
	s_clause 0x1
	s_load_b32 s5, s[0:1], 0x154
	s_load_b64 s[6:7], s[0:1], 0xe8
	v_add_nc_u32_e32 v10, 0x60, v21
	s_delay_alu instid0(VALU_DEP_1)
	v_cmp_gt_u32_e64 s0, s13, v10
	s_and_saveexec_b32 s1, s0
	s_cbranch_execz .LBB213_15
; %bb.14:
	v_mul_lo_u32 v7, s14, v10
	v_mov_b32_e32 v8, 0
	s_delay_alu instid0(VALU_DEP_1) | instskip(NEXT) | instid1(VALU_DEP_1)
	v_lshlrev_b64_e32 v[7:8], 2, v[7:8]
	v_add_co_u32 v7, vcc_lo, s18, v7
	s_wait_alu 0xfffd
	s_delay_alu instid0(VALU_DEP_2)
	v_add_co_ci_u32_e64 v8, null, s19, v8, vcc_lo
	global_load_b32 v4, v[7:8], off
.LBB213_15:
	s_or_b32 exec_lo, exec_lo, s1
	v_lshrrev_b32_e32 v1, 5, v21
	v_lshrrev_b32_e32 v7, 5, v5
	;; [unrolled: 1-line block ×3, first 2 shown]
	v_lshlrev_b32_e32 v41, 2, v21
	v_lshrrev_b32_e32 v11, 5, v10
	v_add_nc_u32_e32 v1, v1, v21
	v_add_nc_u32_e32 v12, v7, v21
	v_lshrrev_b32_e32 v7, 3, v21
	v_add_nc_u32_e32 v13, v8, v21
	v_add_nc_u32_e32 v11, v11, v21
	v_lshlrev_b32_e32 v38, 2, v1
	v_lshlrev_b32_e32 v18, 2, v12
	v_add_nc_u32_e32 v1, v7, v41
	v_lshlrev_b32_e32 v39, 2, v13
	v_lshlrev_b32_e32 v40, 2, v11
	s_wait_loadcnt 0x0
	ds_store_b32 v38, v6
	ds_store_b32 v18, v2 offset:128
	ds_store_b32 v39, v3 offset:256
	;; [unrolled: 1-line block ×3, first 2 shown]
	v_lshlrev_b32_e32 v42, 2, v1
	s_wait_dscnt 0x0
	; wave barrier
	global_inv scope:SCOPE_SE
	ds_load_2addr_b32 v[24:25], v42 offset1:1
	ds_load_2addr_b32 v[22:23], v42 offset0:2 offset1:3
	s_wait_kmcnt 0x0
	s_mul_i32 s1, s5, s10
	v_mul_lo_u32 v19, s16, v21
	s_add_co_i32 s10, s1, s9
	s_mov_b32 s11, 0
	v_mov_b32_e32 v1, 0
	v_dual_mov_b32 v3, 0 :: v_dual_mov_b32 v2, 0
	v_mov_b32_e32 v4, 0
	s_wait_alu 0xfffe
	s_lshl_b64 s[10:11], s[10:11], 3
	s_wait_loadcnt_dscnt 0x0
	s_wait_alu 0xfffe
	s_add_nc_u64 s[20:21], s[6:7], s[10:11]
	; wave barrier
	global_inv scope:SCOPE_SE
	s_and_saveexec_b32 s1, s2
	s_cbranch_execz .LBB213_17
; %bb.16:
	v_mov_b32_e32 v20, 0
	s_delay_alu instid0(VALU_DEP_1) | instskip(NEXT) | instid1(VALU_DEP_1)
	v_lshlrev_b64_e32 v[3:4], 3, v[19:20]
	v_add_co_u32 v3, vcc_lo, s20, v3
	s_wait_alu 0xfffd
	s_delay_alu instid0(VALU_DEP_2)
	v_add_co_ci_u32_e64 v4, null, s21, v4, vcc_lo
	global_load_b64 v[3:4], v[3:4], off
.LBB213_17:
	s_or_b32 exec_lo, exec_lo, s1
	s_and_saveexec_b32 s1, s3
	s_cbranch_execz .LBB213_19
; %bb.18:
	v_mul_lo_u32 v1, s16, v5
	v_mov_b32_e32 v2, 0
	s_delay_alu instid0(VALU_DEP_1) | instskip(NEXT) | instid1(VALU_DEP_1)
	v_lshlrev_b64_e32 v[1:2], 3, v[1:2]
	v_add_co_u32 v1, vcc_lo, s20, v1
	s_wait_alu 0xfffd
	s_delay_alu instid0(VALU_DEP_2)
	v_add_co_ci_u32_e64 v2, null, s21, v2, vcc_lo
	global_load_b64 v[1:2], v[1:2], off
.LBB213_19:
	s_or_b32 exec_lo, exec_lo, s1
	v_mov_b32_e32 v5, 0
	v_dual_mov_b32 v6, 0 :: v_dual_mov_b32 v7, 0
	v_mov_b32_e32 v8, 0
	s_and_saveexec_b32 s1, s4
	s_cbranch_execz .LBB213_21
; %bb.20:
	v_mul_lo_u32 v7, s16, v9
	v_mov_b32_e32 v8, 0
	s_delay_alu instid0(VALU_DEP_1) | instskip(NEXT) | instid1(VALU_DEP_1)
	v_lshlrev_b64_e32 v[7:8], 3, v[7:8]
	v_add_co_u32 v7, vcc_lo, s20, v7
	s_wait_alu 0xfffd
	s_delay_alu instid0(VALU_DEP_2)
	v_add_co_ci_u32_e64 v8, null, s21, v8, vcc_lo
	global_load_b64 v[7:8], v[7:8], off
.LBB213_21:
	s_or_b32 exec_lo, exec_lo, s1
	s_xor_b32 s6, s8, -1
	s_and_saveexec_b32 s1, s0
	s_cbranch_execz .LBB213_23
; %bb.22:
	v_mul_lo_u32 v5, s16, v10
	v_mov_b32_e32 v6, 0
	s_delay_alu instid0(VALU_DEP_1) | instskip(NEXT) | instid1(VALU_DEP_1)
	v_lshlrev_b64_e32 v[5:6], 3, v[5:6]
	v_add_co_u32 v5, vcc_lo, s20, v5
	s_wait_alu 0xfffd
	s_delay_alu instid0(VALU_DEP_2)
	v_add_co_ci_u32_e64 v6, null, s21, v6, vcc_lo
	global_load_b64 v[5:6], v[5:6], off
.LBB213_23:
	s_or_b32 exec_lo, exec_lo, s1
	v_add_nc_u32_e32 v43, v38, v38
	v_lshlrev_b32_e32 v45, 3, v11
	v_add_nc_u32_e32 v46, v42, v42
	v_lshlrev_b32_e32 v20, 3, v12
	v_lshlrev_b32_e32 v44, 3, v13
	s_wait_loadcnt 0x0
	ds_store_b64 v43, v[3:4]
	ds_store_b64 v20, v[1:2] offset:256
	ds_store_b64 v44, v[7:8] offset:512
	;; [unrolled: 1-line block ×3, first 2 shown]
	s_wait_dscnt 0x0
	; wave barrier
	global_inv scope:SCOPE_SE
	ds_load_2addr_b64 v[5:8], v46 offset1:1
	ds_load_2addr_b64 v[1:4], v46 offset0:2 offset1:3
	v_mbcnt_lo_u32_b32 v48, -1, 0
	s_wait_alu 0xfffe
	s_and_b32 vcc_lo, exec_lo, s6
	v_bfe_u32 v52, v0, 10, 10
	v_bfe_u32 v53, v0, 20, 10
	v_lshlrev_b32_e32 v47, 5, v21
	v_and_b32_e32 v55, 3, v48
	v_and_b32_e32 v54, 28, v48
	;; [unrolled: 1-line block ×4, first 2 shown]
	v_cmp_eq_u32_e64 s6, 31, v21
	v_cmp_eq_u32_e64 s5, 0, v55
	;; [unrolled: 1-line block ×6, first 2 shown]
	v_and_or_b32 v49, 0xf80, v41, v48
	s_mov_b32 s13, 0
	s_mov_b32 s9, -1
	; wave barrier
	s_wait_loadcnt_dscnt 0x0
	global_inv scope:SCOPE_SE
                                        ; implicit-def: $vgpr9_vgpr10_vgpr11_vgpr12
	s_wait_alu 0xfffe
	s_cbranch_vccz .LBB213_39
; %bb.24:
	v_cmp_lt_i32_e32 vcc_lo, -1, v24
	ds_bpermute_b32 v13, v54, v5
	ds_bpermute_b32 v26, v54, v6
	;; [unrolled: 1-line block ×4, first 2 shown]
	s_wait_alu 0xfffd
	v_cndmask_b32_e64 v0, -1, 0x80000000, vcc_lo
	v_cmp_lt_i32_e32 vcc_lo, -1, v25
	ds_bpermute_b32 v37, v54, v1
	ds_bpermute_b32 v56, v54, v2
	ds_bpermute_b32 v57, v54, v5 offset:32
	v_xor_b32_e32 v0, v0, v24
	s_wait_alu 0xfffd
	v_cndmask_b32_e64 v9, -1, 0x80000000, vcc_lo
	v_cmp_lt_i32_e32 vcc_lo, -1, v22
	ds_bpermute_b32 v58, v54, v2 offset:96
	s_wait_loadcnt_dscnt 0x0
	ds_bpermute_b32 v12, v54, v0
	v_xor_b32_e32 v9, v9, v25
	s_wait_alu 0xfffd
	v_cndmask_b32_e64 v10, -1, 0x80000000, vcc_lo
	v_cmp_lt_i32_e32 vcc_lo, -1, v23
	ds_bpermute_b32 v14, v54, v0 offset:32
	ds_bpermute_b32 v15, v54, v0 offset:64
	ds_bpermute_b32 v16, v54, v9
	v_xor_b32_e32 v10, v10, v22
	s_wait_alu 0xfffd
	v_cndmask_b32_e64 v11, -1, 0x80000000, vcc_lo
	ds_bpermute_b32 v27, v54, v9 offset:32
	ds_bpermute_b32 v28, v54, v9 offset:64
	;; [unrolled: 1-line block ×3, first 2 shown]
	ds_bpermute_b32 v29, v54, v10
	v_xor_b32_e32 v11, v11, v23
	ds_bpermute_b32 v32, v54, v10 offset:32
	ds_bpermute_b32 v9, v54, v9 offset:96
	;; [unrolled: 1-line block ×4, first 2 shown]
	ds_bpermute_b32 v34, v54, v11
	ds_bpermute_b32 v35, v54, v11 offset:32
	s_wait_dscnt 0xd
	s_wait_alu 0xf1ff
	v_cndmask_b32_e64 v12, 0, v12, s5
	v_cndmask_b32_e64 v26, 0, v26, s5
	;; [unrolled: 1-line block ×3, first 2 shown]
	; wave barrier
	s_wait_dscnt 0x0
	global_inv scope:SCOPE_SE
	v_cndmask_b32_e64 v14, 0, v14, s5
	v_cndmask_b32_e64 v15, 0, v15, s5
	v_cndmask_b32_e64 v12, v12, v16, s1
	ds_bpermute_b32 v16, v54, v11 offset:64
	ds_bpermute_b32 v11, v54, v11 offset:96
	v_cndmask_b32_e64 v14, v14, v27, s1
	ds_bpermute_b32 v27, v54, v6 offset:32
	v_cndmask_b32_e64 v15, v15, v28, s1
	v_cndmask_b32_e64 v12, v12, v29, s8
	ds_bpermute_b32 v29, v54, v3
	ds_bpermute_b32 v28, v54, v8 offset:32
	v_cndmask_b32_e64 v0, 0, v0, s5
	v_cndmask_b32_e64 v14, v14, v32, s8
	ds_bpermute_b32 v32, v54, v7 offset:32
	v_cndmask_b32_e64 v34, v12, v34, s7
	ds_bpermute_b32 v12, v54, v4
	v_cndmask_b32_e64 v0, v0, v9, s1
	v_cndmask_b32_e64 v9, v26, v31, s1
	;; [unrolled: 1-line block ×4, first 2 shown]
	ds_bpermute_b32 v33, v54, v2 offset:32
	v_cndmask_b32_e64 v0, v0, v10, s8
	v_cndmask_b32_e64 v9, v9, v56, s8
	;; [unrolled: 1-line block ×3, first 2 shown]
	s_wait_dscnt 0x7
	v_cndmask_b32_e64 v36, v15, v16, s7
	v_cndmask_b32_e64 v16, 0, v57, s5
	s_wait_dscnt 0x5
	v_cndmask_b32_e64 v15, 0, v27, s5
	v_cndmask_b32_e64 v37, v0, v11, s7
	ds_bpermute_b32 v26, v54, v4 offset:32
	ds_bpermute_b32 v27, v54, v7 offset:64
	v_cndmask_b32_e64 v35, v14, v35, s7
	s_wait_dscnt 0x5
	v_cndmask_b32_e64 v0, v15, v28, s1
	ds_bpermute_b32 v28, v54, v6 offset:96
	ds_bpermute_b32 v14, v54, v6 offset:64
	s_wait_dscnt 0x6
	v_cndmask_b32_e64 v11, v16, v32, s1
	s_wait_dscnt 0x5
	v_cndmask_b32_e64 v10, v9, v12, s7
	v_cndmask_b32_e64 v9, v13, v29, s7
	ds_bpermute_b32 v13, v54, v5 offset:64
	ds_bpermute_b32 v12, v54, v1 offset:32
	;; [unrolled: 1-line block ×5, first 2 shown]
	s_wait_dscnt 0x9
	v_cndmask_b32_e64 v0, v0, v33, s8
	ds_bpermute_b32 v15, v54, v8 offset:64
	ds_bpermute_b32 v16, v54, v3 offset:32
	;; [unrolled: 1-line block ×4, first 2 shown]
	s_load_b32 s9, s[22:23], 0xc
	ds_bpermute_b32 v29, v54, v2 offset:64
	ds_bpermute_b32 v59, v54, v1 offset:96
	;; [unrolled: 1-line block ×3, first 2 shown]
	s_getpc_b64 s[10:11]
	s_wait_alu 0xfffe
	s_sext_i32_i16 s11, s11
	s_add_co_u32 s10, s10, _ZN7rocprim17ROCPRIM_400000_NS16block_radix_sortIfLj32ELj4ElLj1ELj1ELj0ELNS0_26block_radix_rank_algorithmE1ELNS0_18block_padding_hintE2ELNS0_4arch9wavefront6targetE0EE19radix_bits_per_passE@rel32@lo+12
	s_wait_alu 0xfffe
	s_add_co_ci_u32 s11, s11, _ZN7rocprim17ROCPRIM_400000_NS16block_radix_sortIfLj32ELj4ElLj1ELj1ELj0ELNS0_26block_radix_rank_algorithmE1ELNS0_18block_padding_hintE2ELNS0_4arch9wavefront6targetE0EE19radix_bits_per_passE@rel32@hi+24
	ds_bpermute_b32 v56, v54, v4 offset:64
	s_wait_dscnt 0xd
	v_cndmask_b32_e64 v14, 0, v14, s5
	s_mov_b32 s24, 32
	s_wait_dscnt 0xc
	v_cndmask_b32_e64 v13, 0, v13, s5
	s_wait_dscnt 0xb
	v_cndmask_b32_e64 v11, v11, v12, s8
	v_cndmask_b32_e64 v12, v0, v26, s7
	s_wait_dscnt 0xa
	v_cndmask_b32_e64 v26, 0, v30, s5
	v_cndmask_b32_e64 v0, v13, v27, s1
	;; [unrolled: 1-line block ×3, first 2 shown]
	s_wait_dscnt 0x7
	v_cndmask_b32_e64 v14, v14, v15, s1
	ds_bpermute_b32 v15, v54, v3 offset:96
	s_wait_dscnt 0x7
	v_cndmask_b32_e64 v11, v11, v16, s7
	v_cndmask_b32_e64 v0, v0, v31, s8
	;; [unrolled: 1-line block ×3, first 2 shown]
	s_wait_dscnt 0x5
	v_cndmask_b32_e64 v16, v26, v57, s1
	s_wait_kmcnt 0x0
	s_lshr_b32 s15, s9, 16
	s_wait_dscnt 0x4
	v_cndmask_b32_e64 v14, v14, v29, s8
	v_cndmask_b32_e64 v13, v0, v33, s7
	;; [unrolled: 1-line block ×3, first 2 shown]
	s_wait_alu 0xfffe
	v_mad_u32_u24 v26, v53, s15, v52
	s_wait_dscnt 0x3
	v_cndmask_b32_e64 v28, v16, v59, s8
	s_load_b32 s15, s[10:11], 0x0
	s_and_b32 s8, s9, 0xffff
	s_wait_dscnt 0x2
	v_cndmask_b32_e64 v16, v0, v60, s7
	v_sub_co_u32 v0, s17, v48, 1
	s_wait_alu 0xfffe
	v_mad_co_u64_u32 v[26:27], null, v26, s8, v[21:22]
	s_wait_dscnt 0x1
	v_cndmask_b32_e64 v14, v14, v56, s7
	v_cmp_gt_i32_e32 vcc_lo, 0, v0
	s_wait_dscnt 0x0
	v_cndmask_b32_e64 v15, v28, v15, s7
	v_cmp_eq_u32_e64 s7, 0, v51
	v_cmp_lt_u32_e64 s8, 1, v51
	v_cmp_lt_u32_e64 s9, 3, v51
	s_wait_alu 0xfffd
	v_dual_cndmask_b32 v27, v0, v48 :: v_dual_lshlrev_b32 v0, 2, v49
	v_lshrrev_b32_e32 v26, 3, v26
	v_cmp_lt_u32_e64 s10, 7, v51
	v_cmp_eq_u32_e64 s11, 0, v50
	s_delay_alu instid0(VALU_DEP_4) | instskip(NEXT) | instid1(VALU_DEP_4)
	v_lshlrev_b32_e32 v56, 2, v27
	v_dual_mov_b32 v58, 0 :: v_dual_and_b32 v57, 0x1ffffffc, v26
	v_add_nc_u32_e32 v59, v0, v0
	s_or_b32 s17, s12, s17
	s_branch .LBB213_26
.LBB213_25:                             ;   in Loop: Header=BB213_26 Depth=1
	s_wait_alu 0xfffe
	s_and_not1_b32 vcc_lo, exec_lo, s12
	s_wait_alu 0xfffe
	s_cbranch_vccz .LBB213_38
.LBB213_26:                             ; =>This Inner Loop Header: Depth=1
	v_mov_b32_e32 v60, v34
	s_wait_kmcnt 0x0
	s_min_u32 s12, s15, s24
	ds_store_2addr_b32 v47, v58, v58 offset0:1 offset1:2
	ds_store_2addr_b32 v47, v58, v58 offset0:3 offset1:4
	;; [unrolled: 1-line block ×4, first 2 shown]
	s_wait_alu 0xfffe
	s_lshl_b32 s12, -1, s12
	s_wait_loadcnt_dscnt 0x0
	v_cmp_ne_u32_e32 vcc_lo, 0x7fffffff, v60
	s_wait_alu 0xfffe
	s_not_b32 s25, s12
	; wave barrier
	global_inv scope:SCOPE_SE
	; wave barrier
	s_wait_alu 0xfffd
	v_dual_cndmask_b32 v26, 0x80000000, v60 :: v_dual_mov_b32 v61, v37
	v_dual_mov_b32 v63, v35 :: v_dual_mov_b32 v62, v36
	s_delay_alu instid0(VALU_DEP_2) | instskip(SKIP_1) | instid1(VALU_DEP_1)
	v_lshrrev_b32_e32 v26, s13, v26
	s_wait_alu 0xfffe
	v_and_b32_e32 v64, s25, v26
	s_delay_alu instid0(VALU_DEP_1)
	v_and_b32_e32 v26, 1, v64
	v_lshlrev_b32_e32 v27, 30, v64
	v_lshlrev_b32_e32 v28, 29, v64
	;; [unrolled: 1-line block ×4, first 2 shown]
	v_add_co_u32 v26, s12, v26, -1
	s_wait_alu 0xf1ff
	v_cndmask_b32_e64 v30, 0, 1, s12
	v_not_b32_e32 v34, v27
	v_cmp_gt_i32_e64 s12, 0, v27
	v_not_b32_e32 v27, v28
	v_lshlrev_b32_e32 v32, 26, v64
	v_cmp_ne_u32_e32 vcc_lo, 0, v30
	v_ashrrev_i32_e32 v34, 31, v34
	v_lshlrev_b32_e32 v30, 24, v64
	v_ashrrev_i32_e32 v27, 31, v27
	v_lshlrev_b32_e32 v33, 25, v64
	s_wait_alu 0xfffd
	v_xor_b32_e32 v26, vcc_lo, v26
	v_cmp_gt_i32_e32 vcc_lo, 0, v28
	v_not_b32_e32 v28, v29
	s_wait_alu 0xf1ff
	v_xor_b32_e32 v34, s12, v34
	v_cmp_gt_i32_e64 s12, 0, v29
	v_and_b32_e32 v26, exec_lo, v26
	v_not_b32_e32 v29, v31
	v_ashrrev_i32_e32 v28, 31, v28
	s_wait_alu 0xfffd
	v_xor_b32_e32 v27, vcc_lo, v27
	v_cmp_gt_i32_e32 vcc_lo, 0, v31
	v_and_b32_e32 v26, v26, v34
	v_not_b32_e32 v31, v32
	v_ashrrev_i32_e32 v29, 31, v29
	s_wait_alu 0xf1ff
	v_xor_b32_e32 v28, s12, v28
	v_cmp_gt_i32_e64 s12, 0, v32
	v_and_b32_e32 v26, v26, v27
	v_ashrrev_i32_e32 v31, 31, v31
	s_wait_alu 0xfffd
	v_xor_b32_e32 v29, vcc_lo, v29
	v_lshl_add_u32 v35, v64, 2, v57
	v_and_b32_e32 v26, v26, v28
	s_wait_alu 0xf1ff
	v_xor_b32_e32 v31, s12, v31
	v_not_b32_e32 v28, v30
	v_cmp_gt_i32_e64 s12, 0, v30
	v_and_b32_e32 v26, v26, v29
	s_delay_alu instid0(VALU_DEP_3) | instskip(NEXT) | instid1(VALU_DEP_2)
	v_ashrrev_i32_e32 v28, 31, v28
	v_dual_mov_b32 v31, v12 :: v_dual_and_b32 v26, v26, v31
	v_mov_b32_e32 v30, v11
	v_not_b32_e32 v27, v33
	v_cmp_gt_i32_e32 vcc_lo, 0, v33
	s_wait_alu 0xf1ff
	v_xor_b32_e32 v28, s12, v28
	v_dual_mov_b32 v33, v10 :: v_dual_mov_b32 v32, v9
	v_ashrrev_i32_e32 v27, 31, v27
	s_wait_alu 0xfffd
	s_delay_alu instid0(VALU_DEP_1) | instskip(NEXT) | instid1(VALU_DEP_1)
	v_xor_b32_e32 v27, vcc_lo, v27
	v_and_b32_e32 v26, v26, v27
	s_delay_alu instid0(VALU_DEP_1) | instskip(SKIP_3) | instid1(VALU_DEP_4)
	v_and_b32_e32 v36, v26, v28
	v_mov_b32_e32 v29, v14
	v_dual_mov_b32 v27, v16 :: v_dual_mov_b32 v28, v13
	v_mov_b32_e32 v26, v15
	v_mbcnt_lo_u32_b32 v34, v36, 0
	v_cmp_ne_u32_e64 s12, 0, v36
	s_delay_alu instid0(VALU_DEP_2) | instskip(SKIP_1) | instid1(SALU_CYCLE_1)
	v_cmp_eq_u32_e32 vcc_lo, 0, v34
	s_and_b32 s26, s12, vcc_lo
	s_and_saveexec_b32 s12, s26
; %bb.27:                               ;   in Loop: Header=BB213_26 Depth=1
	v_bcnt_u32_b32 v9, v36, 0
	ds_store_b32 v35, v9 offset:4
; %bb.28:                               ;   in Loop: Header=BB213_26 Depth=1
	s_wait_alu 0xfffe
	s_or_b32 exec_lo, exec_lo, s12
	v_cmp_ne_u32_e32 vcc_lo, 0x7fffffff, v63
	; wave barrier
	s_wait_alu 0xfffd
	v_cndmask_b32_e32 v9, 0x80000000, v63, vcc_lo
	s_delay_alu instid0(VALU_DEP_1) | instskip(NEXT) | instid1(VALU_DEP_1)
	v_lshrrev_b32_e32 v9, s13, v9
	v_and_b32_e32 v9, s25, v9
	s_delay_alu instid0(VALU_DEP_1)
	v_and_b32_e32 v10, 1, v9
	v_lshlrev_b32_e32 v11, 30, v9
	v_lshlrev_b32_e32 v12, 29, v9
	;; [unrolled: 1-line block ×4, first 2 shown]
	v_add_co_u32 v10, s12, v10, -1
	s_wait_alu 0xf1ff
	v_cndmask_b32_e64 v14, 0, 1, s12
	v_not_b32_e32 v37, v11
	v_cmp_gt_i32_e64 s12, 0, v11
	v_not_b32_e32 v11, v12
	v_lshlrev_b32_e32 v16, 26, v9
	v_cmp_ne_u32_e32 vcc_lo, 0, v14
	v_ashrrev_i32_e32 v37, 31, v37
	v_lshlrev_b32_e32 v36, 25, v9
	v_ashrrev_i32_e32 v11, 31, v11
	v_lshlrev_b32_e32 v14, 24, v9
	s_wait_alu 0xfffd
	v_xor_b32_e32 v10, vcc_lo, v10
	v_cmp_gt_i32_e32 vcc_lo, 0, v12
	v_not_b32_e32 v12, v13
	s_wait_alu 0xf1ff
	v_xor_b32_e32 v37, s12, v37
	v_cmp_gt_i32_e64 s12, 0, v13
	v_and_b32_e32 v10, exec_lo, v10
	v_not_b32_e32 v13, v15
	v_ashrrev_i32_e32 v12, 31, v12
	s_wait_alu 0xfffd
	v_xor_b32_e32 v11, vcc_lo, v11
	v_cmp_gt_i32_e32 vcc_lo, 0, v15
	v_and_b32_e32 v10, v10, v37
	v_not_b32_e32 v15, v16
	v_ashrrev_i32_e32 v13, 31, v13
	s_wait_alu 0xf1ff
	v_xor_b32_e32 v12, s12, v12
	v_cmp_gt_i32_e64 s12, 0, v16
	v_and_b32_e32 v10, v10, v11
	v_not_b32_e32 v11, v36
	v_ashrrev_i32_e32 v15, 31, v15
	s_wait_alu 0xfffd
	v_xor_b32_e32 v13, vcc_lo, v13
	v_cmp_gt_i32_e32 vcc_lo, 0, v36
	v_and_b32_e32 v10, v10, v12
	v_not_b32_e32 v12, v14
	v_ashrrev_i32_e32 v11, 31, v11
	s_wait_alu 0xf1ff
	v_xor_b32_e32 v15, s12, v15
	v_cmp_gt_i32_e64 s12, 0, v14
	v_and_b32_e32 v10, v10, v13
	v_ashrrev_i32_e32 v12, 31, v12
	s_wait_alu 0xfffd
	v_xor_b32_e32 v11, vcc_lo, v11
	v_lshl_add_u32 v36, v9, 2, v57
	v_and_b32_e32 v10, v10, v15
	s_wait_alu 0xf1ff
	v_xor_b32_e32 v9, s12, v12
	ds_load_b32 v37, v36 offset:4
	v_and_b32_e32 v10, v10, v11
	; wave barrier
	s_delay_alu instid0(VALU_DEP_1) | instskip(NEXT) | instid1(VALU_DEP_1)
	v_and_b32_e32 v9, v10, v9
	v_mbcnt_lo_u32_b32 v64, v9, 0
	v_cmp_ne_u32_e64 s12, 0, v9
	s_delay_alu instid0(VALU_DEP_2) | instskip(SKIP_1) | instid1(SALU_CYCLE_1)
	v_cmp_eq_u32_e32 vcc_lo, 0, v64
	s_and_b32 s26, s12, vcc_lo
	s_and_saveexec_b32 s12, s26
	s_cbranch_execz .LBB213_30
; %bb.29:                               ;   in Loop: Header=BB213_26 Depth=1
	s_wait_dscnt 0x0
	v_bcnt_u32_b32 v9, v9, v37
	ds_store_b32 v36, v9 offset:4
.LBB213_30:                             ;   in Loop: Header=BB213_26 Depth=1
	s_wait_alu 0xfffe
	s_or_b32 exec_lo, exec_lo, s12
	v_cmp_ne_u32_e32 vcc_lo, 0x7fffffff, v62
	; wave barrier
	s_wait_alu 0xfffd
	v_cndmask_b32_e32 v9, 0x80000000, v62, vcc_lo
	s_delay_alu instid0(VALU_DEP_1) | instskip(NEXT) | instid1(VALU_DEP_1)
	v_lshrrev_b32_e32 v9, s13, v9
	v_and_b32_e32 v9, s25, v9
	s_delay_alu instid0(VALU_DEP_1)
	v_and_b32_e32 v10, 1, v9
	v_lshlrev_b32_e32 v11, 30, v9
	v_lshlrev_b32_e32 v12, 29, v9
	;; [unrolled: 1-line block ×4, first 2 shown]
	v_add_co_u32 v10, s12, v10, -1
	s_wait_alu 0xf1ff
	v_cndmask_b32_e64 v14, 0, 1, s12
	v_not_b32_e32 v66, v11
	v_cmp_gt_i32_e64 s12, 0, v11
	v_not_b32_e32 v11, v12
	v_lshlrev_b32_e32 v16, 26, v9
	v_cmp_ne_u32_e32 vcc_lo, 0, v14
	v_ashrrev_i32_e32 v66, 31, v66
	v_lshlrev_b32_e32 v65, 25, v9
	v_ashrrev_i32_e32 v11, 31, v11
	v_lshlrev_b32_e32 v14, 24, v9
	s_wait_alu 0xfffd
	v_xor_b32_e32 v10, vcc_lo, v10
	v_cmp_gt_i32_e32 vcc_lo, 0, v12
	v_not_b32_e32 v12, v13
	s_wait_alu 0xf1ff
	v_xor_b32_e32 v66, s12, v66
	v_cmp_gt_i32_e64 s12, 0, v13
	v_and_b32_e32 v10, exec_lo, v10
	v_not_b32_e32 v13, v15
	v_ashrrev_i32_e32 v12, 31, v12
	s_wait_alu 0xfffd
	v_xor_b32_e32 v11, vcc_lo, v11
	v_cmp_gt_i32_e32 vcc_lo, 0, v15
	v_and_b32_e32 v10, v10, v66
	v_not_b32_e32 v15, v16
	v_ashrrev_i32_e32 v13, 31, v13
	s_wait_alu 0xf1ff
	v_xor_b32_e32 v12, s12, v12
	v_cmp_gt_i32_e64 s12, 0, v16
	v_and_b32_e32 v10, v10, v11
	v_not_b32_e32 v11, v65
	v_ashrrev_i32_e32 v15, 31, v15
	s_wait_alu 0xfffd
	v_xor_b32_e32 v13, vcc_lo, v13
	v_cmp_gt_i32_e32 vcc_lo, 0, v65
	v_and_b32_e32 v10, v10, v12
	v_not_b32_e32 v12, v14
	v_ashrrev_i32_e32 v11, 31, v11
	s_wait_alu 0xf1ff
	v_xor_b32_e32 v15, s12, v15
	v_cmp_gt_i32_e64 s12, 0, v14
	v_and_b32_e32 v10, v10, v13
	v_ashrrev_i32_e32 v12, 31, v12
	s_wait_alu 0xfffd
	v_xor_b32_e32 v11, vcc_lo, v11
	v_lshl_add_u32 v65, v9, 2, v57
	v_and_b32_e32 v10, v10, v15
	s_wait_alu 0xf1ff
	v_xor_b32_e32 v9, s12, v12
	ds_load_b32 v66, v65 offset:4
	v_and_b32_e32 v10, v10, v11
	; wave barrier
	s_delay_alu instid0(VALU_DEP_1) | instskip(NEXT) | instid1(VALU_DEP_1)
	v_and_b32_e32 v9, v10, v9
	v_mbcnt_lo_u32_b32 v67, v9, 0
	v_cmp_ne_u32_e64 s12, 0, v9
	s_delay_alu instid0(VALU_DEP_2) | instskip(SKIP_1) | instid1(SALU_CYCLE_1)
	v_cmp_eq_u32_e32 vcc_lo, 0, v67
	s_and_b32 s26, s12, vcc_lo
	s_and_saveexec_b32 s12, s26
	s_cbranch_execz .LBB213_32
; %bb.31:                               ;   in Loop: Header=BB213_26 Depth=1
	s_wait_dscnt 0x0
	v_bcnt_u32_b32 v9, v9, v66
	ds_store_b32 v65, v9 offset:4
.LBB213_32:                             ;   in Loop: Header=BB213_26 Depth=1
	s_wait_alu 0xfffe
	s_or_b32 exec_lo, exec_lo, s12
	v_cmp_ne_u32_e32 vcc_lo, 0x7fffffff, v61
	; wave barrier
	s_wait_alu 0xfffd
	v_cndmask_b32_e32 v9, 0x80000000, v61, vcc_lo
	s_delay_alu instid0(VALU_DEP_1) | instskip(NEXT) | instid1(VALU_DEP_1)
	v_lshrrev_b32_e32 v9, s13, v9
	v_and_b32_e32 v9, s25, v9
	s_delay_alu instid0(VALU_DEP_1)
	v_and_b32_e32 v10, 1, v9
	v_lshlrev_b32_e32 v11, 30, v9
	v_lshlrev_b32_e32 v12, 29, v9
	;; [unrolled: 1-line block ×4, first 2 shown]
	v_add_co_u32 v10, s12, v10, -1
	s_wait_alu 0xf1ff
	v_cndmask_b32_e64 v14, 0, 1, s12
	v_not_b32_e32 v69, v11
	v_cmp_gt_i32_e64 s12, 0, v11
	v_not_b32_e32 v11, v12
	v_lshlrev_b32_e32 v16, 26, v9
	v_cmp_ne_u32_e32 vcc_lo, 0, v14
	v_ashrrev_i32_e32 v69, 31, v69
	v_lshlrev_b32_e32 v68, 25, v9
	v_ashrrev_i32_e32 v11, 31, v11
	v_lshlrev_b32_e32 v14, 24, v9
	s_wait_alu 0xfffd
	v_xor_b32_e32 v10, vcc_lo, v10
	v_cmp_gt_i32_e32 vcc_lo, 0, v12
	v_not_b32_e32 v12, v13
	s_wait_alu 0xf1ff
	v_xor_b32_e32 v69, s12, v69
	v_cmp_gt_i32_e64 s12, 0, v13
	v_and_b32_e32 v10, exec_lo, v10
	v_not_b32_e32 v13, v15
	v_ashrrev_i32_e32 v12, 31, v12
	s_wait_alu 0xfffd
	v_xor_b32_e32 v11, vcc_lo, v11
	v_cmp_gt_i32_e32 vcc_lo, 0, v15
	v_and_b32_e32 v10, v10, v69
	v_not_b32_e32 v15, v16
	v_ashrrev_i32_e32 v13, 31, v13
	s_wait_alu 0xf1ff
	v_xor_b32_e32 v12, s12, v12
	v_cmp_gt_i32_e64 s12, 0, v16
	v_and_b32_e32 v10, v10, v11
	v_not_b32_e32 v11, v68
	v_ashrrev_i32_e32 v15, 31, v15
	s_wait_alu 0xfffd
	v_xor_b32_e32 v13, vcc_lo, v13
	v_cmp_gt_i32_e32 vcc_lo, 0, v68
	v_and_b32_e32 v10, v10, v12
	v_not_b32_e32 v12, v14
	v_ashrrev_i32_e32 v11, 31, v11
	s_wait_alu 0xf1ff
	v_xor_b32_e32 v15, s12, v15
	v_cmp_gt_i32_e64 s12, 0, v14
	v_and_b32_e32 v10, v10, v13
	v_ashrrev_i32_e32 v12, 31, v12
	s_wait_alu 0xfffd
	v_xor_b32_e32 v11, vcc_lo, v11
	v_lshl_add_u32 v68, v9, 2, v57
	v_and_b32_e32 v10, v10, v15
	s_wait_alu 0xf1ff
	v_xor_b32_e32 v9, s12, v12
	ds_load_b32 v70, v68 offset:4
	v_and_b32_e32 v10, v10, v11
	; wave barrier
	s_delay_alu instid0(VALU_DEP_1) | instskip(NEXT) | instid1(VALU_DEP_1)
	v_and_b32_e32 v9, v10, v9
	v_mbcnt_lo_u32_b32 v71, v9, 0
	v_cmp_ne_u32_e64 s12, 0, v9
	s_delay_alu instid0(VALU_DEP_2)
	v_cmp_eq_u32_e32 vcc_lo, 0, v71
	s_and_b32 s25, s12, vcc_lo
	s_wait_alu 0xfffe
	s_and_saveexec_b32 s12, s25
	s_cbranch_execz .LBB213_34
; %bb.33:                               ;   in Loop: Header=BB213_26 Depth=1
	s_wait_dscnt 0x0
	v_bcnt_u32_b32 v9, v9, v70
	ds_store_b32 v68, v9 offset:4
.LBB213_34:                             ;   in Loop: Header=BB213_26 Depth=1
	s_wait_alu 0xfffe
	s_or_b32 exec_lo, exec_lo, s12
	; wave barrier
	; wave barrier
	s_wait_loadcnt_dscnt 0x0
	global_inv scope:SCOPE_SE
	ds_load_2addr_b32 v[15:16], v47 offset0:1 offset1:2
	ds_load_2addr_b32 v[13:14], v47 offset0:3 offset1:4
	;; [unrolled: 1-line block ×4, first 2 shown]
	s_wait_dscnt 0x3
	v_add_nc_u32_e32 v69, v16, v15
	s_wait_dscnt 0x2
	s_delay_alu instid0(VALU_DEP_1) | instskip(SKIP_1) | instid1(VALU_DEP_1)
	v_add3_u32 v69, v69, v13, v14
	s_wait_dscnt 0x1
	v_add3_u32 v69, v69, v11, v12
	s_wait_dscnt 0x0
	s_delay_alu instid0(VALU_DEP_1) | instskip(NEXT) | instid1(VALU_DEP_1)
	v_add3_u32 v10, v69, v9, v10
	v_mov_b32_dpp v69, v10 row_shr:1 row_mask:0xf bank_mask:0xf
	s_delay_alu instid0(VALU_DEP_1) | instskip(NEXT) | instid1(VALU_DEP_1)
	v_cndmask_b32_e64 v69, v69, 0, s7
	v_add_nc_u32_e32 v10, v69, v10
	s_delay_alu instid0(VALU_DEP_1) | instskip(NEXT) | instid1(VALU_DEP_1)
	v_mov_b32_dpp v69, v10 row_shr:2 row_mask:0xf bank_mask:0xf
	v_cndmask_b32_e64 v69, 0, v69, s8
	s_delay_alu instid0(VALU_DEP_1) | instskip(NEXT) | instid1(VALU_DEP_1)
	v_add_nc_u32_e32 v10, v10, v69
	v_mov_b32_dpp v69, v10 row_shr:4 row_mask:0xf bank_mask:0xf
	s_delay_alu instid0(VALU_DEP_1) | instskip(NEXT) | instid1(VALU_DEP_1)
	v_cndmask_b32_e64 v69, 0, v69, s9
	v_add_nc_u32_e32 v10, v10, v69
	s_delay_alu instid0(VALU_DEP_1) | instskip(NEXT) | instid1(VALU_DEP_1)
	v_mov_b32_dpp v69, v10 row_shr:8 row_mask:0xf bank_mask:0xf
	v_cndmask_b32_e64 v69, 0, v69, s10
	s_delay_alu instid0(VALU_DEP_1) | instskip(SKIP_3) | instid1(VALU_DEP_1)
	v_add_nc_u32_e32 v10, v10, v69
	ds_swizzle_b32 v69, v10 offset:swizzle(BROADCAST,32,15)
	s_wait_dscnt 0x0
	v_cndmask_b32_e64 v69, v69, 0, s11
	v_add_nc_u32_e32 v10, v10, v69
	s_and_saveexec_b32 s12, s6
; %bb.35:                               ;   in Loop: Header=BB213_26 Depth=1
	ds_store_b32 v58, v10
; %bb.36:                               ;   in Loop: Header=BB213_26 Depth=1
	s_wait_alu 0xfffe
	s_or_b32 exec_lo, exec_lo, s12
	ds_bpermute_b32 v10, v56, v10
	; wave barrier
	s_wait_loadcnt_dscnt 0x0
	global_inv scope:SCOPE_SE
	s_cmp_gt_u32 s13, 23
	s_mov_b32 s12, -1
	v_cndmask_b32_e64 v10, v10, 0, s17
	s_delay_alu instid0(VALU_DEP_1) | instskip(NEXT) | instid1(VALU_DEP_1)
	v_add_nc_u32_e32 v15, v10, v15
	v_add_nc_u32_e32 v16, v15, v16
	s_delay_alu instid0(VALU_DEP_1) | instskip(NEXT) | instid1(VALU_DEP_1)
	v_add_nc_u32_e32 v13, v16, v13
	v_add_nc_u32_e32 v14, v13, v14
	;; [unrolled: 3-line block ×3, first 2 shown]
	s_delay_alu instid0(VALU_DEP_1)
	v_add_nc_u32_e32 v9, v12, v9
	ds_store_2addr_b32 v47, v10, v15 offset0:1 offset1:2
	ds_store_2addr_b32 v47, v16, v13 offset0:3 offset1:4
	;; [unrolled: 1-line block ×4, first 2 shown]
	; wave barrier
	s_wait_loadcnt_dscnt 0x0
	global_inv scope:SCOPE_SE
	ds_load_b32 v9, v35 offset:4
	ds_load_b32 v10, v36 offset:4
	;; [unrolled: 1-line block ×4, first 2 shown]
                                        ; implicit-def: $vgpr13_vgpr14
	s_wait_dscnt 0x3
	v_add_nc_u32_e32 v69, v9, v34
	s_wait_dscnt 0x2
	v_add3_u32 v68, v64, v37, v10
	s_wait_dscnt 0x1
	v_add3_u32 v65, v67, v66, v11
	;; [unrolled: 2-line block ×3, first 2 shown]
                                        ; implicit-def: $vgpr37
                                        ; implicit-def: $vgpr35
                                        ; implicit-def: $vgpr9_vgpr10
	s_cbranch_scc1 .LBB213_25
; %bb.37:                               ;   in Loop: Header=BB213_26 Depth=1
	v_lshlrev_b32_e32 v9, 2, v69
	v_lshlrev_b32_e32 v10, 2, v68
	;; [unrolled: 1-line block ×4, first 2 shown]
	s_wait_loadcnt 0x0
	; wave barrier
	global_inv scope:SCOPE_SE
	ds_store_b32 v9, v60
	ds_store_b32 v10, v63
	;; [unrolled: 1-line block ×4, first 2 shown]
	v_add_nc_u32_e32 v9, v9, v9
	v_add_nc_u32_e32 v10, v10, v10
	;; [unrolled: 1-line block ×4, first 2 shown]
	; wave barrier
	s_wait_loadcnt_dscnt 0x0
	global_inv scope:SCOPE_SE
	ds_load_2addr_b32 v[34:35], v0 offset1:32
	ds_load_2addr_b32 v[36:37], v0 offset0:64 offset1:96
	; wave barrier
	s_wait_loadcnt_dscnt 0x0
	global_inv scope:SCOPE_SE
	ds_store_b64 v9, v[32:33]
	ds_store_b64 v10, v[30:31]
	;; [unrolled: 1-line block ×4, first 2 shown]
	; wave barrier
	s_wait_loadcnt_dscnt 0x0
	global_inv scope:SCOPE_SE
	ds_load_2addr_b64 v[9:12], v59 offset1:32
	ds_load_2addr_b64 v[13:16], v59 offset0:64 offset1:96
	s_add_co_i32 s13, s13, 8
	s_add_co_i32 s24, s24, -8
	s_mov_b32 s12, 0
	; wave barrier
	s_wait_loadcnt_dscnt 0x0
	global_inv scope:SCOPE_SE
	s_branch .LBB213_25
.LBB213_38:
	v_lshlrev_b32_e32 v0, 2, v69
	v_lshlrev_b32_e32 v14, 2, v65
	;; [unrolled: 1-line block ×5, first 2 shown]
	s_wait_loadcnt 0x0
	; wave barrier
	global_inv scope:SCOPE_SE
	ds_store_b32 v0, v60
	ds_store_b32 v13, v63
	;; [unrolled: 1-line block ×4, first 2 shown]
	; wave barrier
	s_wait_loadcnt_dscnt 0x0
	global_inv scope:SCOPE_SE
	ds_load_b128 v[9:12], v9
	v_add_nc_u32_e32 v0, v0, v0
	v_add_nc_u32_e32 v13, v13, v13
	;; [unrolled: 1-line block ×3, first 2 shown]
	; wave barrier
	s_wait_loadcnt_dscnt 0x0
	global_inv scope:SCOPE_SE
	ds_store_b64 v0, v[32:33]
	ds_store_b64 v13, v[30:31]
	;; [unrolled: 1-line block ×3, first 2 shown]
	v_add_nc_u32_e32 v15, v15, v15
	s_mov_b32 s9, 0
	ds_store_b64 v15, v[26:27]
	; wave barrier
	s_wait_loadcnt_dscnt 0x0
	global_inv scope:SCOPE_SE
	v_cmp_lt_i32_e32 vcc_lo, -1, v9
	s_wait_alu 0xfffd
	v_cndmask_b32_e64 v0, 0x80000000, -1, vcc_lo
	v_cmp_lt_i32_e32 vcc_lo, -1, v10
	s_delay_alu instid0(VALU_DEP_2) | instskip(SKIP_3) | instid1(VALU_DEP_2)
	v_xor_b32_e32 v9, v0, v9
	s_wait_alu 0xfffd
	v_cndmask_b32_e64 v13, 0x80000000, -1, vcc_lo
	v_cmp_lt_i32_e32 vcc_lo, -1, v11
	v_xor_b32_e32 v10, v13, v10
	s_wait_alu 0xfffd
	v_cndmask_b32_e64 v14, 0x80000000, -1, vcc_lo
	v_cmp_lt_i32_e32 vcc_lo, -1, v12
	s_delay_alu instid0(VALU_DEP_2) | instskip(SKIP_2) | instid1(VALU_DEP_1)
	v_xor_b32_e32 v11, v14, v11
	s_wait_alu 0xfffd
	v_cndmask_b32_e64 v16, 0x80000000, -1, vcc_lo
	v_xor_b32_e32 v12, v16, v12
.LBB213_39:
	s_wait_alu 0xfffe
	s_and_b32 vcc_lo, exec_lo, s9
	s_wait_alu 0xfffe
	s_cbranch_vccz .LBB213_55
; %bb.40:
	v_cmp_gt_i32_e32 vcc_lo, 0, v24
	ds_bpermute_b32 v29, v54, v8
	ds_bpermute_b32 v13, v54, v5
	;; [unrolled: 1-line block ×4, first 2 shown]
	s_wait_alu 0xfffd
	v_cndmask_b32_e64 v0, 0x7fffffff, 0, vcc_lo
	v_cmp_gt_i32_e32 vcc_lo, 0, v25
	ds_bpermute_b32 v32, v54, v2
	v_cmp_eq_u32_e64 s6, 3, v55
	ds_bpermute_b32 v35, v54, v8 offset:32
	v_xor_b32_e32 v0, v0, v24
	s_wait_alu 0xfffd
	v_cndmask_b32_e64 v9, 0x7fffffff, 0, vcc_lo
	v_cmp_gt_i32_e32 vcc_lo, 0, v22
	ds_bpermute_b32 v24, v54, v6
	s_wait_loadcnt_dscnt 0x0
	ds_bpermute_b32 v12, v54, v0
	v_xor_b32_e32 v9, v9, v25
	s_wait_alu 0xfffd
	v_cndmask_b32_e64 v10, 0x7fffffff, 0, vcc_lo
	v_cmp_gt_i32_e32 vcc_lo, 0, v23
	ds_bpermute_b32 v14, v54, v0 offset:32
	ds_bpermute_b32 v15, v54, v0 offset:64
	ds_bpermute_b32 v16, v54, v9
	v_xor_b32_e32 v10, v10, v22
	s_wait_alu 0xfffd
	v_cndmask_b32_e64 v11, 0x7fffffff, 0, vcc_lo
	ds_bpermute_b32 v22, v54, v9 offset:32
	ds_bpermute_b32 v25, v54, v9 offset:64
	;; [unrolled: 1-line block ×4, first 2 shown]
	v_xor_b32_e32 v11, v11, v23
	ds_bpermute_b32 v23, v54, v10
	ds_bpermute_b32 v28, v54, v10 offset:64
	ds_bpermute_b32 v9, v54, v9 offset:96
	v_cmp_eq_u32_e32 vcc_lo, 2, v55
	ds_bpermute_b32 v30, v54, v11
	ds_bpermute_b32 v10, v54, v10 offset:96
	s_wait_dscnt 0xc
	v_cndmask_b32_e64 v12, 0, v12, s5
	ds_bpermute_b32 v33, v54, v11 offset:32
	ds_bpermute_b32 v34, v54, v11 offset:64
	;; [unrolled: 1-line block ×3, first 2 shown]
	s_wait_dscnt 0xe
	v_cndmask_b32_e64 v14, 0, v14, s5
	s_wait_dscnt 0xd
	v_cndmask_b32_e64 v15, 0, v15, s5
	;; [unrolled: 2-line block ×3, first 2 shown]
	ds_bpermute_b32 v16, v54, v5 offset:32
	v_cndmask_b32_e64 v13, 0, v13, s5
	s_wait_dscnt 0xc
	v_cndmask_b32_e64 v14, v14, v22, s1
	s_wait_dscnt 0xb
	;; [unrolled: 2-line block ×3, first 2 shown]
	v_cndmask_b32_e64 v0, 0, v0, s5
	v_cndmask_b32_e64 v25, 0, v24, s5
	;; [unrolled: 1-line block ×3, first 2 shown]
	s_wait_dscnt 0x7
	s_wait_alu 0xfffd
	v_dual_cndmask_b32 v12, v12, v23 :: v_dual_cndmask_b32 v15, v15, v28
	ds_bpermute_b32 v28, v54, v4
	s_wait_dscnt 0x7
	v_cndmask_b32_e64 v0, v0, v9, s1
	v_cndmask_b32_e64 v9, v25, v29, s1
	v_cndmask_b32_e32 v14, v14, v27, vcc_lo
	s_wait_dscnt 0x6
	s_wait_alu 0xf1ff
	v_cndmask_b32_e64 v22, v12, v30, s6
	ds_bpermute_b32 v12, v54, v6 offset:32
	ds_bpermute_b32 v27, v54, v7 offset:32
	ds_bpermute_b32 v30, v54, v3
	s_wait_dscnt 0x8
	v_dual_cndmask_b32 v0, v0, v10 :: v_dual_cndmask_b32 v13, v13, v31
	v_cndmask_b32_e32 v9, v9, v32, vcc_lo
	s_wait_dscnt 0x4
	v_cndmask_b32_e64 v10, 0, v16, s5
	v_cndmask_b32_e64 v23, v14, v33, s6
	ds_bpermute_b32 v14, v54, v6 offset:64
	v_cndmask_b32_e64 v25, v0, v11, s6
	ds_bpermute_b32 v6, v54, v6 offset:96
	ds_bpermute_b32 v26, v54, v8 offset:64
	;; [unrolled: 1-line block ×5, first 2 shown]
	; wave barrier
	s_wait_dscnt 0x0
	global_inv scope:SCOPE_SE
	s_load_b32 s7, s[22:23], 0xc
	ds_bpermute_b32 v31, v54, v4 offset:64
	ds_bpermute_b32 v32, v54, v1 offset:96
	;; [unrolled: 1-line block ×3, first 2 shown]
	v_cndmask_b32_e64 v12, 0, v12, s5
	v_cndmask_b32_e64 v0, v10, v27, s1
	;; [unrolled: 1-line block ×4, first 2 shown]
	ds_bpermute_b32 v13, v54, v5 offset:64
	v_cndmask_b32_e64 v11, v12, v35, s1
	ds_bpermute_b32 v12, v54, v2 offset:32
	ds_bpermute_b32 v27, v54, v7 offset:64
	;; [unrolled: 1-line block ×7, first 2 shown]
	v_cndmask_b32_e64 v14, 0, v14, s5
	v_cndmask_b32_e64 v6, 0, v6, s5
	;; [unrolled: 1-line block ×3, first 2 shown]
	ds_bpermute_b32 v15, v54, v3 offset:32
	ds_bpermute_b32 v30, v54, v3 offset:64
	s_getpc_b64 s[8:9]
	s_wait_alu 0xfffe
	s_sext_i32_i16 s9, s9
	s_add_co_u32 s8, s8, _ZN7rocprim17ROCPRIM_400000_NS16block_radix_sortIfLj32ELj4ElLj1ELj1ELj0ELNS0_26block_radix_rank_algorithmE1ELNS0_18block_padding_hintE2ELNS0_4arch9wavefront6targetE0EE19radix_bits_per_passE@rel32@lo+12
	s_wait_alu 0xfffe
	s_add_co_ci_u32 s9, s9, _ZN7rocprim17ROCPRIM_400000_NS16block_radix_sortIfLj32ELj4ElLj1ELj1ELj0ELNS0_26block_radix_rank_algorithmE1ELNS0_18block_padding_hintE2ELNS0_4arch9wavefront6targetE0EE19radix_bits_per_passE@rel32@hi+24
	v_cndmask_b32_e64 v6, v6, v8, s1
	s_load_b32 s11, s[8:9], 0x0
	v_cmp_eq_u32_e64 s8, 0, v50
	v_cmp_eq_u32_e64 s9, 31, v21
	s_mov_b32 s12, 0
	s_wait_dscnt 0x9
	v_cndmask_b32_e64 v1, 0, v13, s5
	ds_bpermute_b32 v13, v54, v3 offset:96
	s_mov_b32 s15, 32
	s_wait_dscnt 0x7
	v_cndmask_b32_e64 v5, 0, v5, s5
	v_cndmask_b32_e64 v1, v1, v27, s1
	v_cndmask_b32_e32 v3, v11, v12, vcc_lo
	v_cndmask_b32_e64 v11, v14, v26, s1
	s_wait_dscnt 0x4
	v_cndmask_b32_e32 v2, v6, v2, vcc_lo
	v_cndmask_b32_e64 v5, v5, v7, s1
	v_cndmask_b32_e32 v8, v1, v29, vcc_lo
	v_cndmask_b32_e64 v12, v3, v16, s6
	v_cndmask_b32_e32 v3, v11, v28, vcc_lo
	s_wait_kmcnt 0x0
	s_lshr_b32 s1, s7, 16
	v_dual_cndmask_b32 v5, v5, v32 :: v_dual_lshlrev_b32 v26, 2, v49
	s_wait_dscnt 0x3
	v_cndmask_b32_e32 v0, v0, v36, vcc_lo
	v_cndmask_b32_e64 v1, v3, v31, s6
	v_cndmask_b32_e64 v3, v2, v4, s6
	s_wait_alu 0xfffe
	v_mad_u32_u24 v4, v53, s1, v52
	s_and_b32 s1, s7, 0xffff
	s_wait_dscnt 0x0
	v_cndmask_b32_e64 v2, v5, v13, s6
	v_cmp_lt_u32_e64 s5, 1, v51
	v_cmp_lt_u32_e64 s7, 7, v51
	s_wait_alu 0xfffe
	v_mad_co_u64_u32 v[4:5], null, v4, s1, v[21:22]
	v_sub_co_u32 v5, s10, v48, 1
	v_cmp_eq_u32_e64 s1, 0, v51
	v_dual_mov_b32 v28, 0 :: v_dual_add_nc_u32 v29, v26, v26
	s_delay_alu instid0(VALU_DEP_3) | instskip(SKIP_4) | instid1(VALU_DEP_3)
	v_cmp_gt_i32_e32 vcc_lo, 0, v5
	v_lshrrev_b32_e32 v4, 3, v4
	s_wait_alu 0xfffd
	v_cndmask_b32_e32 v5, v5, v48, vcc_lo
	v_cmp_eq_u32_e32 vcc_lo, 0, v21
	v_and_b32_e32 v21, 0x1ffffffc, v4
	s_delay_alu instid0(VALU_DEP_3)
	v_lshlrev_b32_e32 v27, 2, v5
	v_cndmask_b32_e64 v11, v0, v15, s6
	v_cndmask_b32_e64 v0, v8, v30, s6
	v_cmp_lt_u32_e64 s6, 3, v51
	s_or_b32 s13, vcc_lo, s10
	s_branch .LBB213_42
.LBB213_41:                             ;   in Loop: Header=BB213_42 Depth=1
	s_wait_alu 0xfffe
	s_and_not1_b32 vcc_lo, exec_lo, s10
	s_wait_alu 0xfffe
	s_cbranch_vccz .LBB213_54
.LBB213_42:                             ; =>This Inner Loop Header: Depth=1
	v_mov_b32_e32 v30, v22
	s_min_u32 s10, s11, s15
	ds_store_2addr_b32 v47, v28, v28 offset0:1 offset1:2
	ds_store_2addr_b32 v47, v28, v28 offset0:3 offset1:4
	;; [unrolled: 1-line block ×4, first 2 shown]
	s_wait_alu 0xfffe
	s_lshl_b32 s10, -1, s10
	s_wait_loadcnt_dscnt 0x0
	v_cmp_ne_u32_e32 vcc_lo, 0x80000000, v30
	s_wait_alu 0xfffe
	s_not_b32 s17, s10
	; wave barrier
	global_inv scope:SCOPE_SE
	; wave barrier
	s_wait_alu 0xfffd
	v_dual_cndmask_b32 v4, 0x7fffffff, v30 :: v_dual_mov_b32 v31, v25
	v_dual_mov_b32 v33, v23 :: v_dual_mov_b32 v32, v24
	s_delay_alu instid0(VALU_DEP_2) | instskip(SKIP_1) | instid1(VALU_DEP_1)
	v_lshrrev_b32_e32 v4, s12, v4
	s_wait_alu 0xfffe
	v_and_b32_e32 v22, s17, v4
	s_delay_alu instid0(VALU_DEP_1)
	v_and_b32_e32 v4, 1, v22
	v_lshlrev_b32_e32 v5, 30, v22
	v_lshlrev_b32_e32 v6, 29, v22
	;; [unrolled: 1-line block ×4, first 2 shown]
	v_add_co_u32 v4, s10, v4, -1
	s_wait_alu 0xf1ff
	v_cndmask_b32_e64 v8, 0, 1, s10
	v_not_b32_e32 v16, v5
	v_cmp_gt_i32_e64 s10, 0, v5
	v_not_b32_e32 v5, v6
	v_lshlrev_b32_e32 v14, 26, v22
	v_cmp_ne_u32_e32 vcc_lo, 0, v8
	v_ashrrev_i32_e32 v16, 31, v16
	v_lshlrev_b32_e32 v15, 25, v22
	v_ashrrev_i32_e32 v5, 31, v5
	v_lshlrev_b32_e32 v8, 24, v22
	s_wait_alu 0xfffd
	v_xor_b32_e32 v4, vcc_lo, v4
	v_cmp_gt_i32_e32 vcc_lo, 0, v6
	v_not_b32_e32 v6, v7
	s_wait_alu 0xf1ff
	v_xor_b32_e32 v16, s10, v16
	v_cmp_gt_i32_e64 s10, 0, v7
	v_and_b32_e32 v4, exec_lo, v4
	v_not_b32_e32 v7, v13
	v_ashrrev_i32_e32 v6, 31, v6
	s_wait_alu 0xfffd
	v_xor_b32_e32 v5, vcc_lo, v5
	v_cmp_gt_i32_e32 vcc_lo, 0, v13
	v_and_b32_e32 v4, v4, v16
	v_not_b32_e32 v13, v14
	v_ashrrev_i32_e32 v7, 31, v7
	s_wait_alu 0xf1ff
	v_xor_b32_e32 v6, s10, v6
	v_cmp_gt_i32_e64 s10, 0, v14
	v_and_b32_e32 v4, v4, v5
	v_ashrrev_i32_e32 v13, 31, v13
	s_wait_alu 0xfffd
	v_xor_b32_e32 v7, vcc_lo, v7
	v_lshl_add_u32 v22, v22, 2, v21
	v_and_b32_e32 v4, v4, v6
	s_wait_alu 0xf1ff
	v_xor_b32_e32 v13, s10, v13
	v_not_b32_e32 v6, v8
	v_cmp_gt_i32_e64 s10, 0, v8
	v_and_b32_e32 v4, v4, v7
	s_delay_alu instid0(VALU_DEP_3) | instskip(NEXT) | instid1(VALU_DEP_2)
	v_ashrrev_i32_e32 v6, 31, v6
	v_and_b32_e32 v4, v4, v13
	v_mov_b32_e32 v14, v12
	v_not_b32_e32 v5, v15
	v_cmp_gt_i32_e32 vcc_lo, 0, v15
	s_wait_alu 0xf1ff
	v_xor_b32_e32 v6, s10, v6
	v_dual_mov_b32 v13, v11 :: v_dual_mov_b32 v16, v10
	v_ashrrev_i32_e32 v5, 31, v5
	v_mov_b32_e32 v15, v9
	s_wait_alu 0xfffd
	s_delay_alu instid0(VALU_DEP_2) | instskip(NEXT) | instid1(VALU_DEP_1)
	v_xor_b32_e32 v5, vcc_lo, v5
	v_and_b32_e32 v4, v4, v5
	s_delay_alu instid0(VALU_DEP_1) | instskip(SKIP_2) | instid1(VALU_DEP_3)
	v_dual_mov_b32 v7, v1 :: v_dual_and_b32 v8, v4, v6
	v_dual_mov_b32 v5, v3 :: v_dual_mov_b32 v6, v0
	v_mov_b32_e32 v4, v2
	v_mbcnt_lo_u32_b32 v12, v8, 0
	v_cmp_ne_u32_e64 s10, 0, v8
	s_delay_alu instid0(VALU_DEP_2) | instskip(SKIP_1) | instid1(SALU_CYCLE_1)
	v_cmp_eq_u32_e32 vcc_lo, 0, v12
	s_and_b32 s22, s10, vcc_lo
	s_and_saveexec_b32 s10, s22
; %bb.43:                               ;   in Loop: Header=BB213_42 Depth=1
	v_bcnt_u32_b32 v0, v8, 0
	ds_store_b32 v22, v0 offset:4
; %bb.44:                               ;   in Loop: Header=BB213_42 Depth=1
	s_wait_alu 0xfffe
	s_or_b32 exec_lo, exec_lo, s10
	v_cmp_ne_u32_e32 vcc_lo, 0x80000000, v33
	; wave barrier
	s_wait_alu 0xfffd
	v_cndmask_b32_e32 v0, 0x7fffffff, v33, vcc_lo
	s_delay_alu instid0(VALU_DEP_1) | instskip(NEXT) | instid1(VALU_DEP_1)
	v_lshrrev_b32_e32 v0, s12, v0
	v_and_b32_e32 v0, s17, v0
	s_delay_alu instid0(VALU_DEP_1)
	v_and_b32_e32 v1, 1, v0
	v_lshlrev_b32_e32 v2, 30, v0
	v_lshlrev_b32_e32 v3, 29, v0
	;; [unrolled: 1-line block ×4, first 2 shown]
	v_add_co_u32 v1, s10, v1, -1
	s_wait_alu 0xf1ff
	v_cndmask_b32_e64 v9, 0, 1, s10
	v_not_b32_e32 v24, v2
	v_cmp_gt_i32_e64 s10, 0, v2
	v_not_b32_e32 v2, v3
	v_lshlrev_b32_e32 v11, 26, v0
	v_cmp_ne_u32_e32 vcc_lo, 0, v9
	v_ashrrev_i32_e32 v24, 31, v24
	v_lshlrev_b32_e32 v23, 25, v0
	v_ashrrev_i32_e32 v2, 31, v2
	v_lshlrev_b32_e32 v9, 24, v0
	s_wait_alu 0xfffd
	v_xor_b32_e32 v1, vcc_lo, v1
	v_cmp_gt_i32_e32 vcc_lo, 0, v3
	v_not_b32_e32 v3, v8
	s_wait_alu 0xf1ff
	v_xor_b32_e32 v24, s10, v24
	v_cmp_gt_i32_e64 s10, 0, v8
	v_and_b32_e32 v1, exec_lo, v1
	v_not_b32_e32 v8, v10
	v_ashrrev_i32_e32 v3, 31, v3
	s_wait_alu 0xfffd
	v_xor_b32_e32 v2, vcc_lo, v2
	v_cmp_gt_i32_e32 vcc_lo, 0, v10
	v_and_b32_e32 v1, v1, v24
	v_not_b32_e32 v10, v11
	v_ashrrev_i32_e32 v8, 31, v8
	s_wait_alu 0xf1ff
	v_xor_b32_e32 v3, s10, v3
	v_cmp_gt_i32_e64 s10, 0, v11
	v_and_b32_e32 v1, v1, v2
	v_not_b32_e32 v2, v23
	v_ashrrev_i32_e32 v10, 31, v10
	s_wait_alu 0xfffd
	v_xor_b32_e32 v8, vcc_lo, v8
	v_cmp_gt_i32_e32 vcc_lo, 0, v23
	v_and_b32_e32 v1, v1, v3
	v_not_b32_e32 v3, v9
	v_ashrrev_i32_e32 v2, 31, v2
	s_wait_alu 0xf1ff
	v_xor_b32_e32 v10, s10, v10
	v_cmp_gt_i32_e64 s10, 0, v9
	v_and_b32_e32 v1, v1, v8
	v_ashrrev_i32_e32 v3, 31, v3
	s_wait_alu 0xfffd
	v_xor_b32_e32 v2, vcc_lo, v2
	v_lshl_add_u32 v23, v0, 2, v21
	v_and_b32_e32 v1, v1, v10
	s_wait_alu 0xf1ff
	v_xor_b32_e32 v0, s10, v3
	ds_load_b32 v24, v23 offset:4
	v_and_b32_e32 v1, v1, v2
	; wave barrier
	s_delay_alu instid0(VALU_DEP_1) | instskip(NEXT) | instid1(VALU_DEP_1)
	v_and_b32_e32 v0, v1, v0
	v_mbcnt_lo_u32_b32 v25, v0, 0
	v_cmp_ne_u32_e64 s10, 0, v0
	s_delay_alu instid0(VALU_DEP_2) | instskip(SKIP_1) | instid1(SALU_CYCLE_1)
	v_cmp_eq_u32_e32 vcc_lo, 0, v25
	s_and_b32 s22, s10, vcc_lo
	s_and_saveexec_b32 s10, s22
	s_cbranch_execz .LBB213_46
; %bb.45:                               ;   in Loop: Header=BB213_42 Depth=1
	s_wait_dscnt 0x0
	v_bcnt_u32_b32 v0, v0, v24
	ds_store_b32 v23, v0 offset:4
.LBB213_46:                             ;   in Loop: Header=BB213_42 Depth=1
	s_wait_alu 0xfffe
	s_or_b32 exec_lo, exec_lo, s10
	v_cmp_ne_u32_e32 vcc_lo, 0x80000000, v32
	; wave barrier
	s_wait_alu 0xfffd
	v_cndmask_b32_e32 v0, 0x7fffffff, v32, vcc_lo
	s_delay_alu instid0(VALU_DEP_1) | instskip(NEXT) | instid1(VALU_DEP_1)
	v_lshrrev_b32_e32 v0, s12, v0
	v_and_b32_e32 v0, s17, v0
	s_delay_alu instid0(VALU_DEP_1)
	v_and_b32_e32 v1, 1, v0
	v_lshlrev_b32_e32 v2, 30, v0
	v_lshlrev_b32_e32 v3, 29, v0
	;; [unrolled: 1-line block ×4, first 2 shown]
	v_add_co_u32 v1, s10, v1, -1
	s_wait_alu 0xf1ff
	v_cndmask_b32_e64 v9, 0, 1, s10
	v_not_b32_e32 v35, v2
	v_cmp_gt_i32_e64 s10, 0, v2
	v_not_b32_e32 v2, v3
	v_lshlrev_b32_e32 v11, 26, v0
	v_cmp_ne_u32_e32 vcc_lo, 0, v9
	v_ashrrev_i32_e32 v35, 31, v35
	v_lshlrev_b32_e32 v34, 25, v0
	v_ashrrev_i32_e32 v2, 31, v2
	v_lshlrev_b32_e32 v9, 24, v0
	s_wait_alu 0xfffd
	v_xor_b32_e32 v1, vcc_lo, v1
	v_cmp_gt_i32_e32 vcc_lo, 0, v3
	v_not_b32_e32 v3, v8
	s_wait_alu 0xf1ff
	v_xor_b32_e32 v35, s10, v35
	v_cmp_gt_i32_e64 s10, 0, v8
	v_and_b32_e32 v1, exec_lo, v1
	v_not_b32_e32 v8, v10
	v_ashrrev_i32_e32 v3, 31, v3
	s_wait_alu 0xfffd
	v_xor_b32_e32 v2, vcc_lo, v2
	v_cmp_gt_i32_e32 vcc_lo, 0, v10
	v_and_b32_e32 v1, v1, v35
	v_not_b32_e32 v10, v11
	v_ashrrev_i32_e32 v8, 31, v8
	s_wait_alu 0xf1ff
	v_xor_b32_e32 v3, s10, v3
	v_cmp_gt_i32_e64 s10, 0, v11
	v_and_b32_e32 v1, v1, v2
	v_not_b32_e32 v2, v34
	v_ashrrev_i32_e32 v10, 31, v10
	s_wait_alu 0xfffd
	v_xor_b32_e32 v8, vcc_lo, v8
	v_cmp_gt_i32_e32 vcc_lo, 0, v34
	v_and_b32_e32 v1, v1, v3
	v_not_b32_e32 v3, v9
	v_ashrrev_i32_e32 v2, 31, v2
	s_wait_alu 0xf1ff
	v_xor_b32_e32 v10, s10, v10
	v_cmp_gt_i32_e64 s10, 0, v9
	v_and_b32_e32 v1, v1, v8
	v_ashrrev_i32_e32 v3, 31, v3
	s_wait_alu 0xfffd
	v_xor_b32_e32 v2, vcc_lo, v2
	v_lshl_add_u32 v34, v0, 2, v21
	v_and_b32_e32 v1, v1, v10
	s_wait_alu 0xf1ff
	v_xor_b32_e32 v0, s10, v3
	ds_load_b32 v35, v34 offset:4
	v_and_b32_e32 v1, v1, v2
	; wave barrier
	s_delay_alu instid0(VALU_DEP_1) | instskip(NEXT) | instid1(VALU_DEP_1)
	v_and_b32_e32 v0, v1, v0
	v_mbcnt_lo_u32_b32 v36, v0, 0
	v_cmp_ne_u32_e64 s10, 0, v0
	s_delay_alu instid0(VALU_DEP_2) | instskip(SKIP_1) | instid1(SALU_CYCLE_1)
	v_cmp_eq_u32_e32 vcc_lo, 0, v36
	s_and_b32 s22, s10, vcc_lo
	s_and_saveexec_b32 s10, s22
	s_cbranch_execz .LBB213_48
; %bb.47:                               ;   in Loop: Header=BB213_42 Depth=1
	s_wait_dscnt 0x0
	v_bcnt_u32_b32 v0, v0, v35
	ds_store_b32 v34, v0 offset:4
.LBB213_48:                             ;   in Loop: Header=BB213_42 Depth=1
	s_wait_alu 0xfffe
	s_or_b32 exec_lo, exec_lo, s10
	v_cmp_ne_u32_e32 vcc_lo, 0x80000000, v31
	; wave barrier
	s_wait_alu 0xfffd
	v_cndmask_b32_e32 v0, 0x7fffffff, v31, vcc_lo
	s_delay_alu instid0(VALU_DEP_1) | instskip(NEXT) | instid1(VALU_DEP_1)
	v_lshrrev_b32_e32 v0, s12, v0
	v_and_b32_e32 v0, s17, v0
	s_delay_alu instid0(VALU_DEP_1)
	v_and_b32_e32 v1, 1, v0
	v_lshlrev_b32_e32 v2, 30, v0
	v_lshlrev_b32_e32 v3, 29, v0
	;; [unrolled: 1-line block ×4, first 2 shown]
	v_add_co_u32 v1, s10, v1, -1
	s_wait_alu 0xf1ff
	v_cndmask_b32_e64 v9, 0, 1, s10
	v_not_b32_e32 v48, v2
	v_cmp_gt_i32_e64 s10, 0, v2
	v_not_b32_e32 v2, v3
	v_lshlrev_b32_e32 v11, 26, v0
	v_cmp_ne_u32_e32 vcc_lo, 0, v9
	v_ashrrev_i32_e32 v48, 31, v48
	v_lshlrev_b32_e32 v37, 25, v0
	v_ashrrev_i32_e32 v2, 31, v2
	v_lshlrev_b32_e32 v9, 24, v0
	s_wait_alu 0xfffd
	v_xor_b32_e32 v1, vcc_lo, v1
	v_cmp_gt_i32_e32 vcc_lo, 0, v3
	v_not_b32_e32 v3, v8
	s_wait_alu 0xf1ff
	v_xor_b32_e32 v48, s10, v48
	v_cmp_gt_i32_e64 s10, 0, v8
	v_and_b32_e32 v1, exec_lo, v1
	v_not_b32_e32 v8, v10
	v_ashrrev_i32_e32 v3, 31, v3
	s_wait_alu 0xfffd
	v_xor_b32_e32 v2, vcc_lo, v2
	v_cmp_gt_i32_e32 vcc_lo, 0, v10
	v_and_b32_e32 v1, v1, v48
	v_not_b32_e32 v10, v11
	v_ashrrev_i32_e32 v8, 31, v8
	s_wait_alu 0xf1ff
	v_xor_b32_e32 v3, s10, v3
	v_cmp_gt_i32_e64 s10, 0, v11
	v_and_b32_e32 v1, v1, v2
	v_not_b32_e32 v2, v37
	v_ashrrev_i32_e32 v10, 31, v10
	s_wait_alu 0xfffd
	v_xor_b32_e32 v8, vcc_lo, v8
	v_cmp_gt_i32_e32 vcc_lo, 0, v37
	v_and_b32_e32 v1, v1, v3
	v_not_b32_e32 v3, v9
	v_ashrrev_i32_e32 v2, 31, v2
	s_wait_alu 0xf1ff
	v_xor_b32_e32 v10, s10, v10
	v_cmp_gt_i32_e64 s10, 0, v9
	v_and_b32_e32 v1, v1, v8
	v_ashrrev_i32_e32 v3, 31, v3
	s_wait_alu 0xfffd
	v_xor_b32_e32 v2, vcc_lo, v2
	v_lshl_add_u32 v37, v0, 2, v21
	v_and_b32_e32 v1, v1, v10
	s_wait_alu 0xf1ff
	v_xor_b32_e32 v0, s10, v3
	ds_load_b32 v49, v37 offset:4
	v_and_b32_e32 v1, v1, v2
	; wave barrier
	s_delay_alu instid0(VALU_DEP_1) | instskip(NEXT) | instid1(VALU_DEP_1)
	v_and_b32_e32 v0, v1, v0
	v_mbcnt_lo_u32_b32 v50, v0, 0
	v_cmp_ne_u32_e64 s10, 0, v0
	s_delay_alu instid0(VALU_DEP_2)
	v_cmp_eq_u32_e32 vcc_lo, 0, v50
	s_and_b32 s17, s10, vcc_lo
	s_wait_alu 0xfffe
	s_and_saveexec_b32 s10, s17
	s_cbranch_execz .LBB213_50
; %bb.49:                               ;   in Loop: Header=BB213_42 Depth=1
	s_wait_dscnt 0x0
	v_bcnt_u32_b32 v0, v0, v49
	ds_store_b32 v37, v0 offset:4
.LBB213_50:                             ;   in Loop: Header=BB213_42 Depth=1
	s_wait_alu 0xfffe
	s_or_b32 exec_lo, exec_lo, s10
	; wave barrier
	; wave barrier
	s_wait_loadcnt_dscnt 0x0
	global_inv scope:SCOPE_SE
	ds_load_2addr_b32 v[10:11], v47 offset0:1 offset1:2
	ds_load_2addr_b32 v[8:9], v47 offset0:3 offset1:4
	;; [unrolled: 1-line block ×4, first 2 shown]
	s_wait_dscnt 0x3
	v_add_nc_u32_e32 v48, v11, v10
	s_wait_dscnt 0x2
	s_delay_alu instid0(VALU_DEP_1) | instskip(SKIP_1) | instid1(VALU_DEP_1)
	v_add3_u32 v48, v48, v8, v9
	s_wait_dscnt 0x1
	v_add3_u32 v48, v48, v2, v3
	s_wait_dscnt 0x0
	s_delay_alu instid0(VALU_DEP_1) | instskip(NEXT) | instid1(VALU_DEP_1)
	v_add3_u32 v1, v48, v0, v1
	v_mov_b32_dpp v48, v1 row_shr:1 row_mask:0xf bank_mask:0xf
	s_delay_alu instid0(VALU_DEP_1) | instskip(NEXT) | instid1(VALU_DEP_1)
	v_cndmask_b32_e64 v48, v48, 0, s1
	v_add_nc_u32_e32 v1, v48, v1
	s_delay_alu instid0(VALU_DEP_1) | instskip(NEXT) | instid1(VALU_DEP_1)
	v_mov_b32_dpp v48, v1 row_shr:2 row_mask:0xf bank_mask:0xf
	v_cndmask_b32_e64 v48, 0, v48, s5
	s_delay_alu instid0(VALU_DEP_1) | instskip(NEXT) | instid1(VALU_DEP_1)
	v_add_nc_u32_e32 v1, v1, v48
	v_mov_b32_dpp v48, v1 row_shr:4 row_mask:0xf bank_mask:0xf
	s_delay_alu instid0(VALU_DEP_1) | instskip(NEXT) | instid1(VALU_DEP_1)
	v_cndmask_b32_e64 v48, 0, v48, s6
	v_add_nc_u32_e32 v1, v1, v48
	s_delay_alu instid0(VALU_DEP_1) | instskip(NEXT) | instid1(VALU_DEP_1)
	v_mov_b32_dpp v48, v1 row_shr:8 row_mask:0xf bank_mask:0xf
	v_cndmask_b32_e64 v48, 0, v48, s7
	s_delay_alu instid0(VALU_DEP_1) | instskip(SKIP_3) | instid1(VALU_DEP_1)
	v_add_nc_u32_e32 v1, v1, v48
	ds_swizzle_b32 v48, v1 offset:swizzle(BROADCAST,32,15)
	s_wait_dscnt 0x0
	v_cndmask_b32_e64 v48, v48, 0, s8
	v_add_nc_u32_e32 v1, v1, v48
	s_and_saveexec_b32 s10, s9
; %bb.51:                               ;   in Loop: Header=BB213_42 Depth=1
	ds_store_b32 v28, v1
; %bb.52:                               ;   in Loop: Header=BB213_42 Depth=1
	s_wait_alu 0xfffe
	s_or_b32 exec_lo, exec_lo, s10
	ds_bpermute_b32 v1, v27, v1
	; wave barrier
	s_wait_loadcnt_dscnt 0x0
	global_inv scope:SCOPE_SE
	s_cmp_gt_u32 s12, 23
	s_mov_b32 s10, -1
	v_cndmask_b32_e64 v1, v1, 0, s13
	s_delay_alu instid0(VALU_DEP_1) | instskip(NEXT) | instid1(VALU_DEP_1)
	v_add_nc_u32_e32 v10, v1, v10
	v_add_nc_u32_e32 v11, v10, v11
	s_delay_alu instid0(VALU_DEP_1) | instskip(NEXT) | instid1(VALU_DEP_1)
	v_add_nc_u32_e32 v8, v11, v8
	v_add_nc_u32_e32 v9, v8, v9
	;; [unrolled: 3-line block ×3, first 2 shown]
	s_delay_alu instid0(VALU_DEP_1)
	v_add_nc_u32_e32 v0, v3, v0
	ds_store_2addr_b32 v47, v1, v10 offset0:1 offset1:2
	ds_store_2addr_b32 v47, v11, v8 offset0:3 offset1:4
	;; [unrolled: 1-line block ×4, first 2 shown]
	; wave barrier
	s_wait_loadcnt_dscnt 0x0
	global_inv scope:SCOPE_SE
	ds_load_b32 v0, v22 offset:4
	ds_load_b32 v1, v23 offset:4
	;; [unrolled: 1-line block ×4, first 2 shown]
                                        ; implicit-def: $vgpr23
	s_wait_dscnt 0x3
	v_add_nc_u32_e32 v48, v0, v12
	s_wait_dscnt 0x2
	v_add3_u32 v37, v25, v24, v1
	s_wait_dscnt 0x1
	v_add3_u32 v34, v36, v35, v2
	;; [unrolled: 2-line block ×3, first 2 shown]
                                        ; implicit-def: $vgpr25
                                        ; implicit-def: $vgpr9_vgpr10
                                        ; implicit-def: $vgpr0_vgpr1
	s_cbranch_scc1 .LBB213_41
; %bb.53:                               ;   in Loop: Header=BB213_42 Depth=1
	v_lshlrev_b32_e32 v0, 2, v48
	v_lshlrev_b32_e32 v1, 2, v37
	;; [unrolled: 1-line block ×4, first 2 shown]
	s_wait_loadcnt 0x0
	; wave barrier
	global_inv scope:SCOPE_SE
	ds_store_b32 v0, v30
	ds_store_b32 v1, v33
	;; [unrolled: 1-line block ×4, first 2 shown]
	v_add_nc_u32_e32 v0, v0, v0
	v_add_nc_u32_e32 v1, v1, v1
	;; [unrolled: 1-line block ×4, first 2 shown]
	; wave barrier
	s_wait_loadcnt_dscnt 0x0
	global_inv scope:SCOPE_SE
	ds_load_2addr_b32 v[22:23], v26 offset1:32
	ds_load_2addr_b32 v[24:25], v26 offset0:64 offset1:96
	; wave barrier
	s_wait_loadcnt_dscnt 0x0
	global_inv scope:SCOPE_SE
	ds_store_b64 v0, v[15:16]
	ds_store_b64 v1, v[13:14]
	;; [unrolled: 1-line block ×4, first 2 shown]
	; wave barrier
	s_wait_loadcnt_dscnt 0x0
	global_inv scope:SCOPE_SE
	ds_load_2addr_b64 v[9:12], v29 offset1:32
	ds_load_2addr_b64 v[0:3], v29 offset0:64 offset1:96
	s_add_co_i32 s12, s12, 8
	s_add_co_i32 s15, s15, -8
	s_mov_b32 s10, 0
	; wave barrier
	s_wait_loadcnt_dscnt 0x0
	global_inv scope:SCOPE_SE
	s_branch .LBB213_41
.LBB213_54:
	v_lshlrev_b32_e32 v9, 2, v48
	v_lshlrev_b32_e32 v11, 2, v34
	;; [unrolled: 1-line block ×5, first 2 shown]
	s_wait_loadcnt 0x0
	; wave barrier
	global_inv scope:SCOPE_SE
	ds_store_b32 v9, v30
	ds_store_b32 v10, v33
	ds_store_b32 v11, v32
	ds_store_b32 v8, v31
	; wave barrier
	s_wait_loadcnt_dscnt 0x0
	global_inv scope:SCOPE_SE
	ds_load_b128 v[0:3], v0
	v_add_nc_u32_e32 v9, v9, v9
	; wave barrier
	s_wait_loadcnt_dscnt 0x0
	global_inv scope:SCOPE_SE
	v_add_nc_u32_e32 v21, v11, v11
	v_add_nc_u32_e32 v10, v10, v10
	ds_store_b64 v9, v[15:16]
	v_add_nc_u32_e32 v8, v8, v8
	ds_store_b64 v10, v[13:14]
	ds_store_b64 v21, v[6:7]
	;; [unrolled: 1-line block ×3, first 2 shown]
	; wave barrier
	s_wait_loadcnt_dscnt 0x0
	global_inv scope:SCOPE_SE
	v_cmp_gt_i32_e32 vcc_lo, 0, v0
	s_wait_alu 0xfffd
	v_cndmask_b32_e64 v9, 0x7fffffff, 0, vcc_lo
	v_cmp_gt_i32_e32 vcc_lo, 0, v1
	s_delay_alu instid0(VALU_DEP_2) | instskip(SKIP_3) | instid1(VALU_DEP_2)
	v_xor_b32_e32 v9, v9, v0
	s_wait_alu 0xfffd
	v_cndmask_b32_e64 v11, 0x7fffffff, 0, vcc_lo
	v_cmp_gt_i32_e32 vcc_lo, 0, v2
	v_xor_b32_e32 v10, v11, v1
	s_wait_alu 0xfffd
	v_cndmask_b32_e64 v12, 0x7fffffff, 0, vcc_lo
	v_cmp_gt_i32_e32 vcc_lo, 0, v3
	s_delay_alu instid0(VALU_DEP_2) | instskip(SKIP_2) | instid1(VALU_DEP_1)
	v_xor_b32_e32 v11, v12, v2
	s_wait_alu 0xfffd
	v_cndmask_b32_e64 v15, 0x7fffffff, 0, vcc_lo
	v_xor_b32_e32 v12, v15, v3
.LBB213_55:
	v_lshlrev_b32_e32 v4, 3, v41
	ds_load_b128 v[0:3], v4
	ds_load_b128 v[4:7], v4 offset:16
	; wave barrier
	s_wait_loadcnt_dscnt 0x0
	global_inv scope:SCOPE_SE
	ds_store_2addr_b32 v42, v9, v10 offset1:1
	ds_store_2addr_b32 v42, v11, v12 offset0:2 offset1:3
	; wave barrier
	s_wait_loadcnt_dscnt 0x0
	global_inv scope:SCOPE_SE
	ds_load_b32 v12, v18 offset:128
	ds_load_b32 v11, v39 offset:256
	;; [unrolled: 1-line block ×3, first 2 shown]
	v_mov_b32_e32 v18, 0
	s_delay_alu instid0(VALU_DEP_1) | instskip(NEXT) | instid1(VALU_DEP_1)
	v_lshlrev_b64_e32 v[8:9], 2, v[17:18]
	v_add_co_u32 v8, vcc_lo, s18, v8
	s_wait_alu 0xfffd
	s_delay_alu instid0(VALU_DEP_2)
	v_add_co_ci_u32_e64 v9, null, s19, v9, vcc_lo
	s_and_saveexec_b32 s1, s2
	s_cbranch_execnz .LBB213_66
; %bb.56:
	s_wait_alu 0xfffe
	s_or_b32 exec_lo, exec_lo, s1
	s_and_saveexec_b32 s1, s3
	s_cbranch_execnz .LBB213_67
.LBB213_57:
	s_wait_alu 0xfffe
	s_or_b32 exec_lo, exec_lo, s1
	s_and_saveexec_b32 s1, s4
	s_cbranch_execnz .LBB213_68
.LBB213_58:
	s_wait_alu 0xfffe
	s_or_b32 exec_lo, exec_lo, s1
	s_and_saveexec_b32 s1, s0
	s_cbranch_execz .LBB213_60
.LBB213_59:
	s_mul_i32 s6, s14, 0x60
	s_mov_b32 s7, 0
	s_wait_alu 0xfffe
	s_lshl_b64 s[6:7], s[6:7], 2
	s_wait_alu 0xfffe
	v_add_co_u32 v8, vcc_lo, v8, s6
	s_wait_alu 0xfffd
	v_add_co_ci_u32_e64 v9, null, s7, v9, vcc_lo
	s_wait_dscnt 0x0
	global_store_b32 v[8:9], v10, off
.LBB213_60:
	s_wait_alu 0xfffe
	s_or_b32 exec_lo, exec_lo, s1
	s_wait_storecnt 0x0
	; wave barrier
	s_wait_loadcnt_dscnt 0x0
	global_inv scope:SCOPE_SE
	ds_store_2addr_b64 v46, v[0:1], v[2:3] offset1:1
	ds_store_2addr_b64 v46, v[4:5], v[6:7] offset0:2 offset1:3
	; wave barrier
	s_wait_loadcnt_dscnt 0x0
	global_inv scope:SCOPE_SE
	ds_load_b64 v[6:7], v20 offset:256
	ds_load_b64 v[4:5], v44 offset:512
	;; [unrolled: 1-line block ×3, first 2 shown]
	v_mov_b32_e32 v20, 0
	s_delay_alu instid0(VALU_DEP_1) | instskip(NEXT) | instid1(VALU_DEP_1)
	v_lshlrev_b64_e32 v[2:3], 3, v[19:20]
	v_add_co_u32 v2, vcc_lo, s20, v2
	s_wait_alu 0xfffd
	s_delay_alu instid0(VALU_DEP_2)
	v_add_co_ci_u32_e64 v3, null, s21, v3, vcc_lo
	s_and_saveexec_b32 s1, s2
	s_cbranch_execnz .LBB213_69
; %bb.61:
	s_wait_alu 0xfffe
	s_or_b32 exec_lo, exec_lo, s1
	s_and_saveexec_b32 s1, s3
	s_cbranch_execnz .LBB213_70
.LBB213_62:
	s_wait_alu 0xfffe
	s_or_b32 exec_lo, exec_lo, s1
	s_and_saveexec_b32 s1, s4
	s_cbranch_execnz .LBB213_71
.LBB213_63:
	s_wait_alu 0xfffe
	s_or_b32 exec_lo, exec_lo, s1
	s_and_saveexec_b32 s1, s0
	s_cbranch_execz .LBB213_65
.LBB213_64:
	s_mul_i32 s0, s16, 0x60
	s_mov_b32 s1, 0
	s_wait_alu 0xfffe
	s_lshl_b64 s[0:1], s[0:1], 3
	s_wait_alu 0xfffe
	v_add_co_u32 v2, vcc_lo, v2, s0
	s_wait_alu 0xfffd
	v_add_co_ci_u32_e64 v3, null, s1, v3, vcc_lo
	s_wait_dscnt 0x0
	global_store_b64 v[2:3], v[0:1], off
.LBB213_65:
	s_endpgm
.LBB213_66:
	ds_load_b32 v13, v38
	s_wait_dscnt 0x0
	global_store_b32 v[8:9], v13, off
	s_wait_alu 0xfffe
	s_or_b32 exec_lo, exec_lo, s1
	s_and_saveexec_b32 s1, s3
	s_cbranch_execz .LBB213_57
.LBB213_67:
	s_lshl_b32 s6, s14, 5
	s_mov_b32 s7, 0
	s_wait_alu 0xfffe
	s_lshl_b64 s[6:7], s[6:7], 2
	s_wait_alu 0xfffe
	v_add_co_u32 v13, vcc_lo, v8, s6
	s_wait_alu 0xfffd
	v_add_co_ci_u32_e64 v14, null, s7, v9, vcc_lo
	s_wait_dscnt 0x2
	global_store_b32 v[13:14], v12, off
	s_or_b32 exec_lo, exec_lo, s1
	s_and_saveexec_b32 s1, s4
	s_cbranch_execz .LBB213_58
.LBB213_68:
	s_lshl_b32 s6, s14, 6
	s_mov_b32 s7, 0
	s_wait_alu 0xfffe
	s_lshl_b64 s[6:7], s[6:7], 2
	s_wait_dscnt 0x2
	s_wait_alu 0xfffe
	v_add_co_u32 v12, vcc_lo, v8, s6
	s_wait_alu 0xfffd
	v_add_co_ci_u32_e64 v13, null, s7, v9, vcc_lo
	s_wait_dscnt 0x1
	global_store_b32 v[12:13], v11, off
	s_or_b32 exec_lo, exec_lo, s1
	s_and_saveexec_b32 s1, s0
	s_cbranch_execnz .LBB213_59
	s_branch .LBB213_60
.LBB213_69:
	ds_load_b64 v[8:9], v43
	s_wait_dscnt 0x0
	global_store_b64 v[2:3], v[8:9], off
	s_wait_alu 0xfffe
	s_or_b32 exec_lo, exec_lo, s1
	s_and_saveexec_b32 s1, s3
	s_cbranch_execz .LBB213_62
.LBB213_70:
	s_lshl_b32 s2, s16, 5
	s_mov_b32 s3, 0
	s_delay_alu instid0(SALU_CYCLE_1) | instskip(NEXT) | instid1(SALU_CYCLE_1)
	s_lshl_b64 s[2:3], s[2:3], 3
	v_add_co_u32 v8, vcc_lo, v2, s2
	s_wait_alu 0xfffd
	v_add_co_ci_u32_e64 v9, null, s3, v3, vcc_lo
	s_wait_dscnt 0x2
	global_store_b64 v[8:9], v[6:7], off
	s_wait_alu 0xfffe
	s_or_b32 exec_lo, exec_lo, s1
	s_and_saveexec_b32 s1, s4
	s_cbranch_execz .LBB213_63
.LBB213_71:
	s_lshl_b32 s2, s16, 6
	s_mov_b32 s3, 0
	s_wait_alu 0xfffe
	s_lshl_b64 s[2:3], s[2:3], 3
	s_wait_dscnt 0x2
	s_wait_alu 0xfffe
	v_add_co_u32 v6, vcc_lo, v2, s2
	s_wait_alu 0xfffd
	v_add_co_ci_u32_e64 v7, null, s3, v3, vcc_lo
	s_wait_dscnt 0x1
	global_store_b64 v[6:7], v[4:5], off
	s_or_b32 exec_lo, exec_lo, s1
	s_and_saveexec_b32 s1, s0
	s_cbranch_execnz .LBB213_64
	s_branch .LBB213_65
	.section	.rodata,"a",@progbits
	.p2align	6, 0x0
	.amdhsa_kernel _ZN2at6native18radixSortKVInPlaceILin1ELin1ELi32ELi4EfljEEvNS_4cuda6detail10TensorInfoIT3_T5_EES6_S6_S6_NS4_IT4_S6_EES6_b
		.amdhsa_group_segment_fixed_size 1056
		.amdhsa_private_segment_fixed_size 0
		.amdhsa_kernarg_size 712
		.amdhsa_user_sgpr_count 2
		.amdhsa_user_sgpr_dispatch_ptr 0
		.amdhsa_user_sgpr_queue_ptr 0
		.amdhsa_user_sgpr_kernarg_segment_ptr 1
		.amdhsa_user_sgpr_dispatch_id 0
		.amdhsa_user_sgpr_private_segment_size 0
		.amdhsa_wavefront_size32 1
		.amdhsa_uses_dynamic_stack 0
		.amdhsa_enable_private_segment 0
		.amdhsa_system_sgpr_workgroup_id_x 1
		.amdhsa_system_sgpr_workgroup_id_y 1
		.amdhsa_system_sgpr_workgroup_id_z 1
		.amdhsa_system_sgpr_workgroup_info 0
		.amdhsa_system_vgpr_workitem_id 2
		.amdhsa_next_free_vgpr 72
		.amdhsa_next_free_sgpr 27
		.amdhsa_reserve_vcc 1
		.amdhsa_float_round_mode_32 0
		.amdhsa_float_round_mode_16_64 0
		.amdhsa_float_denorm_mode_32 3
		.amdhsa_float_denorm_mode_16_64 3
		.amdhsa_fp16_overflow 0
		.amdhsa_workgroup_processor_mode 1
		.amdhsa_memory_ordered 1
		.amdhsa_forward_progress 1
		.amdhsa_inst_pref_size 80
		.amdhsa_round_robin_scheduling 0
		.amdhsa_exception_fp_ieee_invalid_op 0
		.amdhsa_exception_fp_denorm_src 0
		.amdhsa_exception_fp_ieee_div_zero 0
		.amdhsa_exception_fp_ieee_overflow 0
		.amdhsa_exception_fp_ieee_underflow 0
		.amdhsa_exception_fp_ieee_inexact 0
		.amdhsa_exception_int_div_zero 0
	.end_amdhsa_kernel
	.section	.text._ZN2at6native18radixSortKVInPlaceILin1ELin1ELi32ELi4EfljEEvNS_4cuda6detail10TensorInfoIT3_T5_EES6_S6_S6_NS4_IT4_S6_EES6_b,"axG",@progbits,_ZN2at6native18radixSortKVInPlaceILin1ELin1ELi32ELi4EfljEEvNS_4cuda6detail10TensorInfoIT3_T5_EES6_S6_S6_NS4_IT4_S6_EES6_b,comdat
.Lfunc_end213:
	.size	_ZN2at6native18radixSortKVInPlaceILin1ELin1ELi32ELi4EfljEEvNS_4cuda6detail10TensorInfoIT3_T5_EES6_S6_S6_NS4_IT4_S6_EES6_b, .Lfunc_end213-_ZN2at6native18radixSortKVInPlaceILin1ELin1ELi32ELi4EfljEEvNS_4cuda6detail10TensorInfoIT3_T5_EES6_S6_S6_NS4_IT4_S6_EES6_b
                                        ; -- End function
	.set _ZN2at6native18radixSortKVInPlaceILin1ELin1ELi32ELi4EfljEEvNS_4cuda6detail10TensorInfoIT3_T5_EES6_S6_S6_NS4_IT4_S6_EES6_b.num_vgpr, 72
	.set _ZN2at6native18radixSortKVInPlaceILin1ELin1ELi32ELi4EfljEEvNS_4cuda6detail10TensorInfoIT3_T5_EES6_S6_S6_NS4_IT4_S6_EES6_b.num_agpr, 0
	.set _ZN2at6native18radixSortKVInPlaceILin1ELin1ELi32ELi4EfljEEvNS_4cuda6detail10TensorInfoIT3_T5_EES6_S6_S6_NS4_IT4_S6_EES6_b.numbered_sgpr, 27
	.set _ZN2at6native18radixSortKVInPlaceILin1ELin1ELi32ELi4EfljEEvNS_4cuda6detail10TensorInfoIT3_T5_EES6_S6_S6_NS4_IT4_S6_EES6_b.num_named_barrier, 0
	.set _ZN2at6native18radixSortKVInPlaceILin1ELin1ELi32ELi4EfljEEvNS_4cuda6detail10TensorInfoIT3_T5_EES6_S6_S6_NS4_IT4_S6_EES6_b.private_seg_size, 0
	.set _ZN2at6native18radixSortKVInPlaceILin1ELin1ELi32ELi4EfljEEvNS_4cuda6detail10TensorInfoIT3_T5_EES6_S6_S6_NS4_IT4_S6_EES6_b.uses_vcc, 1
	.set _ZN2at6native18radixSortKVInPlaceILin1ELin1ELi32ELi4EfljEEvNS_4cuda6detail10TensorInfoIT3_T5_EES6_S6_S6_NS4_IT4_S6_EES6_b.uses_flat_scratch, 0
	.set _ZN2at6native18radixSortKVInPlaceILin1ELin1ELi32ELi4EfljEEvNS_4cuda6detail10TensorInfoIT3_T5_EES6_S6_S6_NS4_IT4_S6_EES6_b.has_dyn_sized_stack, 0
	.set _ZN2at6native18radixSortKVInPlaceILin1ELin1ELi32ELi4EfljEEvNS_4cuda6detail10TensorInfoIT3_T5_EES6_S6_S6_NS4_IT4_S6_EES6_b.has_recursion, 0
	.set _ZN2at6native18radixSortKVInPlaceILin1ELin1ELi32ELi4EfljEEvNS_4cuda6detail10TensorInfoIT3_T5_EES6_S6_S6_NS4_IT4_S6_EES6_b.has_indirect_call, 0
	.section	.AMDGPU.csdata,"",@progbits
; Kernel info:
; codeLenInByte = 10128
; TotalNumSgprs: 29
; NumVgprs: 72
; ScratchSize: 0
; MemoryBound: 0
; FloatMode: 240
; IeeeMode: 1
; LDSByteSize: 1056 bytes/workgroup (compile time only)
; SGPRBlocks: 0
; VGPRBlocks: 8
; NumSGPRsForWavesPerEU: 29
; NumVGPRsForWavesPerEU: 72
; Occupancy: 16
; WaveLimiterHint : 1
; COMPUTE_PGM_RSRC2:SCRATCH_EN: 0
; COMPUTE_PGM_RSRC2:USER_SGPR: 2
; COMPUTE_PGM_RSRC2:TRAP_HANDLER: 0
; COMPUTE_PGM_RSRC2:TGID_X_EN: 1
; COMPUTE_PGM_RSRC2:TGID_Y_EN: 1
; COMPUTE_PGM_RSRC2:TGID_Z_EN: 1
; COMPUTE_PGM_RSRC2:TIDIG_COMP_CNT: 2
	.section	.text._ZN2at6native18radixSortKVInPlaceILin1ELin1ELi16ELi2EfljEEvNS_4cuda6detail10TensorInfoIT3_T5_EES6_S6_S6_NS4_IT4_S6_EES6_b,"axG",@progbits,_ZN2at6native18radixSortKVInPlaceILin1ELin1ELi16ELi2EfljEEvNS_4cuda6detail10TensorInfoIT3_T5_EES6_S6_S6_NS4_IT4_S6_EES6_b,comdat
	.protected	_ZN2at6native18radixSortKVInPlaceILin1ELin1ELi16ELi2EfljEEvNS_4cuda6detail10TensorInfoIT3_T5_EES6_S6_S6_NS4_IT4_S6_EES6_b ; -- Begin function _ZN2at6native18radixSortKVInPlaceILin1ELin1ELi16ELi2EfljEEvNS_4cuda6detail10TensorInfoIT3_T5_EES6_S6_S6_NS4_IT4_S6_EES6_b
	.globl	_ZN2at6native18radixSortKVInPlaceILin1ELin1ELi16ELi2EfljEEvNS_4cuda6detail10TensorInfoIT3_T5_EES6_S6_S6_NS4_IT4_S6_EES6_b
	.p2align	8
	.type	_ZN2at6native18radixSortKVInPlaceILin1ELin1ELi16ELi2EfljEEvNS_4cuda6detail10TensorInfoIT3_T5_EES6_S6_S6_NS4_IT4_S6_EES6_b,@function
_ZN2at6native18radixSortKVInPlaceILin1ELin1ELi16ELi2EfljEEvNS_4cuda6detail10TensorInfoIT3_T5_EES6_S6_S6_NS4_IT4_S6_EES6_b: ; @_ZN2at6native18radixSortKVInPlaceILin1ELin1ELi16ELi2EfljEEvNS_4cuda6detail10TensorInfoIT3_T5_EES6_S6_S6_NS4_IT4_S6_EES6_b
; %bb.0:
	s_clause 0x1
	s_load_b64 s[2:3], s[0:1], 0x1c8
	s_load_b96 s[16:18], s[0:1], 0xd8
	s_lshr_b32 s4, ttmp7, 16
	s_wait_kmcnt 0x0
	s_mul_i32 s3, s3, s4
	s_and_b32 s4, ttmp7, 0xffff
	s_delay_alu instid0(SALU_CYCLE_1) | instskip(NEXT) | instid1(SALU_CYCLE_1)
	s_add_co_i32 s3, s3, s4
	s_mul_i32 s2, s3, s2
	s_delay_alu instid0(SALU_CYCLE_1) | instskip(NEXT) | instid1(SALU_CYCLE_1)
	s_add_co_i32 s8, s2, ttmp9
	s_cmp_ge_u32 s8, s16
	s_cbranch_scc1 .LBB214_57
; %bb.1:
	s_load_b32 s4, s[0:1], 0xd0
	s_mov_b32 s3, 0
	s_mov_b32 s2, s8
	s_wait_kmcnt 0x0
	s_cmp_lt_i32 s4, 2
	s_cbranch_scc1 .LBB214_4
; %bb.2:
	s_add_co_i32 s2, s4, -1
	s_delay_alu instid0(SALU_CYCLE_1)
	s_lshl_b64 s[6:7], s[2:3], 2
	s_mov_b32 s2, s8
	s_add_nc_u64 s[10:11], s[0:1], s[6:7]
	s_add_co_i32 s6, s4, 1
	s_add_nc_u64 s[4:5], s[10:11], 8
.LBB214_3:                              ; =>This Inner Loop Header: Depth=1
	s_clause 0x1
	s_load_b32 s7, s[4:5], 0x0
	s_load_b32 s9, s[4:5], 0x64
	s_mov_b32 s12, s2
	s_add_nc_u64 s[4:5], s[4:5], -4
	s_wait_kmcnt 0x0
	s_cvt_f32_u32 s10, s7
	s_sub_co_i32 s11, 0, s7
	s_wait_alu 0xfffe
	s_delay_alu instid0(SALU_CYCLE_1) | instskip(NEXT) | instid1(TRANS32_DEP_1)
	v_rcp_iflag_f32_e32 v1, s10
	v_readfirstlane_b32 s10, v1
	s_mul_f32 s10, s10, 0x4f7ffffe
	s_wait_alu 0xfffe
	s_delay_alu instid0(SALU_CYCLE_2) | instskip(SKIP_1) | instid1(SALU_CYCLE_2)
	s_cvt_u32_f32 s10, s10
	s_wait_alu 0xfffe
	s_mul_i32 s11, s11, s10
	s_wait_alu 0xfffe
	s_mul_hi_u32 s11, s10, s11
	s_wait_alu 0xfffe
	s_add_co_i32 s10, s10, s11
	s_wait_alu 0xfffe
	s_mul_hi_u32 s2, s2, s10
	s_delay_alu instid0(SALU_CYCLE_1)
	s_mul_i32 s10, s2, s7
	s_add_co_i32 s11, s2, 1
	s_wait_alu 0xfffe
	s_sub_co_i32 s10, s12, s10
	s_wait_alu 0xfffe
	s_sub_co_i32 s13, s10, s7
	s_cmp_ge_u32 s10, s7
	s_cselect_b32 s2, s11, s2
	s_cselect_b32 s10, s13, s10
	s_add_co_i32 s11, s2, 1
	s_wait_alu 0xfffe
	s_cmp_ge_u32 s10, s7
	s_cselect_b32 s2, s11, s2
	s_add_co_i32 s6, s6, -1
	s_mul_i32 s7, s2, s7
	s_delay_alu instid0(SALU_CYCLE_1) | instskip(NEXT) | instid1(SALU_CYCLE_1)
	s_sub_co_i32 s7, s12, s7
	s_mul_i32 s7, s9, s7
	s_delay_alu instid0(SALU_CYCLE_1)
	s_add_co_i32 s3, s7, s3
	s_cmp_gt_u32 s6, 2
	s_cbranch_scc1 .LBB214_3
.LBB214_4:
	s_load_b32 s6, s[0:1], 0x1b8
	s_mov_b32 s5, 0
	s_wait_kmcnt 0x0
	s_cmp_lt_i32 s6, 2
	s_cbranch_scc1 .LBB214_7
; %bb.5:
	s_add_co_i32 s4, s6, -1
	s_delay_alu instid0(SALU_CYCLE_1)
	s_lshl_b64 s[10:11], s[4:5], 2
	s_add_co_i32 s4, s6, 1
	s_wait_alu 0xfffe
	s_add_nc_u64 s[10:11], s[0:1], s[10:11]
	s_wait_alu 0xfffe
	s_add_nc_u64 s[6:7], s[10:11], 0xf0
.LBB214_6:                              ; =>This Inner Loop Header: Depth=1
	s_clause 0x1
	s_load_b32 s9, s[6:7], 0x0
	s_load_b32 s10, s[6:7], 0x64
	s_mov_b32 s13, s8
	s_add_nc_u64 s[6:7], s[6:7], -4
	s_wait_kmcnt 0x0
	s_cvt_f32_u32 s11, s9
	s_sub_co_i32 s12, 0, s9
	s_wait_alu 0xfffe
	s_delay_alu instid0(SALU_CYCLE_1) | instskip(NEXT) | instid1(TRANS32_DEP_1)
	v_rcp_iflag_f32_e32 v1, s11
	v_readfirstlane_b32 s11, v1
	s_mul_f32 s11, s11, 0x4f7ffffe
	s_wait_alu 0xfffe
	s_delay_alu instid0(SALU_CYCLE_2) | instskip(SKIP_1) | instid1(SALU_CYCLE_2)
	s_cvt_u32_f32 s11, s11
	s_wait_alu 0xfffe
	s_mul_i32 s12, s12, s11
	s_delay_alu instid0(SALU_CYCLE_1) | instskip(NEXT) | instid1(SALU_CYCLE_1)
	s_mul_hi_u32 s12, s11, s12
	s_add_co_i32 s11, s11, s12
	s_wait_alu 0xfffe
	s_mul_hi_u32 s8, s8, s11
	s_delay_alu instid0(SALU_CYCLE_1)
	s_mul_i32 s11, s8, s9
	s_add_co_i32 s12, s8, 1
	s_wait_alu 0xfffe
	s_sub_co_i32 s11, s13, s11
	s_wait_alu 0xfffe
	s_sub_co_i32 s14, s11, s9
	s_cmp_ge_u32 s11, s9
	s_cselect_b32 s8, s12, s8
	s_cselect_b32 s11, s14, s11
	s_add_co_i32 s12, s8, 1
	s_wait_alu 0xfffe
	s_cmp_ge_u32 s11, s9
	s_cselect_b32 s8, s12, s8
	s_add_co_i32 s4, s4, -1
	s_mul_i32 s9, s8, s9
	s_delay_alu instid0(SALU_CYCLE_1) | instskip(NEXT) | instid1(SALU_CYCLE_1)
	s_sub_co_i32 s9, s13, s9
	s_mul_i32 s9, s10, s9
	s_delay_alu instid0(SALU_CYCLE_1)
	s_add_co_i32 s5, s9, s5
	s_cmp_gt_u32 s4, 2
	s_cbranch_scc1 .LBB214_6
.LBB214_7:
	s_clause 0x2
	s_load_b32 s4, s[0:1], 0x6c
	s_load_b64 s[20:21], s[0:1], 0x1c0
	s_load_b64 s[10:11], s[0:1], 0x0
	v_mul_lo_u32 v16, s18, v0
	s_mov_b32 s13, 0
	s_wait_kmcnt 0x0
	s_mul_i32 s2, s4, s2
	s_delay_alu instid0(SALU_CYCLE_1) | instskip(SKIP_2) | instid1(SALU_CYCLE_1)
	s_add_co_i32 s12, s2, s3
	s_bitcmp1_b32 s21, 0
	s_cselect_b32 s3, -1, 0
	s_and_b32 s2, s3, exec_lo
	s_cselect_b32 s6, -1, 0x7fffffff
	v_cmp_gt_u32_e64 s2, s17, v0
	s_mov_b32 s7, s6
	s_delay_alu instid0(SALU_CYCLE_1) | instskip(SKIP_1) | instid1(SALU_CYCLE_1)
	v_dual_mov_b32 v1, s6 :: v_dual_mov_b32 v2, s7
	s_lshl_b64 s[12:13], s[12:13], 2
	s_add_nc_u64 s[22:23], s[10:11], s[12:13]
	s_and_saveexec_b32 s4, s2
	s_cbranch_execz .LBB214_9
; %bb.8:
	v_mov_b32_e32 v17, 0
	s_delay_alu instid0(VALU_DEP_1) | instskip(NEXT) | instid1(VALU_DEP_1)
	v_lshlrev_b64_e32 v[1:2], 2, v[16:17]
	v_add_co_u32 v1, vcc_lo, s22, v1
	s_delay_alu instid0(VALU_DEP_1)
	v_add_co_ci_u32_e64 v2, null, s23, v2, vcc_lo
	global_load_b32 v1, v[1:2], off
	v_mov_b32_e32 v2, s7
.LBB214_9:
	s_or_b32 exec_lo, exec_lo, s4
	s_clause 0x1
	s_load_b32 s4, s[0:1], 0x154
	s_load_b64 s[6:7], s[0:1], 0xe8
	v_or_b32_e32 v3, 16, v0
	s_delay_alu instid0(VALU_DEP_1)
	v_cmp_gt_u32_e64 s0, s17, v3
	s_and_saveexec_b32 s1, s0
	s_cbranch_execz .LBB214_11
; %bb.10:
	v_mul_lo_u32 v4, s18, v3
	v_mov_b32_e32 v5, 0
	s_delay_alu instid0(VALU_DEP_1) | instskip(NEXT) | instid1(VALU_DEP_1)
	v_lshlrev_b64_e32 v[4:5], 2, v[4:5]
	v_add_co_u32 v4, vcc_lo, s22, v4
	s_wait_alu 0xfffd
	s_delay_alu instid0(VALU_DEP_2)
	v_add_co_ci_u32_e64 v5, null, s23, v5, vcc_lo
	global_load_b32 v2, v[4:5], off
.LBB214_11:
	s_or_b32 exec_lo, exec_lo, s1
	v_lshlrev_b32_e32 v22, 2, v0
	v_dual_mov_b32 v14, 0 :: v_dual_lshlrev_b32 v21, 3, v0
	s_wait_kmcnt 0x0
	s_mul_i32 s1, s4, s8
	v_mul_lo_u32 v13, s20, v0
	s_wait_loadcnt 0x0
	ds_store_2addr_b32 v22, v1, v2 offset1:16
	s_wait_dscnt 0x0
	; wave barrier
	global_inv scope:SCOPE_SE
	ds_load_2addr_b32 v[17:18], v21 offset1:1
	s_add_co_i32 s4, s1, s5
	s_mov_b32 s5, 0
	v_mov_b32_e32 v1, 0
	v_dual_mov_b32 v2, 0 :: v_dual_mov_b32 v15, v14
	s_lshl_b64 s[4:5], s[4:5], 3
	s_wait_loadcnt_dscnt 0x0
	s_add_nc_u64 s[16:17], s[6:7], s[4:5]
	; wave barrier
	global_inv scope:SCOPE_SE
	s_and_saveexec_b32 s1, s2
	s_cbranch_execz .LBB214_13
; %bb.12:
	v_lshlrev_b64_e32 v[1:2], 3, v[13:14]
	v_mov_b32_e32 v15, v14
	s_wait_alu 0xfffe
	s_delay_alu instid0(VALU_DEP_2) | instskip(SKIP_1) | instid1(VALU_DEP_3)
	v_add_co_u32 v1, vcc_lo, s16, v1
	s_wait_alu 0xfffd
	v_add_co_ci_u32_e64 v2, null, s17, v2, vcc_lo
	global_load_b64 v[1:2], v[1:2], off
.LBB214_13:
	s_or_b32 exec_lo, exec_lo, s1
	v_lshlrev_b32_e32 v4, 1, v0
	s_xor_b32 s8, s3, -1
	s_and_saveexec_b32 s1, s0
	s_cbranch_execz .LBB214_15
; %bb.14:
	v_mul_lo_u32 v5, s20, v3
	v_mov_b32_e32 v6, 0
	s_delay_alu instid0(VALU_DEP_1) | instskip(SKIP_1) | instid1(VALU_DEP_1)
	v_lshlrev_b64_e32 v[5:6], 3, v[5:6]
	s_wait_alu 0xfffe
	v_add_co_u32 v5, vcc_lo, s16, v5
	s_wait_alu 0xfffd
	s_delay_alu instid0(VALU_DEP_2)
	v_add_co_ci_u32_e64 v6, null, s17, v6, vcc_lo
	global_load_b64 v[14:15], v[5:6], off
.LBB214_15:
	s_or_b32 exec_lo, exec_lo, s1
	v_mbcnt_lo_u32_b32 v5, -1, 0
	v_lshlrev_b32_e32 v3, 2, v4
	v_add_nc_u32_e32 v23, v22, v22
	s_getpc_b64 s[4:5]
	s_sext_i32_i16 s5, s5
	s_add_co_u32 s4, s4, _ZN7rocprim17ROCPRIM_400000_NS16block_radix_sortIfLj16ELj2ElLj1ELj1ELj0ELNS0_26block_radix_rank_algorithmE1ELNS0_18block_padding_hintE2ELNS0_4arch9wavefront6targetE0EE19radix_bits_per_passE@rel32@lo+8
	s_add_co_ci_u32 s5, s5, _ZN7rocprim17ROCPRIM_400000_NS16block_radix_sortIfLj16ELj2ElLj1ELj1ELj0ELNS0_26block_radix_rank_algorithmE1ELNS0_18block_padding_hintE2ELNS0_4arch9wavefront6targetE0EE19radix_bits_per_passE@rel32@hi+16
	v_lshlrev_b32_e32 v27, 5, v0
	v_sub_co_u32 v7, s19, v5, 1
	v_and_b32_e32 v8, 16, v5
	s_wait_loadcnt 0x0
	ds_store_b64 v23, v[1:2]
	ds_store_b64 v21, v[14:15] offset:128
	s_wait_dscnt 0x0
	; wave barrier
	global_inv scope:SCOPE_SE
	s_load_b32 s15, s[4:5], 0x0
	v_cmp_lt_i32_e32 vcc_lo, v7, v8
	v_add_nc_u32_e32 v24, v21, v3
	v_and_b32_e32 v6, 15, v5
	v_mad_i32_i24 v26, 0xffffffe8, v0, v27
	v_cmp_gt_u32_e64 s1, 0x80, v0
	s_wait_alu 0xfffd
	v_cndmask_b32_e32 v5, v7, v5, vcc_lo
	ds_load_2addr_b64 v[1:4], v24 offset1:1
	v_cmp_eq_u32_e64 s3, 0, v6
	v_cmp_lt_u32_e64 s4, 1, v6
	v_cmp_lt_u32_e64 s5, 3, v6
	;; [unrolled: 1-line block ×3, first 2 shown]
	v_cmp_eq_u32_e64 s7, 15, v0
	v_lshlrev_b32_e32 v28, 2, v5
	v_lshl_add_u32 v25, v0, 3, v26
	s_and_b32 vcc_lo, exec_lo, s8
	v_cmp_gt_u32_e64 s8, 0x70, v0
	v_cmp_gt_u32_e64 s9, 0x60, v0
	;; [unrolled: 1-line block ×7, first 2 shown]
	s_mov_b32 s21, 0
	s_mov_b32 s24, -1
	; wave barrier
	s_wait_loadcnt_dscnt 0x0
	global_inv scope:SCOPE_SE
	s_wait_alu 0xfffe
	s_cbranch_vccz .LBB214_31
; %bb.16:
	v_cmp_lt_i32_e32 vcc_lo, -1, v17
	v_mov_b32_e32 v8, v4
	v_mov_b32_e32 v30, 0
	s_mov_b32 s24, 32
	v_mov_b32_e32 v7, v3
	s_wait_alu 0xfffd
	v_cndmask_b32_e64 v5, -1, 0x80000000, vcc_lo
	v_cmp_lt_i32_e32 vcc_lo, -1, v18
	s_delay_alu instid0(VALU_DEP_2) | instskip(SKIP_2) | instid1(VALU_DEP_1)
	v_xor_b32_e32 v9, v5, v17
	s_wait_alu 0xfffd
	v_cndmask_b32_e64 v6, -1, 0x80000000, vcc_lo
	v_xor_b32_e32 v10, v6, v18
	v_dual_mov_b32 v6, v2 :: v_dual_mov_b32 v5, v1
	s_branch .LBB214_18
.LBB214_17:                             ;   in Loop: Header=BB214_18 Depth=1
	s_wait_alu 0xfffe
	s_and_not1_b32 vcc_lo, exec_lo, s25
	s_wait_alu 0xfffe
	s_cbranch_vccz .LBB214_32
.LBB214_18:                             ; =>This Inner Loop Header: Depth=1
	s_delay_alu instid0(VALU_DEP_1)
	v_dual_mov_b32 v31, v9 :: v_dual_mov_b32 v20, v6
	v_mov_b32_e32 v15, v8
	v_dual_mov_b32 v29, v10 :: v_dual_mov_b32 v14, v7
	v_mov_b32_e32 v19, v5
	s_and_saveexec_b32 s25, s1
	s_cbranch_execz .LBB214_27
; %bb.19:                               ;   in Loop: Header=BB214_18 Depth=1
	ds_store_b32 v22, v30
	s_and_b32 exec_lo, exec_lo, s8
	s_cbranch_execz .LBB214_27
; %bb.20:                               ;   in Loop: Header=BB214_18 Depth=1
	ds_store_b32 v22, v30 offset:64
	s_and_b32 exec_lo, exec_lo, s9
	s_cbranch_execz .LBB214_27
; %bb.21:                               ;   in Loop: Header=BB214_18 Depth=1
	ds_store_b32 v22, v30 offset:128
	s_and_b32 exec_lo, exec_lo, s10
	s_cbranch_execz .LBB214_27
; %bb.22:                               ;   in Loop: Header=BB214_18 Depth=1
	ds_store_b32 v22, v30 offset:192
	s_and_b32 exec_lo, exec_lo, s11
	s_cbranch_execz .LBB214_27
; %bb.23:                               ;   in Loop: Header=BB214_18 Depth=1
	ds_store_b32 v22, v30 offset:256
	s_and_b32 exec_lo, exec_lo, s12
	s_cbranch_execz .LBB214_27
; %bb.24:                               ;   in Loop: Header=BB214_18 Depth=1
	ds_store_b32 v22, v30 offset:320
	s_and_b32 exec_lo, exec_lo, s13
	s_cbranch_execz .LBB214_27
; %bb.25:                               ;   in Loop: Header=BB214_18 Depth=1
	ds_store_b32 v22, v30 offset:384
	s_and_b32 exec_lo, exec_lo, s14
; %bb.26:                               ;   in Loop: Header=BB214_18 Depth=1
	ds_store_b32 v22, v30 offset:448
.LBB214_27:                             ;   in Loop: Header=BB214_18 Depth=1
	s_wait_alu 0xfffe
	s_or_b32 exec_lo, exec_lo, s25
	v_cmp_ne_u32_e32 vcc_lo, 0x7fffffff, v31
	s_wait_kmcnt 0x0
	s_min_u32 s25, s15, s24
	s_wait_alu 0xfffe
	s_lshl_b32 s25, -1, s25
	s_wait_alu 0xfffe
	s_not_b32 s25, s25
	s_wait_alu 0xfffd
	v_cndmask_b32_e32 v5, 0x80000000, v31, vcc_lo
	v_cmp_ne_u32_e32 vcc_lo, 0x7fffffff, v29
	s_delay_alu instid0(VALU_DEP_2) | instskip(SKIP_1) | instid1(VALU_DEP_1)
	v_lshrrev_b32_e32 v5, s21, v5
	s_wait_alu 0xfffe
	v_and_b32_e32 v5, s25, v5
	s_delay_alu instid0(VALU_DEP_1) | instskip(SKIP_1) | instid1(VALU_DEP_2)
	v_lshlrev_b32_e32 v6, 4, v5
	v_lshrrev_b32_e32 v5, 2, v5
	v_and_or_b32 v6, 0x70, v6, v0
	s_delay_alu instid0(VALU_DEP_2) | instskip(NEXT) | instid1(VALU_DEP_1)
	v_and_b32_e32 v5, 0x1ffffffe, v5
	v_lshl_add_u32 v32, v6, 2, v5
	s_wait_alu 0xfffd
	v_cndmask_b32_e32 v5, 0x80000000, v29, vcc_lo
	ds_load_u16 v33, v32
	v_lshrrev_b32_e32 v5, s21, v5
	s_delay_alu instid0(VALU_DEP_1) | instskip(NEXT) | instid1(VALU_DEP_1)
	v_and_b32_e32 v5, s25, v5
	v_lshlrev_b32_e32 v6, 4, v5
	v_lshrrev_b32_e32 v5, 2, v5
	s_delay_alu instid0(VALU_DEP_2) | instskip(NEXT) | instid1(VALU_DEP_2)
	v_and_or_b32 v6, 0x70, v6, v0
	v_and_b32_e32 v5, 0x1ffffffe, v5
	s_wait_dscnt 0x0
	v_add_nc_u16 v7, v33, 1
	s_delay_alu instid0(VALU_DEP_2)
	v_lshl_add_u32 v34, v6, 2, v5
	ds_store_b16 v32, v7
	ds_load_u16 v35, v34
	s_wait_dscnt 0x0
	v_add_nc_u16 v5, v35, 1
	ds_store_b16 v34, v5
	; wave barrier
	s_wait_loadcnt_dscnt 0x0
	global_inv scope:SCOPE_SE
	ds_load_b128 v[9:12], v27
	ds_load_b128 v[5:8], v27 offset:16
	s_wait_dscnt 0x1
	v_add_nc_u32_e32 v36, v10, v9
	s_delay_alu instid0(VALU_DEP_1) | instskip(SKIP_1) | instid1(VALU_DEP_1)
	v_add3_u32 v36, v36, v11, v12
	s_wait_dscnt 0x0
	v_add3_u32 v36, v36, v5, v6
	s_delay_alu instid0(VALU_DEP_1) | instskip(NEXT) | instid1(VALU_DEP_1)
	v_add3_u32 v8, v36, v7, v8
	v_mov_b32_dpp v36, v8 row_shr:1 row_mask:0xf bank_mask:0xf
	s_delay_alu instid0(VALU_DEP_1) | instskip(NEXT) | instid1(VALU_DEP_1)
	v_cndmask_b32_e64 v36, v36, 0, s3
	v_add_nc_u32_e32 v8, v36, v8
	s_delay_alu instid0(VALU_DEP_1) | instskip(NEXT) | instid1(VALU_DEP_1)
	v_mov_b32_dpp v36, v8 row_shr:2 row_mask:0xf bank_mask:0xf
	v_cndmask_b32_e64 v36, 0, v36, s4
	s_delay_alu instid0(VALU_DEP_1) | instskip(NEXT) | instid1(VALU_DEP_1)
	v_add_nc_u32_e32 v8, v8, v36
	v_mov_b32_dpp v36, v8 row_shr:4 row_mask:0xf bank_mask:0xf
	s_delay_alu instid0(VALU_DEP_1) | instskip(NEXT) | instid1(VALU_DEP_1)
	v_cndmask_b32_e64 v36, 0, v36, s5
	v_add_nc_u32_e32 v8, v8, v36
	s_delay_alu instid0(VALU_DEP_1) | instskip(NEXT) | instid1(VALU_DEP_1)
	v_mov_b32_dpp v36, v8 row_shr:8 row_mask:0xf bank_mask:0xf
	v_cndmask_b32_e64 v36, 0, v36, s6
	s_delay_alu instid0(VALU_DEP_1)
	v_add_nc_u32_e32 v8, v8, v36
	s_and_saveexec_b32 s25, s7
; %bb.28:                               ;   in Loop: Header=BB214_18 Depth=1
	ds_store_b32 v30, v8 offset:512
; %bb.29:                               ;   in Loop: Header=BB214_18 Depth=1
	s_wait_alu 0xfffe
	s_or_b32 exec_lo, exec_lo, s25
	ds_bpermute_b32 v8, v28, v8
	; wave barrier
	s_wait_loadcnt_dscnt 0x0
	global_inv scope:SCOPE_SE
	ds_load_b32 v36, v30 offset:512
	s_cmp_gt_u32 s21, 27
	s_mov_b32 s25, -1
	v_cndmask_b32_e64 v8, v8, 0, s19
	s_wait_dscnt 0x0
	s_delay_alu instid0(VALU_DEP_1) | instskip(NEXT) | instid1(VALU_DEP_1)
	v_lshl_add_u32 v8, v36, 16, v8
	v_add_nc_u32_e32 v9, v8, v9
	s_delay_alu instid0(VALU_DEP_1) | instskip(NEXT) | instid1(VALU_DEP_1)
	v_add_nc_u32_e32 v10, v9, v10
	v_add_nc_u32_e32 v11, v10, v11
	s_delay_alu instid0(VALU_DEP_1) | instskip(NEXT) | instid1(VALU_DEP_1)
	v_add_nc_u32_e32 v36, v11, v12
	v_add_nc_u32_e32 v37, v36, v5
	s_delay_alu instid0(VALU_DEP_1) | instskip(NEXT) | instid1(VALU_DEP_1)
	v_add_nc_u32_e32 v38, v37, v6
	v_add_nc_u32_e32 v39, v38, v7
	v_and_b32_e32 v7, 0xffff, v33
	ds_store_b128 v27, v[8:11]
	ds_store_b128 v27, v[36:39] offset:16
	; wave barrier
	s_wait_loadcnt_dscnt 0x0
	global_inv scope:SCOPE_SE
	ds_load_u16 v5, v32
	ds_load_u16 v6, v34
	v_and_b32_e32 v8, 0xffff, v35
                                        ; implicit-def: $vgpr10
	s_wait_dscnt 0x1
	v_add_nc_u32_e32 v12, v5, v7
	s_wait_dscnt 0x0
	s_delay_alu instid0(VALU_DEP_2)
	v_add_nc_u32_e32 v11, v6, v8
                                        ; implicit-def: $vgpr7_vgpr8
	s_cbranch_scc1 .LBB214_17
; %bb.30:                               ;   in Loop: Header=BB214_18 Depth=1
	s_delay_alu instid0(VALU_DEP_2) | instskip(NEXT) | instid1(VALU_DEP_2)
	v_lshlrev_b32_e32 v5, 2, v12
	v_lshlrev_b32_e32 v6, 2, v11
	s_wait_loadcnt 0x0
	; wave barrier
	global_inv scope:SCOPE_SE
	s_add_co_i32 s21, s21, 4
	ds_store_b32 v5, v31
	ds_store_b32 v6, v29
	v_add_nc_u32_e32 v5, v5, v5
	v_add_nc_u32_e32 v6, v6, v6
	; wave barrier
	s_wait_loadcnt_dscnt 0x0
	global_inv scope:SCOPE_SE
	ds_load_b64 v[9:10], v26
	; wave barrier
	s_wait_loadcnt_dscnt 0x0
	global_inv scope:SCOPE_SE
	ds_store_b64 v5, v[19:20]
	ds_store_b64 v6, v[14:15]
	; wave barrier
	s_wait_loadcnt_dscnt 0x0
	global_inv scope:SCOPE_SE
	ds_load_b128 v[5:8], v25
	s_add_co_i32 s24, s24, -4
	s_mov_b32 s25, 0
	; wave barrier
	s_wait_loadcnt_dscnt 0x0
	global_inv scope:SCOPE_SE
	s_branch .LBB214_17
.LBB214_31:
                                        ; implicit-def: $vgpr7_vgpr8
                                        ; implicit-def: $vgpr9_vgpr10
	s_and_b32 vcc_lo, exec_lo, s24
	s_wait_alu 0xfffe
	s_cbranch_vccnz .LBB214_33
	s_branch .LBB214_49
.LBB214_32:
	v_lshlrev_b32_e32 v5, 2, v12
	v_lshlrev_b32_e32 v6, 2, v11
	s_wait_loadcnt 0x0
	; wave barrier
	global_inv scope:SCOPE_SE
	ds_store_b32 v5, v31
	ds_store_b32 v6, v29
	; wave barrier
	s_wait_loadcnt_dscnt 0x0
	global_inv scope:SCOPE_SE
	ds_load_b64 v[9:10], v26
	v_add_nc_u32_e32 v5, v5, v5
	v_add_nc_u32_e32 v6, v6, v6
	; wave barrier
	s_wait_loadcnt_dscnt 0x0
	global_inv scope:SCOPE_SE
	ds_store_b64 v5, v[19:20]
	ds_store_b64 v6, v[14:15]
	; wave barrier
	s_wait_loadcnt_dscnt 0x0
	global_inv scope:SCOPE_SE
	ds_load_b128 v[5:8], v25
	v_cmp_lt_i32_e32 vcc_lo, -1, v9
	s_wait_alu 0xfffd
	v_cndmask_b32_e64 v11, 0x80000000, -1, vcc_lo
	v_cmp_lt_i32_e32 vcc_lo, -1, v10
	s_delay_alu instid0(VALU_DEP_2) | instskip(SKIP_2) | instid1(VALU_DEP_1)
	v_xor_b32_e32 v9, v11, v9
	s_wait_alu 0xfffd
	v_cndmask_b32_e64 v12, 0x80000000, -1, vcc_lo
	v_xor_b32_e32 v10, v12, v10
	s_branch .LBB214_49
.LBB214_33:
	v_cmp_gt_i32_e32 vcc_lo, 0, v17
	s_wait_dscnt 0x0
	v_mul_i32_i24_e32 v7, -12, v0
	v_cmp_gt_u32_e64 s8, 0x70, v0
	v_cmp_gt_u32_e64 s9, 0x60, v0
	;; [unrolled: 1-line block ×3, first 2 shown]
	s_wait_alu 0xfffd
	v_cndmask_b32_e64 v5, 0x7fffffff, 0, vcc_lo
	v_cmp_gt_i32_e32 vcc_lo, 0, v18
	v_cmp_gt_u32_e64 s11, 64, v0
	v_cmp_gt_u32_e64 s12, 48, v0
	;; [unrolled: 1-line block ×3, first 2 shown]
	v_xor_b32_e32 v5, v5, v17
	s_wait_alu 0xfffd
	v_cndmask_b32_e64 v6, 0x7fffffff, 0, vcc_lo
	v_cmp_gt_u32_e64 s14, 16, v0
	v_dual_mov_b32 v17, 0 :: v_dual_add_nc_u32 v14, v25, v7
	s_mov_b32 s21, 0
	v_xor_b32_e32 v6, v6, v18
	s_mov_b32 s24, 32
	s_branch .LBB214_35
.LBB214_34:                             ;   in Loop: Header=BB214_35 Depth=1
	s_wait_alu 0xfffe
	s_and_not1_b32 vcc_lo, exec_lo, s25
	s_wait_alu 0xfffe
	s_cbranch_vccz .LBB214_48
.LBB214_35:                             ; =>This Inner Loop Header: Depth=1
	s_delay_alu instid0(VALU_DEP_1)
	v_dual_mov_b32 v15, v6 :: v_dual_mov_b32 v18, v5
	v_dual_mov_b32 v10, v4 :: v_dual_mov_b32 v9, v3
	;; [unrolled: 1-line block ×3, first 2 shown]
	s_and_saveexec_b32 s25, s1
	s_cbranch_execz .LBB214_44
; %bb.36:                               ;   in Loop: Header=BB214_35 Depth=1
	ds_store_b32 v14, v17
	s_and_b32 exec_lo, exec_lo, s8
	s_cbranch_execz .LBB214_44
; %bb.37:                               ;   in Loop: Header=BB214_35 Depth=1
	ds_store_b32 v14, v17 offset:64
	s_and_b32 exec_lo, exec_lo, s9
	s_cbranch_execz .LBB214_44
; %bb.38:                               ;   in Loop: Header=BB214_35 Depth=1
	ds_store_b32 v14, v17 offset:128
	;; [unrolled: 4-line block ×6, first 2 shown]
	s_and_b32 exec_lo, exec_lo, s14
; %bb.43:                               ;   in Loop: Header=BB214_35 Depth=1
	ds_store_b32 v14, v17 offset:448
.LBB214_44:                             ;   in Loop: Header=BB214_35 Depth=1
	s_wait_alu 0xfffe
	s_or_b32 exec_lo, exec_lo, s25
	v_cmp_ne_u32_e32 vcc_lo, 0x80000000, v18
	s_wait_kmcnt 0x0
	s_min_u32 s25, s15, s24
	s_wait_alu 0xfffe
	s_lshl_b32 s25, -1, s25
	s_wait_alu 0xfffe
	s_not_b32 s25, s25
	s_wait_alu 0xfffd
	v_cndmask_b32_e32 v1, 0x7fffffff, v18, vcc_lo
	v_cmp_ne_u32_e32 vcc_lo, 0x80000000, v15
	s_delay_alu instid0(VALU_DEP_2) | instskip(SKIP_1) | instid1(VALU_DEP_1)
	v_lshrrev_b32_e32 v1, s21, v1
	s_wait_alu 0xfffe
	v_and_b32_e32 v1, s25, v1
	s_delay_alu instid0(VALU_DEP_1) | instskip(SKIP_1) | instid1(VALU_DEP_2)
	v_lshlrev_b32_e32 v2, 4, v1
	v_lshrrev_b32_e32 v1, 2, v1
	v_and_or_b32 v2, 0x70, v2, v0
	s_delay_alu instid0(VALU_DEP_2) | instskip(NEXT) | instid1(VALU_DEP_1)
	v_and_b32_e32 v1, 0x1ffffffe, v1
	v_lshl_add_u32 v19, v2, 2, v1
	s_wait_alu 0xfffd
	v_cndmask_b32_e32 v1, 0x7fffffff, v15, vcc_lo
	ds_load_u16 v20, v19
	v_lshrrev_b32_e32 v1, s21, v1
	s_delay_alu instid0(VALU_DEP_1) | instskip(NEXT) | instid1(VALU_DEP_1)
	v_and_b32_e32 v1, s25, v1
	v_lshlrev_b32_e32 v2, 4, v1
	v_lshrrev_b32_e32 v1, 2, v1
	s_delay_alu instid0(VALU_DEP_2) | instskip(NEXT) | instid1(VALU_DEP_2)
	v_and_or_b32 v2, 0x70, v2, v0
	v_and_b32_e32 v1, 0x1ffffffe, v1
	s_wait_dscnt 0x0
	v_add_nc_u16 v3, v20, 1
	s_delay_alu instid0(VALU_DEP_2)
	v_lshl_add_u32 v29, v2, 2, v1
	ds_store_b16 v19, v3
	ds_load_u16 v30, v29
	s_wait_dscnt 0x0
	v_add_nc_u16 v1, v30, 1
	ds_store_b16 v29, v1
	; wave barrier
	s_wait_loadcnt_dscnt 0x0
	global_inv scope:SCOPE_SE
	ds_load_b128 v[5:8], v27
	ds_load_b128 v[1:4], v27 offset:16
	s_wait_dscnt 0x1
	v_add_nc_u32_e32 v31, v6, v5
	s_delay_alu instid0(VALU_DEP_1) | instskip(SKIP_1) | instid1(VALU_DEP_1)
	v_add3_u32 v31, v31, v7, v8
	s_wait_dscnt 0x0
	v_add3_u32 v31, v31, v1, v2
	s_delay_alu instid0(VALU_DEP_1) | instskip(NEXT) | instid1(VALU_DEP_1)
	v_add3_u32 v4, v31, v3, v4
	v_mov_b32_dpp v31, v4 row_shr:1 row_mask:0xf bank_mask:0xf
	s_delay_alu instid0(VALU_DEP_1) | instskip(NEXT) | instid1(VALU_DEP_1)
	v_cndmask_b32_e64 v31, v31, 0, s3
	v_add_nc_u32_e32 v4, v31, v4
	s_delay_alu instid0(VALU_DEP_1) | instskip(NEXT) | instid1(VALU_DEP_1)
	v_mov_b32_dpp v31, v4 row_shr:2 row_mask:0xf bank_mask:0xf
	v_cndmask_b32_e64 v31, 0, v31, s4
	s_delay_alu instid0(VALU_DEP_1) | instskip(NEXT) | instid1(VALU_DEP_1)
	v_add_nc_u32_e32 v4, v4, v31
	v_mov_b32_dpp v31, v4 row_shr:4 row_mask:0xf bank_mask:0xf
	s_delay_alu instid0(VALU_DEP_1) | instskip(NEXT) | instid1(VALU_DEP_1)
	v_cndmask_b32_e64 v31, 0, v31, s5
	v_add_nc_u32_e32 v4, v4, v31
	s_delay_alu instid0(VALU_DEP_1) | instskip(NEXT) | instid1(VALU_DEP_1)
	v_mov_b32_dpp v31, v4 row_shr:8 row_mask:0xf bank_mask:0xf
	v_cndmask_b32_e64 v31, 0, v31, s6
	s_delay_alu instid0(VALU_DEP_1)
	v_add_nc_u32_e32 v4, v4, v31
	s_and_saveexec_b32 s25, s7
; %bb.45:                               ;   in Loop: Header=BB214_35 Depth=1
	ds_store_b32 v17, v4 offset:512
; %bb.46:                               ;   in Loop: Header=BB214_35 Depth=1
	s_wait_alu 0xfffe
	s_or_b32 exec_lo, exec_lo, s25
	ds_bpermute_b32 v4, v28, v4
	; wave barrier
	s_wait_loadcnt_dscnt 0x0
	global_inv scope:SCOPE_SE
	ds_load_b32 v31, v17 offset:512
	s_cmp_gt_u32 s21, 27
	s_mov_b32 s25, -1
	v_cndmask_b32_e64 v4, v4, 0, s19
	s_wait_dscnt 0x0
	s_delay_alu instid0(VALU_DEP_1) | instskip(NEXT) | instid1(VALU_DEP_1)
	v_lshl_add_u32 v4, v31, 16, v4
	v_add_nc_u32_e32 v5, v4, v5
	s_delay_alu instid0(VALU_DEP_1) | instskip(NEXT) | instid1(VALU_DEP_1)
	v_add_nc_u32_e32 v6, v5, v6
	v_add_nc_u32_e32 v7, v6, v7
	s_delay_alu instid0(VALU_DEP_1) | instskip(NEXT) | instid1(VALU_DEP_1)
	v_add_nc_u32_e32 v31, v7, v8
	;; [unrolled: 3-line block ×3, first 2 shown]
	v_add_nc_u32_e32 v34, v33, v3
	v_and_b32_e32 v3, 0xffff, v20
	ds_store_b128 v27, v[4:7]
	ds_store_b128 v27, v[31:34] offset:16
	; wave barrier
	s_wait_loadcnt_dscnt 0x0
	global_inv scope:SCOPE_SE
	ds_load_u16 v1, v19
	ds_load_u16 v2, v29
	v_and_b32_e32 v4, 0xffff, v30
                                        ; implicit-def: $vgpr6
	s_wait_dscnt 0x1
	v_add_nc_u32_e32 v8, v1, v3
	s_wait_dscnt 0x0
	s_delay_alu instid0(VALU_DEP_2)
	v_add_nc_u32_e32 v7, v2, v4
                                        ; implicit-def: $vgpr3_vgpr4
	s_cbranch_scc1 .LBB214_34
; %bb.47:                               ;   in Loop: Header=BB214_35 Depth=1
	s_delay_alu instid0(VALU_DEP_2) | instskip(NEXT) | instid1(VALU_DEP_2)
	v_lshlrev_b32_e32 v1, 2, v8
	v_lshlrev_b32_e32 v2, 2, v7
	s_wait_loadcnt 0x0
	; wave barrier
	global_inv scope:SCOPE_SE
	s_add_co_i32 s21, s21, 4
	ds_store_b32 v1, v18
	ds_store_b32 v2, v15
	v_add_nc_u32_e32 v1, v1, v1
	v_add_nc_u32_e32 v2, v2, v2
	; wave barrier
	s_wait_loadcnt_dscnt 0x0
	global_inv scope:SCOPE_SE
	ds_load_b64 v[5:6], v26
	; wave barrier
	s_wait_loadcnt_dscnt 0x0
	global_inv scope:SCOPE_SE
	ds_store_b64 v1, v[11:12]
	ds_store_b64 v2, v[9:10]
	; wave barrier
	s_wait_loadcnt_dscnt 0x0
	global_inv scope:SCOPE_SE
	ds_load_b128 v[1:4], v25
	s_add_co_i32 s24, s24, -4
	s_mov_b32 s25, 0
	; wave barrier
	s_wait_loadcnt_dscnt 0x0
	global_inv scope:SCOPE_SE
	s_branch .LBB214_34
.LBB214_48:
	v_lshlrev_b32_e32 v2, 2, v8
	v_lshlrev_b32_e32 v3, 2, v7
	s_wait_loadcnt 0x0
	; wave barrier
	global_inv scope:SCOPE_SE
	ds_store_b32 v2, v18
	ds_store_b32 v3, v15
	; wave barrier
	s_wait_loadcnt_dscnt 0x0
	global_inv scope:SCOPE_SE
	ds_load_b64 v[0:1], v26
	v_add_nc_u32_e32 v2, v2, v2
	v_add_nc_u32_e32 v3, v3, v3
	; wave barrier
	s_wait_loadcnt_dscnt 0x0
	global_inv scope:SCOPE_SE
	ds_store_b64 v2, v[11:12]
	ds_store_b64 v3, v[9:10]
	; wave barrier
	s_wait_loadcnt_dscnt 0x0
	global_inv scope:SCOPE_SE
	ds_load_b128 v[5:8], v25
	v_cmp_gt_i32_e32 vcc_lo, 0, v0
	s_wait_alu 0xfffd
	v_cndmask_b32_e64 v2, 0x7fffffff, 0, vcc_lo
	v_cmp_gt_i32_e32 vcc_lo, 0, v1
	s_delay_alu instid0(VALU_DEP_2) | instskip(SKIP_2) | instid1(VALU_DEP_1)
	v_xor_b32_e32 v9, v2, v0
	s_wait_alu 0xfffd
	v_cndmask_b32_e64 v3, 0x7fffffff, 0, vcc_lo
	v_xor_b32_e32 v10, v3, v1
.LBB214_49:
	; wave barrier
	s_wait_loadcnt_dscnt 0x0
	global_inv scope:SCOPE_SE
	ds_store_2addr_b32 v21, v9, v10 offset1:1
	; wave barrier
	s_wait_loadcnt_dscnt 0x0
	global_inv scope:SCOPE_SE
	ds_load_b32 v2, v22 offset:64
	v_mov_b32_e32 v17, 0
	s_delay_alu instid0(VALU_DEP_1) | instskip(NEXT) | instid1(VALU_DEP_1)
	v_lshlrev_b64_e32 v[0:1], 2, v[16:17]
	v_add_co_u32 v0, vcc_lo, s22, v0
	s_wait_alu 0xfffd
	s_delay_alu instid0(VALU_DEP_2)
	v_add_co_ci_u32_e64 v1, null, s23, v1, vcc_lo
	s_and_saveexec_b32 s1, s2
	s_cbranch_execz .LBB214_51
; %bb.50:
	ds_load_b32 v3, v22
	s_wait_dscnt 0x0
	global_store_b32 v[0:1], v3, off
.LBB214_51:
	s_or_b32 exec_lo, exec_lo, s1
	s_and_saveexec_b32 s1, s0
	s_cbranch_execz .LBB214_53
; %bb.52:
	s_lshl_b32 s4, s18, 4
	s_mov_b32 s5, 0
	s_wait_alu 0xfffe
	s_lshl_b64 s[4:5], s[4:5], 2
	s_wait_alu 0xfffe
	v_add_co_u32 v0, vcc_lo, v0, s4
	s_wait_alu 0xfffd
	v_add_co_ci_u32_e64 v1, null, s5, v1, vcc_lo
	s_wait_dscnt 0x0
	global_store_b32 v[0:1], v2, off
.LBB214_53:
	s_or_b32 exec_lo, exec_lo, s1
	s_wait_storecnt 0x0
	; wave barrier
	s_wait_loadcnt_dscnt 0x0
	global_inv scope:SCOPE_SE
	ds_store_2addr_b64 v24, v[5:6], v[7:8] offset1:1
	; wave barrier
	s_wait_loadcnt_dscnt 0x0
	global_inv scope:SCOPE_SE
	ds_load_b64 v[0:1], v21 offset:128
	v_mov_b32_e32 v14, 0
	s_delay_alu instid0(VALU_DEP_1) | instskip(NEXT) | instid1(VALU_DEP_1)
	v_lshlrev_b64_e32 v[2:3], 3, v[13:14]
	v_add_co_u32 v2, vcc_lo, s16, v2
	s_wait_alu 0xfffd
	s_delay_alu instid0(VALU_DEP_2)
	v_add_co_ci_u32_e64 v3, null, s17, v3, vcc_lo
	s_and_saveexec_b32 s1, s2
	s_cbranch_execz .LBB214_55
; %bb.54:
	ds_load_b64 v[4:5], v23
	s_wait_dscnt 0x0
	global_store_b64 v[2:3], v[4:5], off
.LBB214_55:
	s_or_b32 exec_lo, exec_lo, s1
	s_and_saveexec_b32 s1, s0
	s_cbranch_execz .LBB214_57
; %bb.56:
	s_lshl_b32 s0, s20, 4
	s_mov_b32 s1, 0
	s_delay_alu instid0(SALU_CYCLE_1) | instskip(NEXT) | instid1(SALU_CYCLE_1)
	s_lshl_b64 s[0:1], s[0:1], 3
	v_add_co_u32 v2, vcc_lo, v2, s0
	s_wait_alu 0xfffd
	v_add_co_ci_u32_e64 v3, null, s1, v3, vcc_lo
	s_wait_dscnt 0x0
	global_store_b64 v[2:3], v[0:1], off
.LBB214_57:
	s_endpgm
	.section	.rodata,"a",@progbits
	.p2align	6, 0x0
	.amdhsa_kernel _ZN2at6native18radixSortKVInPlaceILin1ELin1ELi16ELi2EfljEEvNS_4cuda6detail10TensorInfoIT3_T5_EES6_S6_S6_NS4_IT4_S6_EES6_b
		.amdhsa_group_segment_fixed_size 528
		.amdhsa_private_segment_fixed_size 0
		.amdhsa_kernarg_size 712
		.amdhsa_user_sgpr_count 2
		.amdhsa_user_sgpr_dispatch_ptr 0
		.amdhsa_user_sgpr_queue_ptr 0
		.amdhsa_user_sgpr_kernarg_segment_ptr 1
		.amdhsa_user_sgpr_dispatch_id 0
		.amdhsa_user_sgpr_private_segment_size 0
		.amdhsa_wavefront_size32 1
		.amdhsa_uses_dynamic_stack 0
		.amdhsa_enable_private_segment 0
		.amdhsa_system_sgpr_workgroup_id_x 1
		.amdhsa_system_sgpr_workgroup_id_y 1
		.amdhsa_system_sgpr_workgroup_id_z 1
		.amdhsa_system_sgpr_workgroup_info 0
		.amdhsa_system_vgpr_workitem_id 0
		.amdhsa_next_free_vgpr 40
		.amdhsa_next_free_sgpr 26
		.amdhsa_reserve_vcc 1
		.amdhsa_float_round_mode_32 0
		.amdhsa_float_round_mode_16_64 0
		.amdhsa_float_denorm_mode_32 3
		.amdhsa_float_denorm_mode_16_64 3
		.amdhsa_fp16_overflow 0
		.amdhsa_workgroup_processor_mode 1
		.amdhsa_memory_ordered 1
		.amdhsa_forward_progress 1
		.amdhsa_inst_pref_size 34
		.amdhsa_round_robin_scheduling 0
		.amdhsa_exception_fp_ieee_invalid_op 0
		.amdhsa_exception_fp_denorm_src 0
		.amdhsa_exception_fp_ieee_div_zero 0
		.amdhsa_exception_fp_ieee_overflow 0
		.amdhsa_exception_fp_ieee_underflow 0
		.amdhsa_exception_fp_ieee_inexact 0
		.amdhsa_exception_int_div_zero 0
	.end_amdhsa_kernel
	.section	.text._ZN2at6native18radixSortKVInPlaceILin1ELin1ELi16ELi2EfljEEvNS_4cuda6detail10TensorInfoIT3_T5_EES6_S6_S6_NS4_IT4_S6_EES6_b,"axG",@progbits,_ZN2at6native18radixSortKVInPlaceILin1ELin1ELi16ELi2EfljEEvNS_4cuda6detail10TensorInfoIT3_T5_EES6_S6_S6_NS4_IT4_S6_EES6_b,comdat
.Lfunc_end214:
	.size	_ZN2at6native18radixSortKVInPlaceILin1ELin1ELi16ELi2EfljEEvNS_4cuda6detail10TensorInfoIT3_T5_EES6_S6_S6_NS4_IT4_S6_EES6_b, .Lfunc_end214-_ZN2at6native18radixSortKVInPlaceILin1ELin1ELi16ELi2EfljEEvNS_4cuda6detail10TensorInfoIT3_T5_EES6_S6_S6_NS4_IT4_S6_EES6_b
                                        ; -- End function
	.set _ZN2at6native18radixSortKVInPlaceILin1ELin1ELi16ELi2EfljEEvNS_4cuda6detail10TensorInfoIT3_T5_EES6_S6_S6_NS4_IT4_S6_EES6_b.num_vgpr, 40
	.set _ZN2at6native18radixSortKVInPlaceILin1ELin1ELi16ELi2EfljEEvNS_4cuda6detail10TensorInfoIT3_T5_EES6_S6_S6_NS4_IT4_S6_EES6_b.num_agpr, 0
	.set _ZN2at6native18radixSortKVInPlaceILin1ELin1ELi16ELi2EfljEEvNS_4cuda6detail10TensorInfoIT3_T5_EES6_S6_S6_NS4_IT4_S6_EES6_b.numbered_sgpr, 26
	.set _ZN2at6native18radixSortKVInPlaceILin1ELin1ELi16ELi2EfljEEvNS_4cuda6detail10TensorInfoIT3_T5_EES6_S6_S6_NS4_IT4_S6_EES6_b.num_named_barrier, 0
	.set _ZN2at6native18radixSortKVInPlaceILin1ELin1ELi16ELi2EfljEEvNS_4cuda6detail10TensorInfoIT3_T5_EES6_S6_S6_NS4_IT4_S6_EES6_b.private_seg_size, 0
	.set _ZN2at6native18radixSortKVInPlaceILin1ELin1ELi16ELi2EfljEEvNS_4cuda6detail10TensorInfoIT3_T5_EES6_S6_S6_NS4_IT4_S6_EES6_b.uses_vcc, 1
	.set _ZN2at6native18radixSortKVInPlaceILin1ELin1ELi16ELi2EfljEEvNS_4cuda6detail10TensorInfoIT3_T5_EES6_S6_S6_NS4_IT4_S6_EES6_b.uses_flat_scratch, 0
	.set _ZN2at6native18radixSortKVInPlaceILin1ELin1ELi16ELi2EfljEEvNS_4cuda6detail10TensorInfoIT3_T5_EES6_S6_S6_NS4_IT4_S6_EES6_b.has_dyn_sized_stack, 0
	.set _ZN2at6native18radixSortKVInPlaceILin1ELin1ELi16ELi2EfljEEvNS_4cuda6detail10TensorInfoIT3_T5_EES6_S6_S6_NS4_IT4_S6_EES6_b.has_recursion, 0
	.set _ZN2at6native18radixSortKVInPlaceILin1ELin1ELi16ELi2EfljEEvNS_4cuda6detail10TensorInfoIT3_T5_EES6_S6_S6_NS4_IT4_S6_EES6_b.has_indirect_call, 0
	.section	.AMDGPU.csdata,"",@progbits
; Kernel info:
; codeLenInByte = 4324
; TotalNumSgprs: 28
; NumVgprs: 40
; ScratchSize: 0
; MemoryBound: 0
; FloatMode: 240
; IeeeMode: 1
; LDSByteSize: 528 bytes/workgroup (compile time only)
; SGPRBlocks: 0
; VGPRBlocks: 4
; NumSGPRsForWavesPerEU: 28
; NumVGPRsForWavesPerEU: 40
; Occupancy: 16
; WaveLimiterHint : 1
; COMPUTE_PGM_RSRC2:SCRATCH_EN: 0
; COMPUTE_PGM_RSRC2:USER_SGPR: 2
; COMPUTE_PGM_RSRC2:TRAP_HANDLER: 0
; COMPUTE_PGM_RSRC2:TGID_X_EN: 1
; COMPUTE_PGM_RSRC2:TGID_Y_EN: 1
; COMPUTE_PGM_RSRC2:TGID_Z_EN: 1
; COMPUTE_PGM_RSRC2:TIDIG_COMP_CNT: 0
	.section	.text._ZN2at6native18radixSortKVInPlaceILin1ELin1ELi512ELi8EflmEEvNS_4cuda6detail10TensorInfoIT3_T5_EES6_S6_S6_NS4_IT4_S6_EES6_b,"axG",@progbits,_ZN2at6native18radixSortKVInPlaceILin1ELin1ELi512ELi8EflmEEvNS_4cuda6detail10TensorInfoIT3_T5_EES6_S6_S6_NS4_IT4_S6_EES6_b,comdat
	.protected	_ZN2at6native18radixSortKVInPlaceILin1ELin1ELi512ELi8EflmEEvNS_4cuda6detail10TensorInfoIT3_T5_EES6_S6_S6_NS4_IT4_S6_EES6_b ; -- Begin function _ZN2at6native18radixSortKVInPlaceILin1ELin1ELi512ELi8EflmEEvNS_4cuda6detail10TensorInfoIT3_T5_EES6_S6_S6_NS4_IT4_S6_EES6_b
	.globl	_ZN2at6native18radixSortKVInPlaceILin1ELin1ELi512ELi8EflmEEvNS_4cuda6detail10TensorInfoIT3_T5_EES6_S6_S6_NS4_IT4_S6_EES6_b
	.p2align	8
	.type	_ZN2at6native18radixSortKVInPlaceILin1ELin1ELi512ELi8EflmEEvNS_4cuda6detail10TensorInfoIT3_T5_EES6_S6_S6_NS4_IT4_S6_EES6_b,@function
_ZN2at6native18radixSortKVInPlaceILin1ELin1ELi512ELi8EflmEEvNS_4cuda6detail10TensorInfoIT3_T5_EES6_S6_S6_NS4_IT4_S6_EES6_b: ; @_ZN2at6native18radixSortKVInPlaceILin1ELin1ELi512ELi8EflmEEvNS_4cuda6detail10TensorInfoIT3_T5_EES6_S6_S6_NS4_IT4_S6_EES6_b
; %bb.0:
	s_clause 0x1
	s_load_b64 s[2:3], s[0:1], 0x368
	s_load_b128 s[12:15], s[0:1], 0x1a0
	s_lshr_b32 s4, ttmp7, 16
	s_and_b32 s5, ttmp7, 0xffff
	s_wait_kmcnt 0x0
	s_mul_i32 s3, s3, s4
	s_delay_alu instid0(SALU_CYCLE_1) | instskip(NEXT) | instid1(SALU_CYCLE_1)
	s_add_co_i32 s3, s3, s5
	s_mul_i32 s2, s3, s2
	s_mov_b32 s3, 0
	s_add_co_i32 s2, s2, ttmp9
	s_delay_alu instid0(SALU_CYCLE_1)
	v_cmp_le_u64_e64 s4, s[12:13], s[2:3]
	s_and_b32 vcc_lo, exec_lo, s4
	s_cbranch_vccnz .LBB215_124
; %bb.1:
	s_clause 0x1
	s_load_b32 s7, s[0:1], 0x198
	s_load_b64 s[24:25], s[0:1], 0x1b0
	s_mov_b64 s[12:13], 0
	s_mov_b64 s[4:5], s[2:3]
	s_wait_kmcnt 0x0
	s_cmp_lt_i32 s7, 2
	s_cbranch_scc1 .LBB215_9
; %bb.2:
	s_mov_b32 s6, 0
	s_add_co_i32 s4, s7, -1
	s_mov_b32 s5, s6
	s_add_co_i32 s15, s7, 1
	s_lshl_b64 s[4:5], s[4:5], 3
	s_mov_b64 s[10:11], s[2:3]
	s_add_nc_u64 s[4:5], s[0:1], s[4:5]
	s_delay_alu instid0(SALU_CYCLE_1)
	s_add_nc_u64 s[8:9], s[4:5], 8
.LBB215_3:                              ; =>This Inner Loop Header: Depth=1
	s_load_b64 s[16:17], s[8:9], 0x0
	s_wait_kmcnt 0x0
	s_or_b64 s[4:5], s[10:11], s[16:17]
	s_wait_alu 0xfffe
	s_mov_b32 s7, s5
                                        ; implicit-def: $sgpr4_sgpr5
	s_delay_alu instid0(SALU_CYCLE_1)
	s_cmp_lg_u64 s[6:7], 0
	s_mov_b32 s7, -1
	s_cbranch_scc0 .LBB215_5
; %bb.4:                                ;   in Loop: Header=BB215_3 Depth=1
	s_cvt_f32_u32 s4, s16
	s_cvt_f32_u32 s5, s17
	s_sub_nc_u64 s[18:19], 0, s[16:17]
	s_mov_b32 s21, s6
	s_mov_b32 s27, s6
	s_wait_alu 0xfffe
	s_fmamk_f32 s4, s5, 0x4f800000, s4
	s_wait_alu 0xfffe
	s_delay_alu instid0(SALU_CYCLE_2) | instskip(NEXT) | instid1(TRANS32_DEP_1)
	v_s_rcp_f32 s4, s4
	s_mul_f32 s4, s4, 0x5f7ffffc
	s_wait_alu 0xfffe
	s_delay_alu instid0(SALU_CYCLE_2) | instskip(SKIP_1) | instid1(SALU_CYCLE_2)
	s_mul_f32 s5, s4, 0x2f800000
	s_wait_alu 0xfffe
	s_trunc_f32 s5, s5
	s_wait_alu 0xfffe
	s_delay_alu instid0(SALU_CYCLE_2) | instskip(SKIP_2) | instid1(SALU_CYCLE_1)
	s_fmamk_f32 s4, s5, 0xcf800000, s4
	s_cvt_u32_f32 s5, s5
	s_wait_alu 0xfffe
	s_cvt_u32_f32 s4, s4
	s_wait_alu 0xfffe
	s_delay_alu instid0(SALU_CYCLE_2) | instskip(NEXT) | instid1(SALU_CYCLE_1)
	s_mul_u64 s[22:23], s[18:19], s[4:5]
	s_mul_hi_u32 s29, s4, s23
	s_mul_i32 s28, s4, s23
	s_mul_hi_u32 s20, s4, s22
	s_mul_i32 s26, s5, s22
	s_add_nc_u64 s[20:21], s[20:21], s[28:29]
	s_mul_hi_u32 s7, s5, s22
	s_mul_hi_u32 s30, s5, s23
	s_add_co_u32 s20, s20, s26
	s_add_co_ci_u32 s26, s21, s7
	s_mul_i32 s22, s5, s23
	s_add_co_ci_u32 s23, s30, 0
	s_delay_alu instid0(SALU_CYCLE_1) | instskip(SKIP_3) | instid1(SALU_CYCLE_1)
	s_add_nc_u64 s[20:21], s[26:27], s[22:23]
	s_mov_b32 s23, s6
	s_add_co_u32 s4, s4, s20
	s_cselect_b32 s7, -1, 0
	s_cmp_lg_u32 s7, 0
	s_add_co_ci_u32 s5, s5, s21
	s_mov_b32 s21, s6
	s_wait_alu 0xfffe
	s_mul_u64 s[18:19], s[18:19], s[4:5]
	s_delay_alu instid0(SALU_CYCLE_1)
	s_mul_hi_u32 s27, s4, s19
	s_mul_i32 s26, s4, s19
	s_mul_hi_u32 s20, s4, s18
	s_mul_i32 s22, s5, s18
	s_add_nc_u64 s[20:21], s[20:21], s[26:27]
	s_mul_hi_u32 s7, s5, s18
	s_mul_hi_u32 s28, s5, s19
	s_mul_i32 s18, s5, s19
	s_add_co_u32 s19, s20, s22
	s_add_co_ci_u32 s22, s21, s7
	s_add_co_ci_u32 s19, s28, 0
	s_mov_b32 s21, s6
	s_add_nc_u64 s[18:19], s[22:23], s[18:19]
	s_delay_alu instid0(SALU_CYCLE_1)
	s_add_co_u32 s4, s4, s18
	s_cselect_b32 s7, -1, 0
	s_wait_alu 0xfffe
	s_mul_hi_u32 s20, s10, s4
	s_cmp_lg_u32 s7, 0
	s_mul_hi_u32 s7, s11, s4
	s_add_co_ci_u32 s18, s5, s19
	s_mul_i32 s19, s11, s4
	s_mul_hi_u32 s5, s10, s18
	s_mul_i32 s4, s10, s18
	s_mul_hi_u32 s26, s11, s18
	s_wait_alu 0xfffe
	s_add_nc_u64 s[4:5], s[20:21], s[4:5]
	s_mul_i32 s18, s11, s18
	s_wait_alu 0xfffe
	s_add_co_u32 s4, s4, s19
	s_add_co_ci_u32 s22, s5, s7
	s_add_co_ci_u32 s19, s26, 0
	s_delay_alu instid0(SALU_CYCLE_1) | instskip(SKIP_2) | instid1(SALU_CYCLE_1)
	s_add_nc_u64 s[4:5], s[22:23], s[18:19]
	s_wait_alu 0xfffe
	s_mul_u64 s[18:19], s[16:17], s[4:5]
	s_sub_co_u32 s7, s10, s18
	s_cselect_b32 s18, -1, 0
	s_sub_co_i32 s20, s11, s19
	s_cmp_lg_u32 s18, 0
	s_sub_co_ci_u32 s20, s20, s17
	s_sub_co_u32 s21, s7, s16
	s_cselect_b32 s22, -1, 0
	s_delay_alu instid0(SALU_CYCLE_1) | instskip(SKIP_1) | instid1(SALU_CYCLE_1)
	s_cmp_lg_u32 s22, 0
	s_sub_co_ci_u32 s20, s20, 0
	s_cmp_ge_u32 s20, s17
	s_cselect_b32 s22, -1, 0
	s_cmp_ge_u32 s21, s16
	s_cselect_b32 s23, -1, 0
	s_cmp_eq_u32 s20, s17
	s_add_nc_u64 s[20:21], s[4:5], 1
	s_cselect_b32 s26, s23, s22
	s_add_nc_u64 s[22:23], s[4:5], 2
	s_cmp_lg_u32 s26, 0
	s_cselect_b32 s20, s22, s20
	s_cselect_b32 s21, s23, s21
	s_cmp_lg_u32 s18, 0
	s_sub_co_ci_u32 s18, s11, s19
	s_delay_alu instid0(SALU_CYCLE_1)
	s_cmp_ge_u32 s18, s17
	s_cselect_b32 s19, -1, 0
	s_cmp_ge_u32 s7, s16
	s_cselect_b32 s7, -1, 0
	s_cmp_eq_u32 s18, s17
	s_cselect_b32 s7, s7, s19
	s_delay_alu instid0(SALU_CYCLE_1)
	s_cmp_lg_u32 s7, 0
	s_mov_b32 s7, 0
	s_cselect_b32 s5, s21, s5
	s_cselect_b32 s4, s20, s4
.LBB215_5:                              ;   in Loop: Header=BB215_3 Depth=1
	s_and_not1_b32 vcc_lo, exec_lo, s7
	s_cbranch_vccnz .LBB215_7
; %bb.6:                                ;   in Loop: Header=BB215_3 Depth=1
	v_cvt_f32_u32_e32 v1, s16
	s_sub_co_i32 s5, 0, s16
	s_delay_alu instid0(VALU_DEP_1) | instskip(NEXT) | instid1(TRANS32_DEP_1)
	v_rcp_iflag_f32_e32 v1, v1
	v_mul_f32_e32 v1, 0x4f7ffffe, v1
	s_delay_alu instid0(VALU_DEP_1) | instskip(NEXT) | instid1(VALU_DEP_1)
	v_cvt_u32_f32_e32 v1, v1
	v_readfirstlane_b32 s4, v1
	s_wait_alu 0xfffe
	s_mul_i32 s5, s5, s4
	s_wait_alu 0xfffe
	s_mul_hi_u32 s5, s4, s5
	s_wait_alu 0xfffe
	s_add_co_i32 s4, s4, s5
	s_wait_alu 0xfffe
	s_mul_hi_u32 s4, s10, s4
	s_wait_alu 0xfffe
	s_mul_i32 s5, s4, s16
	s_add_co_i32 s7, s4, 1
	s_wait_alu 0xfffe
	s_sub_co_i32 s5, s10, s5
	s_wait_alu 0xfffe
	s_sub_co_i32 s18, s5, s16
	s_cmp_ge_u32 s5, s16
	s_cselect_b32 s4, s7, s4
	s_cselect_b32 s5, s18, s5
	s_wait_alu 0xfffe
	s_add_co_i32 s7, s4, 1
	s_cmp_ge_u32 s5, s16
	s_mov_b32 s5, s6
	s_cselect_b32 s4, s7, s4
.LBB215_7:                              ;   in Loop: Header=BB215_3 Depth=1
	s_load_b64 s[18:19], s[8:9], 0xc8
	s_mul_u64 s[16:17], s[4:5], s[16:17]
	s_add_co_i32 s15, s15, -1
	s_wait_alu 0xfffe
	s_sub_nc_u64 s[10:11], s[10:11], s[16:17]
	s_cmp_gt_u32 s15, 2
	s_add_nc_u64 s[8:9], s[8:9], -8
	s_wait_kmcnt 0x0
	s_mul_u64 s[10:11], s[18:19], s[10:11]
	s_delay_alu instid0(SALU_CYCLE_1)
	s_add_nc_u64 s[12:13], s[10:11], s[12:13]
	s_cbranch_scc0 .LBB215_9
; %bb.8:                                ;   in Loop: Header=BB215_3 Depth=1
	s_mov_b64 s[10:11], s[4:5]
	s_branch .LBB215_3
.LBB215_9:
	s_load_b32 s7, s[0:1], 0x350
	s_add_nc_u64 s[34:35], s[0:1], 0x368
	s_mov_b64 s[16:17], 0
	s_wait_kmcnt 0x0
	s_cmp_lt_i32 s7, 2
	s_cbranch_scc1 .LBB215_17
; %bb.10:
	s_mov_b32 s6, 0
	s_add_co_i32 s8, s7, -1
	s_mov_b32 s9, s6
	s_add_co_i32 s15, s7, 1
	s_lshl_b64 s[8:9], s[8:9], 3
	s_delay_alu instid0(SALU_CYCLE_1) | instskip(NEXT) | instid1(SALU_CYCLE_1)
	s_add_nc_u64 s[8:9], s[0:1], s[8:9]
	s_add_nc_u64 s[8:9], s[8:9], 0x1c0
.LBB215_11:                             ; =>This Inner Loop Header: Depth=1
	s_load_b64 s[10:11], s[8:9], 0x0
	s_wait_kmcnt 0x0
	s_or_b64 s[18:19], s[2:3], s[10:11]
	s_delay_alu instid0(SALU_CYCLE_1)
	s_mov_b32 s7, s19
                                        ; implicit-def: $sgpr18_sgpr19
	s_wait_alu 0xfffe
	s_cmp_lg_u64 s[6:7], 0
	s_mov_b32 s7, -1
	s_cbranch_scc0 .LBB215_13
; %bb.12:                               ;   in Loop: Header=BB215_11 Depth=1
	s_cvt_f32_u32 s7, s10
	s_cvt_f32_u32 s18, s11
	s_sub_nc_u64 s[20:21], 0, s[10:11]
	s_mov_b32 s23, s6
	s_mov_b32 s29, s6
	s_wait_alu 0xfffe
	s_fmamk_f32 s7, s18, 0x4f800000, s7
	s_wait_alu 0xfffe
	s_delay_alu instid0(SALU_CYCLE_2) | instskip(NEXT) | instid1(TRANS32_DEP_1)
	v_s_rcp_f32 s7, s7
	s_mul_f32 s7, s7, 0x5f7ffffc
	s_wait_alu 0xfffe
	s_delay_alu instid0(SALU_CYCLE_2) | instskip(NEXT) | instid1(SALU_CYCLE_3)
	s_mul_f32 s18, s7, 0x2f800000
	s_trunc_f32 s18, s18
	s_delay_alu instid0(SALU_CYCLE_3) | instskip(SKIP_2) | instid1(SALU_CYCLE_1)
	s_fmamk_f32 s7, s18, 0xcf800000, s7
	s_cvt_u32_f32 s19, s18
	s_wait_alu 0xfffe
	s_cvt_u32_f32 s18, s7
	s_delay_alu instid0(SALU_CYCLE_3) | instskip(NEXT) | instid1(SALU_CYCLE_1)
	s_mul_u64 s[26:27], s[20:21], s[18:19]
	s_mul_hi_u32 s31, s18, s27
	s_mul_i32 s30, s18, s27
	s_mul_hi_u32 s22, s18, s26
	s_mul_i32 s28, s19, s26
	s_add_nc_u64 s[22:23], s[22:23], s[30:31]
	s_mul_hi_u32 s7, s19, s26
	s_mul_hi_u32 s33, s19, s27
	s_add_co_u32 s22, s22, s28
	s_wait_alu 0xfffe
	s_add_co_ci_u32 s28, s23, s7
	s_mul_i32 s26, s19, s27
	s_add_co_ci_u32 s27, s33, 0
	s_delay_alu instid0(SALU_CYCLE_1)
	s_add_nc_u64 s[22:23], s[28:29], s[26:27]
	s_mov_b32 s27, s6
	s_add_co_u32 s18, s18, s22
	s_cselect_b32 s7, -1, 0
	s_wait_alu 0xfffe
	s_cmp_lg_u32 s7, 0
	s_add_co_ci_u32 s19, s19, s23
	s_mov_b32 s23, s6
	s_mul_u64 s[20:21], s[20:21], s[18:19]
	s_delay_alu instid0(SALU_CYCLE_1)
	s_mul_hi_u32 s29, s18, s21
	s_mul_i32 s28, s18, s21
	s_mul_hi_u32 s22, s18, s20
	s_mul_i32 s26, s19, s20
	s_add_nc_u64 s[22:23], s[22:23], s[28:29]
	s_mul_hi_u32 s7, s19, s20
	s_mul_hi_u32 s30, s19, s21
	s_mul_i32 s20, s19, s21
	s_add_co_u32 s21, s22, s26
	s_wait_alu 0xfffe
	s_add_co_ci_u32 s26, s23, s7
	s_add_co_ci_u32 s21, s30, 0
	s_mov_b32 s23, s6
	s_add_nc_u64 s[20:21], s[26:27], s[20:21]
	s_delay_alu instid0(SALU_CYCLE_1)
	s_add_co_u32 s7, s18, s20
	s_cselect_b32 s18, -1, 0
	s_wait_alu 0xfffe
	s_mul_hi_u32 s22, s2, s7
	s_cmp_lg_u32 s18, 0
	s_mul_hi_u32 s26, s3, s7
	s_add_co_ci_u32 s20, s19, s21
	s_mul_i32 s7, s3, s7
	s_mul_hi_u32 s19, s2, s20
	s_mul_i32 s18, s2, s20
	s_mul_hi_u32 s21, s3, s20
	s_add_nc_u64 s[18:19], s[22:23], s[18:19]
	s_mul_i32 s20, s3, s20
	s_wait_alu 0xfffe
	s_add_co_u32 s7, s18, s7
	s_add_co_ci_u32 s26, s19, s26
	s_add_co_ci_u32 s21, s21, 0
	s_delay_alu instid0(SALU_CYCLE_1) | instskip(NEXT) | instid1(SALU_CYCLE_1)
	s_add_nc_u64 s[18:19], s[26:27], s[20:21]
	s_mul_u64 s[20:21], s[10:11], s[18:19]
	s_delay_alu instid0(SALU_CYCLE_1)
	s_sub_co_u32 s7, s2, s20
	s_cselect_b32 s20, -1, 0
	s_sub_co_i32 s22, s3, s21
	s_cmp_lg_u32 s20, 0
	s_sub_co_ci_u32 s22, s22, s11
	s_wait_alu 0xfffe
	s_sub_co_u32 s23, s7, s10
	s_cselect_b32 s26, -1, 0
	s_delay_alu instid0(SALU_CYCLE_1) | instskip(SKIP_1) | instid1(SALU_CYCLE_1)
	s_cmp_lg_u32 s26, 0
	s_sub_co_ci_u32 s22, s22, 0
	s_cmp_ge_u32 s22, s11
	s_cselect_b32 s26, -1, 0
	s_cmp_ge_u32 s23, s10
	s_cselect_b32 s27, -1, 0
	s_cmp_eq_u32 s22, s11
	s_add_nc_u64 s[22:23], s[18:19], 1
	s_cselect_b32 s28, s27, s26
	s_add_nc_u64 s[26:27], s[18:19], 2
	s_cmp_lg_u32 s28, 0
	s_cselect_b32 s22, s26, s22
	s_cselect_b32 s23, s27, s23
	s_cmp_lg_u32 s20, 0
	s_sub_co_ci_u32 s20, s3, s21
	s_delay_alu instid0(SALU_CYCLE_1)
	s_cmp_ge_u32 s20, s11
	s_cselect_b32 s21, -1, 0
	s_cmp_ge_u32 s7, s10
	s_cselect_b32 s7, -1, 0
	s_cmp_eq_u32 s20, s11
	s_wait_alu 0xfffe
	s_cselect_b32 s7, s7, s21
	s_wait_alu 0xfffe
	s_cmp_lg_u32 s7, 0
	s_mov_b32 s7, 0
	s_cselect_b32 s19, s23, s19
	s_cselect_b32 s18, s22, s18
.LBB215_13:                             ;   in Loop: Header=BB215_11 Depth=1
	s_wait_alu 0xfffe
	s_and_not1_b32 vcc_lo, exec_lo, s7
	s_cbranch_vccnz .LBB215_15
; %bb.14:                               ;   in Loop: Header=BB215_11 Depth=1
	v_cvt_f32_u32_e32 v1, s10
	s_sub_co_i32 s18, 0, s10
	s_delay_alu instid0(VALU_DEP_1) | instskip(NEXT) | instid1(TRANS32_DEP_1)
	v_rcp_iflag_f32_e32 v1, v1
	v_mul_f32_e32 v1, 0x4f7ffffe, v1
	s_delay_alu instid0(VALU_DEP_1) | instskip(NEXT) | instid1(VALU_DEP_1)
	v_cvt_u32_f32_e32 v1, v1
	v_readfirstlane_b32 s7, v1
	s_mul_i32 s18, s18, s7
	s_delay_alu instid0(SALU_CYCLE_1) | instskip(NEXT) | instid1(SALU_CYCLE_1)
	s_mul_hi_u32 s18, s7, s18
	s_add_co_i32 s7, s7, s18
	s_wait_alu 0xfffe
	s_mul_hi_u32 s7, s2, s7
	s_wait_alu 0xfffe
	s_mul_i32 s18, s7, s10
	s_add_co_i32 s19, s7, 1
	s_sub_co_i32 s18, s2, s18
	s_delay_alu instid0(SALU_CYCLE_1)
	s_sub_co_i32 s20, s18, s10
	s_cmp_ge_u32 s18, s10
	s_cselect_b32 s7, s19, s7
	s_cselect_b32 s18, s20, s18
	s_wait_alu 0xfffe
	s_add_co_i32 s19, s7, 1
	s_cmp_ge_u32 s18, s10
	s_cselect_b32 s18, s19, s7
	s_mov_b32 s19, s6
.LBB215_15:                             ;   in Loop: Header=BB215_11 Depth=1
	s_load_b64 s[20:21], s[8:9], 0xc8
	s_mul_u64 s[10:11], s[18:19], s[10:11]
	s_add_co_i32 s15, s15, -1
	s_wait_alu 0xfffe
	s_sub_nc_u64 s[2:3], s[2:3], s[10:11]
	s_cmp_gt_u32 s15, 2
	s_add_nc_u64 s[8:9], s[8:9], -8
	s_wait_kmcnt 0x0
	s_wait_alu 0xfffe
	s_mul_u64 s[2:3], s[20:21], s[2:3]
	s_wait_alu 0xfffe
	s_add_nc_u64 s[16:17], s[2:3], s[16:17]
	s_cbranch_scc0 .LBB215_18
; %bb.16:                               ;   in Loop: Header=BB215_11 Depth=1
	s_mov_b64 s[2:3], s[18:19]
	s_branch .LBB215_11
.LBB215_17:
	s_mov_b64 s[18:19], s[2:3]
.LBB215_18:
	s_clause 0x2
	s_load_b64 s[2:3], s[0:1], 0xd0
	s_load_b32 s6, s[0:1], 0x360
	s_load_b64 s[20:21], s[0:1], 0x0
	s_wait_kmcnt 0x0
	s_bitcmp1_b32 s6, 0
	s_mul_u64 s[6:7], s[2:3], s[4:5]
	s_cselect_b32 s15, -1, 0
	s_delay_alu instid0(SALU_CYCLE_1)
	s_and_b32 s3, s15, exec_lo
	s_cselect_b32 s4, -1, 0x7fffffff
	s_wait_alu 0xfffe
	s_lshl_b64 s[22:23], s[6:7], 2
	s_mov_b32 s5, s4
	s_mov_b32 s6, s4
	;; [unrolled: 1-line block ×7, first 2 shown]
	v_dual_mov_b32 v1, s4 :: v_dual_and_b32 v40, 0x3ff, v0
	s_wait_alu 0xfffe
	v_dual_mov_b32 v2, s5 :: v_dual_mov_b32 v3, s6
	v_dual_mov_b32 v4, s7 :: v_dual_mov_b32 v5, s8
	s_delay_alu instid0(VALU_DEP_3)
	v_cmp_gt_u32_e64 s2, s14, v40
	v_dual_mov_b32 v6, s9 :: v_dual_mov_b32 v7, s10
	v_dual_mov_b32 v8, s11 :: v_dual_mov_b32 v9, s4
	s_add_nc_u64 s[20:21], s[20:21], s[22:23]
	s_lshl_b64 s[12:13], s[12:13], 2
	s_wait_alu 0xfffe
	s_add_nc_u64 s[28:29], s[20:21], s[12:13]
	s_and_saveexec_b32 s3, s2
	s_cbranch_execz .LBB215_20
; %bb.19:
	v_mad_co_u64_u32 v[1:2], null, s24, v40, 0
	s_delay_alu instid0(VALU_DEP_1) | instskip(NEXT) | instid1(VALU_DEP_1)
	v_mad_co_u64_u32 v[2:3], null, s25, v40, v[2:3]
	v_lshlrev_b64_e32 v[1:2], 2, v[1:2]
	s_delay_alu instid0(VALU_DEP_1) | instskip(NEXT) | instid1(VALU_DEP_1)
	v_add_co_u32 v1, vcc_lo, s28, v1
	v_add_co_ci_u32_e64 v2, null, s29, v2, vcc_lo
	global_load_b32 v9, v[1:2], off
	v_dual_mov_b32 v1, s4 :: v_dual_mov_b32 v2, s5
	v_dual_mov_b32 v3, s6 :: v_dual_mov_b32 v4, s7
	;; [unrolled: 1-line block ×4, first 2 shown]
.LBB215_20:
	s_wait_alu 0xfffe
	s_or_b32 exec_lo, exec_lo, s3
	v_add_nc_u32_e32 v17, 0x200, v40
	s_delay_alu instid0(VALU_DEP_1)
	v_cmp_gt_u32_e64 s3, s14, v17
	s_and_saveexec_b32 s4, s3
	s_cbranch_execz .LBB215_22
; %bb.21:
	v_mad_co_u64_u32 v[1:2], null, s24, v17, 0
	s_delay_alu instid0(VALU_DEP_1) | instskip(NEXT) | instid1(VALU_DEP_1)
	v_mad_co_u64_u32 v[10:11], null, s25, v17, v[2:3]
	v_mov_b32_e32 v2, v10
	s_delay_alu instid0(VALU_DEP_1) | instskip(NEXT) | instid1(VALU_DEP_1)
	v_lshlrev_b64_e32 v[1:2], 2, v[1:2]
	v_add_co_u32 v1, vcc_lo, s28, v1
	s_wait_alu 0xfffd
	s_delay_alu instid0(VALU_DEP_2)
	v_add_co_ci_u32_e64 v2, null, s29, v2, vcc_lo
	global_load_b32 v2, v[1:2], off
.LBB215_22:
	s_wait_alu 0xfffe
	s_or_b32 exec_lo, exec_lo, s4
	v_or_b32_e32 v18, 0x400, v40
	s_delay_alu instid0(VALU_DEP_1)
	v_cmp_gt_u32_e64 s4, s14, v18
	s_and_saveexec_b32 s5, s4
	s_cbranch_execz .LBB215_24
; %bb.23:
	v_mad_co_u64_u32 v[10:11], null, s24, v18, 0
	s_delay_alu instid0(VALU_DEP_1) | instskip(SKIP_1) | instid1(VALU_DEP_1)
	v_mov_b32_e32 v1, v11
	s_wait_loadcnt 0x0
	v_mad_co_u64_u32 v[11:12], null, s25, v18, v[1:2]
	s_delay_alu instid0(VALU_DEP_1) | instskip(NEXT) | instid1(VALU_DEP_1)
	v_lshlrev_b64_e32 v[10:11], 2, v[10:11]
	v_add_co_u32 v10, vcc_lo, s28, v10
	s_wait_alu 0xfffd
	s_delay_alu instid0(VALU_DEP_2)
	v_add_co_ci_u32_e64 v11, null, s29, v11, vcc_lo
	global_load_b32 v3, v[10:11], off
.LBB215_24:
	s_wait_alu 0xfffe
	s_or_b32 exec_lo, exec_lo, s5
	v_add_nc_u32_e32 v19, 0x600, v40
	s_delay_alu instid0(VALU_DEP_1)
	v_cmp_gt_u32_e64 s5, s14, v19
	s_and_saveexec_b32 s6, s5
	s_cbranch_execz .LBB215_26
; %bb.25:
	v_mad_co_u64_u32 v[10:11], null, s24, v19, 0
	s_delay_alu instid0(VALU_DEP_1) | instskip(SKIP_1) | instid1(VALU_DEP_1)
	v_mov_b32_e32 v1, v11
	s_wait_loadcnt 0x0
	v_mad_co_u64_u32 v[11:12], null, s25, v19, v[1:2]
	s_delay_alu instid0(VALU_DEP_1) | instskip(NEXT) | instid1(VALU_DEP_1)
	v_lshlrev_b64_e32 v[10:11], 2, v[10:11]
	v_add_co_u32 v10, vcc_lo, s28, v10
	s_wait_alu 0xfffd
	s_delay_alu instid0(VALU_DEP_2)
	v_add_co_ci_u32_e64 v11, null, s29, v11, vcc_lo
	global_load_b32 v4, v[10:11], off
.LBB215_26:
	s_wait_alu 0xfffe
	s_or_b32 exec_lo, exec_lo, s6
	v_or_b32_e32 v20, 0x800, v40
	s_delay_alu instid0(VALU_DEP_1)
	v_cmp_gt_u32_e64 s6, s14, v20
	s_and_saveexec_b32 s7, s6
	s_cbranch_execz .LBB215_28
; %bb.27:
	v_mad_co_u64_u32 v[10:11], null, s24, v20, 0
	s_delay_alu instid0(VALU_DEP_1) | instskip(SKIP_1) | instid1(VALU_DEP_1)
	v_mov_b32_e32 v1, v11
	s_wait_loadcnt 0x0
	v_mad_co_u64_u32 v[11:12], null, s25, v20, v[1:2]
	s_delay_alu instid0(VALU_DEP_1) | instskip(NEXT) | instid1(VALU_DEP_1)
	v_lshlrev_b64_e32 v[10:11], 2, v[10:11]
	v_add_co_u32 v10, vcc_lo, s28, v10
	s_wait_alu 0xfffd
	s_delay_alu instid0(VALU_DEP_2)
	v_add_co_ci_u32_e64 v11, null, s29, v11, vcc_lo
	global_load_b32 v5, v[10:11], off
.LBB215_28:
	s_wait_alu 0xfffe
	s_or_b32 exec_lo, exec_lo, s7
	v_add_nc_u32_e32 v21, 0xa00, v40
	s_delay_alu instid0(VALU_DEP_1)
	v_cmp_gt_u32_e64 s7, s14, v21
	s_and_saveexec_b32 s8, s7
	s_cbranch_execz .LBB215_30
; %bb.29:
	v_mad_co_u64_u32 v[10:11], null, s24, v21, 0
	s_delay_alu instid0(VALU_DEP_1) | instskip(SKIP_1) | instid1(VALU_DEP_1)
	v_mov_b32_e32 v1, v11
	s_wait_loadcnt 0x0
	v_mad_co_u64_u32 v[11:12], null, s25, v21, v[1:2]
	s_delay_alu instid0(VALU_DEP_1) | instskip(NEXT) | instid1(VALU_DEP_1)
	v_lshlrev_b64_e32 v[10:11], 2, v[10:11]
	v_add_co_u32 v10, vcc_lo, s28, v10
	s_wait_alu 0xfffd
	s_delay_alu instid0(VALU_DEP_2)
	v_add_co_ci_u32_e64 v11, null, s29, v11, vcc_lo
	global_load_b32 v6, v[10:11], off
.LBB215_30:
	s_wait_alu 0xfffe
	s_or_b32 exec_lo, exec_lo, s8
	v_or_b32_e32 v22, 0xc00, v40
	s_delay_alu instid0(VALU_DEP_1)
	v_cmp_gt_u32_e64 s8, s14, v22
	s_and_saveexec_b32 s9, s8
	s_cbranch_execz .LBB215_32
; %bb.31:
	v_mad_co_u64_u32 v[10:11], null, s24, v22, 0
	s_delay_alu instid0(VALU_DEP_1) | instskip(SKIP_1) | instid1(VALU_DEP_1)
	v_mov_b32_e32 v1, v11
	s_wait_loadcnt 0x0
	v_mad_co_u64_u32 v[11:12], null, s25, v22, v[1:2]
	s_delay_alu instid0(VALU_DEP_1) | instskip(NEXT) | instid1(VALU_DEP_1)
	v_lshlrev_b64_e32 v[10:11], 2, v[10:11]
	v_add_co_u32 v10, vcc_lo, s28, v10
	s_wait_alu 0xfffd
	s_delay_alu instid0(VALU_DEP_2)
	v_add_co_ci_u32_e64 v11, null, s29, v11, vcc_lo
	global_load_b32 v7, v[10:11], off
.LBB215_32:
	s_wait_alu 0xfffe
	s_or_b32 exec_lo, exec_lo, s9
	s_clause 0x1
	s_load_b64 s[12:13], s[0:1], 0x288
	s_load_b64 s[10:11], s[0:1], 0x1b8
	v_add_nc_u32_e32 v23, 0xe00, v40
	s_delay_alu instid0(VALU_DEP_1)
	v_cmp_gt_u32_e64 s9, s14, v23
	s_and_saveexec_b32 s14, s9
	s_cbranch_execz .LBB215_34
; %bb.33:
	v_mad_co_u64_u32 v[10:11], null, s24, v23, 0
	s_delay_alu instid0(VALU_DEP_1) | instskip(SKIP_1) | instid1(VALU_DEP_1)
	v_mov_b32_e32 v1, v11
	s_wait_loadcnt 0x0
	v_mad_co_u64_u32 v[11:12], null, s25, v23, v[1:2]
	s_delay_alu instid0(VALU_DEP_1) | instskip(NEXT) | instid1(VALU_DEP_1)
	v_lshlrev_b64_e32 v[10:11], 2, v[10:11]
	v_add_co_u32 v10, vcc_lo, s28, v10
	s_wait_alu 0xfffd
	s_delay_alu instid0(VALU_DEP_2)
	v_add_co_ci_u32_e64 v11, null, s29, v11, vcc_lo
	global_load_b32 v8, v[10:11], off
.LBB215_34:
	s_wait_alu 0xfffe
	s_or_b32 exec_lo, exec_lo, s14
	v_lshrrev_b32_e32 v1, 5, v17
	v_lshrrev_b32_e32 v24, 5, v40
	;; [unrolled: 1-line block ×3, first 2 shown]
	v_lshlrev_b32_e32 v89, 3, v40
	s_load_b64 s[26:27], s[0:1], 0x358
	v_add_nc_u32_e32 v27, v1, v40
	v_lshrrev_b32_e32 v1, 5, v19
	v_add_nc_u32_e32 v28, v24, v40
	s_wait_kmcnt 0x0
	s_mul_u64 s[12:13], s[12:13], s[18:19]
	v_mov_b32_e32 v13, 0
	s_wait_alu 0xfffe
	s_lshl_b64 s[12:13], s[12:13], 3
	v_add_nc_u32_e32 v26, v1, v40
	v_lshrrev_b32_e32 v1, 5, v20
	v_mov_b32_e32 v14, 0
	s_wait_alu 0xfffe
	s_add_nc_u64 s[10:11], s[10:11], s[12:13]
	s_lshl_b64 s[12:13], s[16:17], 3
	v_add_nc_u32_e32 v29, v1, v40
	v_lshrrev_b32_e32 v1, 5, v21
	s_wait_alu 0xfffe
	s_add_nc_u64 s[30:31], s[10:11], s[12:13]
	s_delay_alu instid0(VALU_DEP_1) | instskip(SKIP_1) | instid1(VALU_DEP_1)
	v_add_nc_u32_e32 v33, v1, v40
	v_lshrrev_b32_e32 v1, 2, v40
	v_dual_mov_b32 v1, 0 :: v_dual_add_nc_u32 v32, v1, v89
	v_add_nc_u32_e32 v25, v10, v40
	v_lshlrev_b32_e32 v69, 2, v28
	v_lshlrev_b32_e32 v70, 2, v27
	s_delay_alu instid0(VALU_DEP_4) | instskip(NEXT) | instid1(VALU_DEP_4)
	v_dual_mov_b32 v15, v1 :: v_dual_lshlrev_b32 v72, 2, v26
	v_dual_mov_b32 v16, v1 :: v_dual_lshlrev_b32 v71, 2, v25
	s_wait_loadcnt 0x0
	ds_store_b32 v69, v9
	ds_store_b32 v70, v2 offset:2048
	ds_store_b32 v71, v3 offset:4096
	v_lshrrev_b32_e32 v2, 5, v22
	v_lshrrev_b32_e32 v3, 5, v23
	v_lshlrev_b32_e32 v73, 2, v29
	v_lshlrev_b32_e32 v74, 2, v33
	;; [unrolled: 1-line block ×3, first 2 shown]
	v_add_nc_u32_e32 v31, v2, v40
	v_dual_mov_b32 v3, v1 :: v_dual_add_nc_u32 v30, v3, v40
	ds_store_b32 v72, v4 offset:6144
	ds_store_b32 v73, v5 offset:8192
	v_dual_mov_b32 v12, v1 :: v_dual_lshlrev_b32 v75, 2, v31
	v_dual_mov_b32 v5, v1 :: v_dual_lshlrev_b32 v76, 2, v30
	v_mov_b32_e32 v9, v1
	ds_store_b32 v74, v6 offset:10240
	ds_store_b32 v75, v7 offset:12288
	;; [unrolled: 1-line block ×3, first 2 shown]
	s_wait_dscnt 0x0
	s_barrier_signal -1
	s_barrier_wait -1
	global_inv scope:SCOPE_SE
	ds_load_2addr_b32 v[47:48], v77 offset1:1
	ds_load_2addr_b32 v[45:46], v77 offset0:2 offset1:3
	ds_load_2addr_b32 v[43:44], v77 offset0:4 offset1:5
	;; [unrolled: 1-line block ×3, first 2 shown]
	v_mov_b32_e32 v2, v1
	v_mov_b32_e32 v4, v1
	v_dual_mov_b32 v6, v1 :: v_dual_mov_b32 v7, v1
	v_mov_b32_e32 v8, v1
	v_dual_mov_b32 v10, v1 :: v_dual_mov_b32 v11, v1
	s_wait_loadcnt_dscnt 0x0
	s_barrier_signal -1
	s_barrier_wait -1
	global_inv scope:SCOPE_SE
	s_and_saveexec_b32 s0, s2
	s_cbranch_execnz .LBB215_70
; %bb.35:
	s_or_b32 exec_lo, exec_lo, s0
	s_and_saveexec_b32 s0, s3
	s_cbranch_execnz .LBB215_71
.LBB215_36:
	s_or_b32 exec_lo, exec_lo, s0
	s_and_saveexec_b32 s0, s4
	s_cbranch_execnz .LBB215_72
.LBB215_37:
	s_or_b32 exec_lo, exec_lo, s0
	s_and_saveexec_b32 s0, s5
	s_cbranch_execnz .LBB215_73
.LBB215_38:
	s_or_b32 exec_lo, exec_lo, s0
	s_and_saveexec_b32 s0, s6
	s_cbranch_execnz .LBB215_74
.LBB215_39:
	s_or_b32 exec_lo, exec_lo, s0
	s_and_saveexec_b32 s0, s7
	s_cbranch_execnz .LBB215_75
.LBB215_40:
	s_or_b32 exec_lo, exec_lo, s0
	s_and_saveexec_b32 s0, s8
	s_cbranch_execnz .LBB215_76
.LBB215_41:
	s_or_b32 exec_lo, exec_lo, s0
	s_xor_b32 s0, s15, -1
	s_and_saveexec_b32 s1, s9
	s_cbranch_execz .LBB215_43
.LBB215_42:
	v_mad_co_u64_u32 v[11:12], null, s26, v23, 0
	s_wait_loadcnt 0x0
	s_delay_alu instid0(VALU_DEP_1) | instskip(NEXT) | instid1(VALU_DEP_1)
	v_mad_co_u64_u32 v[17:18], null, s27, v23, v[12:13]
	v_mov_b32_e32 v12, v17
	s_delay_alu instid0(VALU_DEP_1) | instskip(NEXT) | instid1(VALU_DEP_1)
	v_lshlrev_b64_e32 v[11:12], 3, v[11:12]
	v_add_co_u32 v11, vcc_lo, s30, v11
	s_wait_alu 0xfffd
	s_delay_alu instid0(VALU_DEP_2)
	v_add_co_ci_u32_e64 v12, null, s31, v12, vcc_lo
	global_load_b64 v[11:12], v[11:12], off
.LBB215_43:
	s_or_b32 exec_lo, exec_lo, s1
	v_lshlrev_b32_e32 v78, 3, v28
	v_lshlrev_b32_e32 v81, 3, v26
	;; [unrolled: 1-line block ×9, first 2 shown]
	s_wait_loadcnt 0x0
	ds_store_b64 v78, v[13:14]
	ds_store_b64 v79, v[1:2] offset:4096
	ds_store_b64 v80, v[15:16] offset:8192
	;; [unrolled: 1-line block ×7, first 2 shown]
	s_wait_dscnt 0x0
	s_barrier_signal -1
	s_barrier_wait -1
	global_inv scope:SCOPE_SE
	ds_load_2addr_b64 v[20:23], v86 offset1:1
	ds_load_2addr_b64 v[16:19], v86 offset0:2 offset1:3
	ds_load_2addr_b64 v[12:15], v86 offset0:4 offset1:5
	;; [unrolled: 1-line block ×3, first 2 shown]
	s_and_b32 vcc_lo, exec_lo, s0
	v_bfe_u32 v93, v0, 10, 10
	v_bfe_u32 v94, v0, 20, 10
	v_mbcnt_lo_u32_b32 v91, -1, 0
	v_and_b32_e32 v92, 0x3e0, v40
	v_lshlrev_b32_e32 v87, 2, v89
	v_cmp_gt_u32_e64 s0, 16, v40
	v_cmp_lt_u32_e64 s1, 31, v40
	v_cmp_eq_u32_e64 s10, 0, v40
	v_lshlrev_b32_e32 v88, 2, v24
	v_mul_i32_i24_e32 v90, 0xffffffe4, v40
	s_wait_loadcnt_dscnt 0x0
	s_barrier_signal -1
	s_barrier_wait -1
	global_inv scope:SCOPE_SE
	s_wait_alu 0xfffe
	s_cbranch_vccz .LBB215_77
; %bb.44:
	v_cmp_lt_i32_e32 vcc_lo, -1, v47
	v_or_b32_e32 v7, v91, v92
	v_and_or_b32 v25, 0x1f00, v89, v91
	s_mov_b32 s20, 0
	s_getpc_b64 s[12:13]
	s_wait_alu 0xfffe
	s_sext_i32_i16 s13, s13
	s_add_co_u32 s12, s12, _ZN7rocprim17ROCPRIM_400000_NS16block_radix_sortIfLj512ELj8ElLj1ELj1ELj0ELNS0_26block_radix_rank_algorithmE1ELNS0_18block_padding_hintE2ELNS0_4arch9wavefront6targetE0EE19radix_bits_per_passE@rel32@lo+12
	s_wait_alu 0xfffe
	s_add_co_ci_u32 s13, s13, _ZN7rocprim17ROCPRIM_400000_NS16block_radix_sortIfLj512ELj8ElLj1ELj1ELj0ELNS0_26block_radix_rank_algorithmE1ELNS0_18block_padding_hintE2ELNS0_4arch9wavefront6targetE0EE19radix_bits_per_passE@rel32@hi+24
	s_wait_alu 0xfffd
	v_cndmask_b32_e64 v0, -1, 0x80000000, vcc_lo
	v_cmp_lt_i32_e32 vcc_lo, -1, v48
	s_mov_b32 s21, s20
	s_mov_b32 s22, s20
	;; [unrolled: 1-line block ×3, first 2 shown]
	v_xor_b32_e32 v0, v0, v47
	s_wait_alu 0xfffd
	v_cndmask_b32_e64 v1, -1, 0x80000000, vcc_lo
	v_cmp_lt_i32_e32 vcc_lo, -1, v45
	v_lshlrev_b32_e32 v26, 5, v7
	v_lshlrev_b32_e32 v95, 2, v25
	s_load_b32 s19, s[12:13], 0x0
	v_xor_b32_e32 v1, v1, v48
	v_cndmask_b32_e64 v2, -1, 0x80000000, vcc_lo
	v_cmp_lt_i32_e32 vcc_lo, -1, v46
	v_add_nc_u32_e32 v96, v95, v95
	v_and_b32_e32 v36, 16, v91
	v_add_nc_u32_e32 v98, -4, v88
	v_xor_b32_e32 v2, v2, v45
	s_wait_alu 0xfffd
	v_cndmask_b32_e64 v3, -1, 0x80000000, vcc_lo
	v_cmp_lt_i32_e32 vcc_lo, -1, v43
	v_cmp_eq_u32_e64 s16, 0, v36
	v_add_nc_u32_e32 v100, v87, v90
	s_delay_alu instid0(VALU_DEP_4) | instskip(SKIP_3) | instid1(VALU_DEP_2)
	v_xor_b32_e32 v3, v3, v46
	s_wait_alu 0xfffd
	v_cndmask_b32_e64 v4, -1, 0x80000000, vcc_lo
	v_cmp_lt_i32_e32 vcc_lo, -1, v44
	v_xor_b32_e32 v4, v4, v43
	s_wait_alu 0xfffd
	v_cndmask_b32_e64 v5, -1, 0x80000000, vcc_lo
	v_cmp_lt_i32_e32 vcc_lo, -1, v41
	s_delay_alu instid0(VALU_DEP_2) | instskip(SKIP_3) | instid1(VALU_DEP_2)
	v_xor_b32_e32 v5, v5, v44
	s_wait_alu 0xfffd
	v_cndmask_b32_e64 v6, -1, 0x80000000, vcc_lo
	v_cmp_lt_i32_e32 vcc_lo, -1, v42
	v_xor_b32_e32 v6, v6, v41
	s_wait_alu 0xfffd
	v_cndmask_b32_e64 v24, -1, 0x80000000, vcc_lo
	s_delay_alu instid0(VALU_DEP_1)
	v_xor_b32_e32 v7, v24, v42
	ds_store_b128 v26, v[0:3]
	ds_store_b128 v26, v[4:7] offset:16
	v_add_nc_u32_e32 v0, v26, v26
	; wave barrier
	ds_load_2addr_b32 v[61:62], v95 offset1:32
	ds_load_2addr_b32 v[63:64], v95 offset0:64 offset1:96
	ds_load_2addr_b32 v[65:66], v95 offset0:128 offset1:160
	;; [unrolled: 1-line block ×3, first 2 shown]
	s_wait_loadcnt_dscnt 0x0
	s_barrier_signal -1
	s_barrier_wait -1
	global_inv scope:SCOPE_SE
	ds_store_b128 v0, v[20:23]
	ds_store_b128 v0, v[16:19] offset:16
	ds_store_b128 v0, v[12:15] offset:32
	;; [unrolled: 1-line block ×3, first 2 shown]
	; wave barrier
	ds_load_2addr_b64 v[4:7], v96 offset1:32
	ds_load_2addr_b64 v[24:27], v96 offset0:64 offset1:96
	ds_load_2addr_b64 v[28:31], v96 offset0:128 offset1:160
	;; [unrolled: 1-line block ×3, first 2 shown]
	s_wait_loadcnt_dscnt 0x0
	s_barrier_signal -1
	s_barrier_wait -1
	global_inv scope:SCOPE_SE
	s_load_b32 s11, s[34:35], 0xc
	v_and_b32_e32 v2, 15, v91
	s_delay_alu instid0(VALU_DEP_1)
	v_cmp_eq_u32_e64 s12, 0, v2
	v_cmp_lt_u32_e64 s13, 1, v2
	v_cmp_lt_u32_e64 s15, 7, v2
	s_wait_kmcnt 0x0
	s_lshr_b32 s14, s11, 16
	s_and_b32 s11, s11, 0xffff
	s_wait_alu 0xfffe
	v_mad_u32_u24 v0, v94, s14, v93
	v_cmp_lt_u32_e64 s14, 3, v2
	s_delay_alu instid0(VALU_DEP_2) | instskip(SKIP_2) | instid1(VALU_DEP_2)
	v_mad_co_u64_u32 v[0:1], null, v0, s11, v[40:41]
	v_sub_co_u32 v3, s11, v91, 1
	v_min_u32_e32 v1, 0x1e0, v92
	v_cmp_gt_i32_e32 vcc_lo, 0, v3
	s_delay_alu instid0(VALU_DEP_4) | instskip(NEXT) | instid1(VALU_DEP_3)
	v_lshrrev_b32_e32 v0, 3, v0
	v_or_b32_e32 v1, 31, v1
	s_wait_alu 0xfffd
	v_cndmask_b32_e32 v3, v3, v91, vcc_lo
	s_delay_alu instid0(VALU_DEP_3) | instskip(NEXT) | instid1(VALU_DEP_3)
	v_and_b32_e32 v99, 0x1ffffffc, v0
	v_cmp_eq_u32_e64 s17, v40, v1
	s_delay_alu instid0(VALU_DEP_3)
	v_dual_mov_b32 v0, s20 :: v_dual_lshlrev_b32 v97, 2, v3
	v_dual_mov_b32 v1, s21 :: v_dual_mov_b32 v2, s22
	v_mov_b32_e32 v3, s23
	s_mov_b32 s21, 32
	s_branch .LBB215_46
.LBB215_45:                             ;   in Loop: Header=BB215_46 Depth=1
	s_wait_alu 0xfffe
	s_and_not1_b32 vcc_lo, exec_lo, s18
	s_wait_alu 0xfffe
	s_cbranch_vccz .LBB215_78
.LBB215_46:                             ; =>This Inner Loop Header: Depth=1
	v_dual_mov_b32 v101, v61 :: v_dual_mov_b32 v102, v68
	s_wait_alu 0xfffe
	s_min_u32 s18, s19, s21
	v_mov_b32_e32 v58, v7
	s_wait_alu 0xfffe
	s_lshl_b32 s18, -1, s18
	v_cmp_ne_u32_e32 vcc_lo, 0x7fffffff, v101
	s_wait_alu 0xfffe
	s_not_b32 s22, s18
	v_mov_b32_e32 v60, v5
	ds_store_b128 v87, v[0:3] offset:64
	ds_store_b128 v87, v[0:3] offset:80
	s_wait_loadcnt_dscnt 0x0
	s_wait_alu 0xfffd
	v_dual_cndmask_b32 v36, 0x80000000, v101 :: v_dual_mov_b32 v103, v67
	s_barrier_signal -1
	s_barrier_wait -1
	global_inv scope:SCOPE_SE
	v_lshrrev_b32_e32 v36, s20, v36
	; wave barrier
	v_dual_mov_b32 v104, v66 :: v_dual_mov_b32 v105, v65
	s_wait_alu 0xfffe
	s_delay_alu instid0(VALU_DEP_2) | instskip(SKIP_1) | instid1(VALU_DEP_2)
	v_dual_mov_b32 v106, v64 :: v_dual_and_b32 v61, s22, v36
	v_dual_mov_b32 v107, v63 :: v_dual_mov_b32 v108, v62
	v_dual_mov_b32 v57, v6 :: v_dual_and_b32 v36, 1, v61
	v_lshlrev_b32_e32 v37, 30, v61
	v_lshlrev_b32_e32 v38, 29, v61
	;; [unrolled: 1-line block ×4, first 2 shown]
	v_add_co_u32 v36, s18, v36, -1
	s_wait_alu 0xf1ff
	v_cndmask_b32_e64 v49, 0, 1, s18
	v_not_b32_e32 v53, v37
	v_cmp_gt_i32_e64 s18, 0, v37
	v_not_b32_e32 v37, v38
	v_lshlrev_b32_e32 v51, 26, v61
	v_cmp_ne_u32_e32 vcc_lo, 0, v49
	v_ashrrev_i32_e32 v53, 31, v53
	v_lshlrev_b32_e32 v49, 24, v61
	v_ashrrev_i32_e32 v37, 31, v37
	v_lshlrev_b32_e32 v52, 25, v61
	s_wait_alu 0xfffd
	v_xor_b32_e32 v36, vcc_lo, v36
	v_cmp_gt_i32_e32 vcc_lo, 0, v38
	v_not_b32_e32 v38, v39
	s_wait_alu 0xf1ff
	v_xor_b32_e32 v53, s18, v53
	v_cmp_gt_i32_e64 s18, 0, v39
	v_and_b32_e32 v36, exec_lo, v36
	s_wait_alu 0xfffd
	v_xor_b32_e32 v37, vcc_lo, v37
	v_ashrrev_i32_e32 v38, 31, v38
	v_not_b32_e32 v39, v50
	v_cmp_gt_i32_e32 vcc_lo, 0, v50
	v_and_b32_e32 v36, v36, v53
	v_not_b32_e32 v50, v51
	s_wait_alu 0xf1ff
	v_xor_b32_e32 v38, s18, v38
	v_ashrrev_i32_e32 v39, 31, v39
	v_cmp_gt_i32_e64 s18, 0, v51
	v_and_b32_e32 v36, v36, v37
	v_ashrrev_i32_e32 v50, 31, v50
	v_mov_b32_e32 v59, v4
	s_wait_alu 0xfffd
	v_xor_b32_e32 v39, vcc_lo, v39
	v_lshlrev_b32_e32 v4, 6, v61
	v_and_b32_e32 v36, v36, v38
	v_not_b32_e32 v38, v49
	s_wait_alu 0xf1ff
	v_xor_b32_e32 v50, s18, v50
	v_cmp_gt_i32_e64 s18, 0, v49
	v_mov_b32_e32 v56, v25
	v_and_b32_e32 v36, v36, v39
	v_ashrrev_i32_e32 v38, 31, v38
	v_mov_b32_e32 v55, v24
	s_delay_alu instid0(VALU_DEP_3) | instskip(SKIP_1) | instid1(VALU_DEP_3)
	v_and_b32_e32 v36, v36, v50
	s_wait_alu 0xf1ff
	v_xor_b32_e32 v53, s18, v38
	v_mov_b32_e32 v39, v33
	v_not_b32_e32 v37, v52
	v_cmp_gt_i32_e32 vcc_lo, 0, v52
	v_dual_mov_b32 v50, v31 :: v_dual_mov_b32 v49, v30
	v_mov_b32_e32 v52, v29
	s_delay_alu instid0(VALU_DEP_4) | instskip(SKIP_3) | instid1(VALU_DEP_3)
	v_ashrrev_i32_e32 v37, 31, v37
	v_dual_mov_b32 v51, v28 :: v_dual_mov_b32 v38, v32
	v_add_nc_u32_e32 v29, v99, v4
	s_wait_alu 0xfffd
	v_xor_b32_e32 v37, vcc_lo, v37
	s_delay_alu instid0(VALU_DEP_1) | instskip(SKIP_1) | instid1(VALU_DEP_2)
	v_dual_mov_b32 v37, v35 :: v_dual_and_b32 v54, v36, v37
	v_mov_b32_e32 v36, v34
	v_and_b32_e32 v30, v54, v53
	v_dual_mov_b32 v54, v27 :: v_dual_mov_b32 v53, v26
	s_delay_alu instid0(VALU_DEP_2) | instskip(SKIP_1) | instid1(VALU_DEP_2)
	v_mbcnt_lo_u32_b32 v28, v30, 0
	v_cmp_ne_u32_e64 s18, 0, v30
	v_cmp_eq_u32_e32 vcc_lo, 0, v28
	s_and_b32 s23, s18, vcc_lo
	s_wait_alu 0xfffe
	s_and_saveexec_b32 s18, s23
; %bb.47:                               ;   in Loop: Header=BB215_46 Depth=1
	v_bcnt_u32_b32 v4, v30, 0
	ds_store_b32 v29, v4 offset:64
; %bb.48:                               ;   in Loop: Header=BB215_46 Depth=1
	s_wait_alu 0xfffe
	s_or_b32 exec_lo, exec_lo, s18
	v_cmp_ne_u32_e32 vcc_lo, 0x7fffffff, v108
	; wave barrier
	s_wait_alu 0xfffd
	v_cndmask_b32_e32 v4, 0x80000000, v108, vcc_lo
	s_delay_alu instid0(VALU_DEP_1) | instskip(NEXT) | instid1(VALU_DEP_1)
	v_lshrrev_b32_e32 v4, s20, v4
	v_and_b32_e32 v4, s22, v4
	s_delay_alu instid0(VALU_DEP_1)
	v_and_b32_e32 v5, 1, v4
	v_lshlrev_b32_e32 v6, 30, v4
	v_lshlrev_b32_e32 v7, 29, v4
	;; [unrolled: 1-line block ×4, first 2 shown]
	v_add_co_u32 v5, s18, v5, -1
	s_wait_alu 0xf1ff
	v_cndmask_b32_e64 v25, 0, 1, s18
	v_not_b32_e32 v31, v6
	v_cmp_gt_i32_e64 s18, 0, v6
	v_not_b32_e32 v6, v7
	v_lshlrev_b32_e32 v27, 26, v4
	v_cmp_ne_u32_e32 vcc_lo, 0, v25
	v_ashrrev_i32_e32 v31, 31, v31
	v_lshlrev_b32_e32 v30, 25, v4
	v_ashrrev_i32_e32 v6, 31, v6
	v_lshlrev_b32_e32 v25, 24, v4
	s_wait_alu 0xfffd
	v_xor_b32_e32 v5, vcc_lo, v5
	v_cmp_gt_i32_e32 vcc_lo, 0, v7
	v_not_b32_e32 v7, v24
	s_wait_alu 0xf1ff
	v_xor_b32_e32 v31, s18, v31
	v_cmp_gt_i32_e64 s18, 0, v24
	v_and_b32_e32 v5, exec_lo, v5
	v_not_b32_e32 v24, v26
	v_ashrrev_i32_e32 v7, 31, v7
	s_wait_alu 0xfffd
	v_xor_b32_e32 v6, vcc_lo, v6
	v_cmp_gt_i32_e32 vcc_lo, 0, v26
	v_and_b32_e32 v5, v5, v31
	v_not_b32_e32 v26, v27
	v_ashrrev_i32_e32 v24, 31, v24
	s_wait_alu 0xf1ff
	v_xor_b32_e32 v7, s18, v7
	v_cmp_gt_i32_e64 s18, 0, v27
	v_and_b32_e32 v5, v5, v6
	v_not_b32_e32 v6, v30
	v_ashrrev_i32_e32 v26, 31, v26
	s_wait_alu 0xfffd
	v_xor_b32_e32 v24, vcc_lo, v24
	v_cmp_gt_i32_e32 vcc_lo, 0, v30
	v_and_b32_e32 v5, v5, v7
	v_not_b32_e32 v7, v25
	v_ashrrev_i32_e32 v6, 31, v6
	s_wait_alu 0xf1ff
	v_xor_b32_e32 v26, s18, v26
	v_lshlrev_b32_e32 v4, 6, v4
	v_and_b32_e32 v5, v5, v24
	v_cmp_gt_i32_e64 s18, 0, v25
	v_ashrrev_i32_e32 v7, 31, v7
	s_wait_alu 0xfffd
	v_xor_b32_e32 v6, vcc_lo, v6
	v_add_nc_u32_e32 v32, v99, v4
	v_and_b32_e32 v5, v5, v26
	s_wait_alu 0xf1ff
	v_xor_b32_e32 v4, s18, v7
	ds_load_b32 v30, v32 offset:64
	v_and_b32_e32 v5, v5, v6
	; wave barrier
	s_delay_alu instid0(VALU_DEP_1) | instskip(NEXT) | instid1(VALU_DEP_1)
	v_and_b32_e32 v4, v5, v4
	v_mbcnt_lo_u32_b32 v31, v4, 0
	v_cmp_ne_u32_e64 s18, 0, v4
	s_delay_alu instid0(VALU_DEP_2)
	v_cmp_eq_u32_e32 vcc_lo, 0, v31
	s_and_b32 s23, s18, vcc_lo
	s_wait_alu 0xfffe
	s_and_saveexec_b32 s18, s23
	s_cbranch_execz .LBB215_50
; %bb.49:                               ;   in Loop: Header=BB215_46 Depth=1
	s_wait_dscnt 0x0
	v_bcnt_u32_b32 v4, v4, v30
	ds_store_b32 v32, v4 offset:64
.LBB215_50:                             ;   in Loop: Header=BB215_46 Depth=1
	s_wait_alu 0xfffe
	s_or_b32 exec_lo, exec_lo, s18
	v_cmp_ne_u32_e32 vcc_lo, 0x7fffffff, v107
	; wave barrier
	s_wait_alu 0xfffd
	v_cndmask_b32_e32 v4, 0x80000000, v107, vcc_lo
	s_delay_alu instid0(VALU_DEP_1) | instskip(NEXT) | instid1(VALU_DEP_1)
	v_lshrrev_b32_e32 v4, s20, v4
	v_and_b32_e32 v4, s22, v4
	s_delay_alu instid0(VALU_DEP_1)
	v_and_b32_e32 v5, 1, v4
	v_lshlrev_b32_e32 v6, 30, v4
	v_lshlrev_b32_e32 v7, 29, v4
	;; [unrolled: 1-line block ×4, first 2 shown]
	v_add_co_u32 v5, s18, v5, -1
	s_wait_alu 0xf1ff
	v_cndmask_b32_e64 v25, 0, 1, s18
	v_not_b32_e32 v34, v6
	v_cmp_gt_i32_e64 s18, 0, v6
	v_not_b32_e32 v6, v7
	v_lshlrev_b32_e32 v27, 26, v4
	v_cmp_ne_u32_e32 vcc_lo, 0, v25
	v_ashrrev_i32_e32 v34, 31, v34
	v_lshlrev_b32_e32 v33, 25, v4
	v_ashrrev_i32_e32 v6, 31, v6
	v_lshlrev_b32_e32 v25, 24, v4
	s_wait_alu 0xfffd
	v_xor_b32_e32 v5, vcc_lo, v5
	v_cmp_gt_i32_e32 vcc_lo, 0, v7
	v_not_b32_e32 v7, v24
	s_wait_alu 0xf1ff
	v_xor_b32_e32 v34, s18, v34
	v_cmp_gt_i32_e64 s18, 0, v24
	v_and_b32_e32 v5, exec_lo, v5
	v_not_b32_e32 v24, v26
	v_ashrrev_i32_e32 v7, 31, v7
	s_wait_alu 0xfffd
	v_xor_b32_e32 v6, vcc_lo, v6
	v_cmp_gt_i32_e32 vcc_lo, 0, v26
	v_and_b32_e32 v5, v5, v34
	v_not_b32_e32 v26, v27
	v_ashrrev_i32_e32 v24, 31, v24
	s_wait_alu 0xf1ff
	v_xor_b32_e32 v7, s18, v7
	v_cmp_gt_i32_e64 s18, 0, v27
	v_and_b32_e32 v5, v5, v6
	v_not_b32_e32 v6, v33
	v_ashrrev_i32_e32 v26, 31, v26
	s_wait_alu 0xfffd
	v_xor_b32_e32 v24, vcc_lo, v24
	v_cmp_gt_i32_e32 vcc_lo, 0, v33
	v_and_b32_e32 v5, v5, v7
	v_not_b32_e32 v7, v25
	v_ashrrev_i32_e32 v6, 31, v6
	s_wait_alu 0xf1ff
	v_xor_b32_e32 v26, s18, v26
	v_lshlrev_b32_e32 v4, 6, v4
	v_and_b32_e32 v5, v5, v24
	v_cmp_gt_i32_e64 s18, 0, v25
	v_ashrrev_i32_e32 v7, 31, v7
	s_wait_alu 0xfffd
	v_xor_b32_e32 v6, vcc_lo, v6
	v_add_nc_u32_e32 v35, v99, v4
	v_and_b32_e32 v5, v5, v26
	s_wait_alu 0xf1ff
	v_xor_b32_e32 v4, s18, v7
	ds_load_b32 v33, v35 offset:64
	v_and_b32_e32 v5, v5, v6
	; wave barrier
	s_delay_alu instid0(VALU_DEP_1) | instskip(NEXT) | instid1(VALU_DEP_1)
	v_and_b32_e32 v4, v5, v4
	v_mbcnt_lo_u32_b32 v34, v4, 0
	v_cmp_ne_u32_e64 s18, 0, v4
	s_delay_alu instid0(VALU_DEP_2)
	v_cmp_eq_u32_e32 vcc_lo, 0, v34
	s_and_b32 s23, s18, vcc_lo
	s_wait_alu 0xfffe
	s_and_saveexec_b32 s18, s23
	s_cbranch_execz .LBB215_52
; %bb.51:                               ;   in Loop: Header=BB215_46 Depth=1
	s_wait_dscnt 0x0
	v_bcnt_u32_b32 v4, v4, v33
	ds_store_b32 v35, v4 offset:64
.LBB215_52:                             ;   in Loop: Header=BB215_46 Depth=1
	s_wait_alu 0xfffe
	s_or_b32 exec_lo, exec_lo, s18
	v_cmp_ne_u32_e32 vcc_lo, 0x7fffffff, v106
	; wave barrier
	s_wait_alu 0xfffd
	v_cndmask_b32_e32 v4, 0x80000000, v106, vcc_lo
	s_delay_alu instid0(VALU_DEP_1) | instskip(NEXT) | instid1(VALU_DEP_1)
	v_lshrrev_b32_e32 v4, s20, v4
	v_and_b32_e32 v4, s22, v4
	s_delay_alu instid0(VALU_DEP_1)
	v_and_b32_e32 v5, 1, v4
	v_lshlrev_b32_e32 v6, 30, v4
	v_lshlrev_b32_e32 v7, 29, v4
	;; [unrolled: 1-line block ×4, first 2 shown]
	v_add_co_u32 v5, s18, v5, -1
	s_wait_alu 0xf1ff
	v_cndmask_b32_e64 v25, 0, 1, s18
	v_not_b32_e32 v62, v6
	v_cmp_gt_i32_e64 s18, 0, v6
	v_not_b32_e32 v6, v7
	v_lshlrev_b32_e32 v27, 26, v4
	v_cmp_ne_u32_e32 vcc_lo, 0, v25
	v_ashrrev_i32_e32 v62, 31, v62
	v_lshlrev_b32_e32 v61, 25, v4
	v_ashrrev_i32_e32 v6, 31, v6
	v_lshlrev_b32_e32 v25, 24, v4
	s_wait_alu 0xfffd
	v_xor_b32_e32 v5, vcc_lo, v5
	v_cmp_gt_i32_e32 vcc_lo, 0, v7
	v_not_b32_e32 v7, v24
	s_wait_alu 0xf1ff
	v_xor_b32_e32 v62, s18, v62
	v_cmp_gt_i32_e64 s18, 0, v24
	v_and_b32_e32 v5, exec_lo, v5
	v_not_b32_e32 v24, v26
	v_ashrrev_i32_e32 v7, 31, v7
	s_wait_alu 0xfffd
	v_xor_b32_e32 v6, vcc_lo, v6
	v_cmp_gt_i32_e32 vcc_lo, 0, v26
	v_and_b32_e32 v5, v5, v62
	v_not_b32_e32 v26, v27
	v_ashrrev_i32_e32 v24, 31, v24
	s_wait_alu 0xf1ff
	v_xor_b32_e32 v7, s18, v7
	v_cmp_gt_i32_e64 s18, 0, v27
	v_and_b32_e32 v5, v5, v6
	v_not_b32_e32 v6, v61
	v_ashrrev_i32_e32 v26, 31, v26
	s_wait_alu 0xfffd
	v_xor_b32_e32 v24, vcc_lo, v24
	v_cmp_gt_i32_e32 vcc_lo, 0, v61
	v_and_b32_e32 v5, v5, v7
	v_not_b32_e32 v7, v25
	v_ashrrev_i32_e32 v6, 31, v6
	s_wait_alu 0xf1ff
	v_xor_b32_e32 v26, s18, v26
	v_lshlrev_b32_e32 v4, 6, v4
	v_and_b32_e32 v5, v5, v24
	v_cmp_gt_i32_e64 s18, 0, v25
	v_ashrrev_i32_e32 v7, 31, v7
	s_wait_alu 0xfffd
	v_xor_b32_e32 v6, vcc_lo, v6
	v_add_nc_u32_e32 v63, v99, v4
	v_and_b32_e32 v5, v5, v26
	s_wait_alu 0xf1ff
	v_xor_b32_e32 v4, s18, v7
	ds_load_b32 v61, v63 offset:64
	v_and_b32_e32 v5, v5, v6
	; wave barrier
	s_delay_alu instid0(VALU_DEP_1) | instskip(NEXT) | instid1(VALU_DEP_1)
	v_and_b32_e32 v4, v5, v4
	v_mbcnt_lo_u32_b32 v62, v4, 0
	v_cmp_ne_u32_e64 s18, 0, v4
	s_delay_alu instid0(VALU_DEP_2)
	v_cmp_eq_u32_e32 vcc_lo, 0, v62
	s_and_b32 s23, s18, vcc_lo
	s_wait_alu 0xfffe
	s_and_saveexec_b32 s18, s23
	s_cbranch_execz .LBB215_54
; %bb.53:                               ;   in Loop: Header=BB215_46 Depth=1
	s_wait_dscnt 0x0
	v_bcnt_u32_b32 v4, v4, v61
	ds_store_b32 v63, v4 offset:64
.LBB215_54:                             ;   in Loop: Header=BB215_46 Depth=1
	s_wait_alu 0xfffe
	s_or_b32 exec_lo, exec_lo, s18
	v_cmp_ne_u32_e32 vcc_lo, 0x7fffffff, v105
	; wave barrier
	s_wait_alu 0xfffd
	v_cndmask_b32_e32 v4, 0x80000000, v105, vcc_lo
	s_delay_alu instid0(VALU_DEP_1) | instskip(NEXT) | instid1(VALU_DEP_1)
	v_lshrrev_b32_e32 v4, s20, v4
	v_and_b32_e32 v4, s22, v4
	s_delay_alu instid0(VALU_DEP_1)
	v_and_b32_e32 v5, 1, v4
	v_lshlrev_b32_e32 v6, 30, v4
	v_lshlrev_b32_e32 v7, 29, v4
	;; [unrolled: 1-line block ×4, first 2 shown]
	v_add_co_u32 v5, s18, v5, -1
	s_wait_alu 0xf1ff
	v_cndmask_b32_e64 v25, 0, 1, s18
	v_not_b32_e32 v65, v6
	v_cmp_gt_i32_e64 s18, 0, v6
	v_not_b32_e32 v6, v7
	v_lshlrev_b32_e32 v27, 26, v4
	v_cmp_ne_u32_e32 vcc_lo, 0, v25
	v_ashrrev_i32_e32 v65, 31, v65
	v_lshlrev_b32_e32 v64, 25, v4
	v_ashrrev_i32_e32 v6, 31, v6
	v_lshlrev_b32_e32 v25, 24, v4
	s_wait_alu 0xfffd
	v_xor_b32_e32 v5, vcc_lo, v5
	v_cmp_gt_i32_e32 vcc_lo, 0, v7
	v_not_b32_e32 v7, v24
	s_wait_alu 0xf1ff
	v_xor_b32_e32 v65, s18, v65
	v_cmp_gt_i32_e64 s18, 0, v24
	v_and_b32_e32 v5, exec_lo, v5
	v_not_b32_e32 v24, v26
	v_ashrrev_i32_e32 v7, 31, v7
	s_wait_alu 0xfffd
	v_xor_b32_e32 v6, vcc_lo, v6
	v_cmp_gt_i32_e32 vcc_lo, 0, v26
	v_and_b32_e32 v5, v5, v65
	v_not_b32_e32 v26, v27
	v_ashrrev_i32_e32 v24, 31, v24
	s_wait_alu 0xf1ff
	v_xor_b32_e32 v7, s18, v7
	v_cmp_gt_i32_e64 s18, 0, v27
	v_and_b32_e32 v5, v5, v6
	v_not_b32_e32 v6, v64
	v_ashrrev_i32_e32 v26, 31, v26
	s_wait_alu 0xfffd
	v_xor_b32_e32 v24, vcc_lo, v24
	v_cmp_gt_i32_e32 vcc_lo, 0, v64
	v_and_b32_e32 v5, v5, v7
	v_not_b32_e32 v7, v25
	v_ashrrev_i32_e32 v6, 31, v6
	s_wait_alu 0xf1ff
	v_xor_b32_e32 v26, s18, v26
	v_lshlrev_b32_e32 v4, 6, v4
	v_and_b32_e32 v5, v5, v24
	v_cmp_gt_i32_e64 s18, 0, v25
	v_ashrrev_i32_e32 v7, 31, v7
	s_wait_alu 0xfffd
	v_xor_b32_e32 v6, vcc_lo, v6
	v_add_nc_u32_e32 v66, v99, v4
	v_and_b32_e32 v5, v5, v26
	s_wait_alu 0xf1ff
	v_xor_b32_e32 v4, s18, v7
	ds_load_b32 v64, v66 offset:64
	v_and_b32_e32 v5, v5, v6
	; wave barrier
	s_delay_alu instid0(VALU_DEP_1) | instskip(NEXT) | instid1(VALU_DEP_1)
	v_and_b32_e32 v4, v5, v4
	v_mbcnt_lo_u32_b32 v65, v4, 0
	v_cmp_ne_u32_e64 s18, 0, v4
	s_delay_alu instid0(VALU_DEP_2)
	v_cmp_eq_u32_e32 vcc_lo, 0, v65
	s_and_b32 s23, s18, vcc_lo
	s_wait_alu 0xfffe
	s_and_saveexec_b32 s18, s23
	s_cbranch_execz .LBB215_56
; %bb.55:                               ;   in Loop: Header=BB215_46 Depth=1
	s_wait_dscnt 0x0
	v_bcnt_u32_b32 v4, v4, v64
	ds_store_b32 v66, v4 offset:64
.LBB215_56:                             ;   in Loop: Header=BB215_46 Depth=1
	s_wait_alu 0xfffe
	s_or_b32 exec_lo, exec_lo, s18
	v_cmp_ne_u32_e32 vcc_lo, 0x7fffffff, v104
	; wave barrier
	s_wait_alu 0xfffd
	v_cndmask_b32_e32 v4, 0x80000000, v104, vcc_lo
	s_delay_alu instid0(VALU_DEP_1) | instskip(NEXT) | instid1(VALU_DEP_1)
	v_lshrrev_b32_e32 v4, s20, v4
	v_and_b32_e32 v4, s22, v4
	s_delay_alu instid0(VALU_DEP_1)
	v_and_b32_e32 v5, 1, v4
	v_lshlrev_b32_e32 v6, 30, v4
	v_lshlrev_b32_e32 v7, 29, v4
	;; [unrolled: 1-line block ×4, first 2 shown]
	v_add_co_u32 v5, s18, v5, -1
	s_wait_alu 0xf1ff
	v_cndmask_b32_e64 v25, 0, 1, s18
	v_not_b32_e32 v68, v6
	v_cmp_gt_i32_e64 s18, 0, v6
	v_not_b32_e32 v6, v7
	v_lshlrev_b32_e32 v27, 26, v4
	v_cmp_ne_u32_e32 vcc_lo, 0, v25
	v_ashrrev_i32_e32 v68, 31, v68
	v_lshlrev_b32_e32 v67, 25, v4
	v_ashrrev_i32_e32 v6, 31, v6
	v_lshlrev_b32_e32 v25, 24, v4
	s_wait_alu 0xfffd
	v_xor_b32_e32 v5, vcc_lo, v5
	v_cmp_gt_i32_e32 vcc_lo, 0, v7
	v_not_b32_e32 v7, v24
	s_wait_alu 0xf1ff
	v_xor_b32_e32 v68, s18, v68
	v_cmp_gt_i32_e64 s18, 0, v24
	v_and_b32_e32 v5, exec_lo, v5
	v_not_b32_e32 v24, v26
	v_ashrrev_i32_e32 v7, 31, v7
	s_wait_alu 0xfffd
	v_xor_b32_e32 v6, vcc_lo, v6
	v_cmp_gt_i32_e32 vcc_lo, 0, v26
	v_and_b32_e32 v5, v5, v68
	v_not_b32_e32 v26, v27
	v_ashrrev_i32_e32 v24, 31, v24
	s_wait_alu 0xf1ff
	v_xor_b32_e32 v7, s18, v7
	v_cmp_gt_i32_e64 s18, 0, v27
	v_and_b32_e32 v5, v5, v6
	v_not_b32_e32 v6, v67
	v_ashrrev_i32_e32 v26, 31, v26
	s_wait_alu 0xfffd
	v_xor_b32_e32 v24, vcc_lo, v24
	v_cmp_gt_i32_e32 vcc_lo, 0, v67
	v_and_b32_e32 v5, v5, v7
	v_not_b32_e32 v7, v25
	v_ashrrev_i32_e32 v6, 31, v6
	s_wait_alu 0xf1ff
	v_xor_b32_e32 v26, s18, v26
	v_lshlrev_b32_e32 v4, 6, v4
	v_and_b32_e32 v5, v5, v24
	v_cmp_gt_i32_e64 s18, 0, v25
	v_ashrrev_i32_e32 v7, 31, v7
	s_wait_alu 0xfffd
	v_xor_b32_e32 v6, vcc_lo, v6
	v_add_nc_u32_e32 v68, v99, v4
	v_and_b32_e32 v5, v5, v26
	s_wait_alu 0xf1ff
	v_xor_b32_e32 v4, s18, v7
	ds_load_b32 v67, v68 offset:64
	v_and_b32_e32 v5, v5, v6
	; wave barrier
	s_delay_alu instid0(VALU_DEP_1) | instskip(NEXT) | instid1(VALU_DEP_1)
	v_and_b32_e32 v4, v5, v4
	v_mbcnt_lo_u32_b32 v109, v4, 0
	v_cmp_ne_u32_e64 s18, 0, v4
	s_delay_alu instid0(VALU_DEP_2)
	v_cmp_eq_u32_e32 vcc_lo, 0, v109
	s_and_b32 s23, s18, vcc_lo
	s_wait_alu 0xfffe
	s_and_saveexec_b32 s18, s23
	s_cbranch_execz .LBB215_58
; %bb.57:                               ;   in Loop: Header=BB215_46 Depth=1
	s_wait_dscnt 0x0
	v_bcnt_u32_b32 v4, v4, v67
	ds_store_b32 v68, v4 offset:64
.LBB215_58:                             ;   in Loop: Header=BB215_46 Depth=1
	s_wait_alu 0xfffe
	s_or_b32 exec_lo, exec_lo, s18
	v_cmp_ne_u32_e32 vcc_lo, 0x7fffffff, v103
	; wave barrier
	s_wait_alu 0xfffd
	v_cndmask_b32_e32 v4, 0x80000000, v103, vcc_lo
	s_delay_alu instid0(VALU_DEP_1) | instskip(NEXT) | instid1(VALU_DEP_1)
	v_lshrrev_b32_e32 v4, s20, v4
	v_and_b32_e32 v4, s22, v4
	s_delay_alu instid0(VALU_DEP_1)
	v_and_b32_e32 v5, 1, v4
	v_lshlrev_b32_e32 v6, 30, v4
	v_lshlrev_b32_e32 v7, 29, v4
	;; [unrolled: 1-line block ×4, first 2 shown]
	v_add_co_u32 v5, s18, v5, -1
	s_wait_alu 0xf1ff
	v_cndmask_b32_e64 v25, 0, 1, s18
	v_not_b32_e32 v111, v6
	v_cmp_gt_i32_e64 s18, 0, v6
	v_not_b32_e32 v6, v7
	v_lshlrev_b32_e32 v27, 26, v4
	v_cmp_ne_u32_e32 vcc_lo, 0, v25
	v_ashrrev_i32_e32 v111, 31, v111
	v_lshlrev_b32_e32 v110, 25, v4
	v_ashrrev_i32_e32 v6, 31, v6
	v_lshlrev_b32_e32 v25, 24, v4
	s_wait_alu 0xfffd
	v_xor_b32_e32 v5, vcc_lo, v5
	v_cmp_gt_i32_e32 vcc_lo, 0, v7
	v_not_b32_e32 v7, v24
	s_wait_alu 0xf1ff
	v_xor_b32_e32 v111, s18, v111
	v_cmp_gt_i32_e64 s18, 0, v24
	v_and_b32_e32 v5, exec_lo, v5
	v_not_b32_e32 v24, v26
	v_ashrrev_i32_e32 v7, 31, v7
	s_wait_alu 0xfffd
	v_xor_b32_e32 v6, vcc_lo, v6
	v_cmp_gt_i32_e32 vcc_lo, 0, v26
	v_and_b32_e32 v5, v5, v111
	v_not_b32_e32 v26, v27
	v_ashrrev_i32_e32 v24, 31, v24
	s_wait_alu 0xf1ff
	v_xor_b32_e32 v7, s18, v7
	v_cmp_gt_i32_e64 s18, 0, v27
	v_and_b32_e32 v5, v5, v6
	v_not_b32_e32 v6, v110
	v_ashrrev_i32_e32 v26, 31, v26
	s_wait_alu 0xfffd
	v_xor_b32_e32 v24, vcc_lo, v24
	v_cmp_gt_i32_e32 vcc_lo, 0, v110
	v_and_b32_e32 v5, v5, v7
	v_not_b32_e32 v7, v25
	v_ashrrev_i32_e32 v6, 31, v6
	s_wait_alu 0xf1ff
	v_xor_b32_e32 v26, s18, v26
	v_lshlrev_b32_e32 v4, 6, v4
	v_and_b32_e32 v5, v5, v24
	v_cmp_gt_i32_e64 s18, 0, v25
	v_ashrrev_i32_e32 v7, 31, v7
	s_wait_alu 0xfffd
	v_xor_b32_e32 v6, vcc_lo, v6
	v_add_nc_u32_e32 v111, v99, v4
	v_and_b32_e32 v5, v5, v26
	s_wait_alu 0xf1ff
	v_xor_b32_e32 v4, s18, v7
	ds_load_b32 v110, v111 offset:64
	v_and_b32_e32 v5, v5, v6
	; wave barrier
	s_delay_alu instid0(VALU_DEP_1) | instskip(NEXT) | instid1(VALU_DEP_1)
	v_and_b32_e32 v4, v5, v4
	v_mbcnt_lo_u32_b32 v112, v4, 0
	v_cmp_ne_u32_e64 s18, 0, v4
	s_delay_alu instid0(VALU_DEP_2)
	v_cmp_eq_u32_e32 vcc_lo, 0, v112
	s_and_b32 s23, s18, vcc_lo
	s_wait_alu 0xfffe
	s_and_saveexec_b32 s18, s23
	s_cbranch_execz .LBB215_60
; %bb.59:                               ;   in Loop: Header=BB215_46 Depth=1
	s_wait_dscnt 0x0
	v_bcnt_u32_b32 v4, v4, v110
	ds_store_b32 v111, v4 offset:64
.LBB215_60:                             ;   in Loop: Header=BB215_46 Depth=1
	s_wait_alu 0xfffe
	s_or_b32 exec_lo, exec_lo, s18
	v_cmp_ne_u32_e32 vcc_lo, 0x7fffffff, v102
	; wave barrier
	s_wait_alu 0xfffd
	v_cndmask_b32_e32 v4, 0x80000000, v102, vcc_lo
	s_delay_alu instid0(VALU_DEP_1) | instskip(NEXT) | instid1(VALU_DEP_1)
	v_lshrrev_b32_e32 v4, s20, v4
	v_and_b32_e32 v4, s22, v4
	s_delay_alu instid0(VALU_DEP_1)
	v_and_b32_e32 v5, 1, v4
	v_lshlrev_b32_e32 v6, 30, v4
	v_lshlrev_b32_e32 v7, 29, v4
	;; [unrolled: 1-line block ×4, first 2 shown]
	v_add_co_u32 v5, s18, v5, -1
	s_wait_alu 0xf1ff
	v_cndmask_b32_e64 v25, 0, 1, s18
	v_not_b32_e32 v114, v6
	v_cmp_gt_i32_e64 s18, 0, v6
	v_not_b32_e32 v6, v7
	v_lshlrev_b32_e32 v27, 26, v4
	v_cmp_ne_u32_e32 vcc_lo, 0, v25
	v_ashrrev_i32_e32 v114, 31, v114
	v_lshlrev_b32_e32 v113, 25, v4
	v_ashrrev_i32_e32 v6, 31, v6
	v_lshlrev_b32_e32 v25, 24, v4
	s_wait_alu 0xfffd
	v_xor_b32_e32 v5, vcc_lo, v5
	v_cmp_gt_i32_e32 vcc_lo, 0, v7
	v_not_b32_e32 v7, v24
	s_wait_alu 0xf1ff
	v_xor_b32_e32 v114, s18, v114
	v_cmp_gt_i32_e64 s18, 0, v24
	v_and_b32_e32 v5, exec_lo, v5
	v_not_b32_e32 v24, v26
	v_ashrrev_i32_e32 v7, 31, v7
	s_wait_alu 0xfffd
	v_xor_b32_e32 v6, vcc_lo, v6
	v_cmp_gt_i32_e32 vcc_lo, 0, v26
	v_and_b32_e32 v5, v5, v114
	v_not_b32_e32 v26, v27
	v_ashrrev_i32_e32 v24, 31, v24
	s_wait_alu 0xf1ff
	v_xor_b32_e32 v7, s18, v7
	v_cmp_gt_i32_e64 s18, 0, v27
	v_and_b32_e32 v5, v5, v6
	v_not_b32_e32 v6, v113
	v_ashrrev_i32_e32 v26, 31, v26
	s_wait_alu 0xfffd
	v_xor_b32_e32 v24, vcc_lo, v24
	v_cmp_gt_i32_e32 vcc_lo, 0, v113
	v_and_b32_e32 v5, v5, v7
	v_not_b32_e32 v7, v25
	v_ashrrev_i32_e32 v6, 31, v6
	s_wait_alu 0xf1ff
	v_xor_b32_e32 v26, s18, v26
	v_lshlrev_b32_e32 v4, 6, v4
	v_and_b32_e32 v5, v5, v24
	v_cmp_gt_i32_e64 s18, 0, v25
	v_ashrrev_i32_e32 v7, 31, v7
	s_wait_alu 0xfffd
	v_xor_b32_e32 v6, vcc_lo, v6
	v_add_nc_u32_e32 v113, v99, v4
	v_and_b32_e32 v5, v5, v26
	s_wait_alu 0xf1ff
	v_xor_b32_e32 v4, s18, v7
	ds_load_b32 v118, v113 offset:64
	v_and_b32_e32 v5, v5, v6
	; wave barrier
	s_delay_alu instid0(VALU_DEP_1) | instskip(NEXT) | instid1(VALU_DEP_1)
	v_and_b32_e32 v4, v5, v4
	v_mbcnt_lo_u32_b32 v119, v4, 0
	v_cmp_ne_u32_e64 s18, 0, v4
	s_delay_alu instid0(VALU_DEP_2)
	v_cmp_eq_u32_e32 vcc_lo, 0, v119
	s_and_b32 s22, s18, vcc_lo
	s_wait_alu 0xfffe
	s_and_saveexec_b32 s18, s22
	s_cbranch_execz .LBB215_62
; %bb.61:                               ;   in Loop: Header=BB215_46 Depth=1
	s_wait_dscnt 0x0
	v_bcnt_u32_b32 v4, v4, v118
	ds_store_b32 v113, v4 offset:64
.LBB215_62:                             ;   in Loop: Header=BB215_46 Depth=1
	s_wait_alu 0xfffe
	s_or_b32 exec_lo, exec_lo, s18
	; wave barrier
	s_wait_loadcnt_dscnt 0x0
	s_barrier_signal -1
	s_barrier_wait -1
	global_inv scope:SCOPE_SE
	ds_load_b128 v[24:27], v87 offset:64
	ds_load_b128 v[4:7], v87 offset:80
	s_wait_dscnt 0x1
	v_add_nc_u32_e32 v114, v25, v24
	s_delay_alu instid0(VALU_DEP_1) | instskip(SKIP_1) | instid1(VALU_DEP_1)
	v_add3_u32 v114, v114, v26, v27
	s_wait_dscnt 0x0
	v_add3_u32 v114, v114, v4, v5
	s_delay_alu instid0(VALU_DEP_1) | instskip(NEXT) | instid1(VALU_DEP_1)
	v_add3_u32 v7, v114, v6, v7
	v_mov_b32_dpp v114, v7 row_shr:1 row_mask:0xf bank_mask:0xf
	s_delay_alu instid0(VALU_DEP_1) | instskip(NEXT) | instid1(VALU_DEP_1)
	v_cndmask_b32_e64 v114, v114, 0, s12
	v_add_nc_u32_e32 v7, v114, v7
	s_delay_alu instid0(VALU_DEP_1) | instskip(NEXT) | instid1(VALU_DEP_1)
	v_mov_b32_dpp v114, v7 row_shr:2 row_mask:0xf bank_mask:0xf
	v_cndmask_b32_e64 v114, 0, v114, s13
	s_delay_alu instid0(VALU_DEP_1) | instskip(NEXT) | instid1(VALU_DEP_1)
	v_add_nc_u32_e32 v7, v7, v114
	v_mov_b32_dpp v114, v7 row_shr:4 row_mask:0xf bank_mask:0xf
	s_delay_alu instid0(VALU_DEP_1) | instskip(NEXT) | instid1(VALU_DEP_1)
	v_cndmask_b32_e64 v114, 0, v114, s14
	v_add_nc_u32_e32 v7, v7, v114
	s_delay_alu instid0(VALU_DEP_1) | instskip(NEXT) | instid1(VALU_DEP_1)
	v_mov_b32_dpp v114, v7 row_shr:8 row_mask:0xf bank_mask:0xf
	v_cndmask_b32_e64 v114, 0, v114, s15
	s_delay_alu instid0(VALU_DEP_1) | instskip(SKIP_3) | instid1(VALU_DEP_1)
	v_add_nc_u32_e32 v7, v7, v114
	ds_swizzle_b32 v114, v7 offset:swizzle(BROADCAST,32,15)
	s_wait_dscnt 0x0
	v_cndmask_b32_e64 v114, v114, 0, s16
	v_add_nc_u32_e32 v7, v7, v114
	s_and_saveexec_b32 s18, s17
; %bb.63:                               ;   in Loop: Header=BB215_46 Depth=1
	ds_store_b32 v88, v7
; %bb.64:                               ;   in Loop: Header=BB215_46 Depth=1
	s_wait_alu 0xfffe
	s_or_b32 exec_lo, exec_lo, s18
	s_wait_loadcnt_dscnt 0x0
	s_barrier_signal -1
	s_barrier_wait -1
	global_inv scope:SCOPE_SE
	s_and_saveexec_b32 s18, s0
	s_cbranch_execz .LBB215_66
; %bb.65:                               ;   in Loop: Header=BB215_46 Depth=1
	ds_load_b32 v114, v100
	s_wait_dscnt 0x0
	v_mov_b32_dpp v115, v114 row_shr:1 row_mask:0xf bank_mask:0xf
	s_delay_alu instid0(VALU_DEP_1) | instskip(NEXT) | instid1(VALU_DEP_1)
	v_cndmask_b32_e64 v115, v115, 0, s12
	v_add_nc_u32_e32 v114, v115, v114
	s_delay_alu instid0(VALU_DEP_1) | instskip(NEXT) | instid1(VALU_DEP_1)
	v_mov_b32_dpp v115, v114 row_shr:2 row_mask:0xf bank_mask:0xf
	v_cndmask_b32_e64 v115, 0, v115, s13
	s_delay_alu instid0(VALU_DEP_1) | instskip(NEXT) | instid1(VALU_DEP_1)
	v_add_nc_u32_e32 v114, v114, v115
	v_mov_b32_dpp v115, v114 row_shr:4 row_mask:0xf bank_mask:0xf
	s_delay_alu instid0(VALU_DEP_1) | instskip(NEXT) | instid1(VALU_DEP_1)
	v_cndmask_b32_e64 v115, 0, v115, s14
	v_add_nc_u32_e32 v114, v114, v115
	s_delay_alu instid0(VALU_DEP_1) | instskip(NEXT) | instid1(VALU_DEP_1)
	v_mov_b32_dpp v115, v114 row_shr:8 row_mask:0xf bank_mask:0xf
	v_cndmask_b32_e64 v115, 0, v115, s15
	s_delay_alu instid0(VALU_DEP_1)
	v_add_nc_u32_e32 v114, v114, v115
	ds_store_b32 v100, v114
.LBB215_66:                             ;   in Loop: Header=BB215_46 Depth=1
	s_wait_alu 0xfffe
	s_or_b32 exec_lo, exec_lo, s18
	v_mov_b32_e32 v114, 0
	s_wait_loadcnt_dscnt 0x0
	s_barrier_signal -1
	s_barrier_wait -1
	global_inv scope:SCOPE_SE
	s_and_saveexec_b32 s18, s1
; %bb.67:                               ;   in Loop: Header=BB215_46 Depth=1
	ds_load_b32 v114, v98
; %bb.68:                               ;   in Loop: Header=BB215_46 Depth=1
	s_wait_alu 0xfffe
	s_or_b32 exec_lo, exec_lo, s18
	s_wait_dscnt 0x0
	v_add_nc_u32_e32 v7, v114, v7
	s_cmp_gt_u32 s20, 23
	s_mov_b32 s18, -1
	ds_bpermute_b32 v7, v97, v7
	s_wait_dscnt 0x0
	v_cndmask_b32_e64 v7, v7, v114, s11
	s_delay_alu instid0(VALU_DEP_1) | instskip(NEXT) | instid1(VALU_DEP_1)
	v_cndmask_b32_e64 v114, v7, 0, s10
	v_add_nc_u32_e32 v115, v114, v24
	s_delay_alu instid0(VALU_DEP_1) | instskip(NEXT) | instid1(VALU_DEP_1)
	v_add_nc_u32_e32 v116, v115, v25
	v_add_nc_u32_e32 v117, v116, v26
	s_delay_alu instid0(VALU_DEP_1) | instskip(NEXT) | instid1(VALU_DEP_1)
	v_add_nc_u32_e32 v24, v117, v27
	;; [unrolled: 3-line block ×3, first 2 shown]
	v_add_nc_u32_e32 v27, v26, v6
	ds_store_b128 v87, v[114:117] offset:64
	ds_store_b128 v87, v[24:27] offset:80
	s_wait_loadcnt_dscnt 0x0
	s_barrier_signal -1
	s_barrier_wait -1
	global_inv scope:SCOPE_SE
	ds_load_b32 v4, v29 offset:64
	ds_load_b32 v5, v32 offset:64
	;; [unrolled: 1-line block ×8, first 2 shown]
	s_wait_dscnt 0x7
	v_add_nc_u32_e32 v117, v4, v28
	s_wait_dscnt 0x6
	v_add3_u32 v116, v31, v30, v5
	s_wait_dscnt 0x5
	v_add3_u32 v115, v34, v33, v6
	;; [unrolled: 2-line block ×7, first 2 shown]
                                        ; implicit-def: $vgpr68
                                        ; implicit-def: $vgpr66
                                        ; implicit-def: $vgpr64
                                        ; implicit-def: $vgpr62
                                        ; implicit-def: $vgpr34_vgpr35
                                        ; implicit-def: $vgpr30_vgpr31
                                        ; implicit-def: $vgpr26_vgpr27
                                        ; implicit-def: $vgpr6_vgpr7
	s_cbranch_scc1 .LBB215_45
; %bb.69:                               ;   in Loop: Header=BB215_46 Depth=1
	v_lshlrev_b32_e32 v4, 2, v117
	v_lshlrev_b32_e32 v5, 2, v116
	;; [unrolled: 1-line block ×3, first 2 shown]
	s_wait_loadcnt 0x0
	s_barrier_signal -1
	s_barrier_wait -1
	global_inv scope:SCOPE_SE
	ds_store_b32 v4, v101
	ds_store_b32 v5, v108
	ds_store_b32 v6, v107
	v_lshlrev_b32_e32 v7, 2, v114
	v_add_nc_u32_e32 v4, v4, v4
	v_lshlrev_b32_e32 v24, 2, v113
	v_add_nc_u32_e32 v5, v5, v5
	;; [unrolled: 2-line block ×3, first 2 shown]
	v_lshlrev_b32_e32 v26, 2, v110
	v_lshlrev_b32_e32 v27, 2, v109
	ds_store_b32 v7, v106
	ds_store_b32 v24, v105
	;; [unrolled: 1-line block ×5, first 2 shown]
	s_wait_loadcnt_dscnt 0x0
	s_barrier_signal -1
	s_barrier_wait -1
	global_inv scope:SCOPE_SE
	ds_load_2addr_b32 v[61:62], v95 offset1:32
	ds_load_2addr_b32 v[63:64], v95 offset0:64 offset1:96
	ds_load_2addr_b32 v[65:66], v95 offset0:128 offset1:160
	;; [unrolled: 1-line block ×3, first 2 shown]
	s_wait_loadcnt_dscnt 0x0
	s_barrier_signal -1
	s_barrier_wait -1
	global_inv scope:SCOPE_SE
	ds_store_b64 v4, v[59:60]
	ds_store_b64 v5, v[57:58]
	;; [unrolled: 1-line block ×3, first 2 shown]
	v_add_nc_u32_e32 v4, v7, v7
	v_add_nc_u32_e32 v5, v24, v24
	;; [unrolled: 1-line block ×5, first 2 shown]
	ds_store_b64 v4, v[53:54]
	ds_store_b64 v5, v[51:52]
	;; [unrolled: 1-line block ×5, first 2 shown]
	s_wait_loadcnt_dscnt 0x0
	s_barrier_signal -1
	s_barrier_wait -1
	global_inv scope:SCOPE_SE
	ds_load_2addr_b64 v[4:7], v96 offset1:32
	ds_load_2addr_b64 v[24:27], v96 offset0:64 offset1:96
	ds_load_2addr_b64 v[28:31], v96 offset0:128 offset1:160
	;; [unrolled: 1-line block ×3, first 2 shown]
	s_add_co_i32 s20, s20, 8
	s_add_co_i32 s21, s21, -8
	s_mov_b32 s18, 0
	s_wait_loadcnt_dscnt 0x0
	s_barrier_signal -1
	s_barrier_wait -1
	global_inv scope:SCOPE_SE
	s_branch .LBB215_45
.LBB215_70:
	v_mad_co_u64_u32 v[2:3], null, s26, v40, 0
	v_mov_b32_e32 v16, v1
	v_dual_mov_b32 v6, v1 :: v_dual_mov_b32 v7, v1
	v_dual_mov_b32 v8, v1 :: v_dual_mov_b32 v9, v1
	;; [unrolled: 1-line block ×3, first 2 shown]
	v_mad_co_u64_u32 v[3:4], null, s27, v40, v[3:4]
	v_dual_mov_b32 v4, v1 :: v_dual_mov_b32 v5, v1
	v_dual_mov_b32 v12, v1 :: v_dual_mov_b32 v15, v1
	s_delay_alu instid0(VALU_DEP_3) | instskip(NEXT) | instid1(VALU_DEP_1)
	v_lshlrev_b64_e32 v[2:3], 3, v[2:3]
	v_add_co_u32 v2, vcc_lo, s30, v2
	s_wait_alu 0xfffd
	s_delay_alu instid0(VALU_DEP_2)
	v_add_co_ci_u32_e64 v3, null, s31, v3, vcc_lo
	global_load_b64 v[13:14], v[2:3], off
	v_dual_mov_b32 v2, v1 :: v_dual_mov_b32 v3, v1
	s_or_b32 exec_lo, exec_lo, s0
	s_and_saveexec_b32 s0, s3
	s_cbranch_execz .LBB215_36
.LBB215_71:
	v_mad_co_u64_u32 v[1:2], null, s26, v17, 0
	s_delay_alu instid0(VALU_DEP_1) | instskip(NEXT) | instid1(VALU_DEP_1)
	v_mad_co_u64_u32 v[34:35], null, s27, v17, v[2:3]
	v_mov_b32_e32 v2, v34
	s_delay_alu instid0(VALU_DEP_1) | instskip(NEXT) | instid1(VALU_DEP_1)
	v_lshlrev_b64_e32 v[1:2], 3, v[1:2]
	v_add_co_u32 v1, vcc_lo, s30, v1
	s_wait_alu 0xfffd
	s_delay_alu instid0(VALU_DEP_2)
	v_add_co_ci_u32_e64 v2, null, s31, v2, vcc_lo
	global_load_b64 v[1:2], v[1:2], off
	s_or_b32 exec_lo, exec_lo, s0
	s_and_saveexec_b32 s0, s4
	s_cbranch_execz .LBB215_37
.LBB215_72:
	v_mad_co_u64_u32 v[15:16], null, s26, v18, 0
	s_delay_alu instid0(VALU_DEP_1) | instskip(NEXT) | instid1(VALU_DEP_1)
	v_mad_co_u64_u32 v[16:17], null, s27, v18, v[16:17]
	v_lshlrev_b64_e32 v[15:16], 3, v[15:16]
	s_delay_alu instid0(VALU_DEP_1) | instskip(SKIP_1) | instid1(VALU_DEP_2)
	v_add_co_u32 v15, vcc_lo, s30, v15
	s_wait_alu 0xfffd
	v_add_co_ci_u32_e64 v16, null, s31, v16, vcc_lo
	global_load_b64 v[15:16], v[15:16], off
	s_or_b32 exec_lo, exec_lo, s0
	s_and_saveexec_b32 s0, s5
	s_cbranch_execz .LBB215_38
.LBB215_73:
	v_mad_co_u64_u32 v[3:4], null, s26, v19, 0
	s_delay_alu instid0(VALU_DEP_1) | instskip(NEXT) | instid1(VALU_DEP_1)
	v_mad_co_u64_u32 v[17:18], null, s27, v19, v[4:5]
	v_mov_b32_e32 v4, v17
	s_delay_alu instid0(VALU_DEP_1) | instskip(NEXT) | instid1(VALU_DEP_1)
	v_lshlrev_b64_e32 v[3:4], 3, v[3:4]
	v_add_co_u32 v3, vcc_lo, s30, v3
	s_wait_alu 0xfffd
	s_delay_alu instid0(VALU_DEP_2)
	v_add_co_ci_u32_e64 v4, null, s31, v4, vcc_lo
	global_load_b64 v[3:4], v[3:4], off
	s_or_b32 exec_lo, exec_lo, s0
	s_and_saveexec_b32 s0, s6
	s_cbranch_execz .LBB215_39
.LBB215_74:
	v_mad_co_u64_u32 v[5:6], null, s26, v20, 0
	s_delay_alu instid0(VALU_DEP_1) | instskip(NEXT) | instid1(VALU_DEP_1)
	v_mad_co_u64_u32 v[17:18], null, s27, v20, v[6:7]
	v_mov_b32_e32 v6, v17
	s_delay_alu instid0(VALU_DEP_1) | instskip(NEXT) | instid1(VALU_DEP_1)
	v_lshlrev_b64_e32 v[5:6], 3, v[5:6]
	v_add_co_u32 v5, vcc_lo, s30, v5
	s_wait_alu 0xfffd
	s_delay_alu instid0(VALU_DEP_2)
	v_add_co_ci_u32_e64 v6, null, s31, v6, vcc_lo
	global_load_b64 v[5:6], v[5:6], off
	s_or_b32 exec_lo, exec_lo, s0
	s_and_saveexec_b32 s0, s7
	s_cbranch_execz .LBB215_40
.LBB215_75:
	v_mad_co_u64_u32 v[7:8], null, s26, v21, 0
	s_delay_alu instid0(VALU_DEP_1) | instskip(NEXT) | instid1(VALU_DEP_1)
	v_mad_co_u64_u32 v[17:18], null, s27, v21, v[8:9]
	v_mov_b32_e32 v8, v17
	s_delay_alu instid0(VALU_DEP_1) | instskip(NEXT) | instid1(VALU_DEP_1)
	v_lshlrev_b64_e32 v[7:8], 3, v[7:8]
	v_add_co_u32 v7, vcc_lo, s30, v7
	s_wait_alu 0xfffd
	s_delay_alu instid0(VALU_DEP_2)
	v_add_co_ci_u32_e64 v8, null, s31, v8, vcc_lo
	global_load_b64 v[7:8], v[7:8], off
	s_or_b32 exec_lo, exec_lo, s0
	s_and_saveexec_b32 s0, s8
	s_cbranch_execz .LBB215_41
.LBB215_76:
	v_mad_co_u64_u32 v[9:10], null, s26, v22, 0
	s_delay_alu instid0(VALU_DEP_1) | instskip(NEXT) | instid1(VALU_DEP_1)
	v_mad_co_u64_u32 v[17:18], null, s27, v22, v[10:11]
	v_mov_b32_e32 v10, v17
	s_delay_alu instid0(VALU_DEP_1) | instskip(NEXT) | instid1(VALU_DEP_1)
	v_lshlrev_b64_e32 v[9:10], 3, v[9:10]
	v_add_co_u32 v9, vcc_lo, s30, v9
	s_wait_alu 0xfffd
	s_delay_alu instid0(VALU_DEP_2)
	v_add_co_ci_u32_e64 v10, null, s31, v10, vcc_lo
	global_load_b64 v[9:10], v[9:10], off
	s_or_b32 exec_lo, exec_lo, s0
	s_xor_b32 s0, s15, -1
	s_and_saveexec_b32 s1, s9
	s_cbranch_execnz .LBB215_42
	s_branch .LBB215_43
.LBB215_77:
                                        ; implicit-def: $vgpr34_vgpr35
                                        ; implicit-def: $vgpr38_vgpr39
                                        ; implicit-def: $vgpr26_vgpr27
                                        ; implicit-def: $vgpr30_vgpr31
                                        ; implicit-def: $vgpr0_vgpr1_vgpr2_vgpr3_vgpr4_vgpr5_vgpr6_vgpr7
	s_cbranch_execnz .LBB215_79
	s_branch .LBB215_106
.LBB215_78:
	v_lshlrev_b32_e32 v24, 2, v117
	v_lshlrev_b32_e32 v27, 2, v114
	;; [unrolled: 1-line block ×8, first 2 shown]
	s_wait_loadcnt 0x0
	s_barrier_signal -1
	s_barrier_wait -1
	global_inv scope:SCOPE_SE
	ds_store_b32 v24, v101
	ds_store_b32 v25, v108
	;; [unrolled: 1-line block ×8, first 2 shown]
	s_wait_loadcnt_dscnt 0x0
	s_barrier_signal -1
	s_barrier_wait -1
	global_inv scope:SCOPE_SE
	ds_load_b128 v[0:3], v87
	ds_load_b128 v[4:7], v87 offset:16
	v_add_nc_u32_e32 v24, v24, v24
	v_add_nc_u32_e32 v25, v25, v25
	;; [unrolled: 1-line block ×3, first 2 shown]
	s_wait_loadcnt_dscnt 0x0
	s_barrier_signal -1
	s_barrier_wait -1
	global_inv scope:SCOPE_SE
	ds_store_b64 v24, v[59:60]
	ds_store_b64 v25, v[57:58]
	;; [unrolled: 1-line block ×3, first 2 shown]
	v_add_nc_u32_e32 v24, v27, v27
	v_add_nc_u32_e32 v25, v28, v28
	;; [unrolled: 1-line block ×5, first 2 shown]
	ds_store_b64 v24, v[53:54]
	ds_store_b64 v25, v[51:52]
	;; [unrolled: 1-line block ×5, first 2 shown]
	v_lshl_add_u32 v32, v40, 5, v87
	s_wait_loadcnt_dscnt 0x0
	s_barrier_signal -1
	s_barrier_wait -1
	v_cmp_lt_i32_e32 vcc_lo, -1, v0
	global_inv scope:SCOPE_SE
	ds_load_b128 v[28:31], v32
	ds_load_b128 v[24:27], v32 offset:16
	ds_load_b128 v[36:39], v32 offset:32
	;; [unrolled: 1-line block ×3, first 2 shown]
	s_wait_alu 0xfffd
	v_cndmask_b32_e64 v49, 0x80000000, -1, vcc_lo
	v_cmp_lt_i32_e32 vcc_lo, -1, v1
	s_delay_alu instid0(VALU_DEP_2) | instskip(SKIP_3) | instid1(VALU_DEP_2)
	v_xor_b32_e32 v0, v49, v0
	s_wait_alu 0xfffd
	v_cndmask_b32_e64 v50, 0x80000000, -1, vcc_lo
	v_cmp_lt_i32_e32 vcc_lo, -1, v2
	v_xor_b32_e32 v1, v50, v1
	s_wait_alu 0xfffd
	v_cndmask_b32_e64 v51, 0x80000000, -1, vcc_lo
	v_cmp_lt_i32_e32 vcc_lo, -1, v3
	s_delay_alu instid0(VALU_DEP_2) | instskip(SKIP_3) | instid1(VALU_DEP_2)
	v_xor_b32_e32 v2, v51, v2
	s_wait_alu 0xfffd
	v_cndmask_b32_e64 v49, 0x80000000, -1, vcc_lo
	v_cmp_lt_i32_e32 vcc_lo, -1, v4
	v_xor_b32_e32 v3, v49, v3
	;; [unrolled: 9-line block ×3, first 2 shown]
	s_wait_alu 0xfffd
	v_cndmask_b32_e64 v52, 0x80000000, -1, vcc_lo
	v_cmp_lt_i32_e32 vcc_lo, -1, v7
	s_delay_alu instid0(VALU_DEP_2) | instskip(SKIP_2) | instid1(VALU_DEP_1)
	v_xor_b32_e32 v6, v52, v6
	s_wait_alu 0xfffd
	v_cndmask_b32_e64 v53, 0x80000000, -1, vcc_lo
	v_xor_b32_e32 v7, v53, v7
	s_branch .LBB215_106
.LBB215_79:
	v_cmp_gt_i32_e32 vcc_lo, 0, v47
	v_or_b32_e32 v7, v91, v92
	s_wait_dscnt 0x2
	v_and_or_b32 v25, 0x1f00, v89, v91
	s_mov_b32 s20, 0
	s_getpc_b64 s[0:1]
	s_sext_i32_i16 s1, s1
	s_add_co_u32 s0, s0, _ZN7rocprim17ROCPRIM_400000_NS16block_radix_sortIfLj512ELj8ElLj1ELj1ELj0ELNS0_26block_radix_rank_algorithmE1ELNS0_18block_padding_hintE2ELNS0_4arch9wavefront6targetE0EE19radix_bits_per_passE@rel32@lo+8
	s_add_co_ci_u32 s1, s1, _ZN7rocprim17ROCPRIM_400000_NS16block_radix_sortIfLj512ELj8ElLj1ELj1ELj0ELNS0_26block_radix_rank_algorithmE1ELNS0_18block_padding_hintE2ELNS0_4arch9wavefront6targetE0EE19radix_bits_per_passE@rel32@hi+16
	s_wait_alu 0xfffd
	v_cndmask_b32_e64 v0, 0x7fffffff, 0, vcc_lo
	v_cmp_gt_i32_e32 vcc_lo, 0, v48
	s_mov_b32 s21, s20
	s_mov_b32 s22, s20
	;; [unrolled: 1-line block ×3, first 2 shown]
	v_xor_b32_e32 v0, v0, v47
	s_wait_alu 0xfffd
	v_cndmask_b32_e64 v1, 0x7fffffff, 0, vcc_lo
	v_cmp_gt_i32_e32 vcc_lo, 0, v45
	v_lshlrev_b32_e32 v26, 5, v7
	s_load_b32 s19, s[0:1], 0x0
	v_cmp_gt_u32_e64 s15, 16, v40
	v_xor_b32_e32 v1, v1, v48
	v_cndmask_b32_e64 v2, 0x7fffffff, 0, vcc_lo
	v_cmp_gt_i32_e32 vcc_lo, 0, v46
	v_cmp_lt_u32_e64 s16, 31, v40
	v_cmp_eq_u32_e64 s17, 0, v40
	v_add_nc_u32_e32 v48, -4, v88
	v_xor_b32_e32 v2, v2, v45
	s_wait_alu 0xfffd
	v_cndmask_b32_e64 v3, 0x7fffffff, 0, vcc_lo
	v_cmp_gt_i32_e32 vcc_lo, 0, v43
	v_lshlrev_b32_e32 v45, 2, v25
	v_add_nc_u32_e32 v50, v87, v90
	s_delay_alu instid0(VALU_DEP_4) | instskip(SKIP_4) | instid1(VALU_DEP_3)
	v_xor_b32_e32 v3, v3, v46
	s_wait_alu 0xfffd
	v_cndmask_b32_e64 v4, 0x7fffffff, 0, vcc_lo
	v_cmp_gt_i32_e32 vcc_lo, 0, v44
	v_add_nc_u32_e32 v46, v45, v45
	v_xor_b32_e32 v4, v4, v43
	s_wait_alu 0xfffd
	v_cndmask_b32_e64 v5, 0x7fffffff, 0, vcc_lo
	v_cmp_gt_i32_e32 vcc_lo, 0, v41
	s_delay_alu instid0(VALU_DEP_2) | instskip(SKIP_3) | instid1(VALU_DEP_2)
	v_xor_b32_e32 v5, v5, v44
	s_wait_alu 0xfffd
	v_cndmask_b32_e64 v6, 0x7fffffff, 0, vcc_lo
	v_cmp_gt_i32_e32 vcc_lo, 0, v42
	v_xor_b32_e32 v6, v6, v41
	s_wait_alu 0xfffd
	v_cndmask_b32_e64 v24, 0x7fffffff, 0, vcc_lo
	s_delay_alu instid0(VALU_DEP_1)
	v_xor_b32_e32 v7, v24, v42
	ds_store_b128 v26, v[0:3]
	ds_store_b128 v26, v[4:7] offset:16
	v_add_nc_u32_e32 v0, v26, v26
	; wave barrier
	s_wait_dscnt 0x3
	ds_load_2addr_b32 v[36:37], v45 offset1:32
	ds_load_2addr_b32 v[38:39], v45 offset0:64 offset1:96
	ds_load_2addr_b32 v[41:42], v45 offset0:128 offset1:160
	;; [unrolled: 1-line block ×3, first 2 shown]
	s_wait_loadcnt_dscnt 0x0
	s_barrier_signal -1
	s_barrier_wait -1
	global_inv scope:SCOPE_SE
	ds_store_b128 v0, v[20:23]
	ds_store_b128 v0, v[16:19] offset:16
	ds_store_b128 v0, v[12:15] offset:32
	;; [unrolled: 1-line block ×3, first 2 shown]
	; wave barrier
	ds_load_2addr_b64 v[4:7], v46 offset1:32
	ds_load_2addr_b64 v[8:11], v46 offset0:64 offset1:96
	ds_load_2addr_b64 v[12:15], v46 offset0:128 offset1:160
	;; [unrolled: 1-line block ×3, first 2 shown]
	s_wait_loadcnt_dscnt 0x0
	s_barrier_signal -1
	s_barrier_wait -1
	global_inv scope:SCOPE_SE
	s_load_b32 s10, s[34:35], 0xc
	v_and_b32_e32 v2, 15, v91
	v_and_b32_e32 v20, 16, v91
	s_delay_alu instid0(VALU_DEP_2) | instskip(SKIP_1) | instid1(VALU_DEP_3)
	v_cmp_lt_u32_e64 s1, 1, v2
	v_cmp_lt_u32_e64 s12, 7, v2
	v_cmp_eq_u32_e64 s13, 0, v20
	s_wait_kmcnt 0x0
	s_lshr_b32 s11, s10, 16
	s_and_b32 s0, s10, 0xffff
	s_wait_alu 0xfffe
	v_mad_u32_u24 v0, v94, s11, v93
	v_sub_co_u32 v3, s10, v91, 1
	v_cmp_lt_u32_e64 s11, 3, v2
	s_delay_alu instid0(VALU_DEP_3) | instskip(SKIP_1) | instid1(VALU_DEP_4)
	v_mad_co_u64_u32 v[0:1], null, v0, s0, v[40:41]
	v_min_u32_e32 v1, 0x1e0, v92
	v_cmp_gt_i32_e32 vcc_lo, 0, v3
	v_cmp_eq_u32_e64 s0, 0, v2
	s_delay_alu instid0(VALU_DEP_3) | instskip(SKIP_3) | instid1(VALU_DEP_3)
	v_or_b32_e32 v1, 31, v1
	s_wait_alu 0xfffd
	v_cndmask_b32_e32 v2, v3, v91, vcc_lo
	v_lshrrev_b32_e32 v0, 3, v0
	v_cmp_eq_u32_e64 s14, v40, v1
	s_delay_alu instid0(VALU_DEP_3) | instskip(NEXT) | instid1(VALU_DEP_3)
	v_lshlrev_b32_e32 v47, 2, v2
	v_dual_mov_b32 v0, s20 :: v_dual_and_b32 v49, 0x1ffffffc, v0
	v_dual_mov_b32 v1, s21 :: v_dual_mov_b32 v2, s22
	v_mov_b32_e32 v3, s23
	s_mov_b32 s21, 32
	s_branch .LBB215_81
.LBB215_80:                             ;   in Loop: Header=BB215_81 Depth=1
	s_wait_alu 0xfffe
	s_and_not1_b32 vcc_lo, exec_lo, s18
	s_wait_alu 0xfffe
	s_cbranch_vccz .LBB215_105
.LBB215_81:                             ; =>This Inner Loop Header: Depth=1
	s_wait_alu 0xfffe
	s_min_u32 s18, s19, s21
	ds_store_b128 v87, v[0:3] offset:64
	ds_store_b128 v87, v[0:3] offset:80
	s_wait_alu 0xfffe
	s_lshl_b32 s18, -1, s18
	s_wait_loadcnt_dscnt 0x0
	s_wait_alu 0xfffe
	s_not_b32 s22, s18
	v_mov_b32_e32 v51, v36
	s_barrier_signal -1
	s_barrier_wait -1
	global_inv scope:SCOPE_SE
	v_cmp_ne_u32_e32 vcc_lo, 0x80000000, v51
	; wave barrier
	v_mov_b32_e32 v53, v43
	v_mov_b32_e32 v55, v41
	s_wait_alu 0xfffd
	v_dual_mov_b32 v57, v38 :: v_dual_cndmask_b32 v20, 0x7fffffff, v51
	v_mov_b32_e32 v56, v39
	v_dual_mov_b32 v58, v37 :: v_dual_mov_b32 v31, v9
	v_mov_b32_e32 v30, v8
	s_delay_alu instid0(VALU_DEP_4) | instskip(SKIP_3) | instid1(VALU_DEP_3)
	v_lshrrev_b32_e32 v20, s20, v20
	v_dual_mov_b32 v33, v7 :: v_dual_mov_b32 v32, v6
	v_dual_mov_b32 v35, v5 :: v_dual_mov_b32 v34, v4
	s_wait_alu 0xfffe
	v_and_b32_e32 v36, s22, v20
	v_mov_b32_e32 v52, v44
	s_delay_alu instid0(VALU_DEP_2)
	v_dual_mov_b32 v54, v42 :: v_dual_lshlrev_b32 v23, 28, v36
	v_and_b32_e32 v20, 1, v36
	v_lshlrev_b32_e32 v21, 30, v36
	v_lshlrev_b32_e32 v22, 29, v36
	;; [unrolled: 1-line block ×4, first 2 shown]
	v_add_co_u32 v20, s18, v20, -1
	s_wait_alu 0xf1ff
	v_cndmask_b32_e64 v24, 0, 1, s18
	v_not_b32_e32 v28, v21
	v_cmp_gt_i32_e64 s18, 0, v21
	v_not_b32_e32 v21, v22
	v_lshlrev_b32_e32 v27, 25, v36
	v_cmp_ne_u32_e32 vcc_lo, 0, v24
	v_ashrrev_i32_e32 v28, 31, v28
	v_lshlrev_b32_e32 v24, 24, v36
	v_ashrrev_i32_e32 v21, 31, v21
	v_lshlrev_b32_e32 v4, 6, v36
	s_wait_alu 0xfffd
	v_xor_b32_e32 v20, vcc_lo, v20
	v_cmp_gt_i32_e32 vcc_lo, 0, v22
	v_not_b32_e32 v22, v23
	s_wait_alu 0xf1ff
	v_xor_b32_e32 v28, s18, v28
	v_cmp_gt_i32_e64 s18, 0, v23
	v_and_b32_e32 v20, exec_lo, v20
	v_not_b32_e32 v23, v25
	v_ashrrev_i32_e32 v22, 31, v22
	s_wait_alu 0xfffd
	v_xor_b32_e32 v21, vcc_lo, v21
	v_cmp_gt_i32_e32 vcc_lo, 0, v25
	v_and_b32_e32 v20, v20, v28
	v_not_b32_e32 v25, v26
	v_ashrrev_i32_e32 v23, 31, v23
	s_wait_alu 0xf1ff
	v_xor_b32_e32 v22, s18, v22
	v_cmp_gt_i32_e64 s18, 0, v26
	v_and_b32_e32 v20, v20, v21
	v_not_b32_e32 v21, v27
	v_ashrrev_i32_e32 v25, 31, v25
	s_wait_alu 0xfffd
	v_xor_b32_e32 v23, vcc_lo, v23
	v_cmp_gt_i32_e32 vcc_lo, 0, v27
	v_and_b32_e32 v20, v20, v22
	v_not_b32_e32 v22, v24
	v_ashrrev_i32_e32 v21, 31, v21
	s_wait_alu 0xf1ff
	v_xor_b32_e32 v25, s18, v25
	v_cmp_gt_i32_e64 s18, 0, v24
	v_and_b32_e32 v20, v20, v23
	v_ashrrev_i32_e32 v22, 31, v22
	s_wait_alu 0xfffd
	v_xor_b32_e32 v21, vcc_lo, v21
	v_dual_mov_b32 v27, v13 :: v_dual_mov_b32 v26, v12
	v_and_b32_e32 v20, v20, v25
	s_wait_alu 0xf1ff
	v_xor_b32_e32 v28, s18, v22
	v_dual_mov_b32 v25, v15 :: v_dual_mov_b32 v24, v14
	v_mov_b32_e32 v23, v17
	v_and_b32_e32 v29, v20, v21
	v_dual_mov_b32 v21, v19 :: v_dual_mov_b32 v20, v18
	v_dual_mov_b32 v22, v16 :: v_dual_add_nc_u32 v13, v49, v4
	s_delay_alu instid0(VALU_DEP_3) | instskip(SKIP_1) | instid1(VALU_DEP_2)
	v_dual_mov_b32 v29, v11 :: v_dual_and_b32 v14, v29, v28
	v_mov_b32_e32 v28, v10
	v_mbcnt_lo_u32_b32 v12, v14, 0
	v_cmp_ne_u32_e64 s18, 0, v14
	s_delay_alu instid0(VALU_DEP_2)
	v_cmp_eq_u32_e32 vcc_lo, 0, v12
	s_and_b32 s23, s18, vcc_lo
	s_wait_alu 0xfffe
	s_and_saveexec_b32 s18, s23
; %bb.82:                               ;   in Loop: Header=BB215_81 Depth=1
	v_bcnt_u32_b32 v4, v14, 0
	ds_store_b32 v13, v4 offset:64
; %bb.83:                               ;   in Loop: Header=BB215_81 Depth=1
	s_wait_alu 0xfffe
	s_or_b32 exec_lo, exec_lo, s18
	v_cmp_ne_u32_e32 vcc_lo, 0x80000000, v58
	; wave barrier
	s_wait_alu 0xfffd
	v_cndmask_b32_e32 v4, 0x7fffffff, v58, vcc_lo
	s_delay_alu instid0(VALU_DEP_1) | instskip(NEXT) | instid1(VALU_DEP_1)
	v_lshrrev_b32_e32 v4, s20, v4
	v_and_b32_e32 v4, s22, v4
	s_delay_alu instid0(VALU_DEP_1)
	v_and_b32_e32 v5, 1, v4
	v_lshlrev_b32_e32 v6, 30, v4
	v_lshlrev_b32_e32 v7, 29, v4
	;; [unrolled: 1-line block ×4, first 2 shown]
	v_add_co_u32 v5, s18, v5, -1
	s_wait_alu 0xf1ff
	v_cndmask_b32_e64 v9, 0, 1, s18
	v_not_b32_e32 v15, v6
	v_cmp_gt_i32_e64 s18, 0, v6
	v_not_b32_e32 v6, v7
	v_lshlrev_b32_e32 v11, 26, v4
	v_cmp_ne_u32_e32 vcc_lo, 0, v9
	v_ashrrev_i32_e32 v15, 31, v15
	v_lshlrev_b32_e32 v14, 25, v4
	v_ashrrev_i32_e32 v6, 31, v6
	v_lshlrev_b32_e32 v9, 24, v4
	s_wait_alu 0xfffd
	v_xor_b32_e32 v5, vcc_lo, v5
	v_cmp_gt_i32_e32 vcc_lo, 0, v7
	v_not_b32_e32 v7, v8
	s_wait_alu 0xf1ff
	v_xor_b32_e32 v15, s18, v15
	v_cmp_gt_i32_e64 s18, 0, v8
	v_and_b32_e32 v5, exec_lo, v5
	v_not_b32_e32 v8, v10
	v_ashrrev_i32_e32 v7, 31, v7
	s_wait_alu 0xfffd
	v_xor_b32_e32 v6, vcc_lo, v6
	v_cmp_gt_i32_e32 vcc_lo, 0, v10
	v_and_b32_e32 v5, v5, v15
	v_not_b32_e32 v10, v11
	v_ashrrev_i32_e32 v8, 31, v8
	s_wait_alu 0xf1ff
	v_xor_b32_e32 v7, s18, v7
	v_cmp_gt_i32_e64 s18, 0, v11
	v_and_b32_e32 v5, v5, v6
	v_not_b32_e32 v6, v14
	v_ashrrev_i32_e32 v10, 31, v10
	s_wait_alu 0xfffd
	v_xor_b32_e32 v8, vcc_lo, v8
	v_cmp_gt_i32_e32 vcc_lo, 0, v14
	v_and_b32_e32 v5, v5, v7
	v_not_b32_e32 v7, v9
	v_ashrrev_i32_e32 v6, 31, v6
	s_wait_alu 0xf1ff
	v_xor_b32_e32 v10, s18, v10
	v_lshlrev_b32_e32 v4, 6, v4
	v_and_b32_e32 v5, v5, v8
	v_cmp_gt_i32_e64 s18, 0, v9
	v_ashrrev_i32_e32 v7, 31, v7
	s_wait_alu 0xfffd
	v_xor_b32_e32 v6, vcc_lo, v6
	v_add_nc_u32_e32 v16, v49, v4
	v_and_b32_e32 v5, v5, v10
	s_wait_alu 0xf1ff
	v_xor_b32_e32 v4, s18, v7
	ds_load_b32 v14, v16 offset:64
	v_and_b32_e32 v5, v5, v6
	; wave barrier
	s_delay_alu instid0(VALU_DEP_1) | instskip(NEXT) | instid1(VALU_DEP_1)
	v_and_b32_e32 v4, v5, v4
	v_mbcnt_lo_u32_b32 v15, v4, 0
	v_cmp_ne_u32_e64 s18, 0, v4
	s_delay_alu instid0(VALU_DEP_2)
	v_cmp_eq_u32_e32 vcc_lo, 0, v15
	s_and_b32 s23, s18, vcc_lo
	s_wait_alu 0xfffe
	s_and_saveexec_b32 s18, s23
	s_cbranch_execz .LBB215_85
; %bb.84:                               ;   in Loop: Header=BB215_81 Depth=1
	s_wait_dscnt 0x0
	v_bcnt_u32_b32 v4, v4, v14
	ds_store_b32 v16, v4 offset:64
.LBB215_85:                             ;   in Loop: Header=BB215_81 Depth=1
	s_wait_alu 0xfffe
	s_or_b32 exec_lo, exec_lo, s18
	v_cmp_ne_u32_e32 vcc_lo, 0x80000000, v57
	; wave barrier
	s_wait_alu 0xfffd
	v_cndmask_b32_e32 v4, 0x7fffffff, v57, vcc_lo
	s_delay_alu instid0(VALU_DEP_1) | instskip(NEXT) | instid1(VALU_DEP_1)
	v_lshrrev_b32_e32 v4, s20, v4
	v_and_b32_e32 v4, s22, v4
	s_delay_alu instid0(VALU_DEP_1)
	v_and_b32_e32 v5, 1, v4
	v_lshlrev_b32_e32 v6, 30, v4
	v_lshlrev_b32_e32 v7, 29, v4
	;; [unrolled: 1-line block ×4, first 2 shown]
	v_add_co_u32 v5, s18, v5, -1
	s_wait_alu 0xf1ff
	v_cndmask_b32_e64 v9, 0, 1, s18
	v_not_b32_e32 v18, v6
	v_cmp_gt_i32_e64 s18, 0, v6
	v_not_b32_e32 v6, v7
	v_lshlrev_b32_e32 v11, 26, v4
	v_cmp_ne_u32_e32 vcc_lo, 0, v9
	v_ashrrev_i32_e32 v18, 31, v18
	v_lshlrev_b32_e32 v17, 25, v4
	v_ashrrev_i32_e32 v6, 31, v6
	v_lshlrev_b32_e32 v9, 24, v4
	s_wait_alu 0xfffd
	v_xor_b32_e32 v5, vcc_lo, v5
	v_cmp_gt_i32_e32 vcc_lo, 0, v7
	v_not_b32_e32 v7, v8
	s_wait_alu 0xf1ff
	v_xor_b32_e32 v18, s18, v18
	v_cmp_gt_i32_e64 s18, 0, v8
	v_and_b32_e32 v5, exec_lo, v5
	v_not_b32_e32 v8, v10
	v_ashrrev_i32_e32 v7, 31, v7
	s_wait_alu 0xfffd
	v_xor_b32_e32 v6, vcc_lo, v6
	v_cmp_gt_i32_e32 vcc_lo, 0, v10
	v_and_b32_e32 v5, v5, v18
	v_not_b32_e32 v10, v11
	v_ashrrev_i32_e32 v8, 31, v8
	s_wait_alu 0xf1ff
	v_xor_b32_e32 v7, s18, v7
	v_cmp_gt_i32_e64 s18, 0, v11
	v_and_b32_e32 v5, v5, v6
	v_not_b32_e32 v6, v17
	v_ashrrev_i32_e32 v10, 31, v10
	s_wait_alu 0xfffd
	v_xor_b32_e32 v8, vcc_lo, v8
	v_cmp_gt_i32_e32 vcc_lo, 0, v17
	v_and_b32_e32 v5, v5, v7
	v_not_b32_e32 v7, v9
	v_ashrrev_i32_e32 v6, 31, v6
	s_wait_alu 0xf1ff
	v_xor_b32_e32 v10, s18, v10
	v_lshlrev_b32_e32 v4, 6, v4
	v_and_b32_e32 v5, v5, v8
	v_cmp_gt_i32_e64 s18, 0, v9
	v_ashrrev_i32_e32 v7, 31, v7
	s_wait_alu 0xfffd
	v_xor_b32_e32 v6, vcc_lo, v6
	v_add_nc_u32_e32 v19, v49, v4
	v_and_b32_e32 v5, v5, v10
	s_wait_alu 0xf1ff
	v_xor_b32_e32 v4, s18, v7
	ds_load_b32 v17, v19 offset:64
	v_and_b32_e32 v5, v5, v6
	; wave barrier
	s_delay_alu instid0(VALU_DEP_1) | instskip(NEXT) | instid1(VALU_DEP_1)
	v_and_b32_e32 v4, v5, v4
	v_mbcnt_lo_u32_b32 v18, v4, 0
	v_cmp_ne_u32_e64 s18, 0, v4
	s_delay_alu instid0(VALU_DEP_2)
	v_cmp_eq_u32_e32 vcc_lo, 0, v18
	s_and_b32 s23, s18, vcc_lo
	s_wait_alu 0xfffe
	s_and_saveexec_b32 s18, s23
	s_cbranch_execz .LBB215_87
; %bb.86:                               ;   in Loop: Header=BB215_81 Depth=1
	s_wait_dscnt 0x0
	v_bcnt_u32_b32 v4, v4, v17
	ds_store_b32 v19, v4 offset:64
.LBB215_87:                             ;   in Loop: Header=BB215_81 Depth=1
	s_wait_alu 0xfffe
	s_or_b32 exec_lo, exec_lo, s18
	v_cmp_ne_u32_e32 vcc_lo, 0x80000000, v56
	; wave barrier
	s_wait_alu 0xfffd
	v_cndmask_b32_e32 v4, 0x7fffffff, v56, vcc_lo
	s_delay_alu instid0(VALU_DEP_1) | instskip(NEXT) | instid1(VALU_DEP_1)
	v_lshrrev_b32_e32 v4, s20, v4
	v_and_b32_e32 v4, s22, v4
	s_delay_alu instid0(VALU_DEP_1)
	v_and_b32_e32 v5, 1, v4
	v_lshlrev_b32_e32 v6, 30, v4
	v_lshlrev_b32_e32 v7, 29, v4
	;; [unrolled: 1-line block ×4, first 2 shown]
	v_add_co_u32 v5, s18, v5, -1
	s_wait_alu 0xf1ff
	v_cndmask_b32_e64 v9, 0, 1, s18
	v_not_b32_e32 v37, v6
	v_cmp_gt_i32_e64 s18, 0, v6
	v_not_b32_e32 v6, v7
	v_lshlrev_b32_e32 v11, 26, v4
	v_cmp_ne_u32_e32 vcc_lo, 0, v9
	v_ashrrev_i32_e32 v37, 31, v37
	v_lshlrev_b32_e32 v36, 25, v4
	v_ashrrev_i32_e32 v6, 31, v6
	v_lshlrev_b32_e32 v9, 24, v4
	s_wait_alu 0xfffd
	v_xor_b32_e32 v5, vcc_lo, v5
	v_cmp_gt_i32_e32 vcc_lo, 0, v7
	v_not_b32_e32 v7, v8
	s_wait_alu 0xf1ff
	v_xor_b32_e32 v37, s18, v37
	v_cmp_gt_i32_e64 s18, 0, v8
	v_and_b32_e32 v5, exec_lo, v5
	v_not_b32_e32 v8, v10
	v_ashrrev_i32_e32 v7, 31, v7
	s_wait_alu 0xfffd
	v_xor_b32_e32 v6, vcc_lo, v6
	v_cmp_gt_i32_e32 vcc_lo, 0, v10
	v_and_b32_e32 v5, v5, v37
	v_not_b32_e32 v10, v11
	v_ashrrev_i32_e32 v8, 31, v8
	s_wait_alu 0xf1ff
	v_xor_b32_e32 v7, s18, v7
	v_cmp_gt_i32_e64 s18, 0, v11
	v_and_b32_e32 v5, v5, v6
	v_not_b32_e32 v6, v36
	v_ashrrev_i32_e32 v10, 31, v10
	s_wait_alu 0xfffd
	v_xor_b32_e32 v8, vcc_lo, v8
	v_cmp_gt_i32_e32 vcc_lo, 0, v36
	v_and_b32_e32 v5, v5, v7
	v_not_b32_e32 v7, v9
	v_ashrrev_i32_e32 v6, 31, v6
	s_wait_alu 0xf1ff
	v_xor_b32_e32 v10, s18, v10
	v_lshlrev_b32_e32 v4, 6, v4
	v_and_b32_e32 v5, v5, v8
	v_cmp_gt_i32_e64 s18, 0, v9
	v_ashrrev_i32_e32 v7, 31, v7
	s_wait_alu 0xfffd
	v_xor_b32_e32 v6, vcc_lo, v6
	v_add_nc_u32_e32 v38, v49, v4
	v_and_b32_e32 v5, v5, v10
	s_wait_alu 0xf1ff
	v_xor_b32_e32 v4, s18, v7
	ds_load_b32 v36, v38 offset:64
	v_and_b32_e32 v5, v5, v6
	; wave barrier
	s_delay_alu instid0(VALU_DEP_1) | instskip(NEXT) | instid1(VALU_DEP_1)
	v_and_b32_e32 v4, v5, v4
	v_mbcnt_lo_u32_b32 v37, v4, 0
	v_cmp_ne_u32_e64 s18, 0, v4
	s_delay_alu instid0(VALU_DEP_2)
	v_cmp_eq_u32_e32 vcc_lo, 0, v37
	s_and_b32 s23, s18, vcc_lo
	s_wait_alu 0xfffe
	s_and_saveexec_b32 s18, s23
	s_cbranch_execz .LBB215_89
; %bb.88:                               ;   in Loop: Header=BB215_81 Depth=1
	s_wait_dscnt 0x0
	v_bcnt_u32_b32 v4, v4, v36
	ds_store_b32 v38, v4 offset:64
.LBB215_89:                             ;   in Loop: Header=BB215_81 Depth=1
	s_wait_alu 0xfffe
	s_or_b32 exec_lo, exec_lo, s18
	v_cmp_ne_u32_e32 vcc_lo, 0x80000000, v55
	; wave barrier
	s_wait_alu 0xfffd
	v_cndmask_b32_e32 v4, 0x7fffffff, v55, vcc_lo
	s_delay_alu instid0(VALU_DEP_1) | instskip(NEXT) | instid1(VALU_DEP_1)
	v_lshrrev_b32_e32 v4, s20, v4
	v_and_b32_e32 v4, s22, v4
	s_delay_alu instid0(VALU_DEP_1)
	v_and_b32_e32 v5, 1, v4
	v_lshlrev_b32_e32 v6, 30, v4
	v_lshlrev_b32_e32 v7, 29, v4
	;; [unrolled: 1-line block ×4, first 2 shown]
	v_add_co_u32 v5, s18, v5, -1
	s_wait_alu 0xf1ff
	v_cndmask_b32_e64 v9, 0, 1, s18
	v_not_b32_e32 v41, v6
	v_cmp_gt_i32_e64 s18, 0, v6
	v_not_b32_e32 v6, v7
	v_lshlrev_b32_e32 v11, 26, v4
	v_cmp_ne_u32_e32 vcc_lo, 0, v9
	v_ashrrev_i32_e32 v41, 31, v41
	v_lshlrev_b32_e32 v39, 25, v4
	v_ashrrev_i32_e32 v6, 31, v6
	v_lshlrev_b32_e32 v9, 24, v4
	s_wait_alu 0xfffd
	v_xor_b32_e32 v5, vcc_lo, v5
	v_cmp_gt_i32_e32 vcc_lo, 0, v7
	v_not_b32_e32 v7, v8
	s_wait_alu 0xf1ff
	v_xor_b32_e32 v41, s18, v41
	v_cmp_gt_i32_e64 s18, 0, v8
	v_and_b32_e32 v5, exec_lo, v5
	v_not_b32_e32 v8, v10
	v_ashrrev_i32_e32 v7, 31, v7
	s_wait_alu 0xfffd
	v_xor_b32_e32 v6, vcc_lo, v6
	v_cmp_gt_i32_e32 vcc_lo, 0, v10
	v_and_b32_e32 v5, v5, v41
	v_not_b32_e32 v10, v11
	v_ashrrev_i32_e32 v8, 31, v8
	s_wait_alu 0xf1ff
	v_xor_b32_e32 v7, s18, v7
	v_cmp_gt_i32_e64 s18, 0, v11
	v_and_b32_e32 v5, v5, v6
	v_not_b32_e32 v6, v39
	v_ashrrev_i32_e32 v10, 31, v10
	s_wait_alu 0xfffd
	v_xor_b32_e32 v8, vcc_lo, v8
	v_cmp_gt_i32_e32 vcc_lo, 0, v39
	v_and_b32_e32 v5, v5, v7
	v_not_b32_e32 v7, v9
	v_ashrrev_i32_e32 v6, 31, v6
	s_wait_alu 0xf1ff
	v_xor_b32_e32 v10, s18, v10
	v_lshlrev_b32_e32 v4, 6, v4
	v_and_b32_e32 v5, v5, v8
	v_cmp_gt_i32_e64 s18, 0, v9
	v_ashrrev_i32_e32 v7, 31, v7
	s_wait_alu 0xfffd
	v_xor_b32_e32 v6, vcc_lo, v6
	v_add_nc_u32_e32 v42, v49, v4
	v_and_b32_e32 v5, v5, v10
	s_wait_alu 0xf1ff
	v_xor_b32_e32 v4, s18, v7
	ds_load_b32 v39, v42 offset:64
	v_and_b32_e32 v5, v5, v6
	; wave barrier
	s_delay_alu instid0(VALU_DEP_1) | instskip(NEXT) | instid1(VALU_DEP_1)
	v_and_b32_e32 v4, v5, v4
	v_mbcnt_lo_u32_b32 v41, v4, 0
	v_cmp_ne_u32_e64 s18, 0, v4
	s_delay_alu instid0(VALU_DEP_2)
	v_cmp_eq_u32_e32 vcc_lo, 0, v41
	s_and_b32 s23, s18, vcc_lo
	s_wait_alu 0xfffe
	s_and_saveexec_b32 s18, s23
	s_cbranch_execz .LBB215_91
; %bb.90:                               ;   in Loop: Header=BB215_81 Depth=1
	s_wait_dscnt 0x0
	v_bcnt_u32_b32 v4, v4, v39
	ds_store_b32 v42, v4 offset:64
.LBB215_91:                             ;   in Loop: Header=BB215_81 Depth=1
	s_wait_alu 0xfffe
	s_or_b32 exec_lo, exec_lo, s18
	v_cmp_ne_u32_e32 vcc_lo, 0x80000000, v54
	; wave barrier
	s_wait_alu 0xfffd
	v_cndmask_b32_e32 v4, 0x7fffffff, v54, vcc_lo
	s_delay_alu instid0(VALU_DEP_1) | instskip(NEXT) | instid1(VALU_DEP_1)
	v_lshrrev_b32_e32 v4, s20, v4
	v_and_b32_e32 v4, s22, v4
	s_delay_alu instid0(VALU_DEP_1)
	v_and_b32_e32 v5, 1, v4
	v_lshlrev_b32_e32 v6, 30, v4
	v_lshlrev_b32_e32 v7, 29, v4
	v_lshlrev_b32_e32 v8, 28, v4
	v_lshlrev_b32_e32 v10, 27, v4
	v_add_co_u32 v5, s18, v5, -1
	s_wait_alu 0xf1ff
	v_cndmask_b32_e64 v9, 0, 1, s18
	v_not_b32_e32 v44, v6
	v_cmp_gt_i32_e64 s18, 0, v6
	v_not_b32_e32 v6, v7
	v_lshlrev_b32_e32 v11, 26, v4
	v_cmp_ne_u32_e32 vcc_lo, 0, v9
	v_ashrrev_i32_e32 v44, 31, v44
	v_lshlrev_b32_e32 v43, 25, v4
	v_ashrrev_i32_e32 v6, 31, v6
	v_lshlrev_b32_e32 v9, 24, v4
	s_wait_alu 0xfffd
	v_xor_b32_e32 v5, vcc_lo, v5
	v_cmp_gt_i32_e32 vcc_lo, 0, v7
	v_not_b32_e32 v7, v8
	s_wait_alu 0xf1ff
	v_xor_b32_e32 v44, s18, v44
	v_cmp_gt_i32_e64 s18, 0, v8
	v_and_b32_e32 v5, exec_lo, v5
	v_not_b32_e32 v8, v10
	v_ashrrev_i32_e32 v7, 31, v7
	s_wait_alu 0xfffd
	v_xor_b32_e32 v6, vcc_lo, v6
	v_cmp_gt_i32_e32 vcc_lo, 0, v10
	v_and_b32_e32 v5, v5, v44
	v_not_b32_e32 v10, v11
	v_ashrrev_i32_e32 v8, 31, v8
	s_wait_alu 0xf1ff
	v_xor_b32_e32 v7, s18, v7
	v_cmp_gt_i32_e64 s18, 0, v11
	v_and_b32_e32 v5, v5, v6
	v_not_b32_e32 v6, v43
	v_ashrrev_i32_e32 v10, 31, v10
	s_wait_alu 0xfffd
	v_xor_b32_e32 v8, vcc_lo, v8
	v_cmp_gt_i32_e32 vcc_lo, 0, v43
	v_and_b32_e32 v5, v5, v7
	v_not_b32_e32 v7, v9
	v_ashrrev_i32_e32 v6, 31, v6
	s_wait_alu 0xf1ff
	v_xor_b32_e32 v10, s18, v10
	v_lshlrev_b32_e32 v4, 6, v4
	v_and_b32_e32 v5, v5, v8
	v_cmp_gt_i32_e64 s18, 0, v9
	v_ashrrev_i32_e32 v7, 31, v7
	s_wait_alu 0xfffd
	v_xor_b32_e32 v6, vcc_lo, v6
	v_add_nc_u32_e32 v44, v49, v4
	v_and_b32_e32 v5, v5, v10
	s_wait_alu 0xf1ff
	v_xor_b32_e32 v4, s18, v7
	ds_load_b32 v43, v44 offset:64
	v_and_b32_e32 v5, v5, v6
	; wave barrier
	s_delay_alu instid0(VALU_DEP_1) | instskip(NEXT) | instid1(VALU_DEP_1)
	v_and_b32_e32 v4, v5, v4
	v_mbcnt_lo_u32_b32 v59, v4, 0
	v_cmp_ne_u32_e64 s18, 0, v4
	s_delay_alu instid0(VALU_DEP_2)
	v_cmp_eq_u32_e32 vcc_lo, 0, v59
	s_and_b32 s23, s18, vcc_lo
	s_wait_alu 0xfffe
	s_and_saveexec_b32 s18, s23
	s_cbranch_execz .LBB215_93
; %bb.92:                               ;   in Loop: Header=BB215_81 Depth=1
	s_wait_dscnt 0x0
	v_bcnt_u32_b32 v4, v4, v43
	ds_store_b32 v44, v4 offset:64
.LBB215_93:                             ;   in Loop: Header=BB215_81 Depth=1
	s_wait_alu 0xfffe
	s_or_b32 exec_lo, exec_lo, s18
	v_cmp_ne_u32_e32 vcc_lo, 0x80000000, v53
	; wave barrier
	s_wait_alu 0xfffd
	v_cndmask_b32_e32 v4, 0x7fffffff, v53, vcc_lo
	s_delay_alu instid0(VALU_DEP_1) | instskip(NEXT) | instid1(VALU_DEP_1)
	v_lshrrev_b32_e32 v4, s20, v4
	v_and_b32_e32 v4, s22, v4
	s_delay_alu instid0(VALU_DEP_1)
	v_and_b32_e32 v5, 1, v4
	v_lshlrev_b32_e32 v6, 30, v4
	v_lshlrev_b32_e32 v7, 29, v4
	;; [unrolled: 1-line block ×4, first 2 shown]
	v_add_co_u32 v5, s18, v5, -1
	s_wait_alu 0xf1ff
	v_cndmask_b32_e64 v9, 0, 1, s18
	v_not_b32_e32 v61, v6
	v_cmp_gt_i32_e64 s18, 0, v6
	v_not_b32_e32 v6, v7
	v_lshlrev_b32_e32 v11, 26, v4
	v_cmp_ne_u32_e32 vcc_lo, 0, v9
	v_ashrrev_i32_e32 v61, 31, v61
	v_lshlrev_b32_e32 v60, 25, v4
	v_ashrrev_i32_e32 v6, 31, v6
	v_lshlrev_b32_e32 v9, 24, v4
	s_wait_alu 0xfffd
	v_xor_b32_e32 v5, vcc_lo, v5
	v_cmp_gt_i32_e32 vcc_lo, 0, v7
	v_not_b32_e32 v7, v8
	s_wait_alu 0xf1ff
	v_xor_b32_e32 v61, s18, v61
	v_cmp_gt_i32_e64 s18, 0, v8
	v_and_b32_e32 v5, exec_lo, v5
	v_not_b32_e32 v8, v10
	v_ashrrev_i32_e32 v7, 31, v7
	s_wait_alu 0xfffd
	v_xor_b32_e32 v6, vcc_lo, v6
	v_cmp_gt_i32_e32 vcc_lo, 0, v10
	v_and_b32_e32 v5, v5, v61
	v_not_b32_e32 v10, v11
	v_ashrrev_i32_e32 v8, 31, v8
	s_wait_alu 0xf1ff
	v_xor_b32_e32 v7, s18, v7
	v_cmp_gt_i32_e64 s18, 0, v11
	v_and_b32_e32 v5, v5, v6
	v_not_b32_e32 v6, v60
	v_ashrrev_i32_e32 v10, 31, v10
	s_wait_alu 0xfffd
	v_xor_b32_e32 v8, vcc_lo, v8
	v_cmp_gt_i32_e32 vcc_lo, 0, v60
	v_and_b32_e32 v5, v5, v7
	v_not_b32_e32 v7, v9
	v_ashrrev_i32_e32 v6, 31, v6
	s_wait_alu 0xf1ff
	v_xor_b32_e32 v10, s18, v10
	v_lshlrev_b32_e32 v4, 6, v4
	v_and_b32_e32 v5, v5, v8
	v_cmp_gt_i32_e64 s18, 0, v9
	v_ashrrev_i32_e32 v7, 31, v7
	s_wait_alu 0xfffd
	v_xor_b32_e32 v6, vcc_lo, v6
	v_add_nc_u32_e32 v61, v49, v4
	v_and_b32_e32 v5, v5, v10
	s_wait_alu 0xf1ff
	v_xor_b32_e32 v4, s18, v7
	ds_load_b32 v60, v61 offset:64
	v_and_b32_e32 v5, v5, v6
	; wave barrier
	s_delay_alu instid0(VALU_DEP_1) | instskip(NEXT) | instid1(VALU_DEP_1)
	v_and_b32_e32 v4, v5, v4
	v_mbcnt_lo_u32_b32 v62, v4, 0
	v_cmp_ne_u32_e64 s18, 0, v4
	s_delay_alu instid0(VALU_DEP_2)
	v_cmp_eq_u32_e32 vcc_lo, 0, v62
	s_and_b32 s23, s18, vcc_lo
	s_wait_alu 0xfffe
	s_and_saveexec_b32 s18, s23
	s_cbranch_execz .LBB215_95
; %bb.94:                               ;   in Loop: Header=BB215_81 Depth=1
	s_wait_dscnt 0x0
	v_bcnt_u32_b32 v4, v4, v60
	ds_store_b32 v61, v4 offset:64
.LBB215_95:                             ;   in Loop: Header=BB215_81 Depth=1
	s_wait_alu 0xfffe
	s_or_b32 exec_lo, exec_lo, s18
	v_cmp_ne_u32_e32 vcc_lo, 0x80000000, v52
	; wave barrier
	s_wait_alu 0xfffd
	v_cndmask_b32_e32 v4, 0x7fffffff, v52, vcc_lo
	s_delay_alu instid0(VALU_DEP_1) | instskip(NEXT) | instid1(VALU_DEP_1)
	v_lshrrev_b32_e32 v4, s20, v4
	v_and_b32_e32 v4, s22, v4
	s_delay_alu instid0(VALU_DEP_1)
	v_and_b32_e32 v5, 1, v4
	v_lshlrev_b32_e32 v6, 30, v4
	v_lshlrev_b32_e32 v7, 29, v4
	v_lshlrev_b32_e32 v8, 28, v4
	v_lshlrev_b32_e32 v10, 27, v4
	v_add_co_u32 v5, s18, v5, -1
	s_wait_alu 0xf1ff
	v_cndmask_b32_e64 v9, 0, 1, s18
	v_not_b32_e32 v64, v6
	v_cmp_gt_i32_e64 s18, 0, v6
	v_not_b32_e32 v6, v7
	v_lshlrev_b32_e32 v11, 26, v4
	v_cmp_ne_u32_e32 vcc_lo, 0, v9
	v_ashrrev_i32_e32 v64, 31, v64
	v_lshlrev_b32_e32 v63, 25, v4
	v_ashrrev_i32_e32 v6, 31, v6
	v_lshlrev_b32_e32 v9, 24, v4
	s_wait_alu 0xfffd
	v_xor_b32_e32 v5, vcc_lo, v5
	v_cmp_gt_i32_e32 vcc_lo, 0, v7
	v_not_b32_e32 v7, v8
	s_wait_alu 0xf1ff
	v_xor_b32_e32 v64, s18, v64
	v_cmp_gt_i32_e64 s18, 0, v8
	v_and_b32_e32 v5, exec_lo, v5
	v_not_b32_e32 v8, v10
	v_ashrrev_i32_e32 v7, 31, v7
	s_wait_alu 0xfffd
	v_xor_b32_e32 v6, vcc_lo, v6
	v_cmp_gt_i32_e32 vcc_lo, 0, v10
	v_and_b32_e32 v5, v5, v64
	v_not_b32_e32 v10, v11
	v_ashrrev_i32_e32 v8, 31, v8
	s_wait_alu 0xf1ff
	v_xor_b32_e32 v7, s18, v7
	v_cmp_gt_i32_e64 s18, 0, v11
	v_and_b32_e32 v5, v5, v6
	v_not_b32_e32 v6, v63
	v_ashrrev_i32_e32 v10, 31, v10
	s_wait_alu 0xfffd
	v_xor_b32_e32 v8, vcc_lo, v8
	v_cmp_gt_i32_e32 vcc_lo, 0, v63
	v_and_b32_e32 v5, v5, v7
	v_not_b32_e32 v7, v9
	v_ashrrev_i32_e32 v6, 31, v6
	s_wait_alu 0xf1ff
	v_xor_b32_e32 v10, s18, v10
	v_lshlrev_b32_e32 v4, 6, v4
	v_and_b32_e32 v5, v5, v8
	v_cmp_gt_i32_e64 s18, 0, v9
	v_ashrrev_i32_e32 v7, 31, v7
	s_wait_alu 0xfffd
	v_xor_b32_e32 v6, vcc_lo, v6
	v_add_nc_u32_e32 v63, v49, v4
	v_and_b32_e32 v5, v5, v10
	s_wait_alu 0xf1ff
	v_xor_b32_e32 v4, s18, v7
	ds_load_b32 v68, v63 offset:64
	v_and_b32_e32 v5, v5, v6
	; wave barrier
	s_delay_alu instid0(VALU_DEP_1) | instskip(NEXT) | instid1(VALU_DEP_1)
	v_and_b32_e32 v4, v5, v4
	v_mbcnt_lo_u32_b32 v89, v4, 0
	v_cmp_ne_u32_e64 s18, 0, v4
	s_delay_alu instid0(VALU_DEP_2)
	v_cmp_eq_u32_e32 vcc_lo, 0, v89
	s_and_b32 s22, s18, vcc_lo
	s_wait_alu 0xfffe
	s_and_saveexec_b32 s18, s22
	s_cbranch_execz .LBB215_97
; %bb.96:                               ;   in Loop: Header=BB215_81 Depth=1
	s_wait_dscnt 0x0
	v_bcnt_u32_b32 v4, v4, v68
	ds_store_b32 v63, v4 offset:64
.LBB215_97:                             ;   in Loop: Header=BB215_81 Depth=1
	s_wait_alu 0xfffe
	s_or_b32 exec_lo, exec_lo, s18
	; wave barrier
	s_wait_loadcnt_dscnt 0x0
	s_barrier_signal -1
	s_barrier_wait -1
	global_inv scope:SCOPE_SE
	ds_load_b128 v[8:11], v87 offset:64
	ds_load_b128 v[4:7], v87 offset:80
	s_wait_dscnt 0x1
	v_add_nc_u32_e32 v64, v9, v8
	s_delay_alu instid0(VALU_DEP_1) | instskip(SKIP_1) | instid1(VALU_DEP_1)
	v_add3_u32 v64, v64, v10, v11
	s_wait_dscnt 0x0
	v_add3_u32 v64, v64, v4, v5
	s_delay_alu instid0(VALU_DEP_1) | instskip(NEXT) | instid1(VALU_DEP_1)
	v_add3_u32 v7, v64, v6, v7
	v_mov_b32_dpp v64, v7 row_shr:1 row_mask:0xf bank_mask:0xf
	s_delay_alu instid0(VALU_DEP_1) | instskip(NEXT) | instid1(VALU_DEP_1)
	v_cndmask_b32_e64 v64, v64, 0, s0
	v_add_nc_u32_e32 v7, v64, v7
	s_delay_alu instid0(VALU_DEP_1) | instskip(NEXT) | instid1(VALU_DEP_1)
	v_mov_b32_dpp v64, v7 row_shr:2 row_mask:0xf bank_mask:0xf
	v_cndmask_b32_e64 v64, 0, v64, s1
	s_delay_alu instid0(VALU_DEP_1) | instskip(NEXT) | instid1(VALU_DEP_1)
	v_add_nc_u32_e32 v7, v7, v64
	v_mov_b32_dpp v64, v7 row_shr:4 row_mask:0xf bank_mask:0xf
	s_delay_alu instid0(VALU_DEP_1) | instskip(NEXT) | instid1(VALU_DEP_1)
	v_cndmask_b32_e64 v64, 0, v64, s11
	v_add_nc_u32_e32 v7, v7, v64
	s_delay_alu instid0(VALU_DEP_1) | instskip(NEXT) | instid1(VALU_DEP_1)
	v_mov_b32_dpp v64, v7 row_shr:8 row_mask:0xf bank_mask:0xf
	v_cndmask_b32_e64 v64, 0, v64, s12
	s_delay_alu instid0(VALU_DEP_1) | instskip(SKIP_3) | instid1(VALU_DEP_1)
	v_add_nc_u32_e32 v7, v7, v64
	ds_swizzle_b32 v64, v7 offset:swizzle(BROADCAST,32,15)
	s_wait_dscnt 0x0
	v_cndmask_b32_e64 v64, v64, 0, s13
	v_add_nc_u32_e32 v7, v7, v64
	s_and_saveexec_b32 s18, s14
; %bb.98:                               ;   in Loop: Header=BB215_81 Depth=1
	ds_store_b32 v88, v7
; %bb.99:                               ;   in Loop: Header=BB215_81 Depth=1
	s_wait_alu 0xfffe
	s_or_b32 exec_lo, exec_lo, s18
	s_wait_loadcnt_dscnt 0x0
	s_barrier_signal -1
	s_barrier_wait -1
	global_inv scope:SCOPE_SE
	s_and_saveexec_b32 s18, s15
	s_cbranch_execz .LBB215_101
; %bb.100:                              ;   in Loop: Header=BB215_81 Depth=1
	ds_load_b32 v64, v50
	s_wait_dscnt 0x0
	v_mov_b32_dpp v65, v64 row_shr:1 row_mask:0xf bank_mask:0xf
	s_delay_alu instid0(VALU_DEP_1) | instskip(NEXT) | instid1(VALU_DEP_1)
	v_cndmask_b32_e64 v65, v65, 0, s0
	v_add_nc_u32_e32 v64, v65, v64
	s_delay_alu instid0(VALU_DEP_1) | instskip(NEXT) | instid1(VALU_DEP_1)
	v_mov_b32_dpp v65, v64 row_shr:2 row_mask:0xf bank_mask:0xf
	v_cndmask_b32_e64 v65, 0, v65, s1
	s_delay_alu instid0(VALU_DEP_1) | instskip(NEXT) | instid1(VALU_DEP_1)
	v_add_nc_u32_e32 v64, v64, v65
	v_mov_b32_dpp v65, v64 row_shr:4 row_mask:0xf bank_mask:0xf
	s_delay_alu instid0(VALU_DEP_1) | instskip(NEXT) | instid1(VALU_DEP_1)
	v_cndmask_b32_e64 v65, 0, v65, s11
	v_add_nc_u32_e32 v64, v64, v65
	s_delay_alu instid0(VALU_DEP_1) | instskip(NEXT) | instid1(VALU_DEP_1)
	v_mov_b32_dpp v65, v64 row_shr:8 row_mask:0xf bank_mask:0xf
	v_cndmask_b32_e64 v65, 0, v65, s12
	s_delay_alu instid0(VALU_DEP_1)
	v_add_nc_u32_e32 v64, v64, v65
	ds_store_b32 v50, v64
.LBB215_101:                            ;   in Loop: Header=BB215_81 Depth=1
	s_wait_alu 0xfffe
	s_or_b32 exec_lo, exec_lo, s18
	v_mov_b32_e32 v64, 0
	s_wait_loadcnt_dscnt 0x0
	s_barrier_signal -1
	s_barrier_wait -1
	global_inv scope:SCOPE_SE
	s_and_saveexec_b32 s18, s16
; %bb.102:                              ;   in Loop: Header=BB215_81 Depth=1
	ds_load_b32 v64, v48
; %bb.103:                              ;   in Loop: Header=BB215_81 Depth=1
	s_wait_alu 0xfffe
	s_or_b32 exec_lo, exec_lo, s18
	s_wait_dscnt 0x0
	v_add_nc_u32_e32 v7, v64, v7
	s_cmp_gt_u32 s20, 23
	s_mov_b32 s18, -1
	ds_bpermute_b32 v7, v47, v7
	s_wait_dscnt 0x0
	v_cndmask_b32_e64 v7, v7, v64, s10
	s_delay_alu instid0(VALU_DEP_1) | instskip(NEXT) | instid1(VALU_DEP_1)
	v_cndmask_b32_e64 v7, v7, 0, s17
	v_add_nc_u32_e32 v8, v7, v8
	s_delay_alu instid0(VALU_DEP_1) | instskip(NEXT) | instid1(VALU_DEP_1)
	v_add_nc_u32_e32 v9, v8, v9
	v_add_nc_u32_e32 v10, v9, v10
	s_delay_alu instid0(VALU_DEP_1) | instskip(NEXT) | instid1(VALU_DEP_1)
	v_add_nc_u32_e32 v64, v10, v11
	v_add_nc_u32_e32 v65, v64, v4
	s_delay_alu instid0(VALU_DEP_1) | instskip(NEXT) | instid1(VALU_DEP_1)
	v_add_nc_u32_e32 v66, v65, v5
	v_add_nc_u32_e32 v67, v66, v6
	ds_store_b128 v87, v[7:10] offset:64
	ds_store_b128 v87, v[64:67] offset:80
	s_wait_loadcnt_dscnt 0x0
	s_barrier_signal -1
	s_barrier_wait -1
	global_inv scope:SCOPE_SE
	ds_load_b32 v4, v13 offset:64
	ds_load_b32 v5, v16 offset:64
	;; [unrolled: 1-line block ×8, first 2 shown]
	s_wait_dscnt 0x7
	v_add_nc_u32_e32 v67, v4, v12
	s_wait_dscnt 0x6
	v_add3_u32 v66, v15, v14, v5
	s_wait_dscnt 0x5
	v_add3_u32 v65, v18, v17, v6
	;; [unrolled: 2-line block ×7, first 2 shown]
                                        ; implicit-def: $vgpr44
                                        ; implicit-def: $vgpr42
                                        ; implicit-def: $vgpr39
                                        ; implicit-def: $vgpr37
                                        ; implicit-def: $vgpr18_vgpr19
                                        ; implicit-def: $vgpr14_vgpr15
                                        ; implicit-def: $vgpr10_vgpr11
                                        ; implicit-def: $vgpr6_vgpr7
	s_cbranch_scc1 .LBB215_80
; %bb.104:                              ;   in Loop: Header=BB215_81 Depth=1
	v_lshlrev_b32_e32 v4, 2, v67
	v_lshlrev_b32_e32 v5, 2, v66
	;; [unrolled: 1-line block ×3, first 2 shown]
	s_wait_loadcnt 0x0
	s_barrier_signal -1
	s_barrier_wait -1
	global_inv scope:SCOPE_SE
	ds_store_b32 v4, v51
	ds_store_b32 v5, v58
	;; [unrolled: 1-line block ×3, first 2 shown]
	v_lshlrev_b32_e32 v7, 2, v64
	v_add_nc_u32_e32 v4, v4, v4
	v_lshlrev_b32_e32 v8, 2, v63
	v_add_nc_u32_e32 v5, v5, v5
	;; [unrolled: 2-line block ×3, first 2 shown]
	v_lshlrev_b32_e32 v10, 2, v60
	v_lshlrev_b32_e32 v11, 2, v59
	ds_store_b32 v7, v56
	ds_store_b32 v8, v55
	;; [unrolled: 1-line block ×5, first 2 shown]
	s_wait_loadcnt_dscnt 0x0
	s_barrier_signal -1
	s_barrier_wait -1
	global_inv scope:SCOPE_SE
	ds_load_2addr_b32 v[36:37], v45 offset1:32
	ds_load_2addr_b32 v[38:39], v45 offset0:64 offset1:96
	ds_load_2addr_b32 v[41:42], v45 offset0:128 offset1:160
	;; [unrolled: 1-line block ×3, first 2 shown]
	s_wait_loadcnt_dscnt 0x0
	s_barrier_signal -1
	s_barrier_wait -1
	global_inv scope:SCOPE_SE
	ds_store_b64 v4, v[34:35]
	ds_store_b64 v5, v[32:33]
	ds_store_b64 v6, v[30:31]
	v_add_nc_u32_e32 v4, v7, v7
	v_add_nc_u32_e32 v5, v8, v8
	;; [unrolled: 1-line block ×5, first 2 shown]
	ds_store_b64 v4, v[28:29]
	ds_store_b64 v5, v[26:27]
	;; [unrolled: 1-line block ×5, first 2 shown]
	s_wait_loadcnt_dscnt 0x0
	s_barrier_signal -1
	s_barrier_wait -1
	global_inv scope:SCOPE_SE
	ds_load_2addr_b64 v[4:7], v46 offset1:32
	ds_load_2addr_b64 v[8:11], v46 offset0:64 offset1:96
	ds_load_2addr_b64 v[12:15], v46 offset0:128 offset1:160
	;; [unrolled: 1-line block ×3, first 2 shown]
	s_add_co_i32 s20, s20, 8
	s_add_co_i32 s21, s21, -8
	s_mov_b32 s18, 0
	s_wait_loadcnt_dscnt 0x0
	s_barrier_signal -1
	s_barrier_wait -1
	global_inv scope:SCOPE_SE
	s_branch .LBB215_80
.LBB215_105:
	v_lshlrev_b32_e32 v8, 2, v67
	v_lshlrev_b32_e32 v11, 2, v64
	;; [unrolled: 1-line block ×8, first 2 shown]
	s_wait_loadcnt 0x0
	s_barrier_signal -1
	s_barrier_wait -1
	global_inv scope:SCOPE_SE
	ds_store_b32 v8, v51
	ds_store_b32 v9, v58
	;; [unrolled: 1-line block ×8, first 2 shown]
	s_wait_loadcnt_dscnt 0x0
	s_barrier_signal -1
	s_barrier_wait -1
	global_inv scope:SCOPE_SE
	ds_load_b128 v[0:3], v87
	ds_load_b128 v[4:7], v87 offset:16
	v_add_nc_u32_e32 v8, v8, v8
	v_add_nc_u32_e32 v9, v9, v9
	;; [unrolled: 1-line block ×3, first 2 shown]
	s_wait_loadcnt_dscnt 0x0
	s_barrier_signal -1
	s_barrier_wait -1
	global_inv scope:SCOPE_SE
	ds_store_b64 v8, v[34:35]
	ds_store_b64 v9, v[32:33]
	;; [unrolled: 1-line block ×3, first 2 shown]
	v_add_nc_u32_e32 v8, v11, v11
	v_add_nc_u32_e32 v9, v12, v12
	;; [unrolled: 1-line block ×5, first 2 shown]
	ds_store_b64 v8, v[28:29]
	ds_store_b64 v9, v[26:27]
	;; [unrolled: 1-line block ×5, first 2 shown]
	v_lshl_add_u32 v8, v40, 5, v87
	s_wait_loadcnt_dscnt 0x0
	s_barrier_signal -1
	s_barrier_wait -1
	v_cmp_gt_i32_e32 vcc_lo, 0, v0
	global_inv scope:SCOPE_SE
	ds_load_b128 v[28:31], v8
	ds_load_b128 v[24:27], v8 offset:16
	ds_load_b128 v[36:39], v8 offset:32
	;; [unrolled: 1-line block ×3, first 2 shown]
	s_wait_alu 0xfffd
	v_cndmask_b32_e64 v9, 0x7fffffff, 0, vcc_lo
	v_cmp_gt_i32_e32 vcc_lo, 0, v1
	s_delay_alu instid0(VALU_DEP_2) | instskip(SKIP_3) | instid1(VALU_DEP_2)
	v_xor_b32_e32 v0, v9, v0
	s_wait_alu 0xfffd
	v_cndmask_b32_e64 v10, 0x7fffffff, 0, vcc_lo
	v_cmp_gt_i32_e32 vcc_lo, 0, v2
	v_xor_b32_e32 v1, v10, v1
	s_wait_alu 0xfffd
	v_cndmask_b32_e64 v11, 0x7fffffff, 0, vcc_lo
	v_cmp_gt_i32_e32 vcc_lo, 0, v3
	s_delay_alu instid0(VALU_DEP_2) | instskip(SKIP_3) | instid1(VALU_DEP_2)
	v_xor_b32_e32 v2, v11, v2
	s_wait_alu 0xfffd
	v_cndmask_b32_e64 v8, 0x7fffffff, 0, vcc_lo
	v_cmp_gt_i32_e32 vcc_lo, 0, v4
	v_xor_b32_e32 v3, v8, v3
	;; [unrolled: 9-line block ×3, first 2 shown]
	s_wait_alu 0xfffd
	v_cndmask_b32_e64 v11, 0x7fffffff, 0, vcc_lo
	v_cmp_gt_i32_e32 vcc_lo, 0, v7
	s_delay_alu instid0(VALU_DEP_2) | instskip(SKIP_2) | instid1(VALU_DEP_1)
	v_xor_b32_e32 v6, v11, v6
	s_wait_alu 0xfffd
	v_cndmask_b32_e64 v12, 0x7fffffff, 0, vcc_lo
	v_xor_b32_e32 v7, v12, v7
.LBB215_106:
	v_mad_co_u64_u32 v[9:10], null, s24, v40, 0
	s_wait_loadcnt_dscnt 0x0
	s_barrier_signal -1
	s_barrier_wait -1
	global_inv scope:SCOPE_SE
	ds_store_2addr_b32 v77, v0, v1 offset1:1
	ds_store_2addr_b32 v77, v2, v3 offset0:2 offset1:3
	ds_store_2addr_b32 v77, v4, v5 offset0:4 offset1:5
	;; [unrolled: 1-line block ×3, first 2 shown]
	s_wait_loadcnt_dscnt 0x0
	v_mov_b32_e32 v0, v10
	s_barrier_signal -1
	s_barrier_wait -1
	global_inv scope:SCOPE_SE
	ds_load_b32 v8, v70 offset:2048
	ds_load_b32 v7, v71 offset:4096
	;; [unrolled: 1-line block ×7, first 2 shown]
	v_mad_co_u64_u32 v[0:1], null, s25, v40, v[0:1]
	s_delay_alu instid0(VALU_DEP_1) | instskip(NEXT) | instid1(VALU_DEP_1)
	v_mov_b32_e32 v10, v0
	v_lshlrev_b64_e32 v[0:1], 2, v[9:10]
	s_delay_alu instid0(VALU_DEP_1) | instskip(SKIP_1) | instid1(VALU_DEP_2)
	v_add_co_u32 v0, vcc_lo, s28, v0
	s_wait_alu 0xfffd
	v_add_co_ci_u32_e64 v1, null, s29, v1, vcc_lo
	s_and_saveexec_b32 s0, s2
	s_cbranch_execnz .LBB215_125
; %bb.107:
	s_wait_alu 0xfffe
	s_or_b32 exec_lo, exec_lo, s0
	s_and_saveexec_b32 s0, s3
	s_cbranch_execnz .LBB215_126
.LBB215_108:
	s_wait_alu 0xfffe
	s_or_b32 exec_lo, exec_lo, s0
	s_and_saveexec_b32 s0, s4
	s_cbranch_execnz .LBB215_127
.LBB215_109:
	s_wait_alu 0xfffe
	s_or_b32 exec_lo, exec_lo, s0
	s_and_saveexec_b32 s0, s5
	s_cbranch_execnz .LBB215_128
.LBB215_110:
	s_wait_alu 0xfffe
	s_or_b32 exec_lo, exec_lo, s0
	s_and_saveexec_b32 s0, s6
	s_cbranch_execnz .LBB215_129
.LBB215_111:
	s_wait_alu 0xfffe
	s_or_b32 exec_lo, exec_lo, s0
	s_and_saveexec_b32 s0, s7
	s_cbranch_execnz .LBB215_130
.LBB215_112:
	s_wait_alu 0xfffe
	s_or_b32 exec_lo, exec_lo, s0
	s_and_saveexec_b32 s0, s8
	s_cbranch_execnz .LBB215_131
.LBB215_113:
	s_wait_alu 0xfffe
	s_or_b32 exec_lo, exec_lo, s0
	s_and_saveexec_b32 s0, s9
	s_cbranch_execz .LBB215_115
.LBB215_114:
	v_mad_co_u64_u32 v[0:1], null, 0x3800, s24, v[0:1]
	s_wait_dscnt 0x0
	s_delay_alu instid0(VALU_DEP_1) | instskip(NEXT) | instid1(VALU_DEP_1)
	v_mad_co_u64_u32 v[3:4], null, 0x3800, s25, v[1:2]
	v_mov_b32_e32 v1, v3
	global_store_b32 v[0:1], v2, off
.LBB215_115:
	s_wait_alu 0xfffe
	s_or_b32 exec_lo, exec_lo, s0
	s_wait_dscnt 0x0
	v_mad_co_u64_u32 v[2:3], null, s26, v40, 0
	s_wait_loadcnt 0x0
	s_wait_storecnt 0x0
	s_barrier_signal -1
	s_barrier_wait -1
	global_inv scope:SCOPE_SE
	ds_store_2addr_b64 v86, v[28:29], v[30:31] offset1:1
	ds_store_2addr_b64 v86, v[24:25], v[26:27] offset0:2 offset1:3
	ds_store_2addr_b64 v86, v[36:37], v[38:39] offset0:4 offset1:5
	;; [unrolled: 1-line block ×3, first 2 shown]
	s_wait_loadcnt_dscnt 0x0
	v_mov_b32_e32 v0, v3
	s_barrier_signal -1
	s_barrier_wait -1
	global_inv scope:SCOPE_SE
	v_mad_co_u64_u32 v[3:4], null, s27, v40, v[0:1]
	ds_load_b64 v[14:15], v79 offset:4096
	ds_load_b64 v[12:13], v80 offset:8192
	;; [unrolled: 1-line block ×7, first 2 shown]
	v_lshlrev_b64_e32 v[2:3], 3, v[2:3]
	s_delay_alu instid0(VALU_DEP_1) | instskip(SKIP_1) | instid1(VALU_DEP_2)
	v_add_co_u32 v2, vcc_lo, s30, v2
	s_wait_alu 0xfffd
	v_add_co_ci_u32_e64 v3, null, s31, v3, vcc_lo
	s_and_saveexec_b32 s0, s2
	s_cbranch_execnz .LBB215_132
; %bb.116:
	s_wait_alu 0xfffe
	s_or_b32 exec_lo, exec_lo, s0
	s_and_saveexec_b32 s0, s3
	s_cbranch_execnz .LBB215_133
.LBB215_117:
	s_wait_alu 0xfffe
	s_or_b32 exec_lo, exec_lo, s0
	s_and_saveexec_b32 s0, s4
	s_cbranch_execnz .LBB215_134
.LBB215_118:
	s_wait_alu 0xfffe
	s_or_b32 exec_lo, exec_lo, s0
	s_and_saveexec_b32 s0, s5
	s_cbranch_execnz .LBB215_135
.LBB215_119:
	s_wait_alu 0xfffe
	s_or_b32 exec_lo, exec_lo, s0
	s_and_saveexec_b32 s0, s6
	s_cbranch_execnz .LBB215_136
.LBB215_120:
	s_wait_alu 0xfffe
	s_or_b32 exec_lo, exec_lo, s0
	s_and_saveexec_b32 s0, s7
	s_cbranch_execnz .LBB215_137
.LBB215_121:
	s_wait_alu 0xfffe
	s_or_b32 exec_lo, exec_lo, s0
	s_and_saveexec_b32 s0, s8
	s_cbranch_execnz .LBB215_138
.LBB215_122:
	s_wait_alu 0xfffe
	s_or_b32 exec_lo, exec_lo, s0
	s_and_saveexec_b32 s0, s9
	s_cbranch_execz .LBB215_124
.LBB215_123:
	v_mad_co_u64_u32 v[2:3], null, 0x7000, s26, v[2:3]
	s_wait_dscnt 0x1
	s_delay_alu instid0(VALU_DEP_1)
	v_mad_co_u64_u32 v[3:4], null, 0x7000, s27, v[3:4]
	s_wait_dscnt 0x0
	global_store_b64 v[2:3], v[0:1], off
.LBB215_124:
	s_nop 0
	s_sendmsg sendmsg(MSG_DEALLOC_VGPRS)
	s_endpgm
.LBB215_125:
	ds_load_b32 v9, v69
	s_wait_dscnt 0x0
	global_store_b32 v[0:1], v9, off
	s_wait_alu 0xfffe
	s_or_b32 exec_lo, exec_lo, s0
	s_and_saveexec_b32 s0, s3
	s_cbranch_execz .LBB215_108
.LBB215_126:
	s_lshl_b64 s[10:11], s[24:25], 11
	s_wait_alu 0xfffe
	v_add_co_u32 v9, vcc_lo, v0, s10
	s_wait_alu 0xfffd
	v_add_co_ci_u32_e64 v10, null, s11, v1, vcc_lo
	s_wait_dscnt 0x6
	global_store_b32 v[9:10], v8, off
	s_or_b32 exec_lo, exec_lo, s0
	s_and_saveexec_b32 s0, s4
	s_cbranch_execz .LBB215_109
.LBB215_127:
	s_lshl_b64 s[10:11], s[24:25], 12
	s_wait_dscnt 0x6
	s_wait_alu 0xfffe
	v_add_co_u32 v8, vcc_lo, v0, s10
	s_wait_alu 0xfffd
	v_add_co_ci_u32_e64 v9, null, s11, v1, vcc_lo
	s_wait_dscnt 0x5
	global_store_b32 v[8:9], v7, off
	s_or_b32 exec_lo, exec_lo, s0
	s_and_saveexec_b32 s0, s5
	s_cbranch_execz .LBB215_110
.LBB215_128:
	s_wait_dscnt 0x5
	v_mad_co_u64_u32 v[7:8], null, 0x1800, s24, v[0:1]
	s_delay_alu instid0(VALU_DEP_1)
	v_mad_co_u64_u32 v[8:9], null, 0x1800, s25, v[8:9]
	s_wait_dscnt 0x4
	global_store_b32 v[7:8], v6, off
	s_wait_alu 0xfffe
	s_or_b32 exec_lo, exec_lo, s0
	s_and_saveexec_b32 s0, s6
	s_cbranch_execz .LBB215_111
.LBB215_129:
	s_lshl_b64 s[10:11], s[24:25], 13
	s_wait_dscnt 0x4
	s_wait_alu 0xfffe
	v_add_co_u32 v6, vcc_lo, v0, s10
	s_wait_alu 0xfffd
	v_add_co_ci_u32_e64 v7, null, s11, v1, vcc_lo
	s_wait_dscnt 0x3
	global_store_b32 v[6:7], v5, off
	s_or_b32 exec_lo, exec_lo, s0
	s_and_saveexec_b32 s0, s7
	s_cbranch_execz .LBB215_112
.LBB215_130:
	s_wait_dscnt 0x3
	v_mad_co_u64_u32 v[5:6], null, 0x2800, s24, v[0:1]
	s_delay_alu instid0(VALU_DEP_1)
	v_mad_co_u64_u32 v[6:7], null, 0x2800, s25, v[6:7]
	s_wait_dscnt 0x2
	global_store_b32 v[5:6], v4, off
	s_wait_alu 0xfffe
	s_or_b32 exec_lo, exec_lo, s0
	s_and_saveexec_b32 s0, s8
	s_cbranch_execz .LBB215_113
.LBB215_131:
	s_wait_dscnt 0x2
	v_mad_co_u64_u32 v[4:5], null, 0x3000, s24, v[0:1]
	s_delay_alu instid0(VALU_DEP_1)
	v_mad_co_u64_u32 v[5:6], null, 0x3000, s25, v[5:6]
	s_wait_dscnt 0x1
	global_store_b32 v[4:5], v3, off
	s_wait_alu 0xfffe
	s_or_b32 exec_lo, exec_lo, s0
	s_and_saveexec_b32 s0, s9
	s_cbranch_execnz .LBB215_114
	s_branch .LBB215_115
.LBB215_132:
	ds_load_b64 v[16:17], v78
	s_wait_dscnt 0x0
	global_store_b64 v[2:3], v[16:17], off
	s_wait_alu 0xfffe
	s_or_b32 exec_lo, exec_lo, s0
	s_and_saveexec_b32 s0, s3
	s_cbranch_execz .LBB215_117
.LBB215_133:
	s_lshl_b64 s[2:3], s[26:27], 12
	s_wait_alu 0xfffe
	v_add_co_u32 v16, vcc_lo, v2, s2
	s_wait_alu 0xfffd
	v_add_co_ci_u32_e64 v17, null, s3, v3, vcc_lo
	s_wait_dscnt 0x6
	global_store_b64 v[16:17], v[14:15], off
	s_or_b32 exec_lo, exec_lo, s0
	s_and_saveexec_b32 s0, s4
	s_cbranch_execz .LBB215_118
.LBB215_134:
	s_lshl_b64 s[2:3], s[26:27], 13
	s_wait_dscnt 0x6
	s_wait_alu 0xfffe
	v_add_co_u32 v14, vcc_lo, v2, s2
	s_wait_alu 0xfffd
	v_add_co_ci_u32_e64 v15, null, s3, v3, vcc_lo
	s_wait_dscnt 0x5
	global_store_b64 v[14:15], v[12:13], off
	s_or_b32 exec_lo, exec_lo, s0
	s_and_saveexec_b32 s0, s5
	s_cbranch_execz .LBB215_119
.LBB215_135:
	s_wait_dscnt 0x5
	v_mad_co_u64_u32 v[12:13], null, 0x3000, s26, v[2:3]
	s_delay_alu instid0(VALU_DEP_1)
	v_mad_co_u64_u32 v[13:14], null, 0x3000, s27, v[13:14]
	s_wait_dscnt 0x4
	global_store_b64 v[12:13], v[10:11], off
	s_wait_alu 0xfffe
	s_or_b32 exec_lo, exec_lo, s0
	s_and_saveexec_b32 s0, s6
	s_cbranch_execz .LBB215_120
.LBB215_136:
	s_lshl_b64 s[2:3], s[26:27], 14
	s_wait_dscnt 0x4
	s_wait_alu 0xfffe
	v_add_co_u32 v10, vcc_lo, v2, s2
	s_wait_alu 0xfffd
	v_add_co_ci_u32_e64 v11, null, s3, v3, vcc_lo
	s_wait_dscnt 0x3
	global_store_b64 v[10:11], v[8:9], off
	s_or_b32 exec_lo, exec_lo, s0
	s_and_saveexec_b32 s0, s7
	s_cbranch_execz .LBB215_121
.LBB215_137:
	s_wait_dscnt 0x3
	v_mad_co_u64_u32 v[8:9], null, 0x5000, s26, v[2:3]
	s_delay_alu instid0(VALU_DEP_1)
	v_mad_co_u64_u32 v[9:10], null, 0x5000, s27, v[9:10]
	s_wait_dscnt 0x2
	global_store_b64 v[8:9], v[6:7], off
	s_wait_alu 0xfffe
	s_or_b32 exec_lo, exec_lo, s0
	s_and_saveexec_b32 s0, s8
	s_cbranch_execz .LBB215_122
.LBB215_138:
	s_wait_dscnt 0x2
	v_mad_co_u64_u32 v[6:7], null, 0x6000, s26, v[2:3]
	s_delay_alu instid0(VALU_DEP_1)
	v_mad_co_u64_u32 v[7:8], null, 0x6000, s27, v[7:8]
	s_wait_dscnt 0x1
	global_store_b64 v[6:7], v[4:5], off
	s_wait_alu 0xfffe
	s_or_b32 exec_lo, exec_lo, s0
	s_and_saveexec_b32 s0, s9
	s_cbranch_execnz .LBB215_123
	s_branch .LBB215_124
	.section	.rodata,"a",@progbits
	.p2align	6, 0x0
	.amdhsa_kernel _ZN2at6native18radixSortKVInPlaceILin1ELin1ELi512ELi8EflmEEvNS_4cuda6detail10TensorInfoIT3_T5_EES6_S6_S6_NS4_IT4_S6_EES6_b
		.amdhsa_group_segment_fixed_size 33792
		.amdhsa_private_segment_fixed_size 0
		.amdhsa_kernarg_size 1128
		.amdhsa_user_sgpr_count 2
		.amdhsa_user_sgpr_dispatch_ptr 0
		.amdhsa_user_sgpr_queue_ptr 0
		.amdhsa_user_sgpr_kernarg_segment_ptr 1
		.amdhsa_user_sgpr_dispatch_id 0
		.amdhsa_user_sgpr_private_segment_size 0
		.amdhsa_wavefront_size32 1
		.amdhsa_uses_dynamic_stack 0
		.amdhsa_enable_private_segment 0
		.amdhsa_system_sgpr_workgroup_id_x 1
		.amdhsa_system_sgpr_workgroup_id_y 1
		.amdhsa_system_sgpr_workgroup_id_z 1
		.amdhsa_system_sgpr_workgroup_info 0
		.amdhsa_system_vgpr_workitem_id 2
		.amdhsa_next_free_vgpr 120
		.amdhsa_next_free_sgpr 36
		.amdhsa_reserve_vcc 1
		.amdhsa_float_round_mode_32 0
		.amdhsa_float_round_mode_16_64 0
		.amdhsa_float_denorm_mode_32 3
		.amdhsa_float_denorm_mode_16_64 3
		.amdhsa_fp16_overflow 0
		.amdhsa_workgroup_processor_mode 1
		.amdhsa_memory_ordered 1
		.amdhsa_forward_progress 1
		.amdhsa_inst_pref_size 131
		.amdhsa_round_robin_scheduling 0
		.amdhsa_exception_fp_ieee_invalid_op 0
		.amdhsa_exception_fp_denorm_src 0
		.amdhsa_exception_fp_ieee_div_zero 0
		.amdhsa_exception_fp_ieee_overflow 0
		.amdhsa_exception_fp_ieee_underflow 0
		.amdhsa_exception_fp_ieee_inexact 0
		.amdhsa_exception_int_div_zero 0
	.end_amdhsa_kernel
	.section	.text._ZN2at6native18radixSortKVInPlaceILin1ELin1ELi512ELi8EflmEEvNS_4cuda6detail10TensorInfoIT3_T5_EES6_S6_S6_NS4_IT4_S6_EES6_b,"axG",@progbits,_ZN2at6native18radixSortKVInPlaceILin1ELin1ELi512ELi8EflmEEvNS_4cuda6detail10TensorInfoIT3_T5_EES6_S6_S6_NS4_IT4_S6_EES6_b,comdat
.Lfunc_end215:
	.size	_ZN2at6native18radixSortKVInPlaceILin1ELin1ELi512ELi8EflmEEvNS_4cuda6detail10TensorInfoIT3_T5_EES6_S6_S6_NS4_IT4_S6_EES6_b, .Lfunc_end215-_ZN2at6native18radixSortKVInPlaceILin1ELin1ELi512ELi8EflmEEvNS_4cuda6detail10TensorInfoIT3_T5_EES6_S6_S6_NS4_IT4_S6_EES6_b
                                        ; -- End function
	.set _ZN2at6native18radixSortKVInPlaceILin1ELin1ELi512ELi8EflmEEvNS_4cuda6detail10TensorInfoIT3_T5_EES6_S6_S6_NS4_IT4_S6_EES6_b.num_vgpr, 120
	.set _ZN2at6native18radixSortKVInPlaceILin1ELin1ELi512ELi8EflmEEvNS_4cuda6detail10TensorInfoIT3_T5_EES6_S6_S6_NS4_IT4_S6_EES6_b.num_agpr, 0
	.set _ZN2at6native18radixSortKVInPlaceILin1ELin1ELi512ELi8EflmEEvNS_4cuda6detail10TensorInfoIT3_T5_EES6_S6_S6_NS4_IT4_S6_EES6_b.numbered_sgpr, 36
	.set _ZN2at6native18radixSortKVInPlaceILin1ELin1ELi512ELi8EflmEEvNS_4cuda6detail10TensorInfoIT3_T5_EES6_S6_S6_NS4_IT4_S6_EES6_b.num_named_barrier, 0
	.set _ZN2at6native18radixSortKVInPlaceILin1ELin1ELi512ELi8EflmEEvNS_4cuda6detail10TensorInfoIT3_T5_EES6_S6_S6_NS4_IT4_S6_EES6_b.private_seg_size, 0
	.set _ZN2at6native18radixSortKVInPlaceILin1ELin1ELi512ELi8EflmEEvNS_4cuda6detail10TensorInfoIT3_T5_EES6_S6_S6_NS4_IT4_S6_EES6_b.uses_vcc, 1
	.set _ZN2at6native18radixSortKVInPlaceILin1ELin1ELi512ELi8EflmEEvNS_4cuda6detail10TensorInfoIT3_T5_EES6_S6_S6_NS4_IT4_S6_EES6_b.uses_flat_scratch, 0
	.set _ZN2at6native18radixSortKVInPlaceILin1ELin1ELi512ELi8EflmEEvNS_4cuda6detail10TensorInfoIT3_T5_EES6_S6_S6_NS4_IT4_S6_EES6_b.has_dyn_sized_stack, 0
	.set _ZN2at6native18radixSortKVInPlaceILin1ELin1ELi512ELi8EflmEEvNS_4cuda6detail10TensorInfoIT3_T5_EES6_S6_S6_NS4_IT4_S6_EES6_b.has_recursion, 0
	.set _ZN2at6native18radixSortKVInPlaceILin1ELin1ELi512ELi8EflmEEvNS_4cuda6detail10TensorInfoIT3_T5_EES6_S6_S6_NS4_IT4_S6_EES6_b.has_indirect_call, 0
	.section	.AMDGPU.csdata,"",@progbits
; Kernel info:
; codeLenInByte = 16740
; TotalNumSgprs: 38
; NumVgprs: 120
; ScratchSize: 0
; MemoryBound: 0
; FloatMode: 240
; IeeeMode: 1
; LDSByteSize: 33792 bytes/workgroup (compile time only)
; SGPRBlocks: 0
; VGPRBlocks: 14
; NumSGPRsForWavesPerEU: 38
; NumVGPRsForWavesPerEU: 120
; Occupancy: 12
; WaveLimiterHint : 1
; COMPUTE_PGM_RSRC2:SCRATCH_EN: 0
; COMPUTE_PGM_RSRC2:USER_SGPR: 2
; COMPUTE_PGM_RSRC2:TRAP_HANDLER: 0
; COMPUTE_PGM_RSRC2:TGID_X_EN: 1
; COMPUTE_PGM_RSRC2:TGID_Y_EN: 1
; COMPUTE_PGM_RSRC2:TGID_Z_EN: 1
; COMPUTE_PGM_RSRC2:TIDIG_COMP_CNT: 2
	.section	.text._ZN2at6native18radixSortKVInPlaceILin1ELin1ELi256ELi8EflmEEvNS_4cuda6detail10TensorInfoIT3_T5_EES6_S6_S6_NS4_IT4_S6_EES6_b,"axG",@progbits,_ZN2at6native18radixSortKVInPlaceILin1ELin1ELi256ELi8EflmEEvNS_4cuda6detail10TensorInfoIT3_T5_EES6_S6_S6_NS4_IT4_S6_EES6_b,comdat
	.protected	_ZN2at6native18radixSortKVInPlaceILin1ELin1ELi256ELi8EflmEEvNS_4cuda6detail10TensorInfoIT3_T5_EES6_S6_S6_NS4_IT4_S6_EES6_b ; -- Begin function _ZN2at6native18radixSortKVInPlaceILin1ELin1ELi256ELi8EflmEEvNS_4cuda6detail10TensorInfoIT3_T5_EES6_S6_S6_NS4_IT4_S6_EES6_b
	.globl	_ZN2at6native18radixSortKVInPlaceILin1ELin1ELi256ELi8EflmEEvNS_4cuda6detail10TensorInfoIT3_T5_EES6_S6_S6_NS4_IT4_S6_EES6_b
	.p2align	8
	.type	_ZN2at6native18radixSortKVInPlaceILin1ELin1ELi256ELi8EflmEEvNS_4cuda6detail10TensorInfoIT3_T5_EES6_S6_S6_NS4_IT4_S6_EES6_b,@function
_ZN2at6native18radixSortKVInPlaceILin1ELin1ELi256ELi8EflmEEvNS_4cuda6detail10TensorInfoIT3_T5_EES6_S6_S6_NS4_IT4_S6_EES6_b: ; @_ZN2at6native18radixSortKVInPlaceILin1ELin1ELi256ELi8EflmEEvNS_4cuda6detail10TensorInfoIT3_T5_EES6_S6_S6_NS4_IT4_S6_EES6_b
; %bb.0:
	s_clause 0x1
	s_load_b64 s[2:3], s[0:1], 0x368
	s_load_b128 s[12:15], s[0:1], 0x1a0
	s_lshr_b32 s4, ttmp7, 16
	s_and_b32 s5, ttmp7, 0xffff
	s_wait_kmcnt 0x0
	s_mul_i32 s3, s3, s4
	s_delay_alu instid0(SALU_CYCLE_1) | instskip(NEXT) | instid1(SALU_CYCLE_1)
	s_add_co_i32 s3, s3, s5
	s_mul_i32 s2, s3, s2
	s_mov_b32 s3, 0
	s_add_co_i32 s2, s2, ttmp9
	s_delay_alu instid0(SALU_CYCLE_1)
	v_cmp_le_u64_e64 s4, s[12:13], s[2:3]
	s_and_b32 vcc_lo, exec_lo, s4
	s_cbranch_vccnz .LBB216_124
; %bb.1:
	s_clause 0x1
	s_load_b32 s7, s[0:1], 0x198
	s_load_b64 s[22:23], s[0:1], 0x1b0
	s_mov_b64 s[12:13], 0
	s_mov_b64 s[4:5], s[2:3]
	s_wait_kmcnt 0x0
	s_cmp_lt_i32 s7, 2
	s_cbranch_scc1 .LBB216_9
; %bb.2:
	s_mov_b32 s6, 0
	s_add_co_i32 s4, s7, -1
	s_mov_b32 s5, s6
	s_add_co_i32 s15, s7, 1
	s_lshl_b64 s[4:5], s[4:5], 3
	s_mov_b64 s[10:11], s[2:3]
	s_add_nc_u64 s[4:5], s[0:1], s[4:5]
	s_delay_alu instid0(SALU_CYCLE_1)
	s_add_nc_u64 s[8:9], s[4:5], 8
.LBB216_3:                              ; =>This Inner Loop Header: Depth=1
	s_load_b64 s[16:17], s[8:9], 0x0
	s_wait_kmcnt 0x0
	s_or_b64 s[4:5], s[10:11], s[16:17]
	s_wait_alu 0xfffe
	s_mov_b32 s7, s5
                                        ; implicit-def: $sgpr4_sgpr5
	s_delay_alu instid0(SALU_CYCLE_1)
	s_cmp_lg_u64 s[6:7], 0
	s_mov_b32 s7, -1
	s_cbranch_scc0 .LBB216_5
; %bb.4:                                ;   in Loop: Header=BB216_3 Depth=1
	s_cvt_f32_u32 s4, s16
	s_cvt_f32_u32 s5, s17
	s_sub_nc_u64 s[18:19], 0, s[16:17]
	s_mov_b32 s21, s6
	s_mov_b32 s27, s6
	s_wait_alu 0xfffe
	s_fmamk_f32 s4, s5, 0x4f800000, s4
	s_wait_alu 0xfffe
	s_delay_alu instid0(SALU_CYCLE_2) | instskip(NEXT) | instid1(TRANS32_DEP_1)
	v_s_rcp_f32 s4, s4
	s_mul_f32 s4, s4, 0x5f7ffffc
	s_wait_alu 0xfffe
	s_delay_alu instid0(SALU_CYCLE_2) | instskip(SKIP_1) | instid1(SALU_CYCLE_2)
	s_mul_f32 s5, s4, 0x2f800000
	s_wait_alu 0xfffe
	s_trunc_f32 s5, s5
	s_wait_alu 0xfffe
	s_delay_alu instid0(SALU_CYCLE_2) | instskip(SKIP_2) | instid1(SALU_CYCLE_1)
	s_fmamk_f32 s4, s5, 0xcf800000, s4
	s_cvt_u32_f32 s5, s5
	s_wait_alu 0xfffe
	s_cvt_u32_f32 s4, s4
	s_wait_alu 0xfffe
	s_delay_alu instid0(SALU_CYCLE_2) | instskip(NEXT) | instid1(SALU_CYCLE_1)
	s_mul_u64 s[24:25], s[18:19], s[4:5]
	s_mul_hi_u32 s29, s4, s25
	s_mul_i32 s28, s4, s25
	s_mul_hi_u32 s20, s4, s24
	s_mul_i32 s26, s5, s24
	s_add_nc_u64 s[20:21], s[20:21], s[28:29]
	s_mul_hi_u32 s7, s5, s24
	s_mul_hi_u32 s30, s5, s25
	s_add_co_u32 s20, s20, s26
	s_add_co_ci_u32 s26, s21, s7
	s_mul_i32 s24, s5, s25
	s_add_co_ci_u32 s25, s30, 0
	s_delay_alu instid0(SALU_CYCLE_1) | instskip(SKIP_3) | instid1(SALU_CYCLE_1)
	s_add_nc_u64 s[20:21], s[26:27], s[24:25]
	s_mov_b32 s25, s6
	s_add_co_u32 s4, s4, s20
	s_cselect_b32 s7, -1, 0
	s_cmp_lg_u32 s7, 0
	s_add_co_ci_u32 s5, s5, s21
	s_mov_b32 s21, s6
	s_wait_alu 0xfffe
	s_mul_u64 s[18:19], s[18:19], s[4:5]
	s_delay_alu instid0(SALU_CYCLE_1)
	s_mul_hi_u32 s27, s4, s19
	s_mul_i32 s26, s4, s19
	s_mul_hi_u32 s20, s4, s18
	s_mul_i32 s24, s5, s18
	s_add_nc_u64 s[20:21], s[20:21], s[26:27]
	s_mul_hi_u32 s7, s5, s18
	s_mul_hi_u32 s28, s5, s19
	s_mul_i32 s18, s5, s19
	s_add_co_u32 s19, s20, s24
	s_add_co_ci_u32 s24, s21, s7
	s_add_co_ci_u32 s19, s28, 0
	s_mov_b32 s21, s6
	s_add_nc_u64 s[18:19], s[24:25], s[18:19]
	s_delay_alu instid0(SALU_CYCLE_1)
	s_add_co_u32 s4, s4, s18
	s_cselect_b32 s7, -1, 0
	s_wait_alu 0xfffe
	s_mul_hi_u32 s20, s10, s4
	s_cmp_lg_u32 s7, 0
	s_mul_hi_u32 s7, s11, s4
	s_add_co_ci_u32 s18, s5, s19
	s_mul_i32 s19, s11, s4
	s_mul_hi_u32 s5, s10, s18
	s_mul_i32 s4, s10, s18
	s_mul_hi_u32 s26, s11, s18
	s_wait_alu 0xfffe
	s_add_nc_u64 s[4:5], s[20:21], s[4:5]
	s_mul_i32 s18, s11, s18
	s_wait_alu 0xfffe
	s_add_co_u32 s4, s4, s19
	s_add_co_ci_u32 s24, s5, s7
	s_add_co_ci_u32 s19, s26, 0
	s_delay_alu instid0(SALU_CYCLE_1) | instskip(SKIP_2) | instid1(SALU_CYCLE_1)
	s_add_nc_u64 s[4:5], s[24:25], s[18:19]
	s_wait_alu 0xfffe
	s_mul_u64 s[18:19], s[16:17], s[4:5]
	s_sub_co_u32 s7, s10, s18
	s_cselect_b32 s18, -1, 0
	s_sub_co_i32 s20, s11, s19
	s_cmp_lg_u32 s18, 0
	s_sub_co_ci_u32 s20, s20, s17
	s_sub_co_u32 s21, s7, s16
	s_cselect_b32 s24, -1, 0
	s_delay_alu instid0(SALU_CYCLE_1) | instskip(SKIP_1) | instid1(SALU_CYCLE_1)
	s_cmp_lg_u32 s24, 0
	s_sub_co_ci_u32 s20, s20, 0
	s_cmp_ge_u32 s20, s17
	s_cselect_b32 s24, -1, 0
	s_cmp_ge_u32 s21, s16
	s_cselect_b32 s25, -1, 0
	s_cmp_eq_u32 s20, s17
	s_add_nc_u64 s[20:21], s[4:5], 1
	s_cselect_b32 s26, s25, s24
	s_add_nc_u64 s[24:25], s[4:5], 2
	s_cmp_lg_u32 s26, 0
	s_cselect_b32 s20, s24, s20
	s_cselect_b32 s21, s25, s21
	s_cmp_lg_u32 s18, 0
	s_sub_co_ci_u32 s18, s11, s19
	s_delay_alu instid0(SALU_CYCLE_1)
	s_cmp_ge_u32 s18, s17
	s_cselect_b32 s19, -1, 0
	s_cmp_ge_u32 s7, s16
	s_cselect_b32 s7, -1, 0
	s_cmp_eq_u32 s18, s17
	s_cselect_b32 s7, s7, s19
	s_delay_alu instid0(SALU_CYCLE_1)
	s_cmp_lg_u32 s7, 0
	s_mov_b32 s7, 0
	s_cselect_b32 s5, s21, s5
	s_cselect_b32 s4, s20, s4
.LBB216_5:                              ;   in Loop: Header=BB216_3 Depth=1
	s_and_not1_b32 vcc_lo, exec_lo, s7
	s_cbranch_vccnz .LBB216_7
; %bb.6:                                ;   in Loop: Header=BB216_3 Depth=1
	v_cvt_f32_u32_e32 v1, s16
	s_sub_co_i32 s5, 0, s16
	s_delay_alu instid0(VALU_DEP_1) | instskip(NEXT) | instid1(TRANS32_DEP_1)
	v_rcp_iflag_f32_e32 v1, v1
	v_mul_f32_e32 v1, 0x4f7ffffe, v1
	s_delay_alu instid0(VALU_DEP_1) | instskip(NEXT) | instid1(VALU_DEP_1)
	v_cvt_u32_f32_e32 v1, v1
	v_readfirstlane_b32 s4, v1
	s_wait_alu 0xfffe
	s_mul_i32 s5, s5, s4
	s_wait_alu 0xfffe
	s_mul_hi_u32 s5, s4, s5
	s_wait_alu 0xfffe
	s_add_co_i32 s4, s4, s5
	s_wait_alu 0xfffe
	s_mul_hi_u32 s4, s10, s4
	s_wait_alu 0xfffe
	s_mul_i32 s5, s4, s16
	s_add_co_i32 s7, s4, 1
	s_wait_alu 0xfffe
	s_sub_co_i32 s5, s10, s5
	s_wait_alu 0xfffe
	s_sub_co_i32 s18, s5, s16
	s_cmp_ge_u32 s5, s16
	s_cselect_b32 s4, s7, s4
	s_cselect_b32 s5, s18, s5
	s_wait_alu 0xfffe
	s_add_co_i32 s7, s4, 1
	s_cmp_ge_u32 s5, s16
	s_mov_b32 s5, s6
	s_cselect_b32 s4, s7, s4
.LBB216_7:                              ;   in Loop: Header=BB216_3 Depth=1
	s_load_b64 s[18:19], s[8:9], 0xc8
	s_mul_u64 s[16:17], s[4:5], s[16:17]
	s_add_co_i32 s15, s15, -1
	s_wait_alu 0xfffe
	s_sub_nc_u64 s[10:11], s[10:11], s[16:17]
	s_cmp_gt_u32 s15, 2
	s_add_nc_u64 s[8:9], s[8:9], -8
	s_wait_kmcnt 0x0
	s_mul_u64 s[10:11], s[18:19], s[10:11]
	s_delay_alu instid0(SALU_CYCLE_1)
	s_add_nc_u64 s[12:13], s[10:11], s[12:13]
	s_cbranch_scc0 .LBB216_9
; %bb.8:                                ;   in Loop: Header=BB216_3 Depth=1
	s_mov_b64 s[10:11], s[4:5]
	s_branch .LBB216_3
.LBB216_9:
	s_load_b32 s7, s[0:1], 0x350
	s_add_nc_u64 s[36:37], s[0:1], 0x368
	s_mov_b64 s[16:17], 0
	s_wait_kmcnt 0x0
	s_cmp_lt_i32 s7, 2
	s_cbranch_scc1 .LBB216_17
; %bb.10:
	s_mov_b32 s6, 0
	s_add_co_i32 s8, s7, -1
	s_mov_b32 s9, s6
	s_add_co_i32 s15, s7, 1
	s_lshl_b64 s[8:9], s[8:9], 3
	s_delay_alu instid0(SALU_CYCLE_1) | instskip(NEXT) | instid1(SALU_CYCLE_1)
	s_add_nc_u64 s[8:9], s[0:1], s[8:9]
	s_add_nc_u64 s[8:9], s[8:9], 0x1c0
.LBB216_11:                             ; =>This Inner Loop Header: Depth=1
	s_load_b64 s[10:11], s[8:9], 0x0
	s_wait_kmcnt 0x0
	s_or_b64 s[18:19], s[2:3], s[10:11]
	s_delay_alu instid0(SALU_CYCLE_1)
	s_mov_b32 s7, s19
                                        ; implicit-def: $sgpr18_sgpr19
	s_wait_alu 0xfffe
	s_cmp_lg_u64 s[6:7], 0
	s_mov_b32 s7, -1
	s_cbranch_scc0 .LBB216_13
; %bb.12:                               ;   in Loop: Header=BB216_11 Depth=1
	s_cvt_f32_u32 s7, s10
	s_cvt_f32_u32 s18, s11
	s_sub_nc_u64 s[20:21], 0, s[10:11]
	s_mov_b32 s25, s6
	s_mov_b32 s29, s6
	s_wait_alu 0xfffe
	s_fmamk_f32 s7, s18, 0x4f800000, s7
	s_wait_alu 0xfffe
	s_delay_alu instid0(SALU_CYCLE_2) | instskip(NEXT) | instid1(TRANS32_DEP_1)
	v_s_rcp_f32 s7, s7
	s_mul_f32 s7, s7, 0x5f7ffffc
	s_wait_alu 0xfffe
	s_delay_alu instid0(SALU_CYCLE_2) | instskip(NEXT) | instid1(SALU_CYCLE_3)
	s_mul_f32 s18, s7, 0x2f800000
	s_trunc_f32 s18, s18
	s_delay_alu instid0(SALU_CYCLE_3) | instskip(SKIP_2) | instid1(SALU_CYCLE_1)
	s_fmamk_f32 s7, s18, 0xcf800000, s7
	s_cvt_u32_f32 s19, s18
	s_wait_alu 0xfffe
	s_cvt_u32_f32 s18, s7
	s_delay_alu instid0(SALU_CYCLE_3) | instskip(NEXT) | instid1(SALU_CYCLE_1)
	s_mul_u64 s[26:27], s[20:21], s[18:19]
	s_mul_hi_u32 s31, s18, s27
	s_mul_i32 s30, s18, s27
	s_mul_hi_u32 s24, s18, s26
	s_mul_i32 s28, s19, s26
	s_add_nc_u64 s[24:25], s[24:25], s[30:31]
	s_mul_hi_u32 s7, s19, s26
	s_mul_hi_u32 s33, s19, s27
	s_add_co_u32 s24, s24, s28
	s_wait_alu 0xfffe
	s_add_co_ci_u32 s28, s25, s7
	s_mul_i32 s26, s19, s27
	s_add_co_ci_u32 s27, s33, 0
	s_delay_alu instid0(SALU_CYCLE_1)
	s_add_nc_u64 s[24:25], s[28:29], s[26:27]
	s_mov_b32 s27, s6
	s_add_co_u32 s18, s18, s24
	s_cselect_b32 s7, -1, 0
	s_wait_alu 0xfffe
	s_cmp_lg_u32 s7, 0
	s_add_co_ci_u32 s19, s19, s25
	s_mov_b32 s25, s6
	s_mul_u64 s[20:21], s[20:21], s[18:19]
	s_delay_alu instid0(SALU_CYCLE_1)
	s_mul_hi_u32 s29, s18, s21
	s_mul_i32 s28, s18, s21
	s_mul_hi_u32 s24, s18, s20
	s_mul_i32 s26, s19, s20
	s_add_nc_u64 s[24:25], s[24:25], s[28:29]
	s_mul_hi_u32 s7, s19, s20
	s_mul_hi_u32 s30, s19, s21
	s_mul_i32 s20, s19, s21
	s_add_co_u32 s21, s24, s26
	s_wait_alu 0xfffe
	s_add_co_ci_u32 s26, s25, s7
	s_add_co_ci_u32 s21, s30, 0
	s_mov_b32 s25, s6
	s_add_nc_u64 s[20:21], s[26:27], s[20:21]
	s_delay_alu instid0(SALU_CYCLE_1)
	s_add_co_u32 s7, s18, s20
	s_cselect_b32 s18, -1, 0
	s_wait_alu 0xfffe
	s_mul_hi_u32 s24, s2, s7
	s_cmp_lg_u32 s18, 0
	s_mul_hi_u32 s26, s3, s7
	s_add_co_ci_u32 s20, s19, s21
	s_mul_i32 s7, s3, s7
	s_mul_hi_u32 s19, s2, s20
	s_mul_i32 s18, s2, s20
	s_mul_hi_u32 s21, s3, s20
	s_add_nc_u64 s[18:19], s[24:25], s[18:19]
	s_mul_i32 s20, s3, s20
	s_wait_alu 0xfffe
	s_add_co_u32 s7, s18, s7
	s_add_co_ci_u32 s26, s19, s26
	s_add_co_ci_u32 s21, s21, 0
	s_delay_alu instid0(SALU_CYCLE_1) | instskip(NEXT) | instid1(SALU_CYCLE_1)
	s_add_nc_u64 s[18:19], s[26:27], s[20:21]
	s_mul_u64 s[20:21], s[10:11], s[18:19]
	s_delay_alu instid0(SALU_CYCLE_1)
	s_sub_co_u32 s7, s2, s20
	s_cselect_b32 s20, -1, 0
	s_sub_co_i32 s24, s3, s21
	s_cmp_lg_u32 s20, 0
	s_sub_co_ci_u32 s24, s24, s11
	s_wait_alu 0xfffe
	s_sub_co_u32 s25, s7, s10
	s_cselect_b32 s26, -1, 0
	s_delay_alu instid0(SALU_CYCLE_1) | instskip(SKIP_1) | instid1(SALU_CYCLE_1)
	s_cmp_lg_u32 s26, 0
	s_sub_co_ci_u32 s24, s24, 0
	s_cmp_ge_u32 s24, s11
	s_cselect_b32 s26, -1, 0
	s_cmp_ge_u32 s25, s10
	s_cselect_b32 s27, -1, 0
	s_cmp_eq_u32 s24, s11
	s_add_nc_u64 s[24:25], s[18:19], 1
	s_cselect_b32 s28, s27, s26
	s_add_nc_u64 s[26:27], s[18:19], 2
	s_cmp_lg_u32 s28, 0
	s_cselect_b32 s24, s26, s24
	s_cselect_b32 s25, s27, s25
	s_cmp_lg_u32 s20, 0
	s_sub_co_ci_u32 s20, s3, s21
	s_delay_alu instid0(SALU_CYCLE_1)
	s_cmp_ge_u32 s20, s11
	s_cselect_b32 s21, -1, 0
	s_cmp_ge_u32 s7, s10
	s_cselect_b32 s7, -1, 0
	s_cmp_eq_u32 s20, s11
	s_wait_alu 0xfffe
	s_cselect_b32 s7, s7, s21
	s_wait_alu 0xfffe
	s_cmp_lg_u32 s7, 0
	s_mov_b32 s7, 0
	s_cselect_b32 s19, s25, s19
	s_cselect_b32 s18, s24, s18
.LBB216_13:                             ;   in Loop: Header=BB216_11 Depth=1
	s_wait_alu 0xfffe
	s_and_not1_b32 vcc_lo, exec_lo, s7
	s_cbranch_vccnz .LBB216_15
; %bb.14:                               ;   in Loop: Header=BB216_11 Depth=1
	v_cvt_f32_u32_e32 v1, s10
	s_sub_co_i32 s18, 0, s10
	s_delay_alu instid0(VALU_DEP_1) | instskip(NEXT) | instid1(TRANS32_DEP_1)
	v_rcp_iflag_f32_e32 v1, v1
	v_mul_f32_e32 v1, 0x4f7ffffe, v1
	s_delay_alu instid0(VALU_DEP_1) | instskip(NEXT) | instid1(VALU_DEP_1)
	v_cvt_u32_f32_e32 v1, v1
	v_readfirstlane_b32 s7, v1
	s_mul_i32 s18, s18, s7
	s_delay_alu instid0(SALU_CYCLE_1) | instskip(NEXT) | instid1(SALU_CYCLE_1)
	s_mul_hi_u32 s18, s7, s18
	s_add_co_i32 s7, s7, s18
	s_wait_alu 0xfffe
	s_mul_hi_u32 s7, s2, s7
	s_wait_alu 0xfffe
	s_mul_i32 s18, s7, s10
	s_add_co_i32 s19, s7, 1
	s_sub_co_i32 s18, s2, s18
	s_delay_alu instid0(SALU_CYCLE_1)
	s_sub_co_i32 s20, s18, s10
	s_cmp_ge_u32 s18, s10
	s_cselect_b32 s7, s19, s7
	s_cselect_b32 s18, s20, s18
	s_wait_alu 0xfffe
	s_add_co_i32 s19, s7, 1
	s_cmp_ge_u32 s18, s10
	s_cselect_b32 s18, s19, s7
	s_mov_b32 s19, s6
.LBB216_15:                             ;   in Loop: Header=BB216_11 Depth=1
	s_load_b64 s[20:21], s[8:9], 0xc8
	s_mul_u64 s[10:11], s[18:19], s[10:11]
	s_add_co_i32 s15, s15, -1
	s_wait_alu 0xfffe
	s_sub_nc_u64 s[2:3], s[2:3], s[10:11]
	s_cmp_gt_u32 s15, 2
	s_add_nc_u64 s[8:9], s[8:9], -8
	s_wait_kmcnt 0x0
	s_wait_alu 0xfffe
	s_mul_u64 s[2:3], s[20:21], s[2:3]
	s_wait_alu 0xfffe
	s_add_nc_u64 s[16:17], s[2:3], s[16:17]
	s_cbranch_scc0 .LBB216_18
; %bb.16:                               ;   in Loop: Header=BB216_11 Depth=1
	s_mov_b64 s[2:3], s[18:19]
	s_branch .LBB216_11
.LBB216_17:
	s_mov_b64 s[18:19], s[2:3]
.LBB216_18:
	s_clause 0x2
	s_load_b64 s[2:3], s[0:1], 0xd0
	s_load_b32 s6, s[0:1], 0x360
	s_load_b64 s[20:21], s[0:1], 0x0
	s_wait_kmcnt 0x0
	s_bitcmp1_b32 s6, 0
	s_mul_u64 s[6:7], s[2:3], s[4:5]
	s_cselect_b32 s15, -1, 0
	s_delay_alu instid0(SALU_CYCLE_1)
	s_and_b32 s3, s15, exec_lo
	s_cselect_b32 s4, -1, 0x7fffffff
	s_wait_alu 0xfffe
	s_lshl_b64 s[24:25], s[6:7], 2
	s_mov_b32 s5, s4
	s_mov_b32 s6, s4
	;; [unrolled: 1-line block ×7, first 2 shown]
	v_dual_mov_b32 v1, s4 :: v_dual_and_b32 v40, 0x3ff, v0
	s_wait_alu 0xfffe
	v_dual_mov_b32 v2, s5 :: v_dual_mov_b32 v3, s6
	v_dual_mov_b32 v4, s7 :: v_dual_mov_b32 v5, s8
	s_delay_alu instid0(VALU_DEP_3)
	v_cmp_gt_u32_e64 s2, s14, v40
	v_dual_mov_b32 v6, s9 :: v_dual_mov_b32 v7, s10
	v_dual_mov_b32 v8, s11 :: v_dual_mov_b32 v9, s4
	s_add_nc_u64 s[20:21], s[20:21], s[24:25]
	s_lshl_b64 s[12:13], s[12:13], 2
	s_wait_alu 0xfffe
	s_add_nc_u64 s[30:31], s[20:21], s[12:13]
	s_and_saveexec_b32 s3, s2
	s_cbranch_execz .LBB216_20
; %bb.19:
	v_mad_co_u64_u32 v[1:2], null, s22, v40, 0
	s_delay_alu instid0(VALU_DEP_1) | instskip(NEXT) | instid1(VALU_DEP_1)
	v_mad_co_u64_u32 v[2:3], null, s23, v40, v[2:3]
	v_lshlrev_b64_e32 v[1:2], 2, v[1:2]
	s_delay_alu instid0(VALU_DEP_1) | instskip(NEXT) | instid1(VALU_DEP_1)
	v_add_co_u32 v1, vcc_lo, s30, v1
	v_add_co_ci_u32_e64 v2, null, s31, v2, vcc_lo
	global_load_b32 v9, v[1:2], off
	v_dual_mov_b32 v1, s4 :: v_dual_mov_b32 v2, s5
	v_dual_mov_b32 v3, s6 :: v_dual_mov_b32 v4, s7
	;; [unrolled: 1-line block ×4, first 2 shown]
.LBB216_20:
	s_wait_alu 0xfffe
	s_or_b32 exec_lo, exec_lo, s3
	v_add_nc_u32_e32 v17, 0x100, v40
	s_delay_alu instid0(VALU_DEP_1)
	v_cmp_gt_u32_e64 s3, s14, v17
	s_and_saveexec_b32 s4, s3
	s_cbranch_execz .LBB216_22
; %bb.21:
	v_mad_co_u64_u32 v[1:2], null, s22, v17, 0
	s_delay_alu instid0(VALU_DEP_1) | instskip(NEXT) | instid1(VALU_DEP_1)
	v_mad_co_u64_u32 v[10:11], null, s23, v17, v[2:3]
	v_mov_b32_e32 v2, v10
	s_delay_alu instid0(VALU_DEP_1) | instskip(NEXT) | instid1(VALU_DEP_1)
	v_lshlrev_b64_e32 v[1:2], 2, v[1:2]
	v_add_co_u32 v1, vcc_lo, s30, v1
	s_wait_alu 0xfffd
	s_delay_alu instid0(VALU_DEP_2)
	v_add_co_ci_u32_e64 v2, null, s31, v2, vcc_lo
	global_load_b32 v2, v[1:2], off
.LBB216_22:
	s_wait_alu 0xfffe
	s_or_b32 exec_lo, exec_lo, s4
	v_add_nc_u32_e32 v18, 0x200, v40
	s_delay_alu instid0(VALU_DEP_1)
	v_cmp_gt_u32_e64 s4, s14, v18
	s_and_saveexec_b32 s5, s4
	s_cbranch_execz .LBB216_24
; %bb.23:
	v_mad_co_u64_u32 v[10:11], null, s22, v18, 0
	s_delay_alu instid0(VALU_DEP_1) | instskip(SKIP_1) | instid1(VALU_DEP_1)
	v_mov_b32_e32 v1, v11
	s_wait_loadcnt 0x0
	v_mad_co_u64_u32 v[11:12], null, s23, v18, v[1:2]
	s_delay_alu instid0(VALU_DEP_1) | instskip(NEXT) | instid1(VALU_DEP_1)
	v_lshlrev_b64_e32 v[10:11], 2, v[10:11]
	v_add_co_u32 v10, vcc_lo, s30, v10
	s_wait_alu 0xfffd
	s_delay_alu instid0(VALU_DEP_2)
	v_add_co_ci_u32_e64 v11, null, s31, v11, vcc_lo
	global_load_b32 v3, v[10:11], off
.LBB216_24:
	s_wait_alu 0xfffe
	s_or_b32 exec_lo, exec_lo, s5
	v_add_nc_u32_e32 v19, 0x300, v40
	s_delay_alu instid0(VALU_DEP_1)
	v_cmp_gt_u32_e64 s5, s14, v19
	s_and_saveexec_b32 s6, s5
	s_cbranch_execz .LBB216_26
; %bb.25:
	v_mad_co_u64_u32 v[10:11], null, s22, v19, 0
	s_delay_alu instid0(VALU_DEP_1) | instskip(SKIP_1) | instid1(VALU_DEP_1)
	v_mov_b32_e32 v1, v11
	s_wait_loadcnt 0x0
	v_mad_co_u64_u32 v[11:12], null, s23, v19, v[1:2]
	s_delay_alu instid0(VALU_DEP_1) | instskip(NEXT) | instid1(VALU_DEP_1)
	v_lshlrev_b64_e32 v[10:11], 2, v[10:11]
	v_add_co_u32 v10, vcc_lo, s30, v10
	s_wait_alu 0xfffd
	s_delay_alu instid0(VALU_DEP_2)
	v_add_co_ci_u32_e64 v11, null, s31, v11, vcc_lo
	global_load_b32 v4, v[10:11], off
.LBB216_26:
	s_wait_alu 0xfffe
	s_or_b32 exec_lo, exec_lo, s6
	v_or_b32_e32 v20, 0x400, v40
	s_delay_alu instid0(VALU_DEP_1)
	v_cmp_gt_u32_e64 s6, s14, v20
	s_and_saveexec_b32 s7, s6
	s_cbranch_execz .LBB216_28
; %bb.27:
	v_mad_co_u64_u32 v[10:11], null, s22, v20, 0
	s_delay_alu instid0(VALU_DEP_1) | instskip(SKIP_1) | instid1(VALU_DEP_1)
	v_mov_b32_e32 v1, v11
	s_wait_loadcnt 0x0
	v_mad_co_u64_u32 v[11:12], null, s23, v20, v[1:2]
	s_delay_alu instid0(VALU_DEP_1) | instskip(NEXT) | instid1(VALU_DEP_1)
	v_lshlrev_b64_e32 v[10:11], 2, v[10:11]
	v_add_co_u32 v10, vcc_lo, s30, v10
	s_wait_alu 0xfffd
	s_delay_alu instid0(VALU_DEP_2)
	v_add_co_ci_u32_e64 v11, null, s31, v11, vcc_lo
	global_load_b32 v5, v[10:11], off
.LBB216_28:
	s_wait_alu 0xfffe
	s_or_b32 exec_lo, exec_lo, s7
	v_add_nc_u32_e32 v21, 0x500, v40
	s_delay_alu instid0(VALU_DEP_1)
	v_cmp_gt_u32_e64 s7, s14, v21
	s_and_saveexec_b32 s8, s7
	s_cbranch_execz .LBB216_30
; %bb.29:
	v_mad_co_u64_u32 v[10:11], null, s22, v21, 0
	s_delay_alu instid0(VALU_DEP_1) | instskip(SKIP_1) | instid1(VALU_DEP_1)
	v_mov_b32_e32 v1, v11
	s_wait_loadcnt 0x0
	v_mad_co_u64_u32 v[11:12], null, s23, v21, v[1:2]
	s_delay_alu instid0(VALU_DEP_1) | instskip(NEXT) | instid1(VALU_DEP_1)
	v_lshlrev_b64_e32 v[10:11], 2, v[10:11]
	v_add_co_u32 v10, vcc_lo, s30, v10
	s_wait_alu 0xfffd
	s_delay_alu instid0(VALU_DEP_2)
	v_add_co_ci_u32_e64 v11, null, s31, v11, vcc_lo
	global_load_b32 v6, v[10:11], off
.LBB216_30:
	s_wait_alu 0xfffe
	s_or_b32 exec_lo, exec_lo, s8
	v_add_nc_u32_e32 v22, 0x600, v40
	s_delay_alu instid0(VALU_DEP_1)
	v_cmp_gt_u32_e64 s8, s14, v22
	s_and_saveexec_b32 s9, s8
	s_cbranch_execz .LBB216_32
; %bb.31:
	v_mad_co_u64_u32 v[10:11], null, s22, v22, 0
	s_delay_alu instid0(VALU_DEP_1) | instskip(SKIP_1) | instid1(VALU_DEP_1)
	v_mov_b32_e32 v1, v11
	s_wait_loadcnt 0x0
	v_mad_co_u64_u32 v[11:12], null, s23, v22, v[1:2]
	s_delay_alu instid0(VALU_DEP_1) | instskip(NEXT) | instid1(VALU_DEP_1)
	v_lshlrev_b64_e32 v[10:11], 2, v[10:11]
	v_add_co_u32 v10, vcc_lo, s30, v10
	s_wait_alu 0xfffd
	s_delay_alu instid0(VALU_DEP_2)
	v_add_co_ci_u32_e64 v11, null, s31, v11, vcc_lo
	global_load_b32 v7, v[10:11], off
.LBB216_32:
	s_wait_alu 0xfffe
	s_or_b32 exec_lo, exec_lo, s9
	s_clause 0x1
	s_load_b64 s[12:13], s[0:1], 0x288
	s_load_b64 s[10:11], s[0:1], 0x1b8
	v_add_nc_u32_e32 v23, 0x700, v40
	s_delay_alu instid0(VALU_DEP_1)
	v_cmp_gt_u32_e64 s9, s14, v23
	s_and_saveexec_b32 s14, s9
	s_cbranch_execz .LBB216_34
; %bb.33:
	v_mad_co_u64_u32 v[10:11], null, s22, v23, 0
	s_delay_alu instid0(VALU_DEP_1) | instskip(SKIP_1) | instid1(VALU_DEP_1)
	v_mov_b32_e32 v1, v11
	s_wait_loadcnt 0x0
	v_mad_co_u64_u32 v[11:12], null, s23, v23, v[1:2]
	s_delay_alu instid0(VALU_DEP_1) | instskip(NEXT) | instid1(VALU_DEP_1)
	v_lshlrev_b64_e32 v[10:11], 2, v[10:11]
	v_add_co_u32 v10, vcc_lo, s30, v10
	s_wait_alu 0xfffd
	s_delay_alu instid0(VALU_DEP_2)
	v_add_co_ci_u32_e64 v11, null, s31, v11, vcc_lo
	global_load_b32 v8, v[10:11], off
.LBB216_34:
	s_wait_alu 0xfffe
	s_or_b32 exec_lo, exec_lo, s14
	v_lshrrev_b32_e32 v1, 5, v17
	v_lshrrev_b32_e32 v24, 5, v40
	;; [unrolled: 1-line block ×3, first 2 shown]
	v_lshlrev_b32_e32 v89, 3, v40
	s_load_b64 s[28:29], s[0:1], 0x358
	v_add_nc_u32_e32 v27, v1, v40
	v_lshrrev_b32_e32 v1, 5, v19
	v_add_nc_u32_e32 v28, v24, v40
	s_wait_kmcnt 0x0
	s_mul_u64 s[12:13], s[12:13], s[18:19]
	v_mov_b32_e32 v13, 0
	s_wait_alu 0xfffe
	s_lshl_b64 s[12:13], s[12:13], 3
	v_add_nc_u32_e32 v26, v1, v40
	v_lshrrev_b32_e32 v1, 5, v20
	v_mov_b32_e32 v14, 0
	s_wait_alu 0xfffe
	s_add_nc_u64 s[10:11], s[10:11], s[12:13]
	s_lshl_b64 s[12:13], s[16:17], 3
	v_add_nc_u32_e32 v29, v1, v40
	v_lshrrev_b32_e32 v1, 5, v21
	s_wait_alu 0xfffe
	s_add_nc_u64 s[34:35], s[10:11], s[12:13]
	s_delay_alu instid0(VALU_DEP_1) | instskip(SKIP_1) | instid1(VALU_DEP_1)
	v_add_nc_u32_e32 v33, v1, v40
	v_lshrrev_b32_e32 v1, 2, v40
	v_dual_mov_b32 v1, 0 :: v_dual_add_nc_u32 v32, v1, v89
	v_add_nc_u32_e32 v25, v10, v40
	v_lshlrev_b32_e32 v69, 2, v28
	v_lshlrev_b32_e32 v70, 2, v27
	s_delay_alu instid0(VALU_DEP_4) | instskip(NEXT) | instid1(VALU_DEP_4)
	v_dual_mov_b32 v15, v1 :: v_dual_lshlrev_b32 v72, 2, v26
	v_dual_mov_b32 v16, v1 :: v_dual_lshlrev_b32 v71, 2, v25
	s_wait_loadcnt 0x0
	ds_store_b32 v69, v9
	ds_store_b32 v70, v2 offset:1024
	ds_store_b32 v71, v3 offset:2048
	v_lshrrev_b32_e32 v2, 5, v22
	v_lshrrev_b32_e32 v3, 5, v23
	v_lshlrev_b32_e32 v73, 2, v29
	v_lshlrev_b32_e32 v74, 2, v33
	;; [unrolled: 1-line block ×3, first 2 shown]
	v_add_nc_u32_e32 v31, v2, v40
	v_dual_mov_b32 v3, v1 :: v_dual_add_nc_u32 v30, v3, v40
	ds_store_b32 v72, v4 offset:3072
	ds_store_b32 v73, v5 offset:4096
	v_dual_mov_b32 v12, v1 :: v_dual_lshlrev_b32 v75, 2, v31
	v_dual_mov_b32 v5, v1 :: v_dual_lshlrev_b32 v76, 2, v30
	v_mov_b32_e32 v9, v1
	ds_store_b32 v74, v6 offset:5120
	ds_store_b32 v75, v7 offset:6144
	;; [unrolled: 1-line block ×3, first 2 shown]
	s_wait_dscnt 0x0
	s_barrier_signal -1
	s_barrier_wait -1
	global_inv scope:SCOPE_SE
	ds_load_2addr_b32 v[47:48], v77 offset1:1
	ds_load_2addr_b32 v[45:46], v77 offset0:2 offset1:3
	ds_load_2addr_b32 v[43:44], v77 offset0:4 offset1:5
	;; [unrolled: 1-line block ×3, first 2 shown]
	v_mov_b32_e32 v2, v1
	v_mov_b32_e32 v4, v1
	v_dual_mov_b32 v6, v1 :: v_dual_mov_b32 v7, v1
	v_mov_b32_e32 v8, v1
	v_dual_mov_b32 v10, v1 :: v_dual_mov_b32 v11, v1
	s_wait_loadcnt_dscnt 0x0
	s_barrier_signal -1
	s_barrier_wait -1
	global_inv scope:SCOPE_SE
	s_and_saveexec_b32 s0, s2
	s_cbranch_execnz .LBB216_70
; %bb.35:
	s_or_b32 exec_lo, exec_lo, s0
	s_and_saveexec_b32 s0, s3
	s_cbranch_execnz .LBB216_71
.LBB216_36:
	s_or_b32 exec_lo, exec_lo, s0
	s_and_saveexec_b32 s0, s4
	s_cbranch_execnz .LBB216_72
.LBB216_37:
	s_or_b32 exec_lo, exec_lo, s0
	s_and_saveexec_b32 s0, s5
	s_cbranch_execnz .LBB216_73
.LBB216_38:
	s_or_b32 exec_lo, exec_lo, s0
	s_and_saveexec_b32 s0, s6
	s_cbranch_execnz .LBB216_74
.LBB216_39:
	s_or_b32 exec_lo, exec_lo, s0
	s_and_saveexec_b32 s0, s7
	s_cbranch_execnz .LBB216_75
.LBB216_40:
	s_or_b32 exec_lo, exec_lo, s0
	s_and_saveexec_b32 s0, s8
	s_cbranch_execnz .LBB216_76
.LBB216_41:
	s_or_b32 exec_lo, exec_lo, s0
	s_xor_b32 s0, s15, -1
	s_and_saveexec_b32 s1, s9
	s_cbranch_execz .LBB216_43
.LBB216_42:
	v_mad_co_u64_u32 v[11:12], null, s28, v23, 0
	s_wait_loadcnt 0x0
	s_delay_alu instid0(VALU_DEP_1) | instskip(NEXT) | instid1(VALU_DEP_1)
	v_mad_co_u64_u32 v[17:18], null, s29, v23, v[12:13]
	v_mov_b32_e32 v12, v17
	s_delay_alu instid0(VALU_DEP_1) | instskip(NEXT) | instid1(VALU_DEP_1)
	v_lshlrev_b64_e32 v[11:12], 3, v[11:12]
	v_add_co_u32 v11, vcc_lo, s34, v11
	s_wait_alu 0xfffd
	s_delay_alu instid0(VALU_DEP_2)
	v_add_co_ci_u32_e64 v12, null, s35, v12, vcc_lo
	global_load_b64 v[11:12], v[11:12], off
.LBB216_43:
	s_or_b32 exec_lo, exec_lo, s1
	v_lshlrev_b32_e32 v78, 3, v28
	v_lshlrev_b32_e32 v81, 3, v26
	;; [unrolled: 1-line block ×9, first 2 shown]
	s_wait_loadcnt 0x0
	ds_store_b64 v78, v[13:14]
	ds_store_b64 v79, v[1:2] offset:2048
	ds_store_b64 v80, v[15:16] offset:4096
	;; [unrolled: 1-line block ×7, first 2 shown]
	s_wait_dscnt 0x0
	s_barrier_signal -1
	s_barrier_wait -1
	global_inv scope:SCOPE_SE
	ds_load_2addr_b64 v[20:23], v86 offset1:1
	ds_load_2addr_b64 v[16:19], v86 offset0:2 offset1:3
	ds_load_2addr_b64 v[12:15], v86 offset0:4 offset1:5
	;; [unrolled: 1-line block ×3, first 2 shown]
	s_and_b32 vcc_lo, exec_lo, s0
	v_bfe_u32 v93, v0, 10, 10
	v_bfe_u32 v94, v0, 20, 10
	v_mbcnt_lo_u32_b32 v91, -1, 0
	v_and_b32_e32 v92, 0x3e0, v40
	v_lshlrev_b32_e32 v87, 2, v89
	v_cmp_gt_u32_e64 s0, 8, v40
	v_cmp_lt_u32_e64 s1, 31, v40
	v_cmp_eq_u32_e64 s10, 0, v40
	v_lshlrev_b32_e32 v88, 2, v24
	v_mul_i32_i24_e32 v90, 0xffffffe4, v40
	s_wait_loadcnt_dscnt 0x0
	s_barrier_signal -1
	s_barrier_wait -1
	global_inv scope:SCOPE_SE
	s_wait_alu 0xfffe
	s_cbranch_vccz .LBB216_77
; %bb.44:
	v_cmp_lt_i32_e32 vcc_lo, -1, v47
	v_or_b32_e32 v7, v91, v92
	s_mov_b32 s24, 0
	v_and_or_b32 v25, 0x1f00, v89, v91
	s_mov_b32 s25, s24
	s_wait_alu 0xfffd
	v_cndmask_b32_e64 v0, -1, 0x80000000, vcc_lo
	v_cmp_lt_i32_e32 vcc_lo, -1, v48
	s_mov_b32 s26, s24
	s_mov_b32 s27, s24
	v_lshlrev_b32_e32 v26, 5, v7
	v_xor_b32_e32 v0, v0, v47
	s_wait_alu 0xfffd
	v_cndmask_b32_e64 v1, -1, 0x80000000, vcc_lo
	v_cmp_lt_i32_e32 vcc_lo, -1, v45
	s_getpc_b64 s[12:13]
	s_wait_alu 0xfffe
	s_sext_i32_i16 s13, s13
	s_add_co_u32 s12, s12, _ZN7rocprim17ROCPRIM_400000_NS16block_radix_sortIfLj256ELj8ElLj1ELj1ELj0ELNS0_26block_radix_rank_algorithmE1ELNS0_18block_padding_hintE2ELNS0_4arch9wavefront6targetE0EE19radix_bits_per_passE@rel32@lo+12
	s_wait_alu 0xfffe
	s_add_co_ci_u32 s13, s13, _ZN7rocprim17ROCPRIM_400000_NS16block_radix_sortIfLj256ELj8ElLj1ELj1ELj0ELNS0_26block_radix_rank_algorithmE1ELNS0_18block_padding_hintE2ELNS0_4arch9wavefront6targetE0EE19radix_bits_per_passE@rel32@hi+24
	v_lshlrev_b32_e32 v95, 2, v25
	s_load_b32 s33, s[12:13], 0x0
	v_xor_b32_e32 v1, v1, v48
	v_cndmask_b32_e64 v2, -1, 0x80000000, vcc_lo
	v_cmp_lt_i32_e32 vcc_lo, -1, v46
	v_add_nc_u32_e32 v96, v95, v95
	v_and_b32_e32 v36, 16, v91
	v_and_b32_e32 v37, 7, v91
	v_xor_b32_e32 v2, v2, v45
	s_wait_alu 0xfffd
	v_cndmask_b32_e64 v3, -1, 0x80000000, vcc_lo
	v_cmp_lt_i32_e32 vcc_lo, -1, v43
	v_cmp_eq_u32_e64 s16, 0, v36
	v_add_nc_u32_e32 v98, -4, v88
	v_add_nc_u32_e32 v100, v87, v90
	v_xor_b32_e32 v3, v3, v46
	s_wait_alu 0xfffd
	v_cndmask_b32_e64 v4, -1, 0x80000000, vcc_lo
	v_cmp_lt_i32_e32 vcc_lo, -1, v44
	s_delay_alu instid0(VALU_DEP_2) | instskip(SKIP_3) | instid1(VALU_DEP_2)
	v_xor_b32_e32 v4, v4, v43
	s_wait_alu 0xfffd
	v_cndmask_b32_e64 v5, -1, 0x80000000, vcc_lo
	v_cmp_lt_i32_e32 vcc_lo, -1, v41
	v_xor_b32_e32 v5, v5, v44
	s_wait_alu 0xfffd
	v_cndmask_b32_e64 v6, -1, 0x80000000, vcc_lo
	v_cmp_lt_i32_e32 vcc_lo, -1, v42
	s_delay_alu instid0(VALU_DEP_2) | instskip(SKIP_2) | instid1(VALU_DEP_1)
	v_xor_b32_e32 v6, v6, v41
	s_wait_alu 0xfffd
	v_cndmask_b32_e64 v24, -1, 0x80000000, vcc_lo
	v_xor_b32_e32 v7, v24, v42
	ds_store_b128 v26, v[0:3]
	ds_store_b128 v26, v[4:7] offset:16
	v_sub_co_u32 v3, s12, v91, 1
	; wave barrier
	ds_load_2addr_b32 v[61:62], v95 offset1:32
	ds_load_2addr_b32 v[63:64], v95 offset0:64 offset1:96
	ds_load_2addr_b32 v[65:66], v95 offset0:128 offset1:160
	;; [unrolled: 1-line block ×3, first 2 shown]
	v_cmp_gt_i32_e32 vcc_lo, 0, v3
	v_add_nc_u32_e32 v0, v26, v26
	s_wait_loadcnt_dscnt 0x0
	s_barrier_signal -1
	s_barrier_wait -1
	global_inv scope:SCOPE_SE
	s_wait_alu 0xfffd
	v_cndmask_b32_e32 v3, v3, v91, vcc_lo
	ds_store_b128 v0, v[20:23]
	ds_store_b128 v0, v[16:19] offset:16
	ds_store_b128 v0, v[12:15] offset:32
	;; [unrolled: 1-line block ×3, first 2 shown]
	; wave barrier
	ds_load_2addr_b64 v[4:7], v96 offset1:32
	ds_load_2addr_b64 v[24:27], v96 offset0:64 offset1:96
	ds_load_2addr_b64 v[28:31], v96 offset0:128 offset1:160
	;; [unrolled: 1-line block ×3, first 2 shown]
	s_wait_loadcnt_dscnt 0x0
	s_barrier_signal -1
	s_barrier_wait -1
	global_inv scope:SCOPE_SE
	s_load_b32 s11, s[36:37], 0xc
	v_and_b32_e32 v2, 15, v91
	v_lshlrev_b32_e32 v97, 2, v3
	s_delay_alu instid0(VALU_DEP_2)
	v_cmp_lt_u32_e64 s13, 1, v2
	v_cmp_lt_u32_e64 s15, 7, v2
	s_wait_kmcnt 0x0
	s_lshr_b32 s14, s11, 16
	s_and_b32 s11, s11, 0xffff
	s_wait_alu 0xfffe
	v_mad_u32_u24 v0, v94, s14, v93
	v_cmp_lt_u32_e64 s14, 3, v2
	s_delay_alu instid0(VALU_DEP_2) | instskip(SKIP_2) | instid1(VALU_DEP_2)
	v_mad_co_u64_u32 v[0:1], null, v0, s11, v[40:41]
	v_min_u32_e32 v1, 0xe0, v92
	v_cmp_eq_u32_e64 s11, 0, v2
	v_or_b32_e32 v1, 31, v1
	s_delay_alu instid0(VALU_DEP_4) | instskip(NEXT) | instid1(VALU_DEP_2)
	v_lshrrev_b32_e32 v0, 3, v0
	v_cmp_eq_u32_e64 s17, v40, v1
	s_delay_alu instid0(VALU_DEP_2)
	v_dual_mov_b32 v0, s24 :: v_dual_and_b32 v99, 0x1ffffffc, v0
	v_dual_mov_b32 v1, s25 :: v_dual_mov_b32 v2, s26
	v_cmp_eq_u32_e64 s18, 0, v37
	v_cmp_lt_u32_e64 s19, 1, v37
	v_cmp_lt_u32_e64 s20, 3, v37
	v_mov_b32_e32 v3, s27
	s_mov_b32 s25, 32
	s_branch .LBB216_46
.LBB216_45:                             ;   in Loop: Header=BB216_46 Depth=1
	s_wait_alu 0xfffe
	s_and_not1_b32 vcc_lo, exec_lo, s21
	s_wait_alu 0xfffe
	s_cbranch_vccz .LBB216_78
.LBB216_46:                             ; =>This Inner Loop Header: Depth=1
	v_dual_mov_b32 v101, v61 :: v_dual_mov_b32 v102, v68
	s_wait_alu 0xfffe
	s_min_u32 s21, s33, s25
	v_mov_b32_e32 v58, v7
	s_wait_alu 0xfffe
	s_lshl_b32 s21, -1, s21
	v_cmp_ne_u32_e32 vcc_lo, 0x7fffffff, v101
	s_wait_alu 0xfffe
	s_not_b32 s26, s21
	v_mov_b32_e32 v60, v5
	ds_store_b128 v87, v[0:3] offset:32
	ds_store_b128 v87, v[0:3] offset:48
	s_wait_loadcnt_dscnt 0x0
	s_wait_alu 0xfffd
	v_dual_cndmask_b32 v36, 0x80000000, v101 :: v_dual_mov_b32 v103, v67
	s_barrier_signal -1
	s_barrier_wait -1
	global_inv scope:SCOPE_SE
	v_lshrrev_b32_e32 v36, s24, v36
	; wave barrier
	v_dual_mov_b32 v104, v66 :: v_dual_mov_b32 v105, v65
	s_wait_alu 0xfffe
	s_delay_alu instid0(VALU_DEP_2) | instskip(SKIP_1) | instid1(VALU_DEP_2)
	v_dual_mov_b32 v106, v64 :: v_dual_and_b32 v61, s26, v36
	v_dual_mov_b32 v107, v63 :: v_dual_mov_b32 v108, v62
	v_dual_mov_b32 v57, v6 :: v_dual_and_b32 v36, 1, v61
	v_lshlrev_b32_e32 v37, 30, v61
	v_lshlrev_b32_e32 v38, 29, v61
	;; [unrolled: 1-line block ×4, first 2 shown]
	v_add_co_u32 v36, s21, v36, -1
	s_wait_alu 0xf1ff
	v_cndmask_b32_e64 v49, 0, 1, s21
	v_not_b32_e32 v53, v37
	v_cmp_gt_i32_e64 s21, 0, v37
	v_not_b32_e32 v37, v38
	v_lshlrev_b32_e32 v51, 26, v61
	v_cmp_ne_u32_e32 vcc_lo, 0, v49
	v_ashrrev_i32_e32 v53, 31, v53
	v_lshlrev_b32_e32 v49, 24, v61
	v_ashrrev_i32_e32 v37, 31, v37
	v_lshlrev_b32_e32 v52, 25, v61
	s_wait_alu 0xfffd
	v_xor_b32_e32 v36, vcc_lo, v36
	v_cmp_gt_i32_e32 vcc_lo, 0, v38
	v_not_b32_e32 v38, v39
	s_wait_alu 0xf1ff
	v_xor_b32_e32 v53, s21, v53
	v_cmp_gt_i32_e64 s21, 0, v39
	v_and_b32_e32 v36, exec_lo, v36
	s_wait_alu 0xfffd
	v_xor_b32_e32 v37, vcc_lo, v37
	v_ashrrev_i32_e32 v38, 31, v38
	v_not_b32_e32 v39, v50
	v_cmp_gt_i32_e32 vcc_lo, 0, v50
	v_and_b32_e32 v36, v36, v53
	v_not_b32_e32 v50, v51
	s_wait_alu 0xf1ff
	v_xor_b32_e32 v38, s21, v38
	v_ashrrev_i32_e32 v39, 31, v39
	v_cmp_gt_i32_e64 s21, 0, v51
	v_and_b32_e32 v36, v36, v37
	v_ashrrev_i32_e32 v50, 31, v50
	v_mov_b32_e32 v59, v4
	s_wait_alu 0xfffd
	v_xor_b32_e32 v39, vcc_lo, v39
	v_lshlrev_b32_e32 v4, 5, v61
	v_and_b32_e32 v36, v36, v38
	v_not_b32_e32 v38, v49
	s_wait_alu 0xf1ff
	v_xor_b32_e32 v50, s21, v50
	v_cmp_gt_i32_e64 s21, 0, v49
	v_mov_b32_e32 v56, v25
	v_and_b32_e32 v36, v36, v39
	v_ashrrev_i32_e32 v38, 31, v38
	v_mov_b32_e32 v55, v24
	s_delay_alu instid0(VALU_DEP_3) | instskip(SKIP_1) | instid1(VALU_DEP_3)
	v_and_b32_e32 v36, v36, v50
	s_wait_alu 0xf1ff
	v_xor_b32_e32 v53, s21, v38
	v_mov_b32_e32 v39, v33
	v_not_b32_e32 v37, v52
	v_cmp_gt_i32_e32 vcc_lo, 0, v52
	v_dual_mov_b32 v50, v31 :: v_dual_mov_b32 v49, v30
	v_mov_b32_e32 v52, v29
	s_delay_alu instid0(VALU_DEP_4) | instskip(SKIP_3) | instid1(VALU_DEP_3)
	v_ashrrev_i32_e32 v37, 31, v37
	v_dual_mov_b32 v51, v28 :: v_dual_mov_b32 v38, v32
	v_add_nc_u32_e32 v29, v99, v4
	s_wait_alu 0xfffd
	v_xor_b32_e32 v37, vcc_lo, v37
	s_delay_alu instid0(VALU_DEP_1) | instskip(SKIP_1) | instid1(VALU_DEP_2)
	v_dual_mov_b32 v37, v35 :: v_dual_and_b32 v54, v36, v37
	v_mov_b32_e32 v36, v34
	v_and_b32_e32 v30, v54, v53
	v_dual_mov_b32 v54, v27 :: v_dual_mov_b32 v53, v26
	s_delay_alu instid0(VALU_DEP_2) | instskip(SKIP_1) | instid1(VALU_DEP_2)
	v_mbcnt_lo_u32_b32 v28, v30, 0
	v_cmp_ne_u32_e64 s21, 0, v30
	v_cmp_eq_u32_e32 vcc_lo, 0, v28
	s_and_b32 s27, s21, vcc_lo
	s_wait_alu 0xfffe
	s_and_saveexec_b32 s21, s27
; %bb.47:                               ;   in Loop: Header=BB216_46 Depth=1
	v_bcnt_u32_b32 v4, v30, 0
	ds_store_b32 v29, v4 offset:32
; %bb.48:                               ;   in Loop: Header=BB216_46 Depth=1
	s_wait_alu 0xfffe
	s_or_b32 exec_lo, exec_lo, s21
	v_cmp_ne_u32_e32 vcc_lo, 0x7fffffff, v108
	; wave barrier
	s_wait_alu 0xfffd
	v_cndmask_b32_e32 v4, 0x80000000, v108, vcc_lo
	s_delay_alu instid0(VALU_DEP_1) | instskip(NEXT) | instid1(VALU_DEP_1)
	v_lshrrev_b32_e32 v4, s24, v4
	v_and_b32_e32 v4, s26, v4
	s_delay_alu instid0(VALU_DEP_1)
	v_and_b32_e32 v5, 1, v4
	v_lshlrev_b32_e32 v6, 30, v4
	v_lshlrev_b32_e32 v7, 29, v4
	v_lshlrev_b32_e32 v24, 28, v4
	v_lshlrev_b32_e32 v26, 27, v4
	v_add_co_u32 v5, s21, v5, -1
	s_wait_alu 0xf1ff
	v_cndmask_b32_e64 v25, 0, 1, s21
	v_not_b32_e32 v31, v6
	v_cmp_gt_i32_e64 s21, 0, v6
	v_not_b32_e32 v6, v7
	v_lshlrev_b32_e32 v27, 26, v4
	v_cmp_ne_u32_e32 vcc_lo, 0, v25
	v_ashrrev_i32_e32 v31, 31, v31
	v_lshlrev_b32_e32 v30, 25, v4
	v_ashrrev_i32_e32 v6, 31, v6
	v_lshlrev_b32_e32 v25, 24, v4
	s_wait_alu 0xfffd
	v_xor_b32_e32 v5, vcc_lo, v5
	v_cmp_gt_i32_e32 vcc_lo, 0, v7
	v_not_b32_e32 v7, v24
	s_wait_alu 0xf1ff
	v_xor_b32_e32 v31, s21, v31
	v_cmp_gt_i32_e64 s21, 0, v24
	v_and_b32_e32 v5, exec_lo, v5
	v_not_b32_e32 v24, v26
	v_ashrrev_i32_e32 v7, 31, v7
	s_wait_alu 0xfffd
	v_xor_b32_e32 v6, vcc_lo, v6
	v_cmp_gt_i32_e32 vcc_lo, 0, v26
	v_and_b32_e32 v5, v5, v31
	v_not_b32_e32 v26, v27
	v_ashrrev_i32_e32 v24, 31, v24
	s_wait_alu 0xf1ff
	v_xor_b32_e32 v7, s21, v7
	v_cmp_gt_i32_e64 s21, 0, v27
	v_and_b32_e32 v5, v5, v6
	v_not_b32_e32 v6, v30
	v_ashrrev_i32_e32 v26, 31, v26
	s_wait_alu 0xfffd
	v_xor_b32_e32 v24, vcc_lo, v24
	v_cmp_gt_i32_e32 vcc_lo, 0, v30
	v_and_b32_e32 v5, v5, v7
	v_not_b32_e32 v7, v25
	v_ashrrev_i32_e32 v6, 31, v6
	s_wait_alu 0xf1ff
	v_xor_b32_e32 v26, s21, v26
	v_lshlrev_b32_e32 v4, 5, v4
	v_and_b32_e32 v5, v5, v24
	v_cmp_gt_i32_e64 s21, 0, v25
	v_ashrrev_i32_e32 v7, 31, v7
	s_wait_alu 0xfffd
	v_xor_b32_e32 v6, vcc_lo, v6
	v_add_nc_u32_e32 v32, v99, v4
	v_and_b32_e32 v5, v5, v26
	s_wait_alu 0xf1ff
	v_xor_b32_e32 v4, s21, v7
	ds_load_b32 v30, v32 offset:32
	v_and_b32_e32 v5, v5, v6
	; wave barrier
	s_delay_alu instid0(VALU_DEP_1) | instskip(NEXT) | instid1(VALU_DEP_1)
	v_and_b32_e32 v4, v5, v4
	v_mbcnt_lo_u32_b32 v31, v4, 0
	v_cmp_ne_u32_e64 s21, 0, v4
	s_delay_alu instid0(VALU_DEP_2)
	v_cmp_eq_u32_e32 vcc_lo, 0, v31
	s_and_b32 s27, s21, vcc_lo
	s_wait_alu 0xfffe
	s_and_saveexec_b32 s21, s27
	s_cbranch_execz .LBB216_50
; %bb.49:                               ;   in Loop: Header=BB216_46 Depth=1
	s_wait_dscnt 0x0
	v_bcnt_u32_b32 v4, v4, v30
	ds_store_b32 v32, v4 offset:32
.LBB216_50:                             ;   in Loop: Header=BB216_46 Depth=1
	s_wait_alu 0xfffe
	s_or_b32 exec_lo, exec_lo, s21
	v_cmp_ne_u32_e32 vcc_lo, 0x7fffffff, v107
	; wave barrier
	s_wait_alu 0xfffd
	v_cndmask_b32_e32 v4, 0x80000000, v107, vcc_lo
	s_delay_alu instid0(VALU_DEP_1) | instskip(NEXT) | instid1(VALU_DEP_1)
	v_lshrrev_b32_e32 v4, s24, v4
	v_and_b32_e32 v4, s26, v4
	s_delay_alu instid0(VALU_DEP_1)
	v_and_b32_e32 v5, 1, v4
	v_lshlrev_b32_e32 v6, 30, v4
	v_lshlrev_b32_e32 v7, 29, v4
	;; [unrolled: 1-line block ×4, first 2 shown]
	v_add_co_u32 v5, s21, v5, -1
	s_wait_alu 0xf1ff
	v_cndmask_b32_e64 v25, 0, 1, s21
	v_not_b32_e32 v34, v6
	v_cmp_gt_i32_e64 s21, 0, v6
	v_not_b32_e32 v6, v7
	v_lshlrev_b32_e32 v27, 26, v4
	v_cmp_ne_u32_e32 vcc_lo, 0, v25
	v_ashrrev_i32_e32 v34, 31, v34
	v_lshlrev_b32_e32 v33, 25, v4
	v_ashrrev_i32_e32 v6, 31, v6
	v_lshlrev_b32_e32 v25, 24, v4
	s_wait_alu 0xfffd
	v_xor_b32_e32 v5, vcc_lo, v5
	v_cmp_gt_i32_e32 vcc_lo, 0, v7
	v_not_b32_e32 v7, v24
	s_wait_alu 0xf1ff
	v_xor_b32_e32 v34, s21, v34
	v_cmp_gt_i32_e64 s21, 0, v24
	v_and_b32_e32 v5, exec_lo, v5
	v_not_b32_e32 v24, v26
	v_ashrrev_i32_e32 v7, 31, v7
	s_wait_alu 0xfffd
	v_xor_b32_e32 v6, vcc_lo, v6
	v_cmp_gt_i32_e32 vcc_lo, 0, v26
	v_and_b32_e32 v5, v5, v34
	v_not_b32_e32 v26, v27
	v_ashrrev_i32_e32 v24, 31, v24
	s_wait_alu 0xf1ff
	v_xor_b32_e32 v7, s21, v7
	v_cmp_gt_i32_e64 s21, 0, v27
	v_and_b32_e32 v5, v5, v6
	v_not_b32_e32 v6, v33
	v_ashrrev_i32_e32 v26, 31, v26
	s_wait_alu 0xfffd
	v_xor_b32_e32 v24, vcc_lo, v24
	v_cmp_gt_i32_e32 vcc_lo, 0, v33
	v_and_b32_e32 v5, v5, v7
	v_not_b32_e32 v7, v25
	v_ashrrev_i32_e32 v6, 31, v6
	s_wait_alu 0xf1ff
	v_xor_b32_e32 v26, s21, v26
	v_lshlrev_b32_e32 v4, 5, v4
	v_and_b32_e32 v5, v5, v24
	v_cmp_gt_i32_e64 s21, 0, v25
	v_ashrrev_i32_e32 v7, 31, v7
	s_wait_alu 0xfffd
	v_xor_b32_e32 v6, vcc_lo, v6
	v_add_nc_u32_e32 v35, v99, v4
	v_and_b32_e32 v5, v5, v26
	s_wait_alu 0xf1ff
	v_xor_b32_e32 v4, s21, v7
	ds_load_b32 v33, v35 offset:32
	v_and_b32_e32 v5, v5, v6
	; wave barrier
	s_delay_alu instid0(VALU_DEP_1) | instskip(NEXT) | instid1(VALU_DEP_1)
	v_and_b32_e32 v4, v5, v4
	v_mbcnt_lo_u32_b32 v34, v4, 0
	v_cmp_ne_u32_e64 s21, 0, v4
	s_delay_alu instid0(VALU_DEP_2)
	v_cmp_eq_u32_e32 vcc_lo, 0, v34
	s_and_b32 s27, s21, vcc_lo
	s_wait_alu 0xfffe
	s_and_saveexec_b32 s21, s27
	s_cbranch_execz .LBB216_52
; %bb.51:                               ;   in Loop: Header=BB216_46 Depth=1
	s_wait_dscnt 0x0
	v_bcnt_u32_b32 v4, v4, v33
	ds_store_b32 v35, v4 offset:32
.LBB216_52:                             ;   in Loop: Header=BB216_46 Depth=1
	s_wait_alu 0xfffe
	s_or_b32 exec_lo, exec_lo, s21
	v_cmp_ne_u32_e32 vcc_lo, 0x7fffffff, v106
	; wave barrier
	s_wait_alu 0xfffd
	v_cndmask_b32_e32 v4, 0x80000000, v106, vcc_lo
	s_delay_alu instid0(VALU_DEP_1) | instskip(NEXT) | instid1(VALU_DEP_1)
	v_lshrrev_b32_e32 v4, s24, v4
	v_and_b32_e32 v4, s26, v4
	s_delay_alu instid0(VALU_DEP_1)
	v_and_b32_e32 v5, 1, v4
	v_lshlrev_b32_e32 v6, 30, v4
	v_lshlrev_b32_e32 v7, 29, v4
	;; [unrolled: 1-line block ×4, first 2 shown]
	v_add_co_u32 v5, s21, v5, -1
	s_wait_alu 0xf1ff
	v_cndmask_b32_e64 v25, 0, 1, s21
	v_not_b32_e32 v62, v6
	v_cmp_gt_i32_e64 s21, 0, v6
	v_not_b32_e32 v6, v7
	v_lshlrev_b32_e32 v27, 26, v4
	v_cmp_ne_u32_e32 vcc_lo, 0, v25
	v_ashrrev_i32_e32 v62, 31, v62
	v_lshlrev_b32_e32 v61, 25, v4
	v_ashrrev_i32_e32 v6, 31, v6
	v_lshlrev_b32_e32 v25, 24, v4
	s_wait_alu 0xfffd
	v_xor_b32_e32 v5, vcc_lo, v5
	v_cmp_gt_i32_e32 vcc_lo, 0, v7
	v_not_b32_e32 v7, v24
	s_wait_alu 0xf1ff
	v_xor_b32_e32 v62, s21, v62
	v_cmp_gt_i32_e64 s21, 0, v24
	v_and_b32_e32 v5, exec_lo, v5
	v_not_b32_e32 v24, v26
	v_ashrrev_i32_e32 v7, 31, v7
	s_wait_alu 0xfffd
	v_xor_b32_e32 v6, vcc_lo, v6
	v_cmp_gt_i32_e32 vcc_lo, 0, v26
	v_and_b32_e32 v5, v5, v62
	v_not_b32_e32 v26, v27
	v_ashrrev_i32_e32 v24, 31, v24
	s_wait_alu 0xf1ff
	v_xor_b32_e32 v7, s21, v7
	v_cmp_gt_i32_e64 s21, 0, v27
	v_and_b32_e32 v5, v5, v6
	v_not_b32_e32 v6, v61
	v_ashrrev_i32_e32 v26, 31, v26
	s_wait_alu 0xfffd
	v_xor_b32_e32 v24, vcc_lo, v24
	v_cmp_gt_i32_e32 vcc_lo, 0, v61
	v_and_b32_e32 v5, v5, v7
	v_not_b32_e32 v7, v25
	v_ashrrev_i32_e32 v6, 31, v6
	s_wait_alu 0xf1ff
	v_xor_b32_e32 v26, s21, v26
	v_lshlrev_b32_e32 v4, 5, v4
	v_and_b32_e32 v5, v5, v24
	v_cmp_gt_i32_e64 s21, 0, v25
	v_ashrrev_i32_e32 v7, 31, v7
	s_wait_alu 0xfffd
	v_xor_b32_e32 v6, vcc_lo, v6
	v_add_nc_u32_e32 v63, v99, v4
	v_and_b32_e32 v5, v5, v26
	s_wait_alu 0xf1ff
	v_xor_b32_e32 v4, s21, v7
	ds_load_b32 v61, v63 offset:32
	v_and_b32_e32 v5, v5, v6
	; wave barrier
	s_delay_alu instid0(VALU_DEP_1) | instskip(NEXT) | instid1(VALU_DEP_1)
	v_and_b32_e32 v4, v5, v4
	v_mbcnt_lo_u32_b32 v62, v4, 0
	v_cmp_ne_u32_e64 s21, 0, v4
	s_delay_alu instid0(VALU_DEP_2)
	v_cmp_eq_u32_e32 vcc_lo, 0, v62
	s_and_b32 s27, s21, vcc_lo
	s_wait_alu 0xfffe
	s_and_saveexec_b32 s21, s27
	s_cbranch_execz .LBB216_54
; %bb.53:                               ;   in Loop: Header=BB216_46 Depth=1
	s_wait_dscnt 0x0
	v_bcnt_u32_b32 v4, v4, v61
	ds_store_b32 v63, v4 offset:32
.LBB216_54:                             ;   in Loop: Header=BB216_46 Depth=1
	s_wait_alu 0xfffe
	s_or_b32 exec_lo, exec_lo, s21
	v_cmp_ne_u32_e32 vcc_lo, 0x7fffffff, v105
	; wave barrier
	s_wait_alu 0xfffd
	v_cndmask_b32_e32 v4, 0x80000000, v105, vcc_lo
	s_delay_alu instid0(VALU_DEP_1) | instskip(NEXT) | instid1(VALU_DEP_1)
	v_lshrrev_b32_e32 v4, s24, v4
	v_and_b32_e32 v4, s26, v4
	s_delay_alu instid0(VALU_DEP_1)
	v_and_b32_e32 v5, 1, v4
	v_lshlrev_b32_e32 v6, 30, v4
	v_lshlrev_b32_e32 v7, 29, v4
	;; [unrolled: 1-line block ×4, first 2 shown]
	v_add_co_u32 v5, s21, v5, -1
	s_wait_alu 0xf1ff
	v_cndmask_b32_e64 v25, 0, 1, s21
	v_not_b32_e32 v65, v6
	v_cmp_gt_i32_e64 s21, 0, v6
	v_not_b32_e32 v6, v7
	v_lshlrev_b32_e32 v27, 26, v4
	v_cmp_ne_u32_e32 vcc_lo, 0, v25
	v_ashrrev_i32_e32 v65, 31, v65
	v_lshlrev_b32_e32 v64, 25, v4
	v_ashrrev_i32_e32 v6, 31, v6
	v_lshlrev_b32_e32 v25, 24, v4
	s_wait_alu 0xfffd
	v_xor_b32_e32 v5, vcc_lo, v5
	v_cmp_gt_i32_e32 vcc_lo, 0, v7
	v_not_b32_e32 v7, v24
	s_wait_alu 0xf1ff
	v_xor_b32_e32 v65, s21, v65
	v_cmp_gt_i32_e64 s21, 0, v24
	v_and_b32_e32 v5, exec_lo, v5
	v_not_b32_e32 v24, v26
	v_ashrrev_i32_e32 v7, 31, v7
	s_wait_alu 0xfffd
	v_xor_b32_e32 v6, vcc_lo, v6
	v_cmp_gt_i32_e32 vcc_lo, 0, v26
	v_and_b32_e32 v5, v5, v65
	v_not_b32_e32 v26, v27
	v_ashrrev_i32_e32 v24, 31, v24
	s_wait_alu 0xf1ff
	v_xor_b32_e32 v7, s21, v7
	v_cmp_gt_i32_e64 s21, 0, v27
	v_and_b32_e32 v5, v5, v6
	v_not_b32_e32 v6, v64
	v_ashrrev_i32_e32 v26, 31, v26
	s_wait_alu 0xfffd
	v_xor_b32_e32 v24, vcc_lo, v24
	v_cmp_gt_i32_e32 vcc_lo, 0, v64
	v_and_b32_e32 v5, v5, v7
	v_not_b32_e32 v7, v25
	v_ashrrev_i32_e32 v6, 31, v6
	s_wait_alu 0xf1ff
	v_xor_b32_e32 v26, s21, v26
	v_lshlrev_b32_e32 v4, 5, v4
	v_and_b32_e32 v5, v5, v24
	v_cmp_gt_i32_e64 s21, 0, v25
	v_ashrrev_i32_e32 v7, 31, v7
	s_wait_alu 0xfffd
	v_xor_b32_e32 v6, vcc_lo, v6
	v_add_nc_u32_e32 v66, v99, v4
	v_and_b32_e32 v5, v5, v26
	s_wait_alu 0xf1ff
	v_xor_b32_e32 v4, s21, v7
	ds_load_b32 v64, v66 offset:32
	v_and_b32_e32 v5, v5, v6
	; wave barrier
	s_delay_alu instid0(VALU_DEP_1) | instskip(NEXT) | instid1(VALU_DEP_1)
	v_and_b32_e32 v4, v5, v4
	v_mbcnt_lo_u32_b32 v65, v4, 0
	v_cmp_ne_u32_e64 s21, 0, v4
	s_delay_alu instid0(VALU_DEP_2)
	v_cmp_eq_u32_e32 vcc_lo, 0, v65
	s_and_b32 s27, s21, vcc_lo
	s_wait_alu 0xfffe
	s_and_saveexec_b32 s21, s27
	s_cbranch_execz .LBB216_56
; %bb.55:                               ;   in Loop: Header=BB216_46 Depth=1
	s_wait_dscnt 0x0
	v_bcnt_u32_b32 v4, v4, v64
	ds_store_b32 v66, v4 offset:32
.LBB216_56:                             ;   in Loop: Header=BB216_46 Depth=1
	s_wait_alu 0xfffe
	s_or_b32 exec_lo, exec_lo, s21
	v_cmp_ne_u32_e32 vcc_lo, 0x7fffffff, v104
	; wave barrier
	s_wait_alu 0xfffd
	v_cndmask_b32_e32 v4, 0x80000000, v104, vcc_lo
	s_delay_alu instid0(VALU_DEP_1) | instskip(NEXT) | instid1(VALU_DEP_1)
	v_lshrrev_b32_e32 v4, s24, v4
	v_and_b32_e32 v4, s26, v4
	s_delay_alu instid0(VALU_DEP_1)
	v_and_b32_e32 v5, 1, v4
	v_lshlrev_b32_e32 v6, 30, v4
	v_lshlrev_b32_e32 v7, 29, v4
	;; [unrolled: 1-line block ×4, first 2 shown]
	v_add_co_u32 v5, s21, v5, -1
	s_wait_alu 0xf1ff
	v_cndmask_b32_e64 v25, 0, 1, s21
	v_not_b32_e32 v68, v6
	v_cmp_gt_i32_e64 s21, 0, v6
	v_not_b32_e32 v6, v7
	v_lshlrev_b32_e32 v27, 26, v4
	v_cmp_ne_u32_e32 vcc_lo, 0, v25
	v_ashrrev_i32_e32 v68, 31, v68
	v_lshlrev_b32_e32 v67, 25, v4
	v_ashrrev_i32_e32 v6, 31, v6
	v_lshlrev_b32_e32 v25, 24, v4
	s_wait_alu 0xfffd
	v_xor_b32_e32 v5, vcc_lo, v5
	v_cmp_gt_i32_e32 vcc_lo, 0, v7
	v_not_b32_e32 v7, v24
	s_wait_alu 0xf1ff
	v_xor_b32_e32 v68, s21, v68
	v_cmp_gt_i32_e64 s21, 0, v24
	v_and_b32_e32 v5, exec_lo, v5
	v_not_b32_e32 v24, v26
	v_ashrrev_i32_e32 v7, 31, v7
	s_wait_alu 0xfffd
	v_xor_b32_e32 v6, vcc_lo, v6
	v_cmp_gt_i32_e32 vcc_lo, 0, v26
	v_and_b32_e32 v5, v5, v68
	v_not_b32_e32 v26, v27
	v_ashrrev_i32_e32 v24, 31, v24
	s_wait_alu 0xf1ff
	v_xor_b32_e32 v7, s21, v7
	v_cmp_gt_i32_e64 s21, 0, v27
	v_and_b32_e32 v5, v5, v6
	v_not_b32_e32 v6, v67
	v_ashrrev_i32_e32 v26, 31, v26
	s_wait_alu 0xfffd
	v_xor_b32_e32 v24, vcc_lo, v24
	v_cmp_gt_i32_e32 vcc_lo, 0, v67
	v_and_b32_e32 v5, v5, v7
	v_not_b32_e32 v7, v25
	v_ashrrev_i32_e32 v6, 31, v6
	s_wait_alu 0xf1ff
	v_xor_b32_e32 v26, s21, v26
	v_lshlrev_b32_e32 v4, 5, v4
	v_and_b32_e32 v5, v5, v24
	v_cmp_gt_i32_e64 s21, 0, v25
	v_ashrrev_i32_e32 v7, 31, v7
	s_wait_alu 0xfffd
	v_xor_b32_e32 v6, vcc_lo, v6
	v_add_nc_u32_e32 v68, v99, v4
	v_and_b32_e32 v5, v5, v26
	s_wait_alu 0xf1ff
	v_xor_b32_e32 v4, s21, v7
	ds_load_b32 v67, v68 offset:32
	v_and_b32_e32 v5, v5, v6
	; wave barrier
	s_delay_alu instid0(VALU_DEP_1) | instskip(NEXT) | instid1(VALU_DEP_1)
	v_and_b32_e32 v4, v5, v4
	v_mbcnt_lo_u32_b32 v109, v4, 0
	v_cmp_ne_u32_e64 s21, 0, v4
	s_delay_alu instid0(VALU_DEP_2)
	v_cmp_eq_u32_e32 vcc_lo, 0, v109
	s_and_b32 s27, s21, vcc_lo
	s_wait_alu 0xfffe
	s_and_saveexec_b32 s21, s27
	s_cbranch_execz .LBB216_58
; %bb.57:                               ;   in Loop: Header=BB216_46 Depth=1
	s_wait_dscnt 0x0
	v_bcnt_u32_b32 v4, v4, v67
	ds_store_b32 v68, v4 offset:32
.LBB216_58:                             ;   in Loop: Header=BB216_46 Depth=1
	s_wait_alu 0xfffe
	s_or_b32 exec_lo, exec_lo, s21
	v_cmp_ne_u32_e32 vcc_lo, 0x7fffffff, v103
	; wave barrier
	s_wait_alu 0xfffd
	v_cndmask_b32_e32 v4, 0x80000000, v103, vcc_lo
	s_delay_alu instid0(VALU_DEP_1) | instskip(NEXT) | instid1(VALU_DEP_1)
	v_lshrrev_b32_e32 v4, s24, v4
	v_and_b32_e32 v4, s26, v4
	s_delay_alu instid0(VALU_DEP_1)
	v_and_b32_e32 v5, 1, v4
	v_lshlrev_b32_e32 v6, 30, v4
	v_lshlrev_b32_e32 v7, 29, v4
	;; [unrolled: 1-line block ×4, first 2 shown]
	v_add_co_u32 v5, s21, v5, -1
	s_wait_alu 0xf1ff
	v_cndmask_b32_e64 v25, 0, 1, s21
	v_not_b32_e32 v111, v6
	v_cmp_gt_i32_e64 s21, 0, v6
	v_not_b32_e32 v6, v7
	v_lshlrev_b32_e32 v27, 26, v4
	v_cmp_ne_u32_e32 vcc_lo, 0, v25
	v_ashrrev_i32_e32 v111, 31, v111
	v_lshlrev_b32_e32 v110, 25, v4
	v_ashrrev_i32_e32 v6, 31, v6
	v_lshlrev_b32_e32 v25, 24, v4
	s_wait_alu 0xfffd
	v_xor_b32_e32 v5, vcc_lo, v5
	v_cmp_gt_i32_e32 vcc_lo, 0, v7
	v_not_b32_e32 v7, v24
	s_wait_alu 0xf1ff
	v_xor_b32_e32 v111, s21, v111
	v_cmp_gt_i32_e64 s21, 0, v24
	v_and_b32_e32 v5, exec_lo, v5
	v_not_b32_e32 v24, v26
	v_ashrrev_i32_e32 v7, 31, v7
	s_wait_alu 0xfffd
	v_xor_b32_e32 v6, vcc_lo, v6
	v_cmp_gt_i32_e32 vcc_lo, 0, v26
	v_and_b32_e32 v5, v5, v111
	v_not_b32_e32 v26, v27
	v_ashrrev_i32_e32 v24, 31, v24
	s_wait_alu 0xf1ff
	v_xor_b32_e32 v7, s21, v7
	v_cmp_gt_i32_e64 s21, 0, v27
	v_and_b32_e32 v5, v5, v6
	v_not_b32_e32 v6, v110
	v_ashrrev_i32_e32 v26, 31, v26
	s_wait_alu 0xfffd
	v_xor_b32_e32 v24, vcc_lo, v24
	v_cmp_gt_i32_e32 vcc_lo, 0, v110
	v_and_b32_e32 v5, v5, v7
	v_not_b32_e32 v7, v25
	v_ashrrev_i32_e32 v6, 31, v6
	s_wait_alu 0xf1ff
	v_xor_b32_e32 v26, s21, v26
	v_lshlrev_b32_e32 v4, 5, v4
	v_and_b32_e32 v5, v5, v24
	v_cmp_gt_i32_e64 s21, 0, v25
	v_ashrrev_i32_e32 v7, 31, v7
	s_wait_alu 0xfffd
	v_xor_b32_e32 v6, vcc_lo, v6
	v_add_nc_u32_e32 v111, v99, v4
	v_and_b32_e32 v5, v5, v26
	s_wait_alu 0xf1ff
	v_xor_b32_e32 v4, s21, v7
	ds_load_b32 v110, v111 offset:32
	v_and_b32_e32 v5, v5, v6
	; wave barrier
	s_delay_alu instid0(VALU_DEP_1) | instskip(NEXT) | instid1(VALU_DEP_1)
	v_and_b32_e32 v4, v5, v4
	v_mbcnt_lo_u32_b32 v112, v4, 0
	v_cmp_ne_u32_e64 s21, 0, v4
	s_delay_alu instid0(VALU_DEP_2)
	v_cmp_eq_u32_e32 vcc_lo, 0, v112
	s_and_b32 s27, s21, vcc_lo
	s_wait_alu 0xfffe
	s_and_saveexec_b32 s21, s27
	s_cbranch_execz .LBB216_60
; %bb.59:                               ;   in Loop: Header=BB216_46 Depth=1
	s_wait_dscnt 0x0
	v_bcnt_u32_b32 v4, v4, v110
	ds_store_b32 v111, v4 offset:32
.LBB216_60:                             ;   in Loop: Header=BB216_46 Depth=1
	s_wait_alu 0xfffe
	s_or_b32 exec_lo, exec_lo, s21
	v_cmp_ne_u32_e32 vcc_lo, 0x7fffffff, v102
	; wave barrier
	s_wait_alu 0xfffd
	v_cndmask_b32_e32 v4, 0x80000000, v102, vcc_lo
	s_delay_alu instid0(VALU_DEP_1) | instskip(NEXT) | instid1(VALU_DEP_1)
	v_lshrrev_b32_e32 v4, s24, v4
	v_and_b32_e32 v4, s26, v4
	s_delay_alu instid0(VALU_DEP_1)
	v_and_b32_e32 v5, 1, v4
	v_lshlrev_b32_e32 v6, 30, v4
	v_lshlrev_b32_e32 v7, 29, v4
	;; [unrolled: 1-line block ×4, first 2 shown]
	v_add_co_u32 v5, s21, v5, -1
	s_wait_alu 0xf1ff
	v_cndmask_b32_e64 v25, 0, 1, s21
	v_not_b32_e32 v114, v6
	v_cmp_gt_i32_e64 s21, 0, v6
	v_not_b32_e32 v6, v7
	v_lshlrev_b32_e32 v27, 26, v4
	v_cmp_ne_u32_e32 vcc_lo, 0, v25
	v_ashrrev_i32_e32 v114, 31, v114
	v_lshlrev_b32_e32 v113, 25, v4
	v_ashrrev_i32_e32 v6, 31, v6
	v_lshlrev_b32_e32 v25, 24, v4
	s_wait_alu 0xfffd
	v_xor_b32_e32 v5, vcc_lo, v5
	v_cmp_gt_i32_e32 vcc_lo, 0, v7
	v_not_b32_e32 v7, v24
	s_wait_alu 0xf1ff
	v_xor_b32_e32 v114, s21, v114
	v_cmp_gt_i32_e64 s21, 0, v24
	v_and_b32_e32 v5, exec_lo, v5
	v_not_b32_e32 v24, v26
	v_ashrrev_i32_e32 v7, 31, v7
	s_wait_alu 0xfffd
	v_xor_b32_e32 v6, vcc_lo, v6
	v_cmp_gt_i32_e32 vcc_lo, 0, v26
	v_and_b32_e32 v5, v5, v114
	v_not_b32_e32 v26, v27
	v_ashrrev_i32_e32 v24, 31, v24
	s_wait_alu 0xf1ff
	v_xor_b32_e32 v7, s21, v7
	v_cmp_gt_i32_e64 s21, 0, v27
	v_and_b32_e32 v5, v5, v6
	v_not_b32_e32 v6, v113
	v_ashrrev_i32_e32 v26, 31, v26
	s_wait_alu 0xfffd
	v_xor_b32_e32 v24, vcc_lo, v24
	v_cmp_gt_i32_e32 vcc_lo, 0, v113
	v_and_b32_e32 v5, v5, v7
	v_not_b32_e32 v7, v25
	v_ashrrev_i32_e32 v6, 31, v6
	s_wait_alu 0xf1ff
	v_xor_b32_e32 v26, s21, v26
	v_lshlrev_b32_e32 v4, 5, v4
	v_and_b32_e32 v5, v5, v24
	v_cmp_gt_i32_e64 s21, 0, v25
	v_ashrrev_i32_e32 v7, 31, v7
	s_wait_alu 0xfffd
	v_xor_b32_e32 v6, vcc_lo, v6
	v_add_nc_u32_e32 v113, v99, v4
	v_and_b32_e32 v5, v5, v26
	s_wait_alu 0xf1ff
	v_xor_b32_e32 v4, s21, v7
	ds_load_b32 v118, v113 offset:32
	v_and_b32_e32 v5, v5, v6
	; wave barrier
	s_delay_alu instid0(VALU_DEP_1) | instskip(NEXT) | instid1(VALU_DEP_1)
	v_and_b32_e32 v4, v5, v4
	v_mbcnt_lo_u32_b32 v119, v4, 0
	v_cmp_ne_u32_e64 s21, 0, v4
	s_delay_alu instid0(VALU_DEP_2)
	v_cmp_eq_u32_e32 vcc_lo, 0, v119
	s_and_b32 s26, s21, vcc_lo
	s_wait_alu 0xfffe
	s_and_saveexec_b32 s21, s26
	s_cbranch_execz .LBB216_62
; %bb.61:                               ;   in Loop: Header=BB216_46 Depth=1
	s_wait_dscnt 0x0
	v_bcnt_u32_b32 v4, v4, v118
	ds_store_b32 v113, v4 offset:32
.LBB216_62:                             ;   in Loop: Header=BB216_46 Depth=1
	s_wait_alu 0xfffe
	s_or_b32 exec_lo, exec_lo, s21
	; wave barrier
	s_wait_loadcnt_dscnt 0x0
	s_barrier_signal -1
	s_barrier_wait -1
	global_inv scope:SCOPE_SE
	ds_load_b128 v[24:27], v87 offset:32
	ds_load_b128 v[4:7], v87 offset:48
	s_wait_dscnt 0x1
	v_add_nc_u32_e32 v114, v25, v24
	s_delay_alu instid0(VALU_DEP_1) | instskip(SKIP_1) | instid1(VALU_DEP_1)
	v_add3_u32 v114, v114, v26, v27
	s_wait_dscnt 0x0
	v_add3_u32 v114, v114, v4, v5
	s_delay_alu instid0(VALU_DEP_1) | instskip(NEXT) | instid1(VALU_DEP_1)
	v_add3_u32 v7, v114, v6, v7
	v_mov_b32_dpp v114, v7 row_shr:1 row_mask:0xf bank_mask:0xf
	s_delay_alu instid0(VALU_DEP_1) | instskip(NEXT) | instid1(VALU_DEP_1)
	v_cndmask_b32_e64 v114, v114, 0, s11
	v_add_nc_u32_e32 v7, v114, v7
	s_delay_alu instid0(VALU_DEP_1) | instskip(NEXT) | instid1(VALU_DEP_1)
	v_mov_b32_dpp v114, v7 row_shr:2 row_mask:0xf bank_mask:0xf
	v_cndmask_b32_e64 v114, 0, v114, s13
	s_delay_alu instid0(VALU_DEP_1) | instskip(NEXT) | instid1(VALU_DEP_1)
	v_add_nc_u32_e32 v7, v7, v114
	v_mov_b32_dpp v114, v7 row_shr:4 row_mask:0xf bank_mask:0xf
	s_delay_alu instid0(VALU_DEP_1) | instskip(NEXT) | instid1(VALU_DEP_1)
	v_cndmask_b32_e64 v114, 0, v114, s14
	v_add_nc_u32_e32 v7, v7, v114
	s_delay_alu instid0(VALU_DEP_1) | instskip(NEXT) | instid1(VALU_DEP_1)
	v_mov_b32_dpp v114, v7 row_shr:8 row_mask:0xf bank_mask:0xf
	v_cndmask_b32_e64 v114, 0, v114, s15
	s_delay_alu instid0(VALU_DEP_1) | instskip(SKIP_3) | instid1(VALU_DEP_1)
	v_add_nc_u32_e32 v7, v7, v114
	ds_swizzle_b32 v114, v7 offset:swizzle(BROADCAST,32,15)
	s_wait_dscnt 0x0
	v_cndmask_b32_e64 v114, v114, 0, s16
	v_add_nc_u32_e32 v7, v7, v114
	s_and_saveexec_b32 s21, s17
; %bb.63:                               ;   in Loop: Header=BB216_46 Depth=1
	ds_store_b32 v88, v7
; %bb.64:                               ;   in Loop: Header=BB216_46 Depth=1
	s_wait_alu 0xfffe
	s_or_b32 exec_lo, exec_lo, s21
	s_wait_loadcnt_dscnt 0x0
	s_barrier_signal -1
	s_barrier_wait -1
	global_inv scope:SCOPE_SE
	s_and_saveexec_b32 s21, s0
	s_cbranch_execz .LBB216_66
; %bb.65:                               ;   in Loop: Header=BB216_46 Depth=1
	ds_load_b32 v114, v100
	s_wait_dscnt 0x0
	v_mov_b32_dpp v115, v114 row_shr:1 row_mask:0xf bank_mask:0xf
	s_delay_alu instid0(VALU_DEP_1) | instskip(NEXT) | instid1(VALU_DEP_1)
	v_cndmask_b32_e64 v115, v115, 0, s18
	v_add_nc_u32_e32 v114, v115, v114
	s_delay_alu instid0(VALU_DEP_1) | instskip(NEXT) | instid1(VALU_DEP_1)
	v_mov_b32_dpp v115, v114 row_shr:2 row_mask:0xf bank_mask:0xf
	v_cndmask_b32_e64 v115, 0, v115, s19
	s_delay_alu instid0(VALU_DEP_1) | instskip(NEXT) | instid1(VALU_DEP_1)
	v_add_nc_u32_e32 v114, v114, v115
	v_mov_b32_dpp v115, v114 row_shr:4 row_mask:0xf bank_mask:0xf
	s_delay_alu instid0(VALU_DEP_1) | instskip(NEXT) | instid1(VALU_DEP_1)
	v_cndmask_b32_e64 v115, 0, v115, s20
	v_add_nc_u32_e32 v114, v114, v115
	ds_store_b32 v100, v114
.LBB216_66:                             ;   in Loop: Header=BB216_46 Depth=1
	s_wait_alu 0xfffe
	s_or_b32 exec_lo, exec_lo, s21
	v_mov_b32_e32 v114, 0
	s_wait_loadcnt_dscnt 0x0
	s_barrier_signal -1
	s_barrier_wait -1
	global_inv scope:SCOPE_SE
	s_and_saveexec_b32 s21, s1
; %bb.67:                               ;   in Loop: Header=BB216_46 Depth=1
	ds_load_b32 v114, v98
; %bb.68:                               ;   in Loop: Header=BB216_46 Depth=1
	s_wait_alu 0xfffe
	s_or_b32 exec_lo, exec_lo, s21
	s_wait_dscnt 0x0
	v_add_nc_u32_e32 v7, v114, v7
	s_cmp_gt_u32 s24, 23
	s_mov_b32 s21, -1
	ds_bpermute_b32 v7, v97, v7
	s_wait_dscnt 0x0
	v_cndmask_b32_e64 v7, v7, v114, s12
	s_delay_alu instid0(VALU_DEP_1) | instskip(NEXT) | instid1(VALU_DEP_1)
	v_cndmask_b32_e64 v114, v7, 0, s10
	v_add_nc_u32_e32 v115, v114, v24
	s_delay_alu instid0(VALU_DEP_1) | instskip(NEXT) | instid1(VALU_DEP_1)
	v_add_nc_u32_e32 v116, v115, v25
	v_add_nc_u32_e32 v117, v116, v26
	s_delay_alu instid0(VALU_DEP_1) | instskip(NEXT) | instid1(VALU_DEP_1)
	v_add_nc_u32_e32 v24, v117, v27
	;; [unrolled: 3-line block ×3, first 2 shown]
	v_add_nc_u32_e32 v27, v26, v6
	ds_store_b128 v87, v[114:117] offset:32
	ds_store_b128 v87, v[24:27] offset:48
	s_wait_loadcnt_dscnt 0x0
	s_barrier_signal -1
	s_barrier_wait -1
	global_inv scope:SCOPE_SE
	ds_load_b32 v4, v29 offset:32
	ds_load_b32 v5, v32 offset:32
	;; [unrolled: 1-line block ×8, first 2 shown]
	s_wait_dscnt 0x7
	v_add_nc_u32_e32 v117, v4, v28
	s_wait_dscnt 0x6
	v_add3_u32 v116, v31, v30, v5
	s_wait_dscnt 0x5
	v_add3_u32 v115, v34, v33, v6
	;; [unrolled: 2-line block ×7, first 2 shown]
                                        ; implicit-def: $vgpr68
                                        ; implicit-def: $vgpr66
                                        ; implicit-def: $vgpr64
                                        ; implicit-def: $vgpr62
                                        ; implicit-def: $vgpr34_vgpr35
                                        ; implicit-def: $vgpr30_vgpr31
                                        ; implicit-def: $vgpr26_vgpr27
                                        ; implicit-def: $vgpr6_vgpr7
	s_cbranch_scc1 .LBB216_45
; %bb.69:                               ;   in Loop: Header=BB216_46 Depth=1
	v_lshlrev_b32_e32 v4, 2, v117
	v_lshlrev_b32_e32 v5, 2, v116
	;; [unrolled: 1-line block ×3, first 2 shown]
	s_wait_loadcnt 0x0
	s_barrier_signal -1
	s_barrier_wait -1
	global_inv scope:SCOPE_SE
	ds_store_b32 v4, v101
	ds_store_b32 v5, v108
	;; [unrolled: 1-line block ×3, first 2 shown]
	v_lshlrev_b32_e32 v7, 2, v114
	v_add_nc_u32_e32 v4, v4, v4
	v_lshlrev_b32_e32 v24, 2, v113
	v_add_nc_u32_e32 v5, v5, v5
	;; [unrolled: 2-line block ×3, first 2 shown]
	v_lshlrev_b32_e32 v26, 2, v110
	v_lshlrev_b32_e32 v27, 2, v109
	ds_store_b32 v7, v106
	ds_store_b32 v24, v105
	;; [unrolled: 1-line block ×5, first 2 shown]
	s_wait_loadcnt_dscnt 0x0
	s_barrier_signal -1
	s_barrier_wait -1
	global_inv scope:SCOPE_SE
	ds_load_2addr_b32 v[61:62], v95 offset1:32
	ds_load_2addr_b32 v[63:64], v95 offset0:64 offset1:96
	ds_load_2addr_b32 v[65:66], v95 offset0:128 offset1:160
	;; [unrolled: 1-line block ×3, first 2 shown]
	s_wait_loadcnt_dscnt 0x0
	s_barrier_signal -1
	s_barrier_wait -1
	global_inv scope:SCOPE_SE
	ds_store_b64 v4, v[59:60]
	ds_store_b64 v5, v[57:58]
	;; [unrolled: 1-line block ×3, first 2 shown]
	v_add_nc_u32_e32 v4, v7, v7
	v_add_nc_u32_e32 v5, v24, v24
	;; [unrolled: 1-line block ×5, first 2 shown]
	ds_store_b64 v4, v[53:54]
	ds_store_b64 v5, v[51:52]
	;; [unrolled: 1-line block ×5, first 2 shown]
	s_wait_loadcnt_dscnt 0x0
	s_barrier_signal -1
	s_barrier_wait -1
	global_inv scope:SCOPE_SE
	ds_load_2addr_b64 v[4:7], v96 offset1:32
	ds_load_2addr_b64 v[24:27], v96 offset0:64 offset1:96
	ds_load_2addr_b64 v[28:31], v96 offset0:128 offset1:160
	ds_load_2addr_b64 v[32:35], v96 offset0:192 offset1:224
	s_add_co_i32 s24, s24, 8
	s_add_co_i32 s25, s25, -8
	s_mov_b32 s21, 0
	s_wait_loadcnt_dscnt 0x0
	s_barrier_signal -1
	s_barrier_wait -1
	global_inv scope:SCOPE_SE
	s_branch .LBB216_45
.LBB216_70:
	v_mad_co_u64_u32 v[2:3], null, s28, v40, 0
	v_mov_b32_e32 v16, v1
	v_dual_mov_b32 v6, v1 :: v_dual_mov_b32 v7, v1
	v_dual_mov_b32 v8, v1 :: v_dual_mov_b32 v9, v1
	v_dual_mov_b32 v10, v1 :: v_dual_mov_b32 v11, v1
	v_mad_co_u64_u32 v[3:4], null, s29, v40, v[3:4]
	v_dual_mov_b32 v4, v1 :: v_dual_mov_b32 v5, v1
	v_dual_mov_b32 v12, v1 :: v_dual_mov_b32 v15, v1
	s_delay_alu instid0(VALU_DEP_3) | instskip(NEXT) | instid1(VALU_DEP_1)
	v_lshlrev_b64_e32 v[2:3], 3, v[2:3]
	v_add_co_u32 v2, vcc_lo, s34, v2
	s_wait_alu 0xfffd
	s_delay_alu instid0(VALU_DEP_2)
	v_add_co_ci_u32_e64 v3, null, s35, v3, vcc_lo
	global_load_b64 v[13:14], v[2:3], off
	v_dual_mov_b32 v2, v1 :: v_dual_mov_b32 v3, v1
	s_or_b32 exec_lo, exec_lo, s0
	s_and_saveexec_b32 s0, s3
	s_cbranch_execz .LBB216_36
.LBB216_71:
	v_mad_co_u64_u32 v[1:2], null, s28, v17, 0
	s_delay_alu instid0(VALU_DEP_1) | instskip(NEXT) | instid1(VALU_DEP_1)
	v_mad_co_u64_u32 v[34:35], null, s29, v17, v[2:3]
	v_mov_b32_e32 v2, v34
	s_delay_alu instid0(VALU_DEP_1) | instskip(NEXT) | instid1(VALU_DEP_1)
	v_lshlrev_b64_e32 v[1:2], 3, v[1:2]
	v_add_co_u32 v1, vcc_lo, s34, v1
	s_wait_alu 0xfffd
	s_delay_alu instid0(VALU_DEP_2)
	v_add_co_ci_u32_e64 v2, null, s35, v2, vcc_lo
	global_load_b64 v[1:2], v[1:2], off
	s_or_b32 exec_lo, exec_lo, s0
	s_and_saveexec_b32 s0, s4
	s_cbranch_execz .LBB216_37
.LBB216_72:
	v_mad_co_u64_u32 v[15:16], null, s28, v18, 0
	s_delay_alu instid0(VALU_DEP_1) | instskip(NEXT) | instid1(VALU_DEP_1)
	v_mad_co_u64_u32 v[16:17], null, s29, v18, v[16:17]
	v_lshlrev_b64_e32 v[15:16], 3, v[15:16]
	s_delay_alu instid0(VALU_DEP_1) | instskip(SKIP_1) | instid1(VALU_DEP_2)
	v_add_co_u32 v15, vcc_lo, s34, v15
	s_wait_alu 0xfffd
	v_add_co_ci_u32_e64 v16, null, s35, v16, vcc_lo
	global_load_b64 v[15:16], v[15:16], off
	s_or_b32 exec_lo, exec_lo, s0
	s_and_saveexec_b32 s0, s5
	s_cbranch_execz .LBB216_38
.LBB216_73:
	v_mad_co_u64_u32 v[3:4], null, s28, v19, 0
	s_delay_alu instid0(VALU_DEP_1) | instskip(NEXT) | instid1(VALU_DEP_1)
	v_mad_co_u64_u32 v[17:18], null, s29, v19, v[4:5]
	v_mov_b32_e32 v4, v17
	s_delay_alu instid0(VALU_DEP_1) | instskip(NEXT) | instid1(VALU_DEP_1)
	v_lshlrev_b64_e32 v[3:4], 3, v[3:4]
	v_add_co_u32 v3, vcc_lo, s34, v3
	s_wait_alu 0xfffd
	s_delay_alu instid0(VALU_DEP_2)
	v_add_co_ci_u32_e64 v4, null, s35, v4, vcc_lo
	global_load_b64 v[3:4], v[3:4], off
	s_or_b32 exec_lo, exec_lo, s0
	s_and_saveexec_b32 s0, s6
	s_cbranch_execz .LBB216_39
.LBB216_74:
	v_mad_co_u64_u32 v[5:6], null, s28, v20, 0
	s_delay_alu instid0(VALU_DEP_1) | instskip(NEXT) | instid1(VALU_DEP_1)
	v_mad_co_u64_u32 v[17:18], null, s29, v20, v[6:7]
	v_mov_b32_e32 v6, v17
	s_delay_alu instid0(VALU_DEP_1) | instskip(NEXT) | instid1(VALU_DEP_1)
	v_lshlrev_b64_e32 v[5:6], 3, v[5:6]
	v_add_co_u32 v5, vcc_lo, s34, v5
	s_wait_alu 0xfffd
	s_delay_alu instid0(VALU_DEP_2)
	v_add_co_ci_u32_e64 v6, null, s35, v6, vcc_lo
	global_load_b64 v[5:6], v[5:6], off
	s_or_b32 exec_lo, exec_lo, s0
	s_and_saveexec_b32 s0, s7
	s_cbranch_execz .LBB216_40
.LBB216_75:
	v_mad_co_u64_u32 v[7:8], null, s28, v21, 0
	s_delay_alu instid0(VALU_DEP_1) | instskip(NEXT) | instid1(VALU_DEP_1)
	v_mad_co_u64_u32 v[17:18], null, s29, v21, v[8:9]
	v_mov_b32_e32 v8, v17
	s_delay_alu instid0(VALU_DEP_1) | instskip(NEXT) | instid1(VALU_DEP_1)
	v_lshlrev_b64_e32 v[7:8], 3, v[7:8]
	v_add_co_u32 v7, vcc_lo, s34, v7
	s_wait_alu 0xfffd
	s_delay_alu instid0(VALU_DEP_2)
	v_add_co_ci_u32_e64 v8, null, s35, v8, vcc_lo
	global_load_b64 v[7:8], v[7:8], off
	s_or_b32 exec_lo, exec_lo, s0
	s_and_saveexec_b32 s0, s8
	s_cbranch_execz .LBB216_41
.LBB216_76:
	v_mad_co_u64_u32 v[9:10], null, s28, v22, 0
	s_delay_alu instid0(VALU_DEP_1) | instskip(NEXT) | instid1(VALU_DEP_1)
	v_mad_co_u64_u32 v[17:18], null, s29, v22, v[10:11]
	v_mov_b32_e32 v10, v17
	s_delay_alu instid0(VALU_DEP_1) | instskip(NEXT) | instid1(VALU_DEP_1)
	v_lshlrev_b64_e32 v[9:10], 3, v[9:10]
	v_add_co_u32 v9, vcc_lo, s34, v9
	s_wait_alu 0xfffd
	s_delay_alu instid0(VALU_DEP_2)
	v_add_co_ci_u32_e64 v10, null, s35, v10, vcc_lo
	global_load_b64 v[9:10], v[9:10], off
	s_or_b32 exec_lo, exec_lo, s0
	s_xor_b32 s0, s15, -1
	s_and_saveexec_b32 s1, s9
	s_cbranch_execnz .LBB216_42
	s_branch .LBB216_43
.LBB216_77:
                                        ; implicit-def: $vgpr34_vgpr35
                                        ; implicit-def: $vgpr38_vgpr39
                                        ; implicit-def: $vgpr26_vgpr27
                                        ; implicit-def: $vgpr30_vgpr31
                                        ; implicit-def: $vgpr0_vgpr1_vgpr2_vgpr3_vgpr4_vgpr5_vgpr6_vgpr7
	s_cbranch_execnz .LBB216_79
	s_branch .LBB216_106
.LBB216_78:
	v_lshlrev_b32_e32 v24, 2, v117
	v_lshlrev_b32_e32 v27, 2, v114
	;; [unrolled: 1-line block ×8, first 2 shown]
	s_wait_loadcnt 0x0
	s_barrier_signal -1
	s_barrier_wait -1
	global_inv scope:SCOPE_SE
	ds_store_b32 v24, v101
	ds_store_b32 v25, v108
	;; [unrolled: 1-line block ×8, first 2 shown]
	s_wait_loadcnt_dscnt 0x0
	s_barrier_signal -1
	s_barrier_wait -1
	global_inv scope:SCOPE_SE
	ds_load_b128 v[0:3], v87
	ds_load_b128 v[4:7], v87 offset:16
	v_add_nc_u32_e32 v24, v24, v24
	v_add_nc_u32_e32 v25, v25, v25
	;; [unrolled: 1-line block ×3, first 2 shown]
	s_wait_loadcnt_dscnt 0x0
	s_barrier_signal -1
	s_barrier_wait -1
	global_inv scope:SCOPE_SE
	ds_store_b64 v24, v[59:60]
	ds_store_b64 v25, v[57:58]
	;; [unrolled: 1-line block ×3, first 2 shown]
	v_add_nc_u32_e32 v24, v27, v27
	v_add_nc_u32_e32 v25, v28, v28
	;; [unrolled: 1-line block ×5, first 2 shown]
	ds_store_b64 v24, v[53:54]
	ds_store_b64 v25, v[51:52]
	;; [unrolled: 1-line block ×5, first 2 shown]
	v_lshl_add_u32 v32, v40, 5, v87
	s_wait_loadcnt_dscnt 0x0
	s_barrier_signal -1
	s_barrier_wait -1
	v_cmp_lt_i32_e32 vcc_lo, -1, v0
	global_inv scope:SCOPE_SE
	ds_load_b128 v[28:31], v32
	ds_load_b128 v[24:27], v32 offset:16
	ds_load_b128 v[36:39], v32 offset:32
	;; [unrolled: 1-line block ×3, first 2 shown]
	s_wait_alu 0xfffd
	v_cndmask_b32_e64 v49, 0x80000000, -1, vcc_lo
	v_cmp_lt_i32_e32 vcc_lo, -1, v1
	s_delay_alu instid0(VALU_DEP_2) | instskip(SKIP_3) | instid1(VALU_DEP_2)
	v_xor_b32_e32 v0, v49, v0
	s_wait_alu 0xfffd
	v_cndmask_b32_e64 v50, 0x80000000, -1, vcc_lo
	v_cmp_lt_i32_e32 vcc_lo, -1, v2
	v_xor_b32_e32 v1, v50, v1
	s_wait_alu 0xfffd
	v_cndmask_b32_e64 v51, 0x80000000, -1, vcc_lo
	v_cmp_lt_i32_e32 vcc_lo, -1, v3
	s_delay_alu instid0(VALU_DEP_2) | instskip(SKIP_3) | instid1(VALU_DEP_2)
	v_xor_b32_e32 v2, v51, v2
	s_wait_alu 0xfffd
	v_cndmask_b32_e64 v49, 0x80000000, -1, vcc_lo
	v_cmp_lt_i32_e32 vcc_lo, -1, v4
	v_xor_b32_e32 v3, v49, v3
	;; [unrolled: 9-line block ×3, first 2 shown]
	s_wait_alu 0xfffd
	v_cndmask_b32_e64 v52, 0x80000000, -1, vcc_lo
	v_cmp_lt_i32_e32 vcc_lo, -1, v7
	s_delay_alu instid0(VALU_DEP_2) | instskip(SKIP_2) | instid1(VALU_DEP_1)
	v_xor_b32_e32 v6, v52, v6
	s_wait_alu 0xfffd
	v_cndmask_b32_e64 v53, 0x80000000, -1, vcc_lo
	v_xor_b32_e32 v7, v53, v7
	s_branch .LBB216_106
.LBB216_79:
	v_cmp_gt_i32_e32 vcc_lo, 0, v47
	v_or_b32_e32 v7, v91, v92
	s_wait_dscnt 0x2
	v_and_or_b32 v25, 0x1f00, v89, v91
	s_mov_b32 s24, 0
	s_getpc_b64 s[0:1]
	s_sext_i32_i16 s1, s1
	s_add_co_u32 s0, s0, _ZN7rocprim17ROCPRIM_400000_NS16block_radix_sortIfLj256ELj8ElLj1ELj1ELj0ELNS0_26block_radix_rank_algorithmE1ELNS0_18block_padding_hintE2ELNS0_4arch9wavefront6targetE0EE19radix_bits_per_passE@rel32@lo+8
	s_add_co_ci_u32 s1, s1, _ZN7rocprim17ROCPRIM_400000_NS16block_radix_sortIfLj256ELj8ElLj1ELj1ELj0ELNS0_26block_radix_rank_algorithmE1ELNS0_18block_padding_hintE2ELNS0_4arch9wavefront6targetE0EE19radix_bits_per_passE@rel32@hi+16
	s_wait_alu 0xfffd
	v_cndmask_b32_e64 v0, 0x7fffffff, 0, vcc_lo
	v_cmp_gt_i32_e32 vcc_lo, 0, v48
	s_mov_b32 s25, s24
	s_mov_b32 s26, s24
	;; [unrolled: 1-line block ×3, first 2 shown]
	v_xor_b32_e32 v0, v0, v47
	s_wait_alu 0xfffd
	v_cndmask_b32_e64 v1, 0x7fffffff, 0, vcc_lo
	v_cmp_gt_i32_e32 vcc_lo, 0, v45
	v_lshlrev_b32_e32 v26, 5, v7
	s_load_b32 s33, s[0:1], 0x0
	v_cmp_gt_u32_e64 s15, 8, v40
	v_xor_b32_e32 v1, v1, v48
	v_cndmask_b32_e64 v2, 0x7fffffff, 0, vcc_lo
	v_cmp_gt_i32_e32 vcc_lo, 0, v46
	v_cmp_lt_u32_e64 s16, 31, v40
	v_cmp_eq_u32_e64 s17, 0, v40
	v_add_nc_u32_e32 v48, -4, v88
	v_xor_b32_e32 v2, v2, v45
	s_wait_alu 0xfffd
	v_cndmask_b32_e64 v3, 0x7fffffff, 0, vcc_lo
	v_cmp_gt_i32_e32 vcc_lo, 0, v43
	v_lshlrev_b32_e32 v45, 2, v25
	v_add_nc_u32_e32 v50, v87, v90
	s_delay_alu instid0(VALU_DEP_4) | instskip(SKIP_4) | instid1(VALU_DEP_3)
	v_xor_b32_e32 v3, v3, v46
	s_wait_alu 0xfffd
	v_cndmask_b32_e64 v4, 0x7fffffff, 0, vcc_lo
	v_cmp_gt_i32_e32 vcc_lo, 0, v44
	v_add_nc_u32_e32 v46, v45, v45
	v_xor_b32_e32 v4, v4, v43
	s_wait_alu 0xfffd
	v_cndmask_b32_e64 v5, 0x7fffffff, 0, vcc_lo
	v_cmp_gt_i32_e32 vcc_lo, 0, v41
	s_delay_alu instid0(VALU_DEP_2) | instskip(SKIP_3) | instid1(VALU_DEP_2)
	v_xor_b32_e32 v5, v5, v44
	s_wait_alu 0xfffd
	v_cndmask_b32_e64 v6, 0x7fffffff, 0, vcc_lo
	v_cmp_gt_i32_e32 vcc_lo, 0, v42
	v_xor_b32_e32 v6, v6, v41
	s_wait_alu 0xfffd
	v_cndmask_b32_e64 v24, 0x7fffffff, 0, vcc_lo
	s_delay_alu instid0(VALU_DEP_1)
	v_xor_b32_e32 v7, v24, v42
	ds_store_b128 v26, v[0:3]
	ds_store_b128 v26, v[4:7] offset:16
	v_add_nc_u32_e32 v0, v26, v26
	; wave barrier
	s_wait_dscnt 0x3
	ds_load_2addr_b32 v[36:37], v45 offset1:32
	ds_load_2addr_b32 v[38:39], v45 offset0:64 offset1:96
	ds_load_2addr_b32 v[41:42], v45 offset0:128 offset1:160
	;; [unrolled: 1-line block ×3, first 2 shown]
	s_wait_loadcnt_dscnt 0x0
	s_barrier_signal -1
	s_barrier_wait -1
	global_inv scope:SCOPE_SE
	ds_store_b128 v0, v[20:23]
	ds_store_b128 v0, v[16:19] offset:16
	ds_store_b128 v0, v[12:15] offset:32
	;; [unrolled: 1-line block ×3, first 2 shown]
	; wave barrier
	ds_load_2addr_b64 v[4:7], v46 offset1:32
	ds_load_2addr_b64 v[8:11], v46 offset0:64 offset1:96
	ds_load_2addr_b64 v[12:15], v46 offset0:128 offset1:160
	;; [unrolled: 1-line block ×3, first 2 shown]
	s_wait_loadcnt_dscnt 0x0
	s_barrier_signal -1
	s_barrier_wait -1
	global_inv scope:SCOPE_SE
	s_load_b32 s10, s[36:37], 0xc
	v_and_b32_e32 v2, 15, v91
	v_and_b32_e32 v3, 16, v91
	s_delay_alu instid0(VALU_DEP_2) | instskip(SKIP_1) | instid1(VALU_DEP_3)
	v_cmp_lt_u32_e64 s1, 1, v2
	v_cmp_lt_u32_e64 s12, 7, v2
	v_cmp_eq_u32_e64 s13, 0, v3
	s_wait_kmcnt 0x0
	s_lshr_b32 s11, s10, 16
	s_and_b32 s0, s10, 0xffff
	s_wait_alu 0xfffe
	v_mad_u32_u24 v0, v94, s11, v93
	v_sub_co_u32 v20, s10, v91, 1
	v_cmp_lt_u32_e64 s11, 3, v2
	s_delay_alu instid0(VALU_DEP_3) | instskip(SKIP_1) | instid1(VALU_DEP_4)
	v_mad_co_u64_u32 v[0:1], null, v0, s0, v[40:41]
	v_min_u32_e32 v1, 0xe0, v92
	v_cmp_gt_i32_e32 vcc_lo, 0, v20
	v_cmp_eq_u32_e64 s0, 0, v2
	s_delay_alu instid0(VALU_DEP_3) | instskip(SKIP_3) | instid1(VALU_DEP_3)
	v_or_b32_e32 v1, 31, v1
	s_wait_alu 0xfffd
	v_cndmask_b32_e32 v2, v20, v91, vcc_lo
	v_lshrrev_b32_e32 v0, 3, v0
	v_cmp_eq_u32_e64 s14, v40, v1
	v_and_b32_e32 v1, 7, v91
	s_delay_alu instid0(VALU_DEP_4) | instskip(NEXT) | instid1(VALU_DEP_4)
	v_lshlrev_b32_e32 v47, 2, v2
	v_and_b32_e32 v49, 0x1ffffffc, v0
	s_delay_alu instid0(VALU_DEP_3)
	v_cmp_eq_u32_e64 s18, 0, v1
	v_cmp_lt_u32_e64 s19, 1, v1
	v_cmp_lt_u32_e64 s20, 3, v1
	v_dual_mov_b32 v0, s24 :: v_dual_mov_b32 v1, s25
	v_dual_mov_b32 v2, s26 :: v_dual_mov_b32 v3, s27
	s_mov_b32 s25, 32
	s_branch .LBB216_81
.LBB216_80:                             ;   in Loop: Header=BB216_81 Depth=1
	s_wait_alu 0xfffe
	s_and_not1_b32 vcc_lo, exec_lo, s21
	s_wait_alu 0xfffe
	s_cbranch_vccz .LBB216_105
.LBB216_81:                             ; =>This Inner Loop Header: Depth=1
	s_wait_alu 0xfffe
	s_min_u32 s21, s33, s25
	ds_store_b128 v87, v[0:3] offset:32
	ds_store_b128 v87, v[0:3] offset:48
	s_wait_alu 0xfffe
	s_lshl_b32 s21, -1, s21
	s_wait_loadcnt_dscnt 0x0
	s_wait_alu 0xfffe
	s_not_b32 s26, s21
	v_mov_b32_e32 v51, v36
	s_barrier_signal -1
	s_barrier_wait -1
	global_inv scope:SCOPE_SE
	v_cmp_ne_u32_e32 vcc_lo, 0x80000000, v51
	; wave barrier
	v_mov_b32_e32 v53, v43
	v_mov_b32_e32 v55, v41
	s_wait_alu 0xfffd
	v_dual_mov_b32 v57, v38 :: v_dual_cndmask_b32 v20, 0x7fffffff, v51
	v_mov_b32_e32 v56, v39
	v_dual_mov_b32 v58, v37 :: v_dual_mov_b32 v31, v9
	v_mov_b32_e32 v30, v8
	s_delay_alu instid0(VALU_DEP_4) | instskip(SKIP_3) | instid1(VALU_DEP_3)
	v_lshrrev_b32_e32 v20, s24, v20
	v_dual_mov_b32 v33, v7 :: v_dual_mov_b32 v32, v6
	v_dual_mov_b32 v35, v5 :: v_dual_mov_b32 v34, v4
	s_wait_alu 0xfffe
	v_and_b32_e32 v36, s26, v20
	v_mov_b32_e32 v52, v44
	s_delay_alu instid0(VALU_DEP_2)
	v_dual_mov_b32 v54, v42 :: v_dual_lshlrev_b32 v23, 28, v36
	v_and_b32_e32 v20, 1, v36
	v_lshlrev_b32_e32 v21, 30, v36
	v_lshlrev_b32_e32 v22, 29, v36
	;; [unrolled: 1-line block ×4, first 2 shown]
	v_add_co_u32 v20, s21, v20, -1
	s_wait_alu 0xf1ff
	v_cndmask_b32_e64 v24, 0, 1, s21
	v_not_b32_e32 v28, v21
	v_cmp_gt_i32_e64 s21, 0, v21
	v_not_b32_e32 v21, v22
	v_lshlrev_b32_e32 v27, 25, v36
	v_cmp_ne_u32_e32 vcc_lo, 0, v24
	v_ashrrev_i32_e32 v28, 31, v28
	v_lshlrev_b32_e32 v24, 24, v36
	v_ashrrev_i32_e32 v21, 31, v21
	v_lshlrev_b32_e32 v4, 5, v36
	s_wait_alu 0xfffd
	v_xor_b32_e32 v20, vcc_lo, v20
	v_cmp_gt_i32_e32 vcc_lo, 0, v22
	v_not_b32_e32 v22, v23
	s_wait_alu 0xf1ff
	v_xor_b32_e32 v28, s21, v28
	v_cmp_gt_i32_e64 s21, 0, v23
	v_and_b32_e32 v20, exec_lo, v20
	v_not_b32_e32 v23, v25
	v_ashrrev_i32_e32 v22, 31, v22
	s_wait_alu 0xfffd
	v_xor_b32_e32 v21, vcc_lo, v21
	v_cmp_gt_i32_e32 vcc_lo, 0, v25
	v_and_b32_e32 v20, v20, v28
	v_not_b32_e32 v25, v26
	v_ashrrev_i32_e32 v23, 31, v23
	s_wait_alu 0xf1ff
	v_xor_b32_e32 v22, s21, v22
	v_cmp_gt_i32_e64 s21, 0, v26
	v_and_b32_e32 v20, v20, v21
	v_not_b32_e32 v21, v27
	v_ashrrev_i32_e32 v25, 31, v25
	s_wait_alu 0xfffd
	v_xor_b32_e32 v23, vcc_lo, v23
	v_cmp_gt_i32_e32 vcc_lo, 0, v27
	v_and_b32_e32 v20, v20, v22
	v_not_b32_e32 v22, v24
	v_ashrrev_i32_e32 v21, 31, v21
	s_wait_alu 0xf1ff
	v_xor_b32_e32 v25, s21, v25
	v_cmp_gt_i32_e64 s21, 0, v24
	v_and_b32_e32 v20, v20, v23
	v_ashrrev_i32_e32 v22, 31, v22
	s_wait_alu 0xfffd
	v_xor_b32_e32 v21, vcc_lo, v21
	v_dual_mov_b32 v27, v13 :: v_dual_mov_b32 v26, v12
	v_and_b32_e32 v20, v20, v25
	s_wait_alu 0xf1ff
	v_xor_b32_e32 v28, s21, v22
	v_dual_mov_b32 v25, v15 :: v_dual_mov_b32 v24, v14
	v_mov_b32_e32 v23, v17
	v_and_b32_e32 v29, v20, v21
	v_dual_mov_b32 v21, v19 :: v_dual_mov_b32 v20, v18
	v_dual_mov_b32 v22, v16 :: v_dual_add_nc_u32 v13, v49, v4
	s_delay_alu instid0(VALU_DEP_3) | instskip(SKIP_1) | instid1(VALU_DEP_2)
	v_dual_mov_b32 v29, v11 :: v_dual_and_b32 v14, v29, v28
	v_mov_b32_e32 v28, v10
	v_mbcnt_lo_u32_b32 v12, v14, 0
	v_cmp_ne_u32_e64 s21, 0, v14
	s_delay_alu instid0(VALU_DEP_2)
	v_cmp_eq_u32_e32 vcc_lo, 0, v12
	s_and_b32 s27, s21, vcc_lo
	s_wait_alu 0xfffe
	s_and_saveexec_b32 s21, s27
; %bb.82:                               ;   in Loop: Header=BB216_81 Depth=1
	v_bcnt_u32_b32 v4, v14, 0
	ds_store_b32 v13, v4 offset:32
; %bb.83:                               ;   in Loop: Header=BB216_81 Depth=1
	s_wait_alu 0xfffe
	s_or_b32 exec_lo, exec_lo, s21
	v_cmp_ne_u32_e32 vcc_lo, 0x80000000, v58
	; wave barrier
	s_wait_alu 0xfffd
	v_cndmask_b32_e32 v4, 0x7fffffff, v58, vcc_lo
	s_delay_alu instid0(VALU_DEP_1) | instskip(NEXT) | instid1(VALU_DEP_1)
	v_lshrrev_b32_e32 v4, s24, v4
	v_and_b32_e32 v4, s26, v4
	s_delay_alu instid0(VALU_DEP_1)
	v_and_b32_e32 v5, 1, v4
	v_lshlrev_b32_e32 v6, 30, v4
	v_lshlrev_b32_e32 v7, 29, v4
	;; [unrolled: 1-line block ×4, first 2 shown]
	v_add_co_u32 v5, s21, v5, -1
	s_wait_alu 0xf1ff
	v_cndmask_b32_e64 v9, 0, 1, s21
	v_not_b32_e32 v15, v6
	v_cmp_gt_i32_e64 s21, 0, v6
	v_not_b32_e32 v6, v7
	v_lshlrev_b32_e32 v11, 26, v4
	v_cmp_ne_u32_e32 vcc_lo, 0, v9
	v_ashrrev_i32_e32 v15, 31, v15
	v_lshlrev_b32_e32 v14, 25, v4
	v_ashrrev_i32_e32 v6, 31, v6
	v_lshlrev_b32_e32 v9, 24, v4
	s_wait_alu 0xfffd
	v_xor_b32_e32 v5, vcc_lo, v5
	v_cmp_gt_i32_e32 vcc_lo, 0, v7
	v_not_b32_e32 v7, v8
	s_wait_alu 0xf1ff
	v_xor_b32_e32 v15, s21, v15
	v_cmp_gt_i32_e64 s21, 0, v8
	v_and_b32_e32 v5, exec_lo, v5
	v_not_b32_e32 v8, v10
	v_ashrrev_i32_e32 v7, 31, v7
	s_wait_alu 0xfffd
	v_xor_b32_e32 v6, vcc_lo, v6
	v_cmp_gt_i32_e32 vcc_lo, 0, v10
	v_and_b32_e32 v5, v5, v15
	v_not_b32_e32 v10, v11
	v_ashrrev_i32_e32 v8, 31, v8
	s_wait_alu 0xf1ff
	v_xor_b32_e32 v7, s21, v7
	v_cmp_gt_i32_e64 s21, 0, v11
	v_and_b32_e32 v5, v5, v6
	v_not_b32_e32 v6, v14
	v_ashrrev_i32_e32 v10, 31, v10
	s_wait_alu 0xfffd
	v_xor_b32_e32 v8, vcc_lo, v8
	v_cmp_gt_i32_e32 vcc_lo, 0, v14
	v_and_b32_e32 v5, v5, v7
	v_not_b32_e32 v7, v9
	v_ashrrev_i32_e32 v6, 31, v6
	s_wait_alu 0xf1ff
	v_xor_b32_e32 v10, s21, v10
	v_lshlrev_b32_e32 v4, 5, v4
	v_and_b32_e32 v5, v5, v8
	v_cmp_gt_i32_e64 s21, 0, v9
	v_ashrrev_i32_e32 v7, 31, v7
	s_wait_alu 0xfffd
	v_xor_b32_e32 v6, vcc_lo, v6
	v_add_nc_u32_e32 v16, v49, v4
	v_and_b32_e32 v5, v5, v10
	s_wait_alu 0xf1ff
	v_xor_b32_e32 v4, s21, v7
	ds_load_b32 v14, v16 offset:32
	v_and_b32_e32 v5, v5, v6
	; wave barrier
	s_delay_alu instid0(VALU_DEP_1) | instskip(NEXT) | instid1(VALU_DEP_1)
	v_and_b32_e32 v4, v5, v4
	v_mbcnt_lo_u32_b32 v15, v4, 0
	v_cmp_ne_u32_e64 s21, 0, v4
	s_delay_alu instid0(VALU_DEP_2)
	v_cmp_eq_u32_e32 vcc_lo, 0, v15
	s_and_b32 s27, s21, vcc_lo
	s_wait_alu 0xfffe
	s_and_saveexec_b32 s21, s27
	s_cbranch_execz .LBB216_85
; %bb.84:                               ;   in Loop: Header=BB216_81 Depth=1
	s_wait_dscnt 0x0
	v_bcnt_u32_b32 v4, v4, v14
	ds_store_b32 v16, v4 offset:32
.LBB216_85:                             ;   in Loop: Header=BB216_81 Depth=1
	s_wait_alu 0xfffe
	s_or_b32 exec_lo, exec_lo, s21
	v_cmp_ne_u32_e32 vcc_lo, 0x80000000, v57
	; wave barrier
	s_wait_alu 0xfffd
	v_cndmask_b32_e32 v4, 0x7fffffff, v57, vcc_lo
	s_delay_alu instid0(VALU_DEP_1) | instskip(NEXT) | instid1(VALU_DEP_1)
	v_lshrrev_b32_e32 v4, s24, v4
	v_and_b32_e32 v4, s26, v4
	s_delay_alu instid0(VALU_DEP_1)
	v_and_b32_e32 v5, 1, v4
	v_lshlrev_b32_e32 v6, 30, v4
	v_lshlrev_b32_e32 v7, 29, v4
	;; [unrolled: 1-line block ×4, first 2 shown]
	v_add_co_u32 v5, s21, v5, -1
	s_wait_alu 0xf1ff
	v_cndmask_b32_e64 v9, 0, 1, s21
	v_not_b32_e32 v18, v6
	v_cmp_gt_i32_e64 s21, 0, v6
	v_not_b32_e32 v6, v7
	v_lshlrev_b32_e32 v11, 26, v4
	v_cmp_ne_u32_e32 vcc_lo, 0, v9
	v_ashrrev_i32_e32 v18, 31, v18
	v_lshlrev_b32_e32 v17, 25, v4
	v_ashrrev_i32_e32 v6, 31, v6
	v_lshlrev_b32_e32 v9, 24, v4
	s_wait_alu 0xfffd
	v_xor_b32_e32 v5, vcc_lo, v5
	v_cmp_gt_i32_e32 vcc_lo, 0, v7
	v_not_b32_e32 v7, v8
	s_wait_alu 0xf1ff
	v_xor_b32_e32 v18, s21, v18
	v_cmp_gt_i32_e64 s21, 0, v8
	v_and_b32_e32 v5, exec_lo, v5
	v_not_b32_e32 v8, v10
	v_ashrrev_i32_e32 v7, 31, v7
	s_wait_alu 0xfffd
	v_xor_b32_e32 v6, vcc_lo, v6
	v_cmp_gt_i32_e32 vcc_lo, 0, v10
	v_and_b32_e32 v5, v5, v18
	v_not_b32_e32 v10, v11
	v_ashrrev_i32_e32 v8, 31, v8
	s_wait_alu 0xf1ff
	v_xor_b32_e32 v7, s21, v7
	v_cmp_gt_i32_e64 s21, 0, v11
	v_and_b32_e32 v5, v5, v6
	v_not_b32_e32 v6, v17
	v_ashrrev_i32_e32 v10, 31, v10
	s_wait_alu 0xfffd
	v_xor_b32_e32 v8, vcc_lo, v8
	v_cmp_gt_i32_e32 vcc_lo, 0, v17
	v_and_b32_e32 v5, v5, v7
	v_not_b32_e32 v7, v9
	v_ashrrev_i32_e32 v6, 31, v6
	s_wait_alu 0xf1ff
	v_xor_b32_e32 v10, s21, v10
	v_lshlrev_b32_e32 v4, 5, v4
	v_and_b32_e32 v5, v5, v8
	v_cmp_gt_i32_e64 s21, 0, v9
	v_ashrrev_i32_e32 v7, 31, v7
	s_wait_alu 0xfffd
	v_xor_b32_e32 v6, vcc_lo, v6
	v_add_nc_u32_e32 v19, v49, v4
	v_and_b32_e32 v5, v5, v10
	s_wait_alu 0xf1ff
	v_xor_b32_e32 v4, s21, v7
	ds_load_b32 v17, v19 offset:32
	v_and_b32_e32 v5, v5, v6
	; wave barrier
	s_delay_alu instid0(VALU_DEP_1) | instskip(NEXT) | instid1(VALU_DEP_1)
	v_and_b32_e32 v4, v5, v4
	v_mbcnt_lo_u32_b32 v18, v4, 0
	v_cmp_ne_u32_e64 s21, 0, v4
	s_delay_alu instid0(VALU_DEP_2)
	v_cmp_eq_u32_e32 vcc_lo, 0, v18
	s_and_b32 s27, s21, vcc_lo
	s_wait_alu 0xfffe
	s_and_saveexec_b32 s21, s27
	s_cbranch_execz .LBB216_87
; %bb.86:                               ;   in Loop: Header=BB216_81 Depth=1
	s_wait_dscnt 0x0
	v_bcnt_u32_b32 v4, v4, v17
	ds_store_b32 v19, v4 offset:32
.LBB216_87:                             ;   in Loop: Header=BB216_81 Depth=1
	s_wait_alu 0xfffe
	s_or_b32 exec_lo, exec_lo, s21
	v_cmp_ne_u32_e32 vcc_lo, 0x80000000, v56
	; wave barrier
	s_wait_alu 0xfffd
	v_cndmask_b32_e32 v4, 0x7fffffff, v56, vcc_lo
	s_delay_alu instid0(VALU_DEP_1) | instskip(NEXT) | instid1(VALU_DEP_1)
	v_lshrrev_b32_e32 v4, s24, v4
	v_and_b32_e32 v4, s26, v4
	s_delay_alu instid0(VALU_DEP_1)
	v_and_b32_e32 v5, 1, v4
	v_lshlrev_b32_e32 v6, 30, v4
	v_lshlrev_b32_e32 v7, 29, v4
	;; [unrolled: 1-line block ×4, first 2 shown]
	v_add_co_u32 v5, s21, v5, -1
	s_wait_alu 0xf1ff
	v_cndmask_b32_e64 v9, 0, 1, s21
	v_not_b32_e32 v37, v6
	v_cmp_gt_i32_e64 s21, 0, v6
	v_not_b32_e32 v6, v7
	v_lshlrev_b32_e32 v11, 26, v4
	v_cmp_ne_u32_e32 vcc_lo, 0, v9
	v_ashrrev_i32_e32 v37, 31, v37
	v_lshlrev_b32_e32 v36, 25, v4
	v_ashrrev_i32_e32 v6, 31, v6
	v_lshlrev_b32_e32 v9, 24, v4
	s_wait_alu 0xfffd
	v_xor_b32_e32 v5, vcc_lo, v5
	v_cmp_gt_i32_e32 vcc_lo, 0, v7
	v_not_b32_e32 v7, v8
	s_wait_alu 0xf1ff
	v_xor_b32_e32 v37, s21, v37
	v_cmp_gt_i32_e64 s21, 0, v8
	v_and_b32_e32 v5, exec_lo, v5
	v_not_b32_e32 v8, v10
	v_ashrrev_i32_e32 v7, 31, v7
	s_wait_alu 0xfffd
	v_xor_b32_e32 v6, vcc_lo, v6
	v_cmp_gt_i32_e32 vcc_lo, 0, v10
	v_and_b32_e32 v5, v5, v37
	v_not_b32_e32 v10, v11
	v_ashrrev_i32_e32 v8, 31, v8
	s_wait_alu 0xf1ff
	v_xor_b32_e32 v7, s21, v7
	v_cmp_gt_i32_e64 s21, 0, v11
	v_and_b32_e32 v5, v5, v6
	v_not_b32_e32 v6, v36
	v_ashrrev_i32_e32 v10, 31, v10
	s_wait_alu 0xfffd
	v_xor_b32_e32 v8, vcc_lo, v8
	v_cmp_gt_i32_e32 vcc_lo, 0, v36
	v_and_b32_e32 v5, v5, v7
	v_not_b32_e32 v7, v9
	v_ashrrev_i32_e32 v6, 31, v6
	s_wait_alu 0xf1ff
	v_xor_b32_e32 v10, s21, v10
	v_lshlrev_b32_e32 v4, 5, v4
	v_and_b32_e32 v5, v5, v8
	v_cmp_gt_i32_e64 s21, 0, v9
	v_ashrrev_i32_e32 v7, 31, v7
	s_wait_alu 0xfffd
	v_xor_b32_e32 v6, vcc_lo, v6
	v_add_nc_u32_e32 v38, v49, v4
	v_and_b32_e32 v5, v5, v10
	s_wait_alu 0xf1ff
	v_xor_b32_e32 v4, s21, v7
	ds_load_b32 v36, v38 offset:32
	v_and_b32_e32 v5, v5, v6
	; wave barrier
	s_delay_alu instid0(VALU_DEP_1) | instskip(NEXT) | instid1(VALU_DEP_1)
	v_and_b32_e32 v4, v5, v4
	v_mbcnt_lo_u32_b32 v37, v4, 0
	v_cmp_ne_u32_e64 s21, 0, v4
	s_delay_alu instid0(VALU_DEP_2)
	v_cmp_eq_u32_e32 vcc_lo, 0, v37
	s_and_b32 s27, s21, vcc_lo
	s_wait_alu 0xfffe
	s_and_saveexec_b32 s21, s27
	s_cbranch_execz .LBB216_89
; %bb.88:                               ;   in Loop: Header=BB216_81 Depth=1
	s_wait_dscnt 0x0
	v_bcnt_u32_b32 v4, v4, v36
	ds_store_b32 v38, v4 offset:32
.LBB216_89:                             ;   in Loop: Header=BB216_81 Depth=1
	s_wait_alu 0xfffe
	s_or_b32 exec_lo, exec_lo, s21
	v_cmp_ne_u32_e32 vcc_lo, 0x80000000, v55
	; wave barrier
	s_wait_alu 0xfffd
	v_cndmask_b32_e32 v4, 0x7fffffff, v55, vcc_lo
	s_delay_alu instid0(VALU_DEP_1) | instskip(NEXT) | instid1(VALU_DEP_1)
	v_lshrrev_b32_e32 v4, s24, v4
	v_and_b32_e32 v4, s26, v4
	s_delay_alu instid0(VALU_DEP_1)
	v_and_b32_e32 v5, 1, v4
	v_lshlrev_b32_e32 v6, 30, v4
	v_lshlrev_b32_e32 v7, 29, v4
	;; [unrolled: 1-line block ×4, first 2 shown]
	v_add_co_u32 v5, s21, v5, -1
	s_wait_alu 0xf1ff
	v_cndmask_b32_e64 v9, 0, 1, s21
	v_not_b32_e32 v41, v6
	v_cmp_gt_i32_e64 s21, 0, v6
	v_not_b32_e32 v6, v7
	v_lshlrev_b32_e32 v11, 26, v4
	v_cmp_ne_u32_e32 vcc_lo, 0, v9
	v_ashrrev_i32_e32 v41, 31, v41
	v_lshlrev_b32_e32 v39, 25, v4
	v_ashrrev_i32_e32 v6, 31, v6
	v_lshlrev_b32_e32 v9, 24, v4
	s_wait_alu 0xfffd
	v_xor_b32_e32 v5, vcc_lo, v5
	v_cmp_gt_i32_e32 vcc_lo, 0, v7
	v_not_b32_e32 v7, v8
	s_wait_alu 0xf1ff
	v_xor_b32_e32 v41, s21, v41
	v_cmp_gt_i32_e64 s21, 0, v8
	v_and_b32_e32 v5, exec_lo, v5
	v_not_b32_e32 v8, v10
	v_ashrrev_i32_e32 v7, 31, v7
	s_wait_alu 0xfffd
	v_xor_b32_e32 v6, vcc_lo, v6
	v_cmp_gt_i32_e32 vcc_lo, 0, v10
	v_and_b32_e32 v5, v5, v41
	v_not_b32_e32 v10, v11
	v_ashrrev_i32_e32 v8, 31, v8
	s_wait_alu 0xf1ff
	v_xor_b32_e32 v7, s21, v7
	v_cmp_gt_i32_e64 s21, 0, v11
	v_and_b32_e32 v5, v5, v6
	v_not_b32_e32 v6, v39
	v_ashrrev_i32_e32 v10, 31, v10
	s_wait_alu 0xfffd
	v_xor_b32_e32 v8, vcc_lo, v8
	v_cmp_gt_i32_e32 vcc_lo, 0, v39
	v_and_b32_e32 v5, v5, v7
	v_not_b32_e32 v7, v9
	v_ashrrev_i32_e32 v6, 31, v6
	s_wait_alu 0xf1ff
	v_xor_b32_e32 v10, s21, v10
	v_lshlrev_b32_e32 v4, 5, v4
	v_and_b32_e32 v5, v5, v8
	v_cmp_gt_i32_e64 s21, 0, v9
	v_ashrrev_i32_e32 v7, 31, v7
	s_wait_alu 0xfffd
	v_xor_b32_e32 v6, vcc_lo, v6
	v_add_nc_u32_e32 v42, v49, v4
	v_and_b32_e32 v5, v5, v10
	s_wait_alu 0xf1ff
	v_xor_b32_e32 v4, s21, v7
	ds_load_b32 v39, v42 offset:32
	v_and_b32_e32 v5, v5, v6
	; wave barrier
	s_delay_alu instid0(VALU_DEP_1) | instskip(NEXT) | instid1(VALU_DEP_1)
	v_and_b32_e32 v4, v5, v4
	v_mbcnt_lo_u32_b32 v41, v4, 0
	v_cmp_ne_u32_e64 s21, 0, v4
	s_delay_alu instid0(VALU_DEP_2)
	v_cmp_eq_u32_e32 vcc_lo, 0, v41
	s_and_b32 s27, s21, vcc_lo
	s_wait_alu 0xfffe
	s_and_saveexec_b32 s21, s27
	s_cbranch_execz .LBB216_91
; %bb.90:                               ;   in Loop: Header=BB216_81 Depth=1
	s_wait_dscnt 0x0
	v_bcnt_u32_b32 v4, v4, v39
	ds_store_b32 v42, v4 offset:32
.LBB216_91:                             ;   in Loop: Header=BB216_81 Depth=1
	s_wait_alu 0xfffe
	s_or_b32 exec_lo, exec_lo, s21
	v_cmp_ne_u32_e32 vcc_lo, 0x80000000, v54
	; wave barrier
	s_wait_alu 0xfffd
	v_cndmask_b32_e32 v4, 0x7fffffff, v54, vcc_lo
	s_delay_alu instid0(VALU_DEP_1) | instskip(NEXT) | instid1(VALU_DEP_1)
	v_lshrrev_b32_e32 v4, s24, v4
	v_and_b32_e32 v4, s26, v4
	s_delay_alu instid0(VALU_DEP_1)
	v_and_b32_e32 v5, 1, v4
	v_lshlrev_b32_e32 v6, 30, v4
	v_lshlrev_b32_e32 v7, 29, v4
	;; [unrolled: 1-line block ×4, first 2 shown]
	v_add_co_u32 v5, s21, v5, -1
	s_wait_alu 0xf1ff
	v_cndmask_b32_e64 v9, 0, 1, s21
	v_not_b32_e32 v44, v6
	v_cmp_gt_i32_e64 s21, 0, v6
	v_not_b32_e32 v6, v7
	v_lshlrev_b32_e32 v11, 26, v4
	v_cmp_ne_u32_e32 vcc_lo, 0, v9
	v_ashrrev_i32_e32 v44, 31, v44
	v_lshlrev_b32_e32 v43, 25, v4
	v_ashrrev_i32_e32 v6, 31, v6
	v_lshlrev_b32_e32 v9, 24, v4
	s_wait_alu 0xfffd
	v_xor_b32_e32 v5, vcc_lo, v5
	v_cmp_gt_i32_e32 vcc_lo, 0, v7
	v_not_b32_e32 v7, v8
	s_wait_alu 0xf1ff
	v_xor_b32_e32 v44, s21, v44
	v_cmp_gt_i32_e64 s21, 0, v8
	v_and_b32_e32 v5, exec_lo, v5
	v_not_b32_e32 v8, v10
	v_ashrrev_i32_e32 v7, 31, v7
	s_wait_alu 0xfffd
	v_xor_b32_e32 v6, vcc_lo, v6
	v_cmp_gt_i32_e32 vcc_lo, 0, v10
	v_and_b32_e32 v5, v5, v44
	v_not_b32_e32 v10, v11
	v_ashrrev_i32_e32 v8, 31, v8
	s_wait_alu 0xf1ff
	v_xor_b32_e32 v7, s21, v7
	v_cmp_gt_i32_e64 s21, 0, v11
	v_and_b32_e32 v5, v5, v6
	v_not_b32_e32 v6, v43
	v_ashrrev_i32_e32 v10, 31, v10
	s_wait_alu 0xfffd
	v_xor_b32_e32 v8, vcc_lo, v8
	v_cmp_gt_i32_e32 vcc_lo, 0, v43
	v_and_b32_e32 v5, v5, v7
	v_not_b32_e32 v7, v9
	v_ashrrev_i32_e32 v6, 31, v6
	s_wait_alu 0xf1ff
	v_xor_b32_e32 v10, s21, v10
	v_lshlrev_b32_e32 v4, 5, v4
	v_and_b32_e32 v5, v5, v8
	v_cmp_gt_i32_e64 s21, 0, v9
	v_ashrrev_i32_e32 v7, 31, v7
	s_wait_alu 0xfffd
	v_xor_b32_e32 v6, vcc_lo, v6
	v_add_nc_u32_e32 v44, v49, v4
	v_and_b32_e32 v5, v5, v10
	s_wait_alu 0xf1ff
	v_xor_b32_e32 v4, s21, v7
	ds_load_b32 v43, v44 offset:32
	v_and_b32_e32 v5, v5, v6
	; wave barrier
	s_delay_alu instid0(VALU_DEP_1) | instskip(NEXT) | instid1(VALU_DEP_1)
	v_and_b32_e32 v4, v5, v4
	v_mbcnt_lo_u32_b32 v59, v4, 0
	v_cmp_ne_u32_e64 s21, 0, v4
	s_delay_alu instid0(VALU_DEP_2)
	v_cmp_eq_u32_e32 vcc_lo, 0, v59
	s_and_b32 s27, s21, vcc_lo
	s_wait_alu 0xfffe
	s_and_saveexec_b32 s21, s27
	s_cbranch_execz .LBB216_93
; %bb.92:                               ;   in Loop: Header=BB216_81 Depth=1
	s_wait_dscnt 0x0
	v_bcnt_u32_b32 v4, v4, v43
	ds_store_b32 v44, v4 offset:32
.LBB216_93:                             ;   in Loop: Header=BB216_81 Depth=1
	s_wait_alu 0xfffe
	s_or_b32 exec_lo, exec_lo, s21
	v_cmp_ne_u32_e32 vcc_lo, 0x80000000, v53
	; wave barrier
	s_wait_alu 0xfffd
	v_cndmask_b32_e32 v4, 0x7fffffff, v53, vcc_lo
	s_delay_alu instid0(VALU_DEP_1) | instskip(NEXT) | instid1(VALU_DEP_1)
	v_lshrrev_b32_e32 v4, s24, v4
	v_and_b32_e32 v4, s26, v4
	s_delay_alu instid0(VALU_DEP_1)
	v_and_b32_e32 v5, 1, v4
	v_lshlrev_b32_e32 v6, 30, v4
	v_lshlrev_b32_e32 v7, 29, v4
	;; [unrolled: 1-line block ×4, first 2 shown]
	v_add_co_u32 v5, s21, v5, -1
	s_wait_alu 0xf1ff
	v_cndmask_b32_e64 v9, 0, 1, s21
	v_not_b32_e32 v61, v6
	v_cmp_gt_i32_e64 s21, 0, v6
	v_not_b32_e32 v6, v7
	v_lshlrev_b32_e32 v11, 26, v4
	v_cmp_ne_u32_e32 vcc_lo, 0, v9
	v_ashrrev_i32_e32 v61, 31, v61
	v_lshlrev_b32_e32 v60, 25, v4
	v_ashrrev_i32_e32 v6, 31, v6
	v_lshlrev_b32_e32 v9, 24, v4
	s_wait_alu 0xfffd
	v_xor_b32_e32 v5, vcc_lo, v5
	v_cmp_gt_i32_e32 vcc_lo, 0, v7
	v_not_b32_e32 v7, v8
	s_wait_alu 0xf1ff
	v_xor_b32_e32 v61, s21, v61
	v_cmp_gt_i32_e64 s21, 0, v8
	v_and_b32_e32 v5, exec_lo, v5
	v_not_b32_e32 v8, v10
	v_ashrrev_i32_e32 v7, 31, v7
	s_wait_alu 0xfffd
	v_xor_b32_e32 v6, vcc_lo, v6
	v_cmp_gt_i32_e32 vcc_lo, 0, v10
	v_and_b32_e32 v5, v5, v61
	v_not_b32_e32 v10, v11
	v_ashrrev_i32_e32 v8, 31, v8
	s_wait_alu 0xf1ff
	v_xor_b32_e32 v7, s21, v7
	v_cmp_gt_i32_e64 s21, 0, v11
	v_and_b32_e32 v5, v5, v6
	v_not_b32_e32 v6, v60
	v_ashrrev_i32_e32 v10, 31, v10
	s_wait_alu 0xfffd
	v_xor_b32_e32 v8, vcc_lo, v8
	v_cmp_gt_i32_e32 vcc_lo, 0, v60
	v_and_b32_e32 v5, v5, v7
	v_not_b32_e32 v7, v9
	v_ashrrev_i32_e32 v6, 31, v6
	s_wait_alu 0xf1ff
	v_xor_b32_e32 v10, s21, v10
	v_lshlrev_b32_e32 v4, 5, v4
	v_and_b32_e32 v5, v5, v8
	v_cmp_gt_i32_e64 s21, 0, v9
	v_ashrrev_i32_e32 v7, 31, v7
	s_wait_alu 0xfffd
	v_xor_b32_e32 v6, vcc_lo, v6
	v_add_nc_u32_e32 v61, v49, v4
	v_and_b32_e32 v5, v5, v10
	s_wait_alu 0xf1ff
	v_xor_b32_e32 v4, s21, v7
	ds_load_b32 v60, v61 offset:32
	v_and_b32_e32 v5, v5, v6
	; wave barrier
	s_delay_alu instid0(VALU_DEP_1) | instskip(NEXT) | instid1(VALU_DEP_1)
	v_and_b32_e32 v4, v5, v4
	v_mbcnt_lo_u32_b32 v62, v4, 0
	v_cmp_ne_u32_e64 s21, 0, v4
	s_delay_alu instid0(VALU_DEP_2)
	v_cmp_eq_u32_e32 vcc_lo, 0, v62
	s_and_b32 s27, s21, vcc_lo
	s_wait_alu 0xfffe
	s_and_saveexec_b32 s21, s27
	s_cbranch_execz .LBB216_95
; %bb.94:                               ;   in Loop: Header=BB216_81 Depth=1
	s_wait_dscnt 0x0
	v_bcnt_u32_b32 v4, v4, v60
	ds_store_b32 v61, v4 offset:32
.LBB216_95:                             ;   in Loop: Header=BB216_81 Depth=1
	s_wait_alu 0xfffe
	s_or_b32 exec_lo, exec_lo, s21
	v_cmp_ne_u32_e32 vcc_lo, 0x80000000, v52
	; wave barrier
	s_wait_alu 0xfffd
	v_cndmask_b32_e32 v4, 0x7fffffff, v52, vcc_lo
	s_delay_alu instid0(VALU_DEP_1) | instskip(NEXT) | instid1(VALU_DEP_1)
	v_lshrrev_b32_e32 v4, s24, v4
	v_and_b32_e32 v4, s26, v4
	s_delay_alu instid0(VALU_DEP_1)
	v_and_b32_e32 v5, 1, v4
	v_lshlrev_b32_e32 v6, 30, v4
	v_lshlrev_b32_e32 v7, 29, v4
	;; [unrolled: 1-line block ×4, first 2 shown]
	v_add_co_u32 v5, s21, v5, -1
	s_wait_alu 0xf1ff
	v_cndmask_b32_e64 v9, 0, 1, s21
	v_not_b32_e32 v64, v6
	v_cmp_gt_i32_e64 s21, 0, v6
	v_not_b32_e32 v6, v7
	v_lshlrev_b32_e32 v11, 26, v4
	v_cmp_ne_u32_e32 vcc_lo, 0, v9
	v_ashrrev_i32_e32 v64, 31, v64
	v_lshlrev_b32_e32 v63, 25, v4
	v_ashrrev_i32_e32 v6, 31, v6
	v_lshlrev_b32_e32 v9, 24, v4
	s_wait_alu 0xfffd
	v_xor_b32_e32 v5, vcc_lo, v5
	v_cmp_gt_i32_e32 vcc_lo, 0, v7
	v_not_b32_e32 v7, v8
	s_wait_alu 0xf1ff
	v_xor_b32_e32 v64, s21, v64
	v_cmp_gt_i32_e64 s21, 0, v8
	v_and_b32_e32 v5, exec_lo, v5
	v_not_b32_e32 v8, v10
	v_ashrrev_i32_e32 v7, 31, v7
	s_wait_alu 0xfffd
	v_xor_b32_e32 v6, vcc_lo, v6
	v_cmp_gt_i32_e32 vcc_lo, 0, v10
	v_and_b32_e32 v5, v5, v64
	v_not_b32_e32 v10, v11
	v_ashrrev_i32_e32 v8, 31, v8
	s_wait_alu 0xf1ff
	v_xor_b32_e32 v7, s21, v7
	v_cmp_gt_i32_e64 s21, 0, v11
	v_and_b32_e32 v5, v5, v6
	v_not_b32_e32 v6, v63
	v_ashrrev_i32_e32 v10, 31, v10
	s_wait_alu 0xfffd
	v_xor_b32_e32 v8, vcc_lo, v8
	v_cmp_gt_i32_e32 vcc_lo, 0, v63
	v_and_b32_e32 v5, v5, v7
	v_not_b32_e32 v7, v9
	v_ashrrev_i32_e32 v6, 31, v6
	s_wait_alu 0xf1ff
	v_xor_b32_e32 v10, s21, v10
	v_lshlrev_b32_e32 v4, 5, v4
	v_and_b32_e32 v5, v5, v8
	v_cmp_gt_i32_e64 s21, 0, v9
	v_ashrrev_i32_e32 v7, 31, v7
	s_wait_alu 0xfffd
	v_xor_b32_e32 v6, vcc_lo, v6
	v_add_nc_u32_e32 v63, v49, v4
	v_and_b32_e32 v5, v5, v10
	s_wait_alu 0xf1ff
	v_xor_b32_e32 v4, s21, v7
	ds_load_b32 v68, v63 offset:32
	v_and_b32_e32 v5, v5, v6
	; wave barrier
	s_delay_alu instid0(VALU_DEP_1) | instskip(NEXT) | instid1(VALU_DEP_1)
	v_and_b32_e32 v4, v5, v4
	v_mbcnt_lo_u32_b32 v89, v4, 0
	v_cmp_ne_u32_e64 s21, 0, v4
	s_delay_alu instid0(VALU_DEP_2)
	v_cmp_eq_u32_e32 vcc_lo, 0, v89
	s_and_b32 s26, s21, vcc_lo
	s_wait_alu 0xfffe
	s_and_saveexec_b32 s21, s26
	s_cbranch_execz .LBB216_97
; %bb.96:                               ;   in Loop: Header=BB216_81 Depth=1
	s_wait_dscnt 0x0
	v_bcnt_u32_b32 v4, v4, v68
	ds_store_b32 v63, v4 offset:32
.LBB216_97:                             ;   in Loop: Header=BB216_81 Depth=1
	s_wait_alu 0xfffe
	s_or_b32 exec_lo, exec_lo, s21
	; wave barrier
	s_wait_loadcnt_dscnt 0x0
	s_barrier_signal -1
	s_barrier_wait -1
	global_inv scope:SCOPE_SE
	ds_load_b128 v[8:11], v87 offset:32
	ds_load_b128 v[4:7], v87 offset:48
	s_wait_dscnt 0x1
	v_add_nc_u32_e32 v64, v9, v8
	s_delay_alu instid0(VALU_DEP_1) | instskip(SKIP_1) | instid1(VALU_DEP_1)
	v_add3_u32 v64, v64, v10, v11
	s_wait_dscnt 0x0
	v_add3_u32 v64, v64, v4, v5
	s_delay_alu instid0(VALU_DEP_1) | instskip(NEXT) | instid1(VALU_DEP_1)
	v_add3_u32 v7, v64, v6, v7
	v_mov_b32_dpp v64, v7 row_shr:1 row_mask:0xf bank_mask:0xf
	s_delay_alu instid0(VALU_DEP_1) | instskip(NEXT) | instid1(VALU_DEP_1)
	v_cndmask_b32_e64 v64, v64, 0, s0
	v_add_nc_u32_e32 v7, v64, v7
	s_delay_alu instid0(VALU_DEP_1) | instskip(NEXT) | instid1(VALU_DEP_1)
	v_mov_b32_dpp v64, v7 row_shr:2 row_mask:0xf bank_mask:0xf
	v_cndmask_b32_e64 v64, 0, v64, s1
	s_delay_alu instid0(VALU_DEP_1) | instskip(NEXT) | instid1(VALU_DEP_1)
	v_add_nc_u32_e32 v7, v7, v64
	v_mov_b32_dpp v64, v7 row_shr:4 row_mask:0xf bank_mask:0xf
	s_delay_alu instid0(VALU_DEP_1) | instskip(NEXT) | instid1(VALU_DEP_1)
	v_cndmask_b32_e64 v64, 0, v64, s11
	v_add_nc_u32_e32 v7, v7, v64
	s_delay_alu instid0(VALU_DEP_1) | instskip(NEXT) | instid1(VALU_DEP_1)
	v_mov_b32_dpp v64, v7 row_shr:8 row_mask:0xf bank_mask:0xf
	v_cndmask_b32_e64 v64, 0, v64, s12
	s_delay_alu instid0(VALU_DEP_1) | instskip(SKIP_3) | instid1(VALU_DEP_1)
	v_add_nc_u32_e32 v7, v7, v64
	ds_swizzle_b32 v64, v7 offset:swizzle(BROADCAST,32,15)
	s_wait_dscnt 0x0
	v_cndmask_b32_e64 v64, v64, 0, s13
	v_add_nc_u32_e32 v7, v7, v64
	s_and_saveexec_b32 s21, s14
; %bb.98:                               ;   in Loop: Header=BB216_81 Depth=1
	ds_store_b32 v88, v7
; %bb.99:                               ;   in Loop: Header=BB216_81 Depth=1
	s_wait_alu 0xfffe
	s_or_b32 exec_lo, exec_lo, s21
	s_wait_loadcnt_dscnt 0x0
	s_barrier_signal -1
	s_barrier_wait -1
	global_inv scope:SCOPE_SE
	s_and_saveexec_b32 s21, s15
	s_cbranch_execz .LBB216_101
; %bb.100:                              ;   in Loop: Header=BB216_81 Depth=1
	ds_load_b32 v64, v50
	s_wait_dscnt 0x0
	v_mov_b32_dpp v65, v64 row_shr:1 row_mask:0xf bank_mask:0xf
	s_delay_alu instid0(VALU_DEP_1) | instskip(NEXT) | instid1(VALU_DEP_1)
	v_cndmask_b32_e64 v65, v65, 0, s18
	v_add_nc_u32_e32 v64, v65, v64
	s_delay_alu instid0(VALU_DEP_1) | instskip(NEXT) | instid1(VALU_DEP_1)
	v_mov_b32_dpp v65, v64 row_shr:2 row_mask:0xf bank_mask:0xf
	v_cndmask_b32_e64 v65, 0, v65, s19
	s_delay_alu instid0(VALU_DEP_1) | instskip(NEXT) | instid1(VALU_DEP_1)
	v_add_nc_u32_e32 v64, v64, v65
	v_mov_b32_dpp v65, v64 row_shr:4 row_mask:0xf bank_mask:0xf
	s_delay_alu instid0(VALU_DEP_1) | instskip(NEXT) | instid1(VALU_DEP_1)
	v_cndmask_b32_e64 v65, 0, v65, s20
	v_add_nc_u32_e32 v64, v64, v65
	ds_store_b32 v50, v64
.LBB216_101:                            ;   in Loop: Header=BB216_81 Depth=1
	s_wait_alu 0xfffe
	s_or_b32 exec_lo, exec_lo, s21
	v_mov_b32_e32 v64, 0
	s_wait_loadcnt_dscnt 0x0
	s_barrier_signal -1
	s_barrier_wait -1
	global_inv scope:SCOPE_SE
	s_and_saveexec_b32 s21, s16
; %bb.102:                              ;   in Loop: Header=BB216_81 Depth=1
	ds_load_b32 v64, v48
; %bb.103:                              ;   in Loop: Header=BB216_81 Depth=1
	s_wait_alu 0xfffe
	s_or_b32 exec_lo, exec_lo, s21
	s_wait_dscnt 0x0
	v_add_nc_u32_e32 v7, v64, v7
	s_cmp_gt_u32 s24, 23
	s_mov_b32 s21, -1
	ds_bpermute_b32 v7, v47, v7
	s_wait_dscnt 0x0
	v_cndmask_b32_e64 v7, v7, v64, s10
	s_delay_alu instid0(VALU_DEP_1) | instskip(NEXT) | instid1(VALU_DEP_1)
	v_cndmask_b32_e64 v7, v7, 0, s17
	v_add_nc_u32_e32 v8, v7, v8
	s_delay_alu instid0(VALU_DEP_1) | instskip(NEXT) | instid1(VALU_DEP_1)
	v_add_nc_u32_e32 v9, v8, v9
	v_add_nc_u32_e32 v10, v9, v10
	s_delay_alu instid0(VALU_DEP_1) | instskip(NEXT) | instid1(VALU_DEP_1)
	v_add_nc_u32_e32 v64, v10, v11
	;; [unrolled: 3-line block ×3, first 2 shown]
	v_add_nc_u32_e32 v67, v66, v6
	ds_store_b128 v87, v[7:10] offset:32
	ds_store_b128 v87, v[64:67] offset:48
	s_wait_loadcnt_dscnt 0x0
	s_barrier_signal -1
	s_barrier_wait -1
	global_inv scope:SCOPE_SE
	ds_load_b32 v4, v13 offset:32
	ds_load_b32 v5, v16 offset:32
	;; [unrolled: 1-line block ×8, first 2 shown]
	s_wait_dscnt 0x7
	v_add_nc_u32_e32 v67, v4, v12
	s_wait_dscnt 0x6
	v_add3_u32 v66, v15, v14, v5
	s_wait_dscnt 0x5
	v_add3_u32 v65, v18, v17, v6
	;; [unrolled: 2-line block ×7, first 2 shown]
                                        ; implicit-def: $vgpr44
                                        ; implicit-def: $vgpr42
                                        ; implicit-def: $vgpr39
                                        ; implicit-def: $vgpr37
                                        ; implicit-def: $vgpr18_vgpr19
                                        ; implicit-def: $vgpr14_vgpr15
                                        ; implicit-def: $vgpr10_vgpr11
                                        ; implicit-def: $vgpr6_vgpr7
	s_cbranch_scc1 .LBB216_80
; %bb.104:                              ;   in Loop: Header=BB216_81 Depth=1
	v_lshlrev_b32_e32 v4, 2, v67
	v_lshlrev_b32_e32 v5, 2, v66
	;; [unrolled: 1-line block ×3, first 2 shown]
	s_wait_loadcnt 0x0
	s_barrier_signal -1
	s_barrier_wait -1
	global_inv scope:SCOPE_SE
	ds_store_b32 v4, v51
	ds_store_b32 v5, v58
	;; [unrolled: 1-line block ×3, first 2 shown]
	v_lshlrev_b32_e32 v7, 2, v64
	v_add_nc_u32_e32 v4, v4, v4
	v_lshlrev_b32_e32 v8, 2, v63
	v_add_nc_u32_e32 v5, v5, v5
	v_lshlrev_b32_e32 v9, 2, v61
	v_add_nc_u32_e32 v6, v6, v6
	v_lshlrev_b32_e32 v10, 2, v60
	v_lshlrev_b32_e32 v11, 2, v59
	ds_store_b32 v7, v56
	ds_store_b32 v8, v55
	;; [unrolled: 1-line block ×5, first 2 shown]
	s_wait_loadcnt_dscnt 0x0
	s_barrier_signal -1
	s_barrier_wait -1
	global_inv scope:SCOPE_SE
	ds_load_2addr_b32 v[36:37], v45 offset1:32
	ds_load_2addr_b32 v[38:39], v45 offset0:64 offset1:96
	ds_load_2addr_b32 v[41:42], v45 offset0:128 offset1:160
	;; [unrolled: 1-line block ×3, first 2 shown]
	s_wait_loadcnt_dscnt 0x0
	s_barrier_signal -1
	s_barrier_wait -1
	global_inv scope:SCOPE_SE
	ds_store_b64 v4, v[34:35]
	ds_store_b64 v5, v[32:33]
	ds_store_b64 v6, v[30:31]
	v_add_nc_u32_e32 v4, v7, v7
	v_add_nc_u32_e32 v5, v8, v8
	;; [unrolled: 1-line block ×5, first 2 shown]
	ds_store_b64 v4, v[28:29]
	ds_store_b64 v5, v[26:27]
	;; [unrolled: 1-line block ×5, first 2 shown]
	s_wait_loadcnt_dscnt 0x0
	s_barrier_signal -1
	s_barrier_wait -1
	global_inv scope:SCOPE_SE
	ds_load_2addr_b64 v[4:7], v46 offset1:32
	ds_load_2addr_b64 v[8:11], v46 offset0:64 offset1:96
	ds_load_2addr_b64 v[12:15], v46 offset0:128 offset1:160
	;; [unrolled: 1-line block ×3, first 2 shown]
	s_add_co_i32 s24, s24, 8
	s_add_co_i32 s25, s25, -8
	s_mov_b32 s21, 0
	s_wait_loadcnt_dscnt 0x0
	s_barrier_signal -1
	s_barrier_wait -1
	global_inv scope:SCOPE_SE
	s_branch .LBB216_80
.LBB216_105:
	v_lshlrev_b32_e32 v8, 2, v67
	v_lshlrev_b32_e32 v11, 2, v64
	;; [unrolled: 1-line block ×8, first 2 shown]
	s_wait_loadcnt 0x0
	s_barrier_signal -1
	s_barrier_wait -1
	global_inv scope:SCOPE_SE
	ds_store_b32 v8, v51
	ds_store_b32 v9, v58
	;; [unrolled: 1-line block ×8, first 2 shown]
	s_wait_loadcnt_dscnt 0x0
	s_barrier_signal -1
	s_barrier_wait -1
	global_inv scope:SCOPE_SE
	ds_load_b128 v[0:3], v87
	ds_load_b128 v[4:7], v87 offset:16
	v_add_nc_u32_e32 v8, v8, v8
	v_add_nc_u32_e32 v9, v9, v9
	;; [unrolled: 1-line block ×3, first 2 shown]
	s_wait_loadcnt_dscnt 0x0
	s_barrier_signal -1
	s_barrier_wait -1
	global_inv scope:SCOPE_SE
	ds_store_b64 v8, v[34:35]
	ds_store_b64 v9, v[32:33]
	;; [unrolled: 1-line block ×3, first 2 shown]
	v_add_nc_u32_e32 v8, v11, v11
	v_add_nc_u32_e32 v9, v12, v12
	;; [unrolled: 1-line block ×5, first 2 shown]
	ds_store_b64 v8, v[28:29]
	ds_store_b64 v9, v[26:27]
	;; [unrolled: 1-line block ×5, first 2 shown]
	v_lshl_add_u32 v8, v40, 5, v87
	s_wait_loadcnt_dscnt 0x0
	s_barrier_signal -1
	s_barrier_wait -1
	v_cmp_gt_i32_e32 vcc_lo, 0, v0
	global_inv scope:SCOPE_SE
	ds_load_b128 v[28:31], v8
	ds_load_b128 v[24:27], v8 offset:16
	ds_load_b128 v[36:39], v8 offset:32
	;; [unrolled: 1-line block ×3, first 2 shown]
	s_wait_alu 0xfffd
	v_cndmask_b32_e64 v9, 0x7fffffff, 0, vcc_lo
	v_cmp_gt_i32_e32 vcc_lo, 0, v1
	s_delay_alu instid0(VALU_DEP_2) | instskip(SKIP_3) | instid1(VALU_DEP_2)
	v_xor_b32_e32 v0, v9, v0
	s_wait_alu 0xfffd
	v_cndmask_b32_e64 v10, 0x7fffffff, 0, vcc_lo
	v_cmp_gt_i32_e32 vcc_lo, 0, v2
	v_xor_b32_e32 v1, v10, v1
	s_wait_alu 0xfffd
	v_cndmask_b32_e64 v11, 0x7fffffff, 0, vcc_lo
	v_cmp_gt_i32_e32 vcc_lo, 0, v3
	s_delay_alu instid0(VALU_DEP_2) | instskip(SKIP_3) | instid1(VALU_DEP_2)
	v_xor_b32_e32 v2, v11, v2
	s_wait_alu 0xfffd
	v_cndmask_b32_e64 v8, 0x7fffffff, 0, vcc_lo
	v_cmp_gt_i32_e32 vcc_lo, 0, v4
	v_xor_b32_e32 v3, v8, v3
	;; [unrolled: 9-line block ×3, first 2 shown]
	s_wait_alu 0xfffd
	v_cndmask_b32_e64 v11, 0x7fffffff, 0, vcc_lo
	v_cmp_gt_i32_e32 vcc_lo, 0, v7
	s_delay_alu instid0(VALU_DEP_2) | instskip(SKIP_2) | instid1(VALU_DEP_1)
	v_xor_b32_e32 v6, v11, v6
	s_wait_alu 0xfffd
	v_cndmask_b32_e64 v12, 0x7fffffff, 0, vcc_lo
	v_xor_b32_e32 v7, v12, v7
.LBB216_106:
	v_mad_co_u64_u32 v[9:10], null, s22, v40, 0
	s_wait_loadcnt_dscnt 0x0
	s_barrier_signal -1
	s_barrier_wait -1
	global_inv scope:SCOPE_SE
	ds_store_2addr_b32 v77, v0, v1 offset1:1
	ds_store_2addr_b32 v77, v2, v3 offset0:2 offset1:3
	ds_store_2addr_b32 v77, v4, v5 offset0:4 offset1:5
	;; [unrolled: 1-line block ×3, first 2 shown]
	s_wait_loadcnt_dscnt 0x0
	v_mov_b32_e32 v0, v10
	s_barrier_signal -1
	s_barrier_wait -1
	global_inv scope:SCOPE_SE
	ds_load_b32 v8, v70 offset:1024
	ds_load_b32 v7, v71 offset:2048
	;; [unrolled: 1-line block ×7, first 2 shown]
	v_mad_co_u64_u32 v[0:1], null, s23, v40, v[0:1]
	s_delay_alu instid0(VALU_DEP_1) | instskip(NEXT) | instid1(VALU_DEP_1)
	v_mov_b32_e32 v10, v0
	v_lshlrev_b64_e32 v[0:1], 2, v[9:10]
	s_delay_alu instid0(VALU_DEP_1) | instskip(SKIP_1) | instid1(VALU_DEP_2)
	v_add_co_u32 v0, vcc_lo, s30, v0
	s_wait_alu 0xfffd
	v_add_co_ci_u32_e64 v1, null, s31, v1, vcc_lo
	s_and_saveexec_b32 s0, s2
	s_cbranch_execnz .LBB216_125
; %bb.107:
	s_wait_alu 0xfffe
	s_or_b32 exec_lo, exec_lo, s0
	s_and_saveexec_b32 s0, s3
	s_cbranch_execnz .LBB216_126
.LBB216_108:
	s_wait_alu 0xfffe
	s_or_b32 exec_lo, exec_lo, s0
	s_and_saveexec_b32 s0, s4
	s_cbranch_execnz .LBB216_127
.LBB216_109:
	s_wait_alu 0xfffe
	s_or_b32 exec_lo, exec_lo, s0
	s_and_saveexec_b32 s0, s5
	s_cbranch_execnz .LBB216_128
.LBB216_110:
	s_wait_alu 0xfffe
	s_or_b32 exec_lo, exec_lo, s0
	s_and_saveexec_b32 s0, s6
	s_cbranch_execnz .LBB216_129
.LBB216_111:
	s_wait_alu 0xfffe
	s_or_b32 exec_lo, exec_lo, s0
	s_and_saveexec_b32 s0, s7
	s_cbranch_execnz .LBB216_130
.LBB216_112:
	s_wait_alu 0xfffe
	s_or_b32 exec_lo, exec_lo, s0
	s_and_saveexec_b32 s0, s8
	s_cbranch_execnz .LBB216_131
.LBB216_113:
	s_wait_alu 0xfffe
	s_or_b32 exec_lo, exec_lo, s0
	s_and_saveexec_b32 s0, s9
	s_cbranch_execz .LBB216_115
.LBB216_114:
	v_mad_co_u64_u32 v[0:1], null, 0x1c00, s22, v[0:1]
	s_wait_dscnt 0x0
	s_delay_alu instid0(VALU_DEP_1) | instskip(NEXT) | instid1(VALU_DEP_1)
	v_mad_co_u64_u32 v[3:4], null, 0x1c00, s23, v[1:2]
	v_mov_b32_e32 v1, v3
	global_store_b32 v[0:1], v2, off
.LBB216_115:
	s_wait_alu 0xfffe
	s_or_b32 exec_lo, exec_lo, s0
	s_wait_dscnt 0x0
	v_mad_co_u64_u32 v[2:3], null, s28, v40, 0
	s_wait_loadcnt 0x0
	s_wait_storecnt 0x0
	s_barrier_signal -1
	s_barrier_wait -1
	global_inv scope:SCOPE_SE
	ds_store_2addr_b64 v86, v[28:29], v[30:31] offset1:1
	ds_store_2addr_b64 v86, v[24:25], v[26:27] offset0:2 offset1:3
	ds_store_2addr_b64 v86, v[36:37], v[38:39] offset0:4 offset1:5
	;; [unrolled: 1-line block ×3, first 2 shown]
	s_wait_loadcnt_dscnt 0x0
	v_mov_b32_e32 v0, v3
	s_barrier_signal -1
	s_barrier_wait -1
	global_inv scope:SCOPE_SE
	v_mad_co_u64_u32 v[3:4], null, s29, v40, v[0:1]
	ds_load_b64 v[14:15], v79 offset:2048
	ds_load_b64 v[12:13], v80 offset:4096
	;; [unrolled: 1-line block ×7, first 2 shown]
	v_lshlrev_b64_e32 v[2:3], 3, v[2:3]
	s_delay_alu instid0(VALU_DEP_1) | instskip(SKIP_1) | instid1(VALU_DEP_2)
	v_add_co_u32 v2, vcc_lo, s34, v2
	s_wait_alu 0xfffd
	v_add_co_ci_u32_e64 v3, null, s35, v3, vcc_lo
	s_and_saveexec_b32 s0, s2
	s_cbranch_execnz .LBB216_132
; %bb.116:
	s_wait_alu 0xfffe
	s_or_b32 exec_lo, exec_lo, s0
	s_and_saveexec_b32 s0, s3
	s_cbranch_execnz .LBB216_133
.LBB216_117:
	s_wait_alu 0xfffe
	s_or_b32 exec_lo, exec_lo, s0
	s_and_saveexec_b32 s0, s4
	s_cbranch_execnz .LBB216_134
.LBB216_118:
	s_wait_alu 0xfffe
	s_or_b32 exec_lo, exec_lo, s0
	s_and_saveexec_b32 s0, s5
	s_cbranch_execnz .LBB216_135
.LBB216_119:
	s_wait_alu 0xfffe
	s_or_b32 exec_lo, exec_lo, s0
	s_and_saveexec_b32 s0, s6
	s_cbranch_execnz .LBB216_136
.LBB216_120:
	s_wait_alu 0xfffe
	s_or_b32 exec_lo, exec_lo, s0
	s_and_saveexec_b32 s0, s7
	s_cbranch_execnz .LBB216_137
.LBB216_121:
	s_wait_alu 0xfffe
	s_or_b32 exec_lo, exec_lo, s0
	s_and_saveexec_b32 s0, s8
	s_cbranch_execnz .LBB216_138
.LBB216_122:
	s_wait_alu 0xfffe
	s_or_b32 exec_lo, exec_lo, s0
	s_and_saveexec_b32 s0, s9
	s_cbranch_execz .LBB216_124
.LBB216_123:
	v_mad_co_u64_u32 v[2:3], null, 0x3800, s28, v[2:3]
	s_wait_dscnt 0x1
	s_delay_alu instid0(VALU_DEP_1)
	v_mad_co_u64_u32 v[3:4], null, 0x3800, s29, v[3:4]
	s_wait_dscnt 0x0
	global_store_b64 v[2:3], v[0:1], off
.LBB216_124:
	s_nop 0
	s_sendmsg sendmsg(MSG_DEALLOC_VGPRS)
	s_endpgm
.LBB216_125:
	ds_load_b32 v9, v69
	s_wait_dscnt 0x0
	global_store_b32 v[0:1], v9, off
	s_wait_alu 0xfffe
	s_or_b32 exec_lo, exec_lo, s0
	s_and_saveexec_b32 s0, s3
	s_cbranch_execz .LBB216_108
.LBB216_126:
	s_lshl_b64 s[10:11], s[22:23], 10
	s_wait_alu 0xfffe
	v_add_co_u32 v9, vcc_lo, v0, s10
	s_wait_alu 0xfffd
	v_add_co_ci_u32_e64 v10, null, s11, v1, vcc_lo
	s_wait_dscnt 0x6
	global_store_b32 v[9:10], v8, off
	s_or_b32 exec_lo, exec_lo, s0
	s_and_saveexec_b32 s0, s4
	s_cbranch_execz .LBB216_109
.LBB216_127:
	s_lshl_b64 s[10:11], s[22:23], 11
	s_wait_dscnt 0x6
	s_wait_alu 0xfffe
	v_add_co_u32 v8, vcc_lo, v0, s10
	s_wait_alu 0xfffd
	v_add_co_ci_u32_e64 v9, null, s11, v1, vcc_lo
	s_wait_dscnt 0x5
	global_store_b32 v[8:9], v7, off
	s_or_b32 exec_lo, exec_lo, s0
	s_and_saveexec_b32 s0, s5
	s_cbranch_execz .LBB216_110
.LBB216_128:
	s_wait_dscnt 0x5
	v_mad_co_u64_u32 v[7:8], null, 0xc00, s22, v[0:1]
	s_delay_alu instid0(VALU_DEP_1)
	v_mad_co_u64_u32 v[8:9], null, 0xc00, s23, v[8:9]
	s_wait_dscnt 0x4
	global_store_b32 v[7:8], v6, off
	s_wait_alu 0xfffe
	s_or_b32 exec_lo, exec_lo, s0
	s_and_saveexec_b32 s0, s6
	s_cbranch_execz .LBB216_111
.LBB216_129:
	s_lshl_b64 s[10:11], s[22:23], 12
	s_wait_dscnt 0x4
	s_wait_alu 0xfffe
	v_add_co_u32 v6, vcc_lo, v0, s10
	s_wait_alu 0xfffd
	v_add_co_ci_u32_e64 v7, null, s11, v1, vcc_lo
	s_wait_dscnt 0x3
	global_store_b32 v[6:7], v5, off
	s_or_b32 exec_lo, exec_lo, s0
	s_and_saveexec_b32 s0, s7
	s_cbranch_execz .LBB216_112
.LBB216_130:
	s_wait_dscnt 0x3
	v_mad_co_u64_u32 v[5:6], null, 0x1400, s22, v[0:1]
	s_delay_alu instid0(VALU_DEP_1)
	v_mad_co_u64_u32 v[6:7], null, 0x1400, s23, v[6:7]
	s_wait_dscnt 0x2
	global_store_b32 v[5:6], v4, off
	s_wait_alu 0xfffe
	s_or_b32 exec_lo, exec_lo, s0
	s_and_saveexec_b32 s0, s8
	s_cbranch_execz .LBB216_113
.LBB216_131:
	s_wait_dscnt 0x2
	v_mad_co_u64_u32 v[4:5], null, 0x1800, s22, v[0:1]
	s_delay_alu instid0(VALU_DEP_1)
	v_mad_co_u64_u32 v[5:6], null, 0x1800, s23, v[5:6]
	s_wait_dscnt 0x1
	global_store_b32 v[4:5], v3, off
	s_wait_alu 0xfffe
	s_or_b32 exec_lo, exec_lo, s0
	s_and_saveexec_b32 s0, s9
	s_cbranch_execnz .LBB216_114
	s_branch .LBB216_115
.LBB216_132:
	ds_load_b64 v[16:17], v78
	s_wait_dscnt 0x0
	global_store_b64 v[2:3], v[16:17], off
	s_wait_alu 0xfffe
	s_or_b32 exec_lo, exec_lo, s0
	s_and_saveexec_b32 s0, s3
	s_cbranch_execz .LBB216_117
.LBB216_133:
	s_lshl_b64 s[2:3], s[28:29], 11
	s_wait_alu 0xfffe
	v_add_co_u32 v16, vcc_lo, v2, s2
	s_wait_alu 0xfffd
	v_add_co_ci_u32_e64 v17, null, s3, v3, vcc_lo
	s_wait_dscnt 0x6
	global_store_b64 v[16:17], v[14:15], off
	s_or_b32 exec_lo, exec_lo, s0
	s_and_saveexec_b32 s0, s4
	s_cbranch_execz .LBB216_118
.LBB216_134:
	s_lshl_b64 s[2:3], s[28:29], 12
	s_wait_dscnt 0x6
	s_wait_alu 0xfffe
	v_add_co_u32 v14, vcc_lo, v2, s2
	s_wait_alu 0xfffd
	v_add_co_ci_u32_e64 v15, null, s3, v3, vcc_lo
	s_wait_dscnt 0x5
	global_store_b64 v[14:15], v[12:13], off
	s_or_b32 exec_lo, exec_lo, s0
	s_and_saveexec_b32 s0, s5
	s_cbranch_execz .LBB216_119
.LBB216_135:
	s_wait_dscnt 0x5
	v_mad_co_u64_u32 v[12:13], null, 0x1800, s28, v[2:3]
	s_delay_alu instid0(VALU_DEP_1)
	v_mad_co_u64_u32 v[13:14], null, 0x1800, s29, v[13:14]
	s_wait_dscnt 0x4
	global_store_b64 v[12:13], v[10:11], off
	s_wait_alu 0xfffe
	s_or_b32 exec_lo, exec_lo, s0
	s_and_saveexec_b32 s0, s6
	s_cbranch_execz .LBB216_120
.LBB216_136:
	s_lshl_b64 s[2:3], s[28:29], 13
	s_wait_dscnt 0x4
	s_wait_alu 0xfffe
	v_add_co_u32 v10, vcc_lo, v2, s2
	s_wait_alu 0xfffd
	v_add_co_ci_u32_e64 v11, null, s3, v3, vcc_lo
	s_wait_dscnt 0x3
	global_store_b64 v[10:11], v[8:9], off
	s_or_b32 exec_lo, exec_lo, s0
	s_and_saveexec_b32 s0, s7
	s_cbranch_execz .LBB216_121
.LBB216_137:
	s_wait_dscnt 0x3
	v_mad_co_u64_u32 v[8:9], null, 0x2800, s28, v[2:3]
	s_delay_alu instid0(VALU_DEP_1)
	v_mad_co_u64_u32 v[9:10], null, 0x2800, s29, v[9:10]
	s_wait_dscnt 0x2
	global_store_b64 v[8:9], v[6:7], off
	s_wait_alu 0xfffe
	s_or_b32 exec_lo, exec_lo, s0
	s_and_saveexec_b32 s0, s8
	s_cbranch_execz .LBB216_122
.LBB216_138:
	s_wait_dscnt 0x2
	v_mad_co_u64_u32 v[6:7], null, 0x3000, s28, v[2:3]
	s_delay_alu instid0(VALU_DEP_1)
	v_mad_co_u64_u32 v[7:8], null, 0x3000, s29, v[7:8]
	s_wait_dscnt 0x1
	global_store_b64 v[6:7], v[4:5], off
	s_wait_alu 0xfffe
	s_or_b32 exec_lo, exec_lo, s0
	s_and_saveexec_b32 s0, s9
	s_cbranch_execnz .LBB216_123
	s_branch .LBB216_124
	.section	.rodata,"a",@progbits
	.p2align	6, 0x0
	.amdhsa_kernel _ZN2at6native18radixSortKVInPlaceILin1ELin1ELi256ELi8EflmEEvNS_4cuda6detail10TensorInfoIT3_T5_EES6_S6_S6_NS4_IT4_S6_EES6_b
		.amdhsa_group_segment_fixed_size 16896
		.amdhsa_private_segment_fixed_size 0
		.amdhsa_kernarg_size 1128
		.amdhsa_user_sgpr_count 2
		.amdhsa_user_sgpr_dispatch_ptr 0
		.amdhsa_user_sgpr_queue_ptr 0
		.amdhsa_user_sgpr_kernarg_segment_ptr 1
		.amdhsa_user_sgpr_dispatch_id 0
		.amdhsa_user_sgpr_private_segment_size 0
		.amdhsa_wavefront_size32 1
		.amdhsa_uses_dynamic_stack 0
		.amdhsa_enable_private_segment 0
		.amdhsa_system_sgpr_workgroup_id_x 1
		.amdhsa_system_sgpr_workgroup_id_y 1
		.amdhsa_system_sgpr_workgroup_id_z 1
		.amdhsa_system_sgpr_workgroup_info 0
		.amdhsa_system_vgpr_workitem_id 2
		.amdhsa_next_free_vgpr 120
		.amdhsa_next_free_sgpr 38
		.amdhsa_reserve_vcc 1
		.amdhsa_float_round_mode_32 0
		.amdhsa_float_round_mode_16_64 0
		.amdhsa_float_denorm_mode_32 3
		.amdhsa_float_denorm_mode_16_64 3
		.amdhsa_fp16_overflow 0
		.amdhsa_workgroup_processor_mode 1
		.amdhsa_memory_ordered 1
		.amdhsa_forward_progress 1
		.amdhsa_inst_pref_size 131
		.amdhsa_round_robin_scheduling 0
		.amdhsa_exception_fp_ieee_invalid_op 0
		.amdhsa_exception_fp_denorm_src 0
		.amdhsa_exception_fp_ieee_div_zero 0
		.amdhsa_exception_fp_ieee_overflow 0
		.amdhsa_exception_fp_ieee_underflow 0
		.amdhsa_exception_fp_ieee_inexact 0
		.amdhsa_exception_int_div_zero 0
	.end_amdhsa_kernel
	.section	.text._ZN2at6native18radixSortKVInPlaceILin1ELin1ELi256ELi8EflmEEvNS_4cuda6detail10TensorInfoIT3_T5_EES6_S6_S6_NS4_IT4_S6_EES6_b,"axG",@progbits,_ZN2at6native18radixSortKVInPlaceILin1ELin1ELi256ELi8EflmEEvNS_4cuda6detail10TensorInfoIT3_T5_EES6_S6_S6_NS4_IT4_S6_EES6_b,comdat
.Lfunc_end216:
	.size	_ZN2at6native18radixSortKVInPlaceILin1ELin1ELi256ELi8EflmEEvNS_4cuda6detail10TensorInfoIT3_T5_EES6_S6_S6_NS4_IT4_S6_EES6_b, .Lfunc_end216-_ZN2at6native18radixSortKVInPlaceILin1ELin1ELi256ELi8EflmEEvNS_4cuda6detail10TensorInfoIT3_T5_EES6_S6_S6_NS4_IT4_S6_EES6_b
                                        ; -- End function
	.set _ZN2at6native18radixSortKVInPlaceILin1ELin1ELi256ELi8EflmEEvNS_4cuda6detail10TensorInfoIT3_T5_EES6_S6_S6_NS4_IT4_S6_EES6_b.num_vgpr, 120
	.set _ZN2at6native18radixSortKVInPlaceILin1ELin1ELi256ELi8EflmEEvNS_4cuda6detail10TensorInfoIT3_T5_EES6_S6_S6_NS4_IT4_S6_EES6_b.num_agpr, 0
	.set _ZN2at6native18radixSortKVInPlaceILin1ELin1ELi256ELi8EflmEEvNS_4cuda6detail10TensorInfoIT3_T5_EES6_S6_S6_NS4_IT4_S6_EES6_b.numbered_sgpr, 38
	.set _ZN2at6native18radixSortKVInPlaceILin1ELin1ELi256ELi8EflmEEvNS_4cuda6detail10TensorInfoIT3_T5_EES6_S6_S6_NS4_IT4_S6_EES6_b.num_named_barrier, 0
	.set _ZN2at6native18radixSortKVInPlaceILin1ELin1ELi256ELi8EflmEEvNS_4cuda6detail10TensorInfoIT3_T5_EES6_S6_S6_NS4_IT4_S6_EES6_b.private_seg_size, 0
	.set _ZN2at6native18radixSortKVInPlaceILin1ELin1ELi256ELi8EflmEEvNS_4cuda6detail10TensorInfoIT3_T5_EES6_S6_S6_NS4_IT4_S6_EES6_b.uses_vcc, 1
	.set _ZN2at6native18radixSortKVInPlaceILin1ELin1ELi256ELi8EflmEEvNS_4cuda6detail10TensorInfoIT3_T5_EES6_S6_S6_NS4_IT4_S6_EES6_b.uses_flat_scratch, 0
	.set _ZN2at6native18radixSortKVInPlaceILin1ELin1ELi256ELi8EflmEEvNS_4cuda6detail10TensorInfoIT3_T5_EES6_S6_S6_NS4_IT4_S6_EES6_b.has_dyn_sized_stack, 0
	.set _ZN2at6native18radixSortKVInPlaceILin1ELin1ELi256ELi8EflmEEvNS_4cuda6detail10TensorInfoIT3_T5_EES6_S6_S6_NS4_IT4_S6_EES6_b.has_recursion, 0
	.set _ZN2at6native18radixSortKVInPlaceILin1ELin1ELi256ELi8EflmEEvNS_4cuda6detail10TensorInfoIT3_T5_EES6_S6_S6_NS4_IT4_S6_EES6_b.has_indirect_call, 0
	.section	.AMDGPU.csdata,"",@progbits
; Kernel info:
; codeLenInByte = 16736
; TotalNumSgprs: 40
; NumVgprs: 120
; ScratchSize: 0
; MemoryBound: 0
; FloatMode: 240
; IeeeMode: 1
; LDSByteSize: 16896 bytes/workgroup (compile time only)
; SGPRBlocks: 0
; VGPRBlocks: 14
; NumSGPRsForWavesPerEU: 40
; NumVGPRsForWavesPerEU: 120
; Occupancy: 12
; WaveLimiterHint : 1
; COMPUTE_PGM_RSRC2:SCRATCH_EN: 0
; COMPUTE_PGM_RSRC2:USER_SGPR: 2
; COMPUTE_PGM_RSRC2:TRAP_HANDLER: 0
; COMPUTE_PGM_RSRC2:TGID_X_EN: 1
; COMPUTE_PGM_RSRC2:TGID_Y_EN: 1
; COMPUTE_PGM_RSRC2:TGID_Z_EN: 1
; COMPUTE_PGM_RSRC2:TIDIG_COMP_CNT: 2
	.section	.text._ZN2at6native18radixSortKVInPlaceILin1ELin1ELi128ELi8EflmEEvNS_4cuda6detail10TensorInfoIT3_T5_EES6_S6_S6_NS4_IT4_S6_EES6_b,"axG",@progbits,_ZN2at6native18radixSortKVInPlaceILin1ELin1ELi128ELi8EflmEEvNS_4cuda6detail10TensorInfoIT3_T5_EES6_S6_S6_NS4_IT4_S6_EES6_b,comdat
	.protected	_ZN2at6native18radixSortKVInPlaceILin1ELin1ELi128ELi8EflmEEvNS_4cuda6detail10TensorInfoIT3_T5_EES6_S6_S6_NS4_IT4_S6_EES6_b ; -- Begin function _ZN2at6native18radixSortKVInPlaceILin1ELin1ELi128ELi8EflmEEvNS_4cuda6detail10TensorInfoIT3_T5_EES6_S6_S6_NS4_IT4_S6_EES6_b
	.globl	_ZN2at6native18radixSortKVInPlaceILin1ELin1ELi128ELi8EflmEEvNS_4cuda6detail10TensorInfoIT3_T5_EES6_S6_S6_NS4_IT4_S6_EES6_b
	.p2align	8
	.type	_ZN2at6native18radixSortKVInPlaceILin1ELin1ELi128ELi8EflmEEvNS_4cuda6detail10TensorInfoIT3_T5_EES6_S6_S6_NS4_IT4_S6_EES6_b,@function
_ZN2at6native18radixSortKVInPlaceILin1ELin1ELi128ELi8EflmEEvNS_4cuda6detail10TensorInfoIT3_T5_EES6_S6_S6_NS4_IT4_S6_EES6_b: ; @_ZN2at6native18radixSortKVInPlaceILin1ELin1ELi128ELi8EflmEEvNS_4cuda6detail10TensorInfoIT3_T5_EES6_S6_S6_NS4_IT4_S6_EES6_b
; %bb.0:
	s_clause 0x1
	s_load_b64 s[2:3], s[0:1], 0x368
	s_load_b128 s[12:15], s[0:1], 0x1a0
	s_lshr_b32 s4, ttmp7, 16
	s_and_b32 s5, ttmp7, 0xffff
	s_wait_kmcnt 0x0
	s_mul_i32 s3, s3, s4
	s_delay_alu instid0(SALU_CYCLE_1) | instskip(NEXT) | instid1(SALU_CYCLE_1)
	s_add_co_i32 s3, s3, s5
	s_mul_i32 s2, s3, s2
	s_mov_b32 s3, 0
	s_add_co_i32 s2, s2, ttmp9
	s_delay_alu instid0(SALU_CYCLE_1)
	v_cmp_le_u64_e64 s4, s[12:13], s[2:3]
	s_and_b32 vcc_lo, exec_lo, s4
	s_cbranch_vccnz .LBB217_124
; %bb.1:
	s_clause 0x1
	s_load_b32 s7, s[0:1], 0x198
	s_load_b64 s[22:23], s[0:1], 0x1b0
	s_mov_b64 s[12:13], 0
	s_mov_b64 s[4:5], s[2:3]
	s_wait_kmcnt 0x0
	s_cmp_lt_i32 s7, 2
	s_cbranch_scc1 .LBB217_9
; %bb.2:
	s_mov_b32 s6, 0
	s_add_co_i32 s4, s7, -1
	s_mov_b32 s5, s6
	s_add_co_i32 s15, s7, 1
	s_lshl_b64 s[4:5], s[4:5], 3
	s_mov_b64 s[10:11], s[2:3]
	s_add_nc_u64 s[4:5], s[0:1], s[4:5]
	s_delay_alu instid0(SALU_CYCLE_1)
	s_add_nc_u64 s[8:9], s[4:5], 8
.LBB217_3:                              ; =>This Inner Loop Header: Depth=1
	s_load_b64 s[16:17], s[8:9], 0x0
	s_wait_kmcnt 0x0
	s_or_b64 s[4:5], s[10:11], s[16:17]
	s_wait_alu 0xfffe
	s_mov_b32 s7, s5
                                        ; implicit-def: $sgpr4_sgpr5
	s_delay_alu instid0(SALU_CYCLE_1)
	s_cmp_lg_u64 s[6:7], 0
	s_mov_b32 s7, -1
	s_cbranch_scc0 .LBB217_5
; %bb.4:                                ;   in Loop: Header=BB217_3 Depth=1
	s_cvt_f32_u32 s4, s16
	s_cvt_f32_u32 s5, s17
	s_sub_nc_u64 s[18:19], 0, s[16:17]
	s_mov_b32 s21, s6
	s_mov_b32 s27, s6
	s_wait_alu 0xfffe
	s_fmamk_f32 s4, s5, 0x4f800000, s4
	s_wait_alu 0xfffe
	s_delay_alu instid0(SALU_CYCLE_2) | instskip(NEXT) | instid1(TRANS32_DEP_1)
	v_s_rcp_f32 s4, s4
	s_mul_f32 s4, s4, 0x5f7ffffc
	s_wait_alu 0xfffe
	s_delay_alu instid0(SALU_CYCLE_2) | instskip(SKIP_1) | instid1(SALU_CYCLE_2)
	s_mul_f32 s5, s4, 0x2f800000
	s_wait_alu 0xfffe
	s_trunc_f32 s5, s5
	s_wait_alu 0xfffe
	s_delay_alu instid0(SALU_CYCLE_2) | instskip(SKIP_2) | instid1(SALU_CYCLE_1)
	s_fmamk_f32 s4, s5, 0xcf800000, s4
	s_cvt_u32_f32 s5, s5
	s_wait_alu 0xfffe
	s_cvt_u32_f32 s4, s4
	s_wait_alu 0xfffe
	s_delay_alu instid0(SALU_CYCLE_2) | instskip(NEXT) | instid1(SALU_CYCLE_1)
	s_mul_u64 s[24:25], s[18:19], s[4:5]
	s_mul_hi_u32 s29, s4, s25
	s_mul_i32 s28, s4, s25
	s_mul_hi_u32 s20, s4, s24
	s_mul_i32 s26, s5, s24
	s_add_nc_u64 s[20:21], s[20:21], s[28:29]
	s_mul_hi_u32 s7, s5, s24
	s_mul_hi_u32 s30, s5, s25
	s_add_co_u32 s20, s20, s26
	s_add_co_ci_u32 s26, s21, s7
	s_mul_i32 s24, s5, s25
	s_add_co_ci_u32 s25, s30, 0
	s_delay_alu instid0(SALU_CYCLE_1) | instskip(SKIP_3) | instid1(SALU_CYCLE_1)
	s_add_nc_u64 s[20:21], s[26:27], s[24:25]
	s_mov_b32 s25, s6
	s_add_co_u32 s4, s4, s20
	s_cselect_b32 s7, -1, 0
	s_cmp_lg_u32 s7, 0
	s_add_co_ci_u32 s5, s5, s21
	s_mov_b32 s21, s6
	s_wait_alu 0xfffe
	s_mul_u64 s[18:19], s[18:19], s[4:5]
	s_delay_alu instid0(SALU_CYCLE_1)
	s_mul_hi_u32 s27, s4, s19
	s_mul_i32 s26, s4, s19
	s_mul_hi_u32 s20, s4, s18
	s_mul_i32 s24, s5, s18
	s_add_nc_u64 s[20:21], s[20:21], s[26:27]
	s_mul_hi_u32 s7, s5, s18
	s_mul_hi_u32 s28, s5, s19
	s_mul_i32 s18, s5, s19
	s_add_co_u32 s19, s20, s24
	s_add_co_ci_u32 s24, s21, s7
	s_add_co_ci_u32 s19, s28, 0
	s_mov_b32 s21, s6
	s_add_nc_u64 s[18:19], s[24:25], s[18:19]
	s_delay_alu instid0(SALU_CYCLE_1)
	s_add_co_u32 s4, s4, s18
	s_cselect_b32 s7, -1, 0
	s_wait_alu 0xfffe
	s_mul_hi_u32 s20, s10, s4
	s_cmp_lg_u32 s7, 0
	s_mul_hi_u32 s7, s11, s4
	s_add_co_ci_u32 s18, s5, s19
	s_mul_i32 s19, s11, s4
	s_mul_hi_u32 s5, s10, s18
	s_mul_i32 s4, s10, s18
	s_mul_hi_u32 s26, s11, s18
	s_wait_alu 0xfffe
	s_add_nc_u64 s[4:5], s[20:21], s[4:5]
	s_mul_i32 s18, s11, s18
	s_wait_alu 0xfffe
	s_add_co_u32 s4, s4, s19
	s_add_co_ci_u32 s24, s5, s7
	s_add_co_ci_u32 s19, s26, 0
	s_delay_alu instid0(SALU_CYCLE_1) | instskip(SKIP_2) | instid1(SALU_CYCLE_1)
	s_add_nc_u64 s[4:5], s[24:25], s[18:19]
	s_wait_alu 0xfffe
	s_mul_u64 s[18:19], s[16:17], s[4:5]
	s_sub_co_u32 s7, s10, s18
	s_cselect_b32 s18, -1, 0
	s_sub_co_i32 s20, s11, s19
	s_cmp_lg_u32 s18, 0
	s_sub_co_ci_u32 s20, s20, s17
	s_sub_co_u32 s21, s7, s16
	s_cselect_b32 s24, -1, 0
	s_delay_alu instid0(SALU_CYCLE_1) | instskip(SKIP_1) | instid1(SALU_CYCLE_1)
	s_cmp_lg_u32 s24, 0
	s_sub_co_ci_u32 s20, s20, 0
	s_cmp_ge_u32 s20, s17
	s_cselect_b32 s24, -1, 0
	s_cmp_ge_u32 s21, s16
	s_cselect_b32 s25, -1, 0
	s_cmp_eq_u32 s20, s17
	s_add_nc_u64 s[20:21], s[4:5], 1
	s_cselect_b32 s26, s25, s24
	s_add_nc_u64 s[24:25], s[4:5], 2
	s_cmp_lg_u32 s26, 0
	s_cselect_b32 s20, s24, s20
	s_cselect_b32 s21, s25, s21
	s_cmp_lg_u32 s18, 0
	s_sub_co_ci_u32 s18, s11, s19
	s_delay_alu instid0(SALU_CYCLE_1)
	s_cmp_ge_u32 s18, s17
	s_cselect_b32 s19, -1, 0
	s_cmp_ge_u32 s7, s16
	s_cselect_b32 s7, -1, 0
	s_cmp_eq_u32 s18, s17
	s_cselect_b32 s7, s7, s19
	s_delay_alu instid0(SALU_CYCLE_1)
	s_cmp_lg_u32 s7, 0
	s_mov_b32 s7, 0
	s_cselect_b32 s5, s21, s5
	s_cselect_b32 s4, s20, s4
.LBB217_5:                              ;   in Loop: Header=BB217_3 Depth=1
	s_and_not1_b32 vcc_lo, exec_lo, s7
	s_cbranch_vccnz .LBB217_7
; %bb.6:                                ;   in Loop: Header=BB217_3 Depth=1
	v_cvt_f32_u32_e32 v1, s16
	s_sub_co_i32 s5, 0, s16
	s_delay_alu instid0(VALU_DEP_1) | instskip(NEXT) | instid1(TRANS32_DEP_1)
	v_rcp_iflag_f32_e32 v1, v1
	v_mul_f32_e32 v1, 0x4f7ffffe, v1
	s_delay_alu instid0(VALU_DEP_1) | instskip(NEXT) | instid1(VALU_DEP_1)
	v_cvt_u32_f32_e32 v1, v1
	v_readfirstlane_b32 s4, v1
	s_wait_alu 0xfffe
	s_mul_i32 s5, s5, s4
	s_wait_alu 0xfffe
	s_mul_hi_u32 s5, s4, s5
	s_wait_alu 0xfffe
	s_add_co_i32 s4, s4, s5
	s_wait_alu 0xfffe
	s_mul_hi_u32 s4, s10, s4
	s_wait_alu 0xfffe
	s_mul_i32 s5, s4, s16
	s_add_co_i32 s7, s4, 1
	s_wait_alu 0xfffe
	s_sub_co_i32 s5, s10, s5
	s_wait_alu 0xfffe
	s_sub_co_i32 s18, s5, s16
	s_cmp_ge_u32 s5, s16
	s_cselect_b32 s4, s7, s4
	s_cselect_b32 s5, s18, s5
	s_wait_alu 0xfffe
	s_add_co_i32 s7, s4, 1
	s_cmp_ge_u32 s5, s16
	s_mov_b32 s5, s6
	s_cselect_b32 s4, s7, s4
.LBB217_7:                              ;   in Loop: Header=BB217_3 Depth=1
	s_load_b64 s[18:19], s[8:9], 0xc8
	s_mul_u64 s[16:17], s[4:5], s[16:17]
	s_add_co_i32 s15, s15, -1
	s_wait_alu 0xfffe
	s_sub_nc_u64 s[10:11], s[10:11], s[16:17]
	s_cmp_gt_u32 s15, 2
	s_add_nc_u64 s[8:9], s[8:9], -8
	s_wait_kmcnt 0x0
	s_mul_u64 s[10:11], s[18:19], s[10:11]
	s_delay_alu instid0(SALU_CYCLE_1)
	s_add_nc_u64 s[12:13], s[10:11], s[12:13]
	s_cbranch_scc0 .LBB217_9
; %bb.8:                                ;   in Loop: Header=BB217_3 Depth=1
	s_mov_b64 s[10:11], s[4:5]
	s_branch .LBB217_3
.LBB217_9:
	s_load_b32 s7, s[0:1], 0x350
	s_add_nc_u64 s[36:37], s[0:1], 0x368
	s_mov_b64 s[16:17], 0
	s_wait_kmcnt 0x0
	s_cmp_lt_i32 s7, 2
	s_cbranch_scc1 .LBB217_17
; %bb.10:
	s_mov_b32 s6, 0
	s_add_co_i32 s8, s7, -1
	s_mov_b32 s9, s6
	s_add_co_i32 s15, s7, 1
	s_lshl_b64 s[8:9], s[8:9], 3
	s_delay_alu instid0(SALU_CYCLE_1) | instskip(NEXT) | instid1(SALU_CYCLE_1)
	s_add_nc_u64 s[8:9], s[0:1], s[8:9]
	s_add_nc_u64 s[8:9], s[8:9], 0x1c0
.LBB217_11:                             ; =>This Inner Loop Header: Depth=1
	s_load_b64 s[10:11], s[8:9], 0x0
	s_wait_kmcnt 0x0
	s_or_b64 s[18:19], s[2:3], s[10:11]
	s_delay_alu instid0(SALU_CYCLE_1)
	s_mov_b32 s7, s19
                                        ; implicit-def: $sgpr18_sgpr19
	s_wait_alu 0xfffe
	s_cmp_lg_u64 s[6:7], 0
	s_mov_b32 s7, -1
	s_cbranch_scc0 .LBB217_13
; %bb.12:                               ;   in Loop: Header=BB217_11 Depth=1
	s_cvt_f32_u32 s7, s10
	s_cvt_f32_u32 s18, s11
	s_sub_nc_u64 s[20:21], 0, s[10:11]
	s_mov_b32 s25, s6
	s_mov_b32 s29, s6
	s_wait_alu 0xfffe
	s_fmamk_f32 s7, s18, 0x4f800000, s7
	s_wait_alu 0xfffe
	s_delay_alu instid0(SALU_CYCLE_2) | instskip(NEXT) | instid1(TRANS32_DEP_1)
	v_s_rcp_f32 s7, s7
	s_mul_f32 s7, s7, 0x5f7ffffc
	s_wait_alu 0xfffe
	s_delay_alu instid0(SALU_CYCLE_2) | instskip(NEXT) | instid1(SALU_CYCLE_3)
	s_mul_f32 s18, s7, 0x2f800000
	s_trunc_f32 s18, s18
	s_delay_alu instid0(SALU_CYCLE_3) | instskip(SKIP_2) | instid1(SALU_CYCLE_1)
	s_fmamk_f32 s7, s18, 0xcf800000, s7
	s_cvt_u32_f32 s19, s18
	s_wait_alu 0xfffe
	s_cvt_u32_f32 s18, s7
	s_delay_alu instid0(SALU_CYCLE_3) | instskip(NEXT) | instid1(SALU_CYCLE_1)
	s_mul_u64 s[26:27], s[20:21], s[18:19]
	s_mul_hi_u32 s31, s18, s27
	s_mul_i32 s30, s18, s27
	s_mul_hi_u32 s24, s18, s26
	s_mul_i32 s28, s19, s26
	s_add_nc_u64 s[24:25], s[24:25], s[30:31]
	s_mul_hi_u32 s7, s19, s26
	s_mul_hi_u32 s33, s19, s27
	s_add_co_u32 s24, s24, s28
	s_wait_alu 0xfffe
	s_add_co_ci_u32 s28, s25, s7
	s_mul_i32 s26, s19, s27
	s_add_co_ci_u32 s27, s33, 0
	s_delay_alu instid0(SALU_CYCLE_1)
	s_add_nc_u64 s[24:25], s[28:29], s[26:27]
	s_mov_b32 s27, s6
	s_add_co_u32 s18, s18, s24
	s_cselect_b32 s7, -1, 0
	s_wait_alu 0xfffe
	s_cmp_lg_u32 s7, 0
	s_add_co_ci_u32 s19, s19, s25
	s_mov_b32 s25, s6
	s_mul_u64 s[20:21], s[20:21], s[18:19]
	s_delay_alu instid0(SALU_CYCLE_1)
	s_mul_hi_u32 s29, s18, s21
	s_mul_i32 s28, s18, s21
	s_mul_hi_u32 s24, s18, s20
	s_mul_i32 s26, s19, s20
	s_add_nc_u64 s[24:25], s[24:25], s[28:29]
	s_mul_hi_u32 s7, s19, s20
	s_mul_hi_u32 s30, s19, s21
	s_mul_i32 s20, s19, s21
	s_add_co_u32 s21, s24, s26
	s_wait_alu 0xfffe
	s_add_co_ci_u32 s26, s25, s7
	s_add_co_ci_u32 s21, s30, 0
	s_mov_b32 s25, s6
	s_add_nc_u64 s[20:21], s[26:27], s[20:21]
	s_delay_alu instid0(SALU_CYCLE_1)
	s_add_co_u32 s7, s18, s20
	s_cselect_b32 s18, -1, 0
	s_wait_alu 0xfffe
	s_mul_hi_u32 s24, s2, s7
	s_cmp_lg_u32 s18, 0
	s_mul_hi_u32 s26, s3, s7
	s_add_co_ci_u32 s20, s19, s21
	s_mul_i32 s7, s3, s7
	s_mul_hi_u32 s19, s2, s20
	s_mul_i32 s18, s2, s20
	s_mul_hi_u32 s21, s3, s20
	s_add_nc_u64 s[18:19], s[24:25], s[18:19]
	s_mul_i32 s20, s3, s20
	s_wait_alu 0xfffe
	s_add_co_u32 s7, s18, s7
	s_add_co_ci_u32 s26, s19, s26
	s_add_co_ci_u32 s21, s21, 0
	s_delay_alu instid0(SALU_CYCLE_1) | instskip(NEXT) | instid1(SALU_CYCLE_1)
	s_add_nc_u64 s[18:19], s[26:27], s[20:21]
	s_mul_u64 s[20:21], s[10:11], s[18:19]
	s_delay_alu instid0(SALU_CYCLE_1)
	s_sub_co_u32 s7, s2, s20
	s_cselect_b32 s20, -1, 0
	s_sub_co_i32 s24, s3, s21
	s_cmp_lg_u32 s20, 0
	s_sub_co_ci_u32 s24, s24, s11
	s_wait_alu 0xfffe
	s_sub_co_u32 s25, s7, s10
	s_cselect_b32 s26, -1, 0
	s_delay_alu instid0(SALU_CYCLE_1) | instskip(SKIP_1) | instid1(SALU_CYCLE_1)
	s_cmp_lg_u32 s26, 0
	s_sub_co_ci_u32 s24, s24, 0
	s_cmp_ge_u32 s24, s11
	s_cselect_b32 s26, -1, 0
	s_cmp_ge_u32 s25, s10
	s_cselect_b32 s27, -1, 0
	s_cmp_eq_u32 s24, s11
	s_add_nc_u64 s[24:25], s[18:19], 1
	s_cselect_b32 s28, s27, s26
	s_add_nc_u64 s[26:27], s[18:19], 2
	s_cmp_lg_u32 s28, 0
	s_cselect_b32 s24, s26, s24
	s_cselect_b32 s25, s27, s25
	s_cmp_lg_u32 s20, 0
	s_sub_co_ci_u32 s20, s3, s21
	s_delay_alu instid0(SALU_CYCLE_1)
	s_cmp_ge_u32 s20, s11
	s_cselect_b32 s21, -1, 0
	s_cmp_ge_u32 s7, s10
	s_cselect_b32 s7, -1, 0
	s_cmp_eq_u32 s20, s11
	s_wait_alu 0xfffe
	s_cselect_b32 s7, s7, s21
	s_wait_alu 0xfffe
	s_cmp_lg_u32 s7, 0
	s_mov_b32 s7, 0
	s_cselect_b32 s19, s25, s19
	s_cselect_b32 s18, s24, s18
.LBB217_13:                             ;   in Loop: Header=BB217_11 Depth=1
	s_wait_alu 0xfffe
	s_and_not1_b32 vcc_lo, exec_lo, s7
	s_cbranch_vccnz .LBB217_15
; %bb.14:                               ;   in Loop: Header=BB217_11 Depth=1
	v_cvt_f32_u32_e32 v1, s10
	s_sub_co_i32 s18, 0, s10
	s_delay_alu instid0(VALU_DEP_1) | instskip(NEXT) | instid1(TRANS32_DEP_1)
	v_rcp_iflag_f32_e32 v1, v1
	v_mul_f32_e32 v1, 0x4f7ffffe, v1
	s_delay_alu instid0(VALU_DEP_1) | instskip(NEXT) | instid1(VALU_DEP_1)
	v_cvt_u32_f32_e32 v1, v1
	v_readfirstlane_b32 s7, v1
	s_mul_i32 s18, s18, s7
	s_delay_alu instid0(SALU_CYCLE_1) | instskip(NEXT) | instid1(SALU_CYCLE_1)
	s_mul_hi_u32 s18, s7, s18
	s_add_co_i32 s7, s7, s18
	s_wait_alu 0xfffe
	s_mul_hi_u32 s7, s2, s7
	s_wait_alu 0xfffe
	s_mul_i32 s18, s7, s10
	s_add_co_i32 s19, s7, 1
	s_sub_co_i32 s18, s2, s18
	s_delay_alu instid0(SALU_CYCLE_1)
	s_sub_co_i32 s20, s18, s10
	s_cmp_ge_u32 s18, s10
	s_cselect_b32 s7, s19, s7
	s_cselect_b32 s18, s20, s18
	s_wait_alu 0xfffe
	s_add_co_i32 s19, s7, 1
	s_cmp_ge_u32 s18, s10
	s_cselect_b32 s18, s19, s7
	s_mov_b32 s19, s6
.LBB217_15:                             ;   in Loop: Header=BB217_11 Depth=1
	s_load_b64 s[20:21], s[8:9], 0xc8
	s_mul_u64 s[10:11], s[18:19], s[10:11]
	s_add_co_i32 s15, s15, -1
	s_wait_alu 0xfffe
	s_sub_nc_u64 s[2:3], s[2:3], s[10:11]
	s_cmp_gt_u32 s15, 2
	s_add_nc_u64 s[8:9], s[8:9], -8
	s_wait_kmcnt 0x0
	s_wait_alu 0xfffe
	s_mul_u64 s[2:3], s[20:21], s[2:3]
	s_wait_alu 0xfffe
	s_add_nc_u64 s[16:17], s[2:3], s[16:17]
	s_cbranch_scc0 .LBB217_18
; %bb.16:                               ;   in Loop: Header=BB217_11 Depth=1
	s_mov_b64 s[2:3], s[18:19]
	s_branch .LBB217_11
.LBB217_17:
	s_mov_b64 s[18:19], s[2:3]
.LBB217_18:
	s_clause 0x2
	s_load_b64 s[2:3], s[0:1], 0xd0
	s_load_b32 s6, s[0:1], 0x360
	s_load_b64 s[20:21], s[0:1], 0x0
	s_wait_kmcnt 0x0
	s_bitcmp1_b32 s6, 0
	s_mul_u64 s[6:7], s[2:3], s[4:5]
	s_cselect_b32 s15, -1, 0
	s_delay_alu instid0(SALU_CYCLE_1)
	s_and_b32 s3, s15, exec_lo
	s_cselect_b32 s4, -1, 0x7fffffff
	s_wait_alu 0xfffe
	s_lshl_b64 s[24:25], s[6:7], 2
	s_mov_b32 s5, s4
	s_mov_b32 s6, s4
	;; [unrolled: 1-line block ×7, first 2 shown]
	v_dual_mov_b32 v1, s4 :: v_dual_and_b32 v40, 0x3ff, v0
	s_wait_alu 0xfffe
	v_dual_mov_b32 v2, s5 :: v_dual_mov_b32 v3, s6
	v_dual_mov_b32 v4, s7 :: v_dual_mov_b32 v5, s8
	s_delay_alu instid0(VALU_DEP_3)
	v_cmp_gt_u32_e64 s2, s14, v40
	v_dual_mov_b32 v6, s9 :: v_dual_mov_b32 v7, s10
	v_dual_mov_b32 v8, s11 :: v_dual_mov_b32 v9, s4
	s_add_nc_u64 s[20:21], s[20:21], s[24:25]
	s_lshl_b64 s[12:13], s[12:13], 2
	s_wait_alu 0xfffe
	s_add_nc_u64 s[30:31], s[20:21], s[12:13]
	s_and_saveexec_b32 s3, s2
	s_cbranch_execz .LBB217_20
; %bb.19:
	v_mad_co_u64_u32 v[1:2], null, s22, v40, 0
	s_delay_alu instid0(VALU_DEP_1) | instskip(NEXT) | instid1(VALU_DEP_1)
	v_mad_co_u64_u32 v[2:3], null, s23, v40, v[2:3]
	v_lshlrev_b64_e32 v[1:2], 2, v[1:2]
	s_delay_alu instid0(VALU_DEP_1) | instskip(NEXT) | instid1(VALU_DEP_1)
	v_add_co_u32 v1, vcc_lo, s30, v1
	v_add_co_ci_u32_e64 v2, null, s31, v2, vcc_lo
	global_load_b32 v9, v[1:2], off
	v_dual_mov_b32 v1, s4 :: v_dual_mov_b32 v2, s5
	v_dual_mov_b32 v3, s6 :: v_dual_mov_b32 v4, s7
	;; [unrolled: 1-line block ×4, first 2 shown]
.LBB217_20:
	s_wait_alu 0xfffe
	s_or_b32 exec_lo, exec_lo, s3
	v_add_nc_u32_e32 v17, 0x80, v40
	s_delay_alu instid0(VALU_DEP_1)
	v_cmp_gt_u32_e64 s3, s14, v17
	s_and_saveexec_b32 s4, s3
	s_cbranch_execz .LBB217_22
; %bb.21:
	v_mad_co_u64_u32 v[1:2], null, s22, v17, 0
	s_delay_alu instid0(VALU_DEP_1) | instskip(NEXT) | instid1(VALU_DEP_1)
	v_mad_co_u64_u32 v[10:11], null, s23, v17, v[2:3]
	v_mov_b32_e32 v2, v10
	s_delay_alu instid0(VALU_DEP_1) | instskip(NEXT) | instid1(VALU_DEP_1)
	v_lshlrev_b64_e32 v[1:2], 2, v[1:2]
	v_add_co_u32 v1, vcc_lo, s30, v1
	s_wait_alu 0xfffd
	s_delay_alu instid0(VALU_DEP_2)
	v_add_co_ci_u32_e64 v2, null, s31, v2, vcc_lo
	global_load_b32 v2, v[1:2], off
.LBB217_22:
	s_wait_alu 0xfffe
	s_or_b32 exec_lo, exec_lo, s4
	v_add_nc_u32_e32 v18, 0x100, v40
	s_delay_alu instid0(VALU_DEP_1)
	v_cmp_gt_u32_e64 s4, s14, v18
	s_and_saveexec_b32 s5, s4
	s_cbranch_execz .LBB217_24
; %bb.23:
	v_mad_co_u64_u32 v[10:11], null, s22, v18, 0
	s_delay_alu instid0(VALU_DEP_1) | instskip(SKIP_1) | instid1(VALU_DEP_1)
	v_mov_b32_e32 v1, v11
	s_wait_loadcnt 0x0
	v_mad_co_u64_u32 v[11:12], null, s23, v18, v[1:2]
	s_delay_alu instid0(VALU_DEP_1) | instskip(NEXT) | instid1(VALU_DEP_1)
	v_lshlrev_b64_e32 v[10:11], 2, v[10:11]
	v_add_co_u32 v10, vcc_lo, s30, v10
	s_wait_alu 0xfffd
	s_delay_alu instid0(VALU_DEP_2)
	v_add_co_ci_u32_e64 v11, null, s31, v11, vcc_lo
	global_load_b32 v3, v[10:11], off
.LBB217_24:
	s_wait_alu 0xfffe
	s_or_b32 exec_lo, exec_lo, s5
	v_add_nc_u32_e32 v19, 0x180, v40
	s_delay_alu instid0(VALU_DEP_1)
	v_cmp_gt_u32_e64 s5, s14, v19
	s_and_saveexec_b32 s6, s5
	s_cbranch_execz .LBB217_26
; %bb.25:
	v_mad_co_u64_u32 v[10:11], null, s22, v19, 0
	s_delay_alu instid0(VALU_DEP_1) | instskip(SKIP_1) | instid1(VALU_DEP_1)
	v_mov_b32_e32 v1, v11
	s_wait_loadcnt 0x0
	v_mad_co_u64_u32 v[11:12], null, s23, v19, v[1:2]
	s_delay_alu instid0(VALU_DEP_1) | instskip(NEXT) | instid1(VALU_DEP_1)
	v_lshlrev_b64_e32 v[10:11], 2, v[10:11]
	v_add_co_u32 v10, vcc_lo, s30, v10
	s_wait_alu 0xfffd
	s_delay_alu instid0(VALU_DEP_2)
	v_add_co_ci_u32_e64 v11, null, s31, v11, vcc_lo
	global_load_b32 v4, v[10:11], off
.LBB217_26:
	;; [unrolled: 21-line block ×5, first 2 shown]
	s_wait_alu 0xfffe
	s_or_b32 exec_lo, exec_lo, s9
	s_clause 0x1
	s_load_b64 s[12:13], s[0:1], 0x288
	s_load_b64 s[10:11], s[0:1], 0x1b8
	v_add_nc_u32_e32 v23, 0x380, v40
	s_delay_alu instid0(VALU_DEP_1)
	v_cmp_gt_u32_e64 s9, s14, v23
	s_and_saveexec_b32 s14, s9
	s_cbranch_execz .LBB217_34
; %bb.33:
	v_mad_co_u64_u32 v[10:11], null, s22, v23, 0
	s_delay_alu instid0(VALU_DEP_1) | instskip(SKIP_1) | instid1(VALU_DEP_1)
	v_mov_b32_e32 v1, v11
	s_wait_loadcnt 0x0
	v_mad_co_u64_u32 v[11:12], null, s23, v23, v[1:2]
	s_delay_alu instid0(VALU_DEP_1) | instskip(NEXT) | instid1(VALU_DEP_1)
	v_lshlrev_b64_e32 v[10:11], 2, v[10:11]
	v_add_co_u32 v10, vcc_lo, s30, v10
	s_wait_alu 0xfffd
	s_delay_alu instid0(VALU_DEP_2)
	v_add_co_ci_u32_e64 v11, null, s31, v11, vcc_lo
	global_load_b32 v8, v[10:11], off
.LBB217_34:
	s_wait_alu 0xfffe
	s_or_b32 exec_lo, exec_lo, s14
	v_lshrrev_b32_e32 v1, 5, v17
	v_lshrrev_b32_e32 v24, 5, v40
	;; [unrolled: 1-line block ×3, first 2 shown]
	v_lshlrev_b32_e32 v89, 3, v40
	s_load_b64 s[28:29], s[0:1], 0x358
	v_add_nc_u32_e32 v27, v1, v40
	v_lshrrev_b32_e32 v1, 5, v19
	v_add_nc_u32_e32 v28, v24, v40
	s_wait_kmcnt 0x0
	s_mul_u64 s[12:13], s[12:13], s[18:19]
	v_mov_b32_e32 v13, 0
	s_wait_alu 0xfffe
	s_lshl_b64 s[12:13], s[12:13], 3
	v_add_nc_u32_e32 v26, v1, v40
	v_lshrrev_b32_e32 v1, 5, v20
	v_mov_b32_e32 v14, 0
	s_wait_alu 0xfffe
	s_add_nc_u64 s[10:11], s[10:11], s[12:13]
	s_lshl_b64 s[12:13], s[16:17], 3
	v_add_nc_u32_e32 v29, v1, v40
	v_lshrrev_b32_e32 v1, 5, v21
	s_wait_alu 0xfffe
	s_add_nc_u64 s[34:35], s[10:11], s[12:13]
	s_delay_alu instid0(VALU_DEP_1) | instskip(SKIP_1) | instid1(VALU_DEP_1)
	v_add_nc_u32_e32 v33, v1, v40
	v_lshrrev_b32_e32 v1, 2, v40
	v_dual_mov_b32 v1, 0 :: v_dual_add_nc_u32 v32, v1, v89
	v_add_nc_u32_e32 v25, v10, v40
	v_lshlrev_b32_e32 v69, 2, v28
	v_lshlrev_b32_e32 v70, 2, v27
	s_delay_alu instid0(VALU_DEP_4) | instskip(NEXT) | instid1(VALU_DEP_4)
	v_dual_mov_b32 v15, v1 :: v_dual_lshlrev_b32 v72, 2, v26
	v_dual_mov_b32 v16, v1 :: v_dual_lshlrev_b32 v71, 2, v25
	s_wait_loadcnt 0x0
	ds_store_b32 v69, v9
	ds_store_b32 v70, v2 offset:512
	ds_store_b32 v71, v3 offset:1024
	v_lshrrev_b32_e32 v2, 5, v22
	v_lshrrev_b32_e32 v3, 5, v23
	v_lshlrev_b32_e32 v73, 2, v29
	v_lshlrev_b32_e32 v74, 2, v33
	;; [unrolled: 1-line block ×3, first 2 shown]
	v_add_nc_u32_e32 v31, v2, v40
	v_dual_mov_b32 v3, v1 :: v_dual_add_nc_u32 v30, v3, v40
	ds_store_b32 v72, v4 offset:1536
	ds_store_b32 v73, v5 offset:2048
	v_dual_mov_b32 v12, v1 :: v_dual_lshlrev_b32 v75, 2, v31
	v_dual_mov_b32 v5, v1 :: v_dual_lshlrev_b32 v76, 2, v30
	v_mov_b32_e32 v9, v1
	ds_store_b32 v74, v6 offset:2560
	ds_store_b32 v75, v7 offset:3072
	;; [unrolled: 1-line block ×3, first 2 shown]
	s_wait_dscnt 0x0
	s_barrier_signal -1
	s_barrier_wait -1
	global_inv scope:SCOPE_SE
	ds_load_2addr_b32 v[47:48], v77 offset1:1
	ds_load_2addr_b32 v[45:46], v77 offset0:2 offset1:3
	ds_load_2addr_b32 v[43:44], v77 offset0:4 offset1:5
	;; [unrolled: 1-line block ×3, first 2 shown]
	v_mov_b32_e32 v2, v1
	v_mov_b32_e32 v4, v1
	v_dual_mov_b32 v6, v1 :: v_dual_mov_b32 v7, v1
	v_mov_b32_e32 v8, v1
	v_dual_mov_b32 v10, v1 :: v_dual_mov_b32 v11, v1
	s_wait_loadcnt_dscnt 0x0
	s_barrier_signal -1
	s_barrier_wait -1
	global_inv scope:SCOPE_SE
	s_and_saveexec_b32 s0, s2
	s_cbranch_execnz .LBB217_70
; %bb.35:
	s_or_b32 exec_lo, exec_lo, s0
	s_and_saveexec_b32 s0, s3
	s_cbranch_execnz .LBB217_71
.LBB217_36:
	s_or_b32 exec_lo, exec_lo, s0
	s_and_saveexec_b32 s0, s4
	s_cbranch_execnz .LBB217_72
.LBB217_37:
	s_or_b32 exec_lo, exec_lo, s0
	s_and_saveexec_b32 s0, s5
	s_cbranch_execnz .LBB217_73
.LBB217_38:
	s_or_b32 exec_lo, exec_lo, s0
	s_and_saveexec_b32 s0, s6
	s_cbranch_execnz .LBB217_74
.LBB217_39:
	s_or_b32 exec_lo, exec_lo, s0
	s_and_saveexec_b32 s0, s7
	s_cbranch_execnz .LBB217_75
.LBB217_40:
	s_or_b32 exec_lo, exec_lo, s0
	s_and_saveexec_b32 s0, s8
	s_cbranch_execnz .LBB217_76
.LBB217_41:
	s_or_b32 exec_lo, exec_lo, s0
	s_xor_b32 s0, s15, -1
	s_and_saveexec_b32 s1, s9
	s_cbranch_execz .LBB217_43
.LBB217_42:
	v_mad_co_u64_u32 v[11:12], null, s28, v23, 0
	s_wait_loadcnt 0x0
	s_delay_alu instid0(VALU_DEP_1) | instskip(NEXT) | instid1(VALU_DEP_1)
	v_mad_co_u64_u32 v[17:18], null, s29, v23, v[12:13]
	v_mov_b32_e32 v12, v17
	s_delay_alu instid0(VALU_DEP_1) | instskip(NEXT) | instid1(VALU_DEP_1)
	v_lshlrev_b64_e32 v[11:12], 3, v[11:12]
	v_add_co_u32 v11, vcc_lo, s34, v11
	s_wait_alu 0xfffd
	s_delay_alu instid0(VALU_DEP_2)
	v_add_co_ci_u32_e64 v12, null, s35, v12, vcc_lo
	global_load_b64 v[11:12], v[11:12], off
.LBB217_43:
	s_or_b32 exec_lo, exec_lo, s1
	v_lshlrev_b32_e32 v78, 3, v28
	v_lshlrev_b32_e32 v81, 3, v26
	;; [unrolled: 1-line block ×9, first 2 shown]
	s_wait_loadcnt 0x0
	ds_store_b64 v78, v[13:14]
	ds_store_b64 v79, v[1:2] offset:1024
	ds_store_b64 v80, v[15:16] offset:2048
	;; [unrolled: 1-line block ×7, first 2 shown]
	s_wait_dscnt 0x0
	s_barrier_signal -1
	s_barrier_wait -1
	global_inv scope:SCOPE_SE
	ds_load_2addr_b64 v[20:23], v86 offset1:1
	ds_load_2addr_b64 v[16:19], v86 offset0:2 offset1:3
	ds_load_2addr_b64 v[12:15], v86 offset0:4 offset1:5
	;; [unrolled: 1-line block ×3, first 2 shown]
	s_and_b32 vcc_lo, exec_lo, s0
	v_bfe_u32 v93, v0, 10, 10
	v_bfe_u32 v94, v0, 20, 10
	v_mbcnt_lo_u32_b32 v91, -1, 0
	v_and_b32_e32 v92, 0x3e0, v40
	v_lshlrev_b32_e32 v87, 2, v89
	v_cmp_gt_u32_e64 s0, 4, v40
	v_cmp_lt_u32_e64 s1, 31, v40
	v_cmp_eq_u32_e64 s10, 0, v40
	v_lshlrev_b32_e32 v88, 2, v24
	v_mul_i32_i24_e32 v90, 0xffffffe4, v40
	s_wait_loadcnt_dscnt 0x0
	s_barrier_signal -1
	s_barrier_wait -1
	global_inv scope:SCOPE_SE
	s_wait_alu 0xfffe
	s_cbranch_vccz .LBB217_77
; %bb.44:
	v_cmp_lt_i32_e32 vcc_lo, -1, v47
	v_or_b32_e32 v7, v91, v92
	s_mov_b32 s24, 0
	v_and_or_b32 v25, 0x1f00, v89, v91
	s_mov_b32 s25, s24
	s_wait_alu 0xfffd
	v_cndmask_b32_e64 v0, -1, 0x80000000, vcc_lo
	v_cmp_lt_i32_e32 vcc_lo, -1, v48
	s_mov_b32 s26, s24
	s_mov_b32 s27, s24
	v_lshlrev_b32_e32 v26, 5, v7
	v_xor_b32_e32 v0, v0, v47
	s_wait_alu 0xfffd
	v_cndmask_b32_e64 v1, -1, 0x80000000, vcc_lo
	v_cmp_lt_i32_e32 vcc_lo, -1, v45
	s_getpc_b64 s[12:13]
	s_wait_alu 0xfffe
	s_sext_i32_i16 s13, s13
	s_add_co_u32 s12, s12, _ZN7rocprim17ROCPRIM_400000_NS16block_radix_sortIfLj128ELj8ElLj1ELj1ELj0ELNS0_26block_radix_rank_algorithmE1ELNS0_18block_padding_hintE2ELNS0_4arch9wavefront6targetE0EE19radix_bits_per_passE@rel32@lo+12
	s_wait_alu 0xfffe
	s_add_co_ci_u32 s13, s13, _ZN7rocprim17ROCPRIM_400000_NS16block_radix_sortIfLj128ELj8ElLj1ELj1ELj0ELNS0_26block_radix_rank_algorithmE1ELNS0_18block_padding_hintE2ELNS0_4arch9wavefront6targetE0EE19radix_bits_per_passE@rel32@hi+24
	v_lshlrev_b32_e32 v95, 2, v25
	s_load_b32 s21, s[12:13], 0x0
	v_xor_b32_e32 v1, v1, v48
	v_cndmask_b32_e64 v2, -1, 0x80000000, vcc_lo
	v_cmp_lt_i32_e32 vcc_lo, -1, v46
	v_add_nc_u32_e32 v96, v95, v95
	v_and_b32_e32 v36, 16, v91
	v_and_b32_e32 v37, 3, v91
	v_xor_b32_e32 v2, v2, v45
	s_wait_alu 0xfffd
	v_cndmask_b32_e64 v3, -1, 0x80000000, vcc_lo
	v_cmp_lt_i32_e32 vcc_lo, -1, v43
	v_cmp_eq_u32_e64 s16, 0, v36
	v_add_nc_u32_e32 v98, -4, v88
	v_add_nc_u32_e32 v100, v87, v90
	v_xor_b32_e32 v3, v3, v46
	s_wait_alu 0xfffd
	v_cndmask_b32_e64 v4, -1, 0x80000000, vcc_lo
	v_cmp_lt_i32_e32 vcc_lo, -1, v44
	s_delay_alu instid0(VALU_DEP_2) | instskip(SKIP_3) | instid1(VALU_DEP_2)
	v_xor_b32_e32 v4, v4, v43
	s_wait_alu 0xfffd
	v_cndmask_b32_e64 v5, -1, 0x80000000, vcc_lo
	v_cmp_lt_i32_e32 vcc_lo, -1, v41
	v_xor_b32_e32 v5, v5, v44
	s_wait_alu 0xfffd
	v_cndmask_b32_e64 v6, -1, 0x80000000, vcc_lo
	v_cmp_lt_i32_e32 vcc_lo, -1, v42
	s_delay_alu instid0(VALU_DEP_2) | instskip(SKIP_2) | instid1(VALU_DEP_1)
	v_xor_b32_e32 v6, v6, v41
	s_wait_alu 0xfffd
	v_cndmask_b32_e64 v24, -1, 0x80000000, vcc_lo
	v_xor_b32_e32 v7, v24, v42
	ds_store_b128 v26, v[0:3]
	ds_store_b128 v26, v[4:7] offset:16
	v_sub_co_u32 v3, s12, v91, 1
	; wave barrier
	ds_load_2addr_b32 v[61:62], v95 offset1:32
	ds_load_2addr_b32 v[63:64], v95 offset0:64 offset1:96
	ds_load_2addr_b32 v[65:66], v95 offset0:128 offset1:160
	;; [unrolled: 1-line block ×3, first 2 shown]
	v_cmp_gt_i32_e32 vcc_lo, 0, v3
	v_add_nc_u32_e32 v0, v26, v26
	s_wait_loadcnt_dscnt 0x0
	s_barrier_signal -1
	s_barrier_wait -1
	global_inv scope:SCOPE_SE
	s_wait_alu 0xfffd
	v_cndmask_b32_e32 v3, v3, v91, vcc_lo
	ds_store_b128 v0, v[20:23]
	ds_store_b128 v0, v[16:19] offset:16
	ds_store_b128 v0, v[12:15] offset:32
	;; [unrolled: 1-line block ×3, first 2 shown]
	; wave barrier
	ds_load_2addr_b64 v[4:7], v96 offset1:32
	ds_load_2addr_b64 v[24:27], v96 offset0:64 offset1:96
	ds_load_2addr_b64 v[28:31], v96 offset0:128 offset1:160
	;; [unrolled: 1-line block ×3, first 2 shown]
	s_wait_loadcnt_dscnt 0x0
	s_barrier_signal -1
	s_barrier_wait -1
	global_inv scope:SCOPE_SE
	s_load_b32 s11, s[36:37], 0xc
	v_and_b32_e32 v2, 15, v91
	v_lshlrev_b32_e32 v97, 2, v3
	s_delay_alu instid0(VALU_DEP_2)
	v_cmp_lt_u32_e64 s13, 1, v2
	v_cmp_lt_u32_e64 s15, 7, v2
	s_wait_kmcnt 0x0
	s_lshr_b32 s14, s11, 16
	s_and_b32 s11, s11, 0xffff
	s_wait_alu 0xfffe
	v_mad_u32_u24 v0, v94, s14, v93
	v_cmp_lt_u32_e64 s14, 3, v2
	s_delay_alu instid0(VALU_DEP_2) | instskip(SKIP_2) | instid1(VALU_DEP_2)
	v_mad_co_u64_u32 v[0:1], null, v0, s11, v[40:41]
	v_min_u32_e32 v1, 0x60, v92
	v_cmp_eq_u32_e64 s11, 0, v2
	v_or_b32_e32 v1, 31, v1
	s_delay_alu instid0(VALU_DEP_4) | instskip(NEXT) | instid1(VALU_DEP_2)
	v_lshrrev_b32_e32 v0, 3, v0
	v_cmp_eq_u32_e64 s17, v40, v1
	s_delay_alu instid0(VALU_DEP_2)
	v_dual_mov_b32 v0, s24 :: v_dual_and_b32 v99, 0x1ffffffc, v0
	v_dual_mov_b32 v1, s25 :: v_dual_mov_b32 v2, s26
	v_cmp_eq_u32_e64 s18, 0, v37
	v_cmp_lt_u32_e64 s19, 1, v37
	v_mov_b32_e32 v3, s27
	s_mov_b32 s25, 32
	s_branch .LBB217_46
.LBB217_45:                             ;   in Loop: Header=BB217_46 Depth=1
	s_wait_alu 0xfffe
	s_and_not1_b32 vcc_lo, exec_lo, s20
	s_wait_alu 0xfffe
	s_cbranch_vccz .LBB217_78
.LBB217_46:                             ; =>This Inner Loop Header: Depth=1
	v_dual_mov_b32 v101, v61 :: v_dual_mov_b32 v102, v68
	s_wait_alu 0xfffe
	s_min_u32 s20, s21, s25
	v_mov_b32_e32 v58, v7
	s_wait_alu 0xfffe
	s_lshl_b32 s20, -1, s20
	v_cmp_ne_u32_e32 vcc_lo, 0x7fffffff, v101
	s_wait_alu 0xfffe
	s_not_b32 s26, s20
	v_mov_b32_e32 v60, v5
	ds_store_b128 v87, v[0:3] offset:16
	ds_store_b128 v87, v[0:3] offset:32
	s_wait_loadcnt_dscnt 0x0
	s_wait_alu 0xfffd
	v_dual_cndmask_b32 v36, 0x80000000, v101 :: v_dual_mov_b32 v103, v67
	s_barrier_signal -1
	s_barrier_wait -1
	global_inv scope:SCOPE_SE
	v_lshrrev_b32_e32 v36, s24, v36
	; wave barrier
	v_dual_mov_b32 v104, v66 :: v_dual_mov_b32 v105, v65
	s_wait_alu 0xfffe
	s_delay_alu instid0(VALU_DEP_2) | instskip(SKIP_1) | instid1(VALU_DEP_2)
	v_dual_mov_b32 v106, v64 :: v_dual_and_b32 v61, s26, v36
	v_dual_mov_b32 v107, v63 :: v_dual_mov_b32 v108, v62
	v_dual_mov_b32 v57, v6 :: v_dual_and_b32 v36, 1, v61
	v_lshlrev_b32_e32 v37, 30, v61
	v_lshlrev_b32_e32 v38, 29, v61
	;; [unrolled: 1-line block ×4, first 2 shown]
	v_add_co_u32 v36, s20, v36, -1
	s_wait_alu 0xf1ff
	v_cndmask_b32_e64 v49, 0, 1, s20
	v_not_b32_e32 v53, v37
	v_cmp_gt_i32_e64 s20, 0, v37
	v_not_b32_e32 v37, v38
	v_lshlrev_b32_e32 v51, 26, v61
	v_cmp_ne_u32_e32 vcc_lo, 0, v49
	v_ashrrev_i32_e32 v53, 31, v53
	v_lshlrev_b32_e32 v49, 24, v61
	v_ashrrev_i32_e32 v37, 31, v37
	v_lshlrev_b32_e32 v52, 25, v61
	s_wait_alu 0xfffd
	v_xor_b32_e32 v36, vcc_lo, v36
	v_cmp_gt_i32_e32 vcc_lo, 0, v38
	v_not_b32_e32 v38, v39
	s_wait_alu 0xf1ff
	v_xor_b32_e32 v53, s20, v53
	v_cmp_gt_i32_e64 s20, 0, v39
	v_and_b32_e32 v36, exec_lo, v36
	s_wait_alu 0xfffd
	v_xor_b32_e32 v37, vcc_lo, v37
	v_ashrrev_i32_e32 v38, 31, v38
	v_not_b32_e32 v39, v50
	v_cmp_gt_i32_e32 vcc_lo, 0, v50
	v_and_b32_e32 v36, v36, v53
	v_not_b32_e32 v50, v51
	s_wait_alu 0xf1ff
	v_xor_b32_e32 v38, s20, v38
	v_ashrrev_i32_e32 v39, 31, v39
	v_cmp_gt_i32_e64 s20, 0, v51
	v_and_b32_e32 v36, v36, v37
	v_ashrrev_i32_e32 v50, 31, v50
	v_mov_b32_e32 v59, v4
	s_wait_alu 0xfffd
	v_xor_b32_e32 v39, vcc_lo, v39
	v_lshlrev_b32_e32 v4, 4, v61
	v_and_b32_e32 v36, v36, v38
	v_not_b32_e32 v38, v49
	s_wait_alu 0xf1ff
	v_xor_b32_e32 v50, s20, v50
	v_cmp_gt_i32_e64 s20, 0, v49
	v_mov_b32_e32 v56, v25
	v_and_b32_e32 v36, v36, v39
	v_ashrrev_i32_e32 v38, 31, v38
	v_mov_b32_e32 v55, v24
	s_delay_alu instid0(VALU_DEP_3) | instskip(SKIP_1) | instid1(VALU_DEP_3)
	v_and_b32_e32 v36, v36, v50
	s_wait_alu 0xf1ff
	v_xor_b32_e32 v53, s20, v38
	v_mov_b32_e32 v39, v33
	v_not_b32_e32 v37, v52
	v_cmp_gt_i32_e32 vcc_lo, 0, v52
	v_dual_mov_b32 v50, v31 :: v_dual_mov_b32 v49, v30
	v_mov_b32_e32 v52, v29
	s_delay_alu instid0(VALU_DEP_4) | instskip(SKIP_3) | instid1(VALU_DEP_3)
	v_ashrrev_i32_e32 v37, 31, v37
	v_dual_mov_b32 v51, v28 :: v_dual_mov_b32 v38, v32
	v_add_nc_u32_e32 v29, v99, v4
	s_wait_alu 0xfffd
	v_xor_b32_e32 v37, vcc_lo, v37
	s_delay_alu instid0(VALU_DEP_1) | instskip(SKIP_1) | instid1(VALU_DEP_2)
	v_dual_mov_b32 v37, v35 :: v_dual_and_b32 v54, v36, v37
	v_mov_b32_e32 v36, v34
	v_and_b32_e32 v30, v54, v53
	v_dual_mov_b32 v54, v27 :: v_dual_mov_b32 v53, v26
	s_delay_alu instid0(VALU_DEP_2) | instskip(SKIP_1) | instid1(VALU_DEP_2)
	v_mbcnt_lo_u32_b32 v28, v30, 0
	v_cmp_ne_u32_e64 s20, 0, v30
	v_cmp_eq_u32_e32 vcc_lo, 0, v28
	s_and_b32 s27, s20, vcc_lo
	s_wait_alu 0xfffe
	s_and_saveexec_b32 s20, s27
; %bb.47:                               ;   in Loop: Header=BB217_46 Depth=1
	v_bcnt_u32_b32 v4, v30, 0
	ds_store_b32 v29, v4 offset:16
; %bb.48:                               ;   in Loop: Header=BB217_46 Depth=1
	s_wait_alu 0xfffe
	s_or_b32 exec_lo, exec_lo, s20
	v_cmp_ne_u32_e32 vcc_lo, 0x7fffffff, v108
	; wave barrier
	s_wait_alu 0xfffd
	v_cndmask_b32_e32 v4, 0x80000000, v108, vcc_lo
	s_delay_alu instid0(VALU_DEP_1) | instskip(NEXT) | instid1(VALU_DEP_1)
	v_lshrrev_b32_e32 v4, s24, v4
	v_and_b32_e32 v4, s26, v4
	s_delay_alu instid0(VALU_DEP_1)
	v_and_b32_e32 v5, 1, v4
	v_lshlrev_b32_e32 v6, 30, v4
	v_lshlrev_b32_e32 v7, 29, v4
	;; [unrolled: 1-line block ×4, first 2 shown]
	v_add_co_u32 v5, s20, v5, -1
	s_wait_alu 0xf1ff
	v_cndmask_b32_e64 v25, 0, 1, s20
	v_not_b32_e32 v31, v6
	v_cmp_gt_i32_e64 s20, 0, v6
	v_not_b32_e32 v6, v7
	v_lshlrev_b32_e32 v27, 26, v4
	v_cmp_ne_u32_e32 vcc_lo, 0, v25
	v_ashrrev_i32_e32 v31, 31, v31
	v_lshlrev_b32_e32 v30, 25, v4
	v_ashrrev_i32_e32 v6, 31, v6
	v_lshlrev_b32_e32 v25, 24, v4
	s_wait_alu 0xfffd
	v_xor_b32_e32 v5, vcc_lo, v5
	v_cmp_gt_i32_e32 vcc_lo, 0, v7
	v_not_b32_e32 v7, v24
	s_wait_alu 0xf1ff
	v_xor_b32_e32 v31, s20, v31
	v_cmp_gt_i32_e64 s20, 0, v24
	v_and_b32_e32 v5, exec_lo, v5
	v_not_b32_e32 v24, v26
	v_ashrrev_i32_e32 v7, 31, v7
	s_wait_alu 0xfffd
	v_xor_b32_e32 v6, vcc_lo, v6
	v_cmp_gt_i32_e32 vcc_lo, 0, v26
	v_and_b32_e32 v5, v5, v31
	v_not_b32_e32 v26, v27
	v_ashrrev_i32_e32 v24, 31, v24
	s_wait_alu 0xf1ff
	v_xor_b32_e32 v7, s20, v7
	v_cmp_gt_i32_e64 s20, 0, v27
	v_and_b32_e32 v5, v5, v6
	v_not_b32_e32 v6, v30
	v_ashrrev_i32_e32 v26, 31, v26
	s_wait_alu 0xfffd
	v_xor_b32_e32 v24, vcc_lo, v24
	v_cmp_gt_i32_e32 vcc_lo, 0, v30
	v_and_b32_e32 v5, v5, v7
	v_not_b32_e32 v7, v25
	v_ashrrev_i32_e32 v6, 31, v6
	s_wait_alu 0xf1ff
	v_xor_b32_e32 v26, s20, v26
	v_lshlrev_b32_e32 v4, 4, v4
	v_and_b32_e32 v5, v5, v24
	v_cmp_gt_i32_e64 s20, 0, v25
	v_ashrrev_i32_e32 v7, 31, v7
	s_wait_alu 0xfffd
	v_xor_b32_e32 v6, vcc_lo, v6
	v_add_nc_u32_e32 v32, v99, v4
	v_and_b32_e32 v5, v5, v26
	s_wait_alu 0xf1ff
	v_xor_b32_e32 v4, s20, v7
	ds_load_b32 v30, v32 offset:16
	v_and_b32_e32 v5, v5, v6
	; wave barrier
	s_delay_alu instid0(VALU_DEP_1) | instskip(NEXT) | instid1(VALU_DEP_1)
	v_and_b32_e32 v4, v5, v4
	v_mbcnt_lo_u32_b32 v31, v4, 0
	v_cmp_ne_u32_e64 s20, 0, v4
	s_delay_alu instid0(VALU_DEP_2)
	v_cmp_eq_u32_e32 vcc_lo, 0, v31
	s_and_b32 s27, s20, vcc_lo
	s_wait_alu 0xfffe
	s_and_saveexec_b32 s20, s27
	s_cbranch_execz .LBB217_50
; %bb.49:                               ;   in Loop: Header=BB217_46 Depth=1
	s_wait_dscnt 0x0
	v_bcnt_u32_b32 v4, v4, v30
	ds_store_b32 v32, v4 offset:16
.LBB217_50:                             ;   in Loop: Header=BB217_46 Depth=1
	s_wait_alu 0xfffe
	s_or_b32 exec_lo, exec_lo, s20
	v_cmp_ne_u32_e32 vcc_lo, 0x7fffffff, v107
	; wave barrier
	s_wait_alu 0xfffd
	v_cndmask_b32_e32 v4, 0x80000000, v107, vcc_lo
	s_delay_alu instid0(VALU_DEP_1) | instskip(NEXT) | instid1(VALU_DEP_1)
	v_lshrrev_b32_e32 v4, s24, v4
	v_and_b32_e32 v4, s26, v4
	s_delay_alu instid0(VALU_DEP_1)
	v_and_b32_e32 v5, 1, v4
	v_lshlrev_b32_e32 v6, 30, v4
	v_lshlrev_b32_e32 v7, 29, v4
	;; [unrolled: 1-line block ×4, first 2 shown]
	v_add_co_u32 v5, s20, v5, -1
	s_wait_alu 0xf1ff
	v_cndmask_b32_e64 v25, 0, 1, s20
	v_not_b32_e32 v34, v6
	v_cmp_gt_i32_e64 s20, 0, v6
	v_not_b32_e32 v6, v7
	v_lshlrev_b32_e32 v27, 26, v4
	v_cmp_ne_u32_e32 vcc_lo, 0, v25
	v_ashrrev_i32_e32 v34, 31, v34
	v_lshlrev_b32_e32 v33, 25, v4
	v_ashrrev_i32_e32 v6, 31, v6
	v_lshlrev_b32_e32 v25, 24, v4
	s_wait_alu 0xfffd
	v_xor_b32_e32 v5, vcc_lo, v5
	v_cmp_gt_i32_e32 vcc_lo, 0, v7
	v_not_b32_e32 v7, v24
	s_wait_alu 0xf1ff
	v_xor_b32_e32 v34, s20, v34
	v_cmp_gt_i32_e64 s20, 0, v24
	v_and_b32_e32 v5, exec_lo, v5
	v_not_b32_e32 v24, v26
	v_ashrrev_i32_e32 v7, 31, v7
	s_wait_alu 0xfffd
	v_xor_b32_e32 v6, vcc_lo, v6
	v_cmp_gt_i32_e32 vcc_lo, 0, v26
	v_and_b32_e32 v5, v5, v34
	v_not_b32_e32 v26, v27
	v_ashrrev_i32_e32 v24, 31, v24
	s_wait_alu 0xf1ff
	v_xor_b32_e32 v7, s20, v7
	v_cmp_gt_i32_e64 s20, 0, v27
	v_and_b32_e32 v5, v5, v6
	v_not_b32_e32 v6, v33
	v_ashrrev_i32_e32 v26, 31, v26
	s_wait_alu 0xfffd
	v_xor_b32_e32 v24, vcc_lo, v24
	v_cmp_gt_i32_e32 vcc_lo, 0, v33
	v_and_b32_e32 v5, v5, v7
	v_not_b32_e32 v7, v25
	v_ashrrev_i32_e32 v6, 31, v6
	s_wait_alu 0xf1ff
	v_xor_b32_e32 v26, s20, v26
	v_lshlrev_b32_e32 v4, 4, v4
	v_and_b32_e32 v5, v5, v24
	v_cmp_gt_i32_e64 s20, 0, v25
	v_ashrrev_i32_e32 v7, 31, v7
	s_wait_alu 0xfffd
	v_xor_b32_e32 v6, vcc_lo, v6
	v_add_nc_u32_e32 v35, v99, v4
	v_and_b32_e32 v5, v5, v26
	s_wait_alu 0xf1ff
	v_xor_b32_e32 v4, s20, v7
	ds_load_b32 v33, v35 offset:16
	v_and_b32_e32 v5, v5, v6
	; wave barrier
	s_delay_alu instid0(VALU_DEP_1) | instskip(NEXT) | instid1(VALU_DEP_1)
	v_and_b32_e32 v4, v5, v4
	v_mbcnt_lo_u32_b32 v34, v4, 0
	v_cmp_ne_u32_e64 s20, 0, v4
	s_delay_alu instid0(VALU_DEP_2)
	v_cmp_eq_u32_e32 vcc_lo, 0, v34
	s_and_b32 s27, s20, vcc_lo
	s_wait_alu 0xfffe
	s_and_saveexec_b32 s20, s27
	s_cbranch_execz .LBB217_52
; %bb.51:                               ;   in Loop: Header=BB217_46 Depth=1
	s_wait_dscnt 0x0
	v_bcnt_u32_b32 v4, v4, v33
	ds_store_b32 v35, v4 offset:16
.LBB217_52:                             ;   in Loop: Header=BB217_46 Depth=1
	s_wait_alu 0xfffe
	s_or_b32 exec_lo, exec_lo, s20
	v_cmp_ne_u32_e32 vcc_lo, 0x7fffffff, v106
	; wave barrier
	s_wait_alu 0xfffd
	v_cndmask_b32_e32 v4, 0x80000000, v106, vcc_lo
	s_delay_alu instid0(VALU_DEP_1) | instskip(NEXT) | instid1(VALU_DEP_1)
	v_lshrrev_b32_e32 v4, s24, v4
	v_and_b32_e32 v4, s26, v4
	s_delay_alu instid0(VALU_DEP_1)
	v_and_b32_e32 v5, 1, v4
	v_lshlrev_b32_e32 v6, 30, v4
	v_lshlrev_b32_e32 v7, 29, v4
	;; [unrolled: 1-line block ×4, first 2 shown]
	v_add_co_u32 v5, s20, v5, -1
	s_wait_alu 0xf1ff
	v_cndmask_b32_e64 v25, 0, 1, s20
	v_not_b32_e32 v62, v6
	v_cmp_gt_i32_e64 s20, 0, v6
	v_not_b32_e32 v6, v7
	v_lshlrev_b32_e32 v27, 26, v4
	v_cmp_ne_u32_e32 vcc_lo, 0, v25
	v_ashrrev_i32_e32 v62, 31, v62
	v_lshlrev_b32_e32 v61, 25, v4
	v_ashrrev_i32_e32 v6, 31, v6
	v_lshlrev_b32_e32 v25, 24, v4
	s_wait_alu 0xfffd
	v_xor_b32_e32 v5, vcc_lo, v5
	v_cmp_gt_i32_e32 vcc_lo, 0, v7
	v_not_b32_e32 v7, v24
	s_wait_alu 0xf1ff
	v_xor_b32_e32 v62, s20, v62
	v_cmp_gt_i32_e64 s20, 0, v24
	v_and_b32_e32 v5, exec_lo, v5
	v_not_b32_e32 v24, v26
	v_ashrrev_i32_e32 v7, 31, v7
	s_wait_alu 0xfffd
	v_xor_b32_e32 v6, vcc_lo, v6
	v_cmp_gt_i32_e32 vcc_lo, 0, v26
	v_and_b32_e32 v5, v5, v62
	v_not_b32_e32 v26, v27
	v_ashrrev_i32_e32 v24, 31, v24
	s_wait_alu 0xf1ff
	v_xor_b32_e32 v7, s20, v7
	v_cmp_gt_i32_e64 s20, 0, v27
	v_and_b32_e32 v5, v5, v6
	v_not_b32_e32 v6, v61
	v_ashrrev_i32_e32 v26, 31, v26
	s_wait_alu 0xfffd
	v_xor_b32_e32 v24, vcc_lo, v24
	v_cmp_gt_i32_e32 vcc_lo, 0, v61
	v_and_b32_e32 v5, v5, v7
	v_not_b32_e32 v7, v25
	v_ashrrev_i32_e32 v6, 31, v6
	s_wait_alu 0xf1ff
	v_xor_b32_e32 v26, s20, v26
	v_lshlrev_b32_e32 v4, 4, v4
	v_and_b32_e32 v5, v5, v24
	v_cmp_gt_i32_e64 s20, 0, v25
	v_ashrrev_i32_e32 v7, 31, v7
	s_wait_alu 0xfffd
	v_xor_b32_e32 v6, vcc_lo, v6
	v_add_nc_u32_e32 v63, v99, v4
	v_and_b32_e32 v5, v5, v26
	s_wait_alu 0xf1ff
	v_xor_b32_e32 v4, s20, v7
	ds_load_b32 v61, v63 offset:16
	v_and_b32_e32 v5, v5, v6
	; wave barrier
	s_delay_alu instid0(VALU_DEP_1) | instskip(NEXT) | instid1(VALU_DEP_1)
	v_and_b32_e32 v4, v5, v4
	v_mbcnt_lo_u32_b32 v62, v4, 0
	v_cmp_ne_u32_e64 s20, 0, v4
	s_delay_alu instid0(VALU_DEP_2)
	v_cmp_eq_u32_e32 vcc_lo, 0, v62
	s_and_b32 s27, s20, vcc_lo
	s_wait_alu 0xfffe
	s_and_saveexec_b32 s20, s27
	s_cbranch_execz .LBB217_54
; %bb.53:                               ;   in Loop: Header=BB217_46 Depth=1
	s_wait_dscnt 0x0
	v_bcnt_u32_b32 v4, v4, v61
	ds_store_b32 v63, v4 offset:16
.LBB217_54:                             ;   in Loop: Header=BB217_46 Depth=1
	s_wait_alu 0xfffe
	s_or_b32 exec_lo, exec_lo, s20
	v_cmp_ne_u32_e32 vcc_lo, 0x7fffffff, v105
	; wave barrier
	s_wait_alu 0xfffd
	v_cndmask_b32_e32 v4, 0x80000000, v105, vcc_lo
	s_delay_alu instid0(VALU_DEP_1) | instskip(NEXT) | instid1(VALU_DEP_1)
	v_lshrrev_b32_e32 v4, s24, v4
	v_and_b32_e32 v4, s26, v4
	s_delay_alu instid0(VALU_DEP_1)
	v_and_b32_e32 v5, 1, v4
	v_lshlrev_b32_e32 v6, 30, v4
	v_lshlrev_b32_e32 v7, 29, v4
	;; [unrolled: 1-line block ×4, first 2 shown]
	v_add_co_u32 v5, s20, v5, -1
	s_wait_alu 0xf1ff
	v_cndmask_b32_e64 v25, 0, 1, s20
	v_not_b32_e32 v65, v6
	v_cmp_gt_i32_e64 s20, 0, v6
	v_not_b32_e32 v6, v7
	v_lshlrev_b32_e32 v27, 26, v4
	v_cmp_ne_u32_e32 vcc_lo, 0, v25
	v_ashrrev_i32_e32 v65, 31, v65
	v_lshlrev_b32_e32 v64, 25, v4
	v_ashrrev_i32_e32 v6, 31, v6
	v_lshlrev_b32_e32 v25, 24, v4
	s_wait_alu 0xfffd
	v_xor_b32_e32 v5, vcc_lo, v5
	v_cmp_gt_i32_e32 vcc_lo, 0, v7
	v_not_b32_e32 v7, v24
	s_wait_alu 0xf1ff
	v_xor_b32_e32 v65, s20, v65
	v_cmp_gt_i32_e64 s20, 0, v24
	v_and_b32_e32 v5, exec_lo, v5
	v_not_b32_e32 v24, v26
	v_ashrrev_i32_e32 v7, 31, v7
	s_wait_alu 0xfffd
	v_xor_b32_e32 v6, vcc_lo, v6
	v_cmp_gt_i32_e32 vcc_lo, 0, v26
	v_and_b32_e32 v5, v5, v65
	v_not_b32_e32 v26, v27
	v_ashrrev_i32_e32 v24, 31, v24
	s_wait_alu 0xf1ff
	v_xor_b32_e32 v7, s20, v7
	v_cmp_gt_i32_e64 s20, 0, v27
	v_and_b32_e32 v5, v5, v6
	v_not_b32_e32 v6, v64
	v_ashrrev_i32_e32 v26, 31, v26
	s_wait_alu 0xfffd
	v_xor_b32_e32 v24, vcc_lo, v24
	v_cmp_gt_i32_e32 vcc_lo, 0, v64
	v_and_b32_e32 v5, v5, v7
	v_not_b32_e32 v7, v25
	v_ashrrev_i32_e32 v6, 31, v6
	s_wait_alu 0xf1ff
	v_xor_b32_e32 v26, s20, v26
	v_lshlrev_b32_e32 v4, 4, v4
	v_and_b32_e32 v5, v5, v24
	v_cmp_gt_i32_e64 s20, 0, v25
	v_ashrrev_i32_e32 v7, 31, v7
	s_wait_alu 0xfffd
	v_xor_b32_e32 v6, vcc_lo, v6
	v_add_nc_u32_e32 v66, v99, v4
	v_and_b32_e32 v5, v5, v26
	s_wait_alu 0xf1ff
	v_xor_b32_e32 v4, s20, v7
	ds_load_b32 v64, v66 offset:16
	v_and_b32_e32 v5, v5, v6
	; wave barrier
	s_delay_alu instid0(VALU_DEP_1) | instskip(NEXT) | instid1(VALU_DEP_1)
	v_and_b32_e32 v4, v5, v4
	v_mbcnt_lo_u32_b32 v65, v4, 0
	v_cmp_ne_u32_e64 s20, 0, v4
	s_delay_alu instid0(VALU_DEP_2)
	v_cmp_eq_u32_e32 vcc_lo, 0, v65
	s_and_b32 s27, s20, vcc_lo
	s_wait_alu 0xfffe
	s_and_saveexec_b32 s20, s27
	s_cbranch_execz .LBB217_56
; %bb.55:                               ;   in Loop: Header=BB217_46 Depth=1
	s_wait_dscnt 0x0
	v_bcnt_u32_b32 v4, v4, v64
	ds_store_b32 v66, v4 offset:16
.LBB217_56:                             ;   in Loop: Header=BB217_46 Depth=1
	s_wait_alu 0xfffe
	s_or_b32 exec_lo, exec_lo, s20
	v_cmp_ne_u32_e32 vcc_lo, 0x7fffffff, v104
	; wave barrier
	s_wait_alu 0xfffd
	v_cndmask_b32_e32 v4, 0x80000000, v104, vcc_lo
	s_delay_alu instid0(VALU_DEP_1) | instskip(NEXT) | instid1(VALU_DEP_1)
	v_lshrrev_b32_e32 v4, s24, v4
	v_and_b32_e32 v4, s26, v4
	s_delay_alu instid0(VALU_DEP_1)
	v_and_b32_e32 v5, 1, v4
	v_lshlrev_b32_e32 v6, 30, v4
	v_lshlrev_b32_e32 v7, 29, v4
	;; [unrolled: 1-line block ×4, first 2 shown]
	v_add_co_u32 v5, s20, v5, -1
	s_wait_alu 0xf1ff
	v_cndmask_b32_e64 v25, 0, 1, s20
	v_not_b32_e32 v68, v6
	v_cmp_gt_i32_e64 s20, 0, v6
	v_not_b32_e32 v6, v7
	v_lshlrev_b32_e32 v27, 26, v4
	v_cmp_ne_u32_e32 vcc_lo, 0, v25
	v_ashrrev_i32_e32 v68, 31, v68
	v_lshlrev_b32_e32 v67, 25, v4
	v_ashrrev_i32_e32 v6, 31, v6
	v_lshlrev_b32_e32 v25, 24, v4
	s_wait_alu 0xfffd
	v_xor_b32_e32 v5, vcc_lo, v5
	v_cmp_gt_i32_e32 vcc_lo, 0, v7
	v_not_b32_e32 v7, v24
	s_wait_alu 0xf1ff
	v_xor_b32_e32 v68, s20, v68
	v_cmp_gt_i32_e64 s20, 0, v24
	v_and_b32_e32 v5, exec_lo, v5
	v_not_b32_e32 v24, v26
	v_ashrrev_i32_e32 v7, 31, v7
	s_wait_alu 0xfffd
	v_xor_b32_e32 v6, vcc_lo, v6
	v_cmp_gt_i32_e32 vcc_lo, 0, v26
	v_and_b32_e32 v5, v5, v68
	v_not_b32_e32 v26, v27
	v_ashrrev_i32_e32 v24, 31, v24
	s_wait_alu 0xf1ff
	v_xor_b32_e32 v7, s20, v7
	v_cmp_gt_i32_e64 s20, 0, v27
	v_and_b32_e32 v5, v5, v6
	v_not_b32_e32 v6, v67
	v_ashrrev_i32_e32 v26, 31, v26
	s_wait_alu 0xfffd
	v_xor_b32_e32 v24, vcc_lo, v24
	v_cmp_gt_i32_e32 vcc_lo, 0, v67
	v_and_b32_e32 v5, v5, v7
	v_not_b32_e32 v7, v25
	v_ashrrev_i32_e32 v6, 31, v6
	s_wait_alu 0xf1ff
	v_xor_b32_e32 v26, s20, v26
	v_lshlrev_b32_e32 v4, 4, v4
	v_and_b32_e32 v5, v5, v24
	v_cmp_gt_i32_e64 s20, 0, v25
	v_ashrrev_i32_e32 v7, 31, v7
	s_wait_alu 0xfffd
	v_xor_b32_e32 v6, vcc_lo, v6
	v_add_nc_u32_e32 v68, v99, v4
	v_and_b32_e32 v5, v5, v26
	s_wait_alu 0xf1ff
	v_xor_b32_e32 v4, s20, v7
	ds_load_b32 v67, v68 offset:16
	v_and_b32_e32 v5, v5, v6
	; wave barrier
	s_delay_alu instid0(VALU_DEP_1) | instskip(NEXT) | instid1(VALU_DEP_1)
	v_and_b32_e32 v4, v5, v4
	v_mbcnt_lo_u32_b32 v109, v4, 0
	v_cmp_ne_u32_e64 s20, 0, v4
	s_delay_alu instid0(VALU_DEP_2)
	v_cmp_eq_u32_e32 vcc_lo, 0, v109
	s_and_b32 s27, s20, vcc_lo
	s_wait_alu 0xfffe
	s_and_saveexec_b32 s20, s27
	s_cbranch_execz .LBB217_58
; %bb.57:                               ;   in Loop: Header=BB217_46 Depth=1
	s_wait_dscnt 0x0
	v_bcnt_u32_b32 v4, v4, v67
	ds_store_b32 v68, v4 offset:16
.LBB217_58:                             ;   in Loop: Header=BB217_46 Depth=1
	s_wait_alu 0xfffe
	s_or_b32 exec_lo, exec_lo, s20
	v_cmp_ne_u32_e32 vcc_lo, 0x7fffffff, v103
	; wave barrier
	s_wait_alu 0xfffd
	v_cndmask_b32_e32 v4, 0x80000000, v103, vcc_lo
	s_delay_alu instid0(VALU_DEP_1) | instskip(NEXT) | instid1(VALU_DEP_1)
	v_lshrrev_b32_e32 v4, s24, v4
	v_and_b32_e32 v4, s26, v4
	s_delay_alu instid0(VALU_DEP_1)
	v_and_b32_e32 v5, 1, v4
	v_lshlrev_b32_e32 v6, 30, v4
	v_lshlrev_b32_e32 v7, 29, v4
	;; [unrolled: 1-line block ×4, first 2 shown]
	v_add_co_u32 v5, s20, v5, -1
	s_wait_alu 0xf1ff
	v_cndmask_b32_e64 v25, 0, 1, s20
	v_not_b32_e32 v111, v6
	v_cmp_gt_i32_e64 s20, 0, v6
	v_not_b32_e32 v6, v7
	v_lshlrev_b32_e32 v27, 26, v4
	v_cmp_ne_u32_e32 vcc_lo, 0, v25
	v_ashrrev_i32_e32 v111, 31, v111
	v_lshlrev_b32_e32 v110, 25, v4
	v_ashrrev_i32_e32 v6, 31, v6
	v_lshlrev_b32_e32 v25, 24, v4
	s_wait_alu 0xfffd
	v_xor_b32_e32 v5, vcc_lo, v5
	v_cmp_gt_i32_e32 vcc_lo, 0, v7
	v_not_b32_e32 v7, v24
	s_wait_alu 0xf1ff
	v_xor_b32_e32 v111, s20, v111
	v_cmp_gt_i32_e64 s20, 0, v24
	v_and_b32_e32 v5, exec_lo, v5
	v_not_b32_e32 v24, v26
	v_ashrrev_i32_e32 v7, 31, v7
	s_wait_alu 0xfffd
	v_xor_b32_e32 v6, vcc_lo, v6
	v_cmp_gt_i32_e32 vcc_lo, 0, v26
	v_and_b32_e32 v5, v5, v111
	v_not_b32_e32 v26, v27
	v_ashrrev_i32_e32 v24, 31, v24
	s_wait_alu 0xf1ff
	v_xor_b32_e32 v7, s20, v7
	v_cmp_gt_i32_e64 s20, 0, v27
	v_and_b32_e32 v5, v5, v6
	v_not_b32_e32 v6, v110
	v_ashrrev_i32_e32 v26, 31, v26
	s_wait_alu 0xfffd
	v_xor_b32_e32 v24, vcc_lo, v24
	v_cmp_gt_i32_e32 vcc_lo, 0, v110
	v_and_b32_e32 v5, v5, v7
	v_not_b32_e32 v7, v25
	v_ashrrev_i32_e32 v6, 31, v6
	s_wait_alu 0xf1ff
	v_xor_b32_e32 v26, s20, v26
	v_lshlrev_b32_e32 v4, 4, v4
	v_and_b32_e32 v5, v5, v24
	v_cmp_gt_i32_e64 s20, 0, v25
	v_ashrrev_i32_e32 v7, 31, v7
	s_wait_alu 0xfffd
	v_xor_b32_e32 v6, vcc_lo, v6
	v_add_nc_u32_e32 v111, v99, v4
	v_and_b32_e32 v5, v5, v26
	s_wait_alu 0xf1ff
	v_xor_b32_e32 v4, s20, v7
	ds_load_b32 v110, v111 offset:16
	v_and_b32_e32 v5, v5, v6
	; wave barrier
	s_delay_alu instid0(VALU_DEP_1) | instskip(NEXT) | instid1(VALU_DEP_1)
	v_and_b32_e32 v4, v5, v4
	v_mbcnt_lo_u32_b32 v112, v4, 0
	v_cmp_ne_u32_e64 s20, 0, v4
	s_delay_alu instid0(VALU_DEP_2)
	v_cmp_eq_u32_e32 vcc_lo, 0, v112
	s_and_b32 s27, s20, vcc_lo
	s_wait_alu 0xfffe
	s_and_saveexec_b32 s20, s27
	s_cbranch_execz .LBB217_60
; %bb.59:                               ;   in Loop: Header=BB217_46 Depth=1
	s_wait_dscnt 0x0
	v_bcnt_u32_b32 v4, v4, v110
	ds_store_b32 v111, v4 offset:16
.LBB217_60:                             ;   in Loop: Header=BB217_46 Depth=1
	s_wait_alu 0xfffe
	s_or_b32 exec_lo, exec_lo, s20
	v_cmp_ne_u32_e32 vcc_lo, 0x7fffffff, v102
	; wave barrier
	s_wait_alu 0xfffd
	v_cndmask_b32_e32 v4, 0x80000000, v102, vcc_lo
	s_delay_alu instid0(VALU_DEP_1) | instskip(NEXT) | instid1(VALU_DEP_1)
	v_lshrrev_b32_e32 v4, s24, v4
	v_and_b32_e32 v4, s26, v4
	s_delay_alu instid0(VALU_DEP_1)
	v_and_b32_e32 v5, 1, v4
	v_lshlrev_b32_e32 v6, 30, v4
	v_lshlrev_b32_e32 v7, 29, v4
	;; [unrolled: 1-line block ×4, first 2 shown]
	v_add_co_u32 v5, s20, v5, -1
	s_wait_alu 0xf1ff
	v_cndmask_b32_e64 v25, 0, 1, s20
	v_not_b32_e32 v114, v6
	v_cmp_gt_i32_e64 s20, 0, v6
	v_not_b32_e32 v6, v7
	v_lshlrev_b32_e32 v27, 26, v4
	v_cmp_ne_u32_e32 vcc_lo, 0, v25
	v_ashrrev_i32_e32 v114, 31, v114
	v_lshlrev_b32_e32 v113, 25, v4
	v_ashrrev_i32_e32 v6, 31, v6
	v_lshlrev_b32_e32 v25, 24, v4
	s_wait_alu 0xfffd
	v_xor_b32_e32 v5, vcc_lo, v5
	v_cmp_gt_i32_e32 vcc_lo, 0, v7
	v_not_b32_e32 v7, v24
	s_wait_alu 0xf1ff
	v_xor_b32_e32 v114, s20, v114
	v_cmp_gt_i32_e64 s20, 0, v24
	v_and_b32_e32 v5, exec_lo, v5
	v_not_b32_e32 v24, v26
	v_ashrrev_i32_e32 v7, 31, v7
	s_wait_alu 0xfffd
	v_xor_b32_e32 v6, vcc_lo, v6
	v_cmp_gt_i32_e32 vcc_lo, 0, v26
	v_and_b32_e32 v5, v5, v114
	v_not_b32_e32 v26, v27
	v_ashrrev_i32_e32 v24, 31, v24
	s_wait_alu 0xf1ff
	v_xor_b32_e32 v7, s20, v7
	v_cmp_gt_i32_e64 s20, 0, v27
	v_and_b32_e32 v5, v5, v6
	v_not_b32_e32 v6, v113
	v_ashrrev_i32_e32 v26, 31, v26
	s_wait_alu 0xfffd
	v_xor_b32_e32 v24, vcc_lo, v24
	v_cmp_gt_i32_e32 vcc_lo, 0, v113
	v_and_b32_e32 v5, v5, v7
	v_not_b32_e32 v7, v25
	v_ashrrev_i32_e32 v6, 31, v6
	s_wait_alu 0xf1ff
	v_xor_b32_e32 v26, s20, v26
	v_lshlrev_b32_e32 v4, 4, v4
	v_and_b32_e32 v5, v5, v24
	v_cmp_gt_i32_e64 s20, 0, v25
	v_ashrrev_i32_e32 v7, 31, v7
	s_wait_alu 0xfffd
	v_xor_b32_e32 v6, vcc_lo, v6
	v_add_nc_u32_e32 v113, v99, v4
	v_and_b32_e32 v5, v5, v26
	s_wait_alu 0xf1ff
	v_xor_b32_e32 v4, s20, v7
	ds_load_b32 v118, v113 offset:16
	v_and_b32_e32 v5, v5, v6
	; wave barrier
	s_delay_alu instid0(VALU_DEP_1) | instskip(NEXT) | instid1(VALU_DEP_1)
	v_and_b32_e32 v4, v5, v4
	v_mbcnt_lo_u32_b32 v119, v4, 0
	v_cmp_ne_u32_e64 s20, 0, v4
	s_delay_alu instid0(VALU_DEP_2)
	v_cmp_eq_u32_e32 vcc_lo, 0, v119
	s_and_b32 s26, s20, vcc_lo
	s_wait_alu 0xfffe
	s_and_saveexec_b32 s20, s26
	s_cbranch_execz .LBB217_62
; %bb.61:                               ;   in Loop: Header=BB217_46 Depth=1
	s_wait_dscnt 0x0
	v_bcnt_u32_b32 v4, v4, v118
	ds_store_b32 v113, v4 offset:16
.LBB217_62:                             ;   in Loop: Header=BB217_46 Depth=1
	s_wait_alu 0xfffe
	s_or_b32 exec_lo, exec_lo, s20
	; wave barrier
	s_wait_loadcnt_dscnt 0x0
	s_barrier_signal -1
	s_barrier_wait -1
	global_inv scope:SCOPE_SE
	ds_load_b128 v[24:27], v87 offset:16
	ds_load_b128 v[4:7], v87 offset:32
	s_wait_dscnt 0x1
	v_add_nc_u32_e32 v114, v25, v24
	s_delay_alu instid0(VALU_DEP_1) | instskip(SKIP_1) | instid1(VALU_DEP_1)
	v_add3_u32 v114, v114, v26, v27
	s_wait_dscnt 0x0
	v_add3_u32 v114, v114, v4, v5
	s_delay_alu instid0(VALU_DEP_1) | instskip(NEXT) | instid1(VALU_DEP_1)
	v_add3_u32 v7, v114, v6, v7
	v_mov_b32_dpp v114, v7 row_shr:1 row_mask:0xf bank_mask:0xf
	s_delay_alu instid0(VALU_DEP_1) | instskip(NEXT) | instid1(VALU_DEP_1)
	v_cndmask_b32_e64 v114, v114, 0, s11
	v_add_nc_u32_e32 v7, v114, v7
	s_delay_alu instid0(VALU_DEP_1) | instskip(NEXT) | instid1(VALU_DEP_1)
	v_mov_b32_dpp v114, v7 row_shr:2 row_mask:0xf bank_mask:0xf
	v_cndmask_b32_e64 v114, 0, v114, s13
	s_delay_alu instid0(VALU_DEP_1) | instskip(NEXT) | instid1(VALU_DEP_1)
	v_add_nc_u32_e32 v7, v7, v114
	v_mov_b32_dpp v114, v7 row_shr:4 row_mask:0xf bank_mask:0xf
	s_delay_alu instid0(VALU_DEP_1) | instskip(NEXT) | instid1(VALU_DEP_1)
	v_cndmask_b32_e64 v114, 0, v114, s14
	v_add_nc_u32_e32 v7, v7, v114
	s_delay_alu instid0(VALU_DEP_1) | instskip(NEXT) | instid1(VALU_DEP_1)
	v_mov_b32_dpp v114, v7 row_shr:8 row_mask:0xf bank_mask:0xf
	v_cndmask_b32_e64 v114, 0, v114, s15
	s_delay_alu instid0(VALU_DEP_1) | instskip(SKIP_3) | instid1(VALU_DEP_1)
	v_add_nc_u32_e32 v7, v7, v114
	ds_swizzle_b32 v114, v7 offset:swizzle(BROADCAST,32,15)
	s_wait_dscnt 0x0
	v_cndmask_b32_e64 v114, v114, 0, s16
	v_add_nc_u32_e32 v7, v7, v114
	s_and_saveexec_b32 s20, s17
; %bb.63:                               ;   in Loop: Header=BB217_46 Depth=1
	ds_store_b32 v88, v7
; %bb.64:                               ;   in Loop: Header=BB217_46 Depth=1
	s_wait_alu 0xfffe
	s_or_b32 exec_lo, exec_lo, s20
	s_wait_loadcnt_dscnt 0x0
	s_barrier_signal -1
	s_barrier_wait -1
	global_inv scope:SCOPE_SE
	s_and_saveexec_b32 s20, s0
	s_cbranch_execz .LBB217_66
; %bb.65:                               ;   in Loop: Header=BB217_46 Depth=1
	ds_load_b32 v114, v100
	s_wait_dscnt 0x0
	v_mov_b32_dpp v115, v114 row_shr:1 row_mask:0xf bank_mask:0xf
	s_delay_alu instid0(VALU_DEP_1) | instskip(NEXT) | instid1(VALU_DEP_1)
	v_cndmask_b32_e64 v115, v115, 0, s18
	v_add_nc_u32_e32 v114, v115, v114
	s_delay_alu instid0(VALU_DEP_1) | instskip(NEXT) | instid1(VALU_DEP_1)
	v_mov_b32_dpp v115, v114 row_shr:2 row_mask:0xf bank_mask:0xf
	v_cndmask_b32_e64 v115, 0, v115, s19
	s_delay_alu instid0(VALU_DEP_1)
	v_add_nc_u32_e32 v114, v114, v115
	ds_store_b32 v100, v114
.LBB217_66:                             ;   in Loop: Header=BB217_46 Depth=1
	s_wait_alu 0xfffe
	s_or_b32 exec_lo, exec_lo, s20
	v_mov_b32_e32 v114, 0
	s_wait_loadcnt_dscnt 0x0
	s_barrier_signal -1
	s_barrier_wait -1
	global_inv scope:SCOPE_SE
	s_and_saveexec_b32 s20, s1
; %bb.67:                               ;   in Loop: Header=BB217_46 Depth=1
	ds_load_b32 v114, v98
; %bb.68:                               ;   in Loop: Header=BB217_46 Depth=1
	s_wait_alu 0xfffe
	s_or_b32 exec_lo, exec_lo, s20
	s_wait_dscnt 0x0
	v_add_nc_u32_e32 v7, v114, v7
	s_cmp_gt_u32 s24, 23
	s_mov_b32 s20, -1
	ds_bpermute_b32 v7, v97, v7
	s_wait_dscnt 0x0
	v_cndmask_b32_e64 v7, v7, v114, s12
	s_delay_alu instid0(VALU_DEP_1) | instskip(NEXT) | instid1(VALU_DEP_1)
	v_cndmask_b32_e64 v114, v7, 0, s10
	v_add_nc_u32_e32 v115, v114, v24
	s_delay_alu instid0(VALU_DEP_1) | instskip(NEXT) | instid1(VALU_DEP_1)
	v_add_nc_u32_e32 v116, v115, v25
	v_add_nc_u32_e32 v117, v116, v26
	s_delay_alu instid0(VALU_DEP_1) | instskip(NEXT) | instid1(VALU_DEP_1)
	v_add_nc_u32_e32 v24, v117, v27
	;; [unrolled: 3-line block ×3, first 2 shown]
	v_add_nc_u32_e32 v27, v26, v6
	ds_store_b128 v87, v[114:117] offset:16
	ds_store_b128 v87, v[24:27] offset:32
	s_wait_loadcnt_dscnt 0x0
	s_barrier_signal -1
	s_barrier_wait -1
	global_inv scope:SCOPE_SE
	ds_load_b32 v4, v29 offset:16
	ds_load_b32 v5, v32 offset:16
	ds_load_b32 v6, v35 offset:16
	ds_load_b32 v7, v63 offset:16
	ds_load_b32 v24, v66 offset:16
	ds_load_b32 v25, v68 offset:16
	ds_load_b32 v26, v111 offset:16
	ds_load_b32 v27, v113 offset:16
	s_wait_dscnt 0x7
	v_add_nc_u32_e32 v117, v4, v28
	s_wait_dscnt 0x6
	v_add3_u32 v116, v31, v30, v5
	s_wait_dscnt 0x5
	v_add3_u32 v115, v34, v33, v6
	;; [unrolled: 2-line block ×7, first 2 shown]
                                        ; implicit-def: $vgpr68
                                        ; implicit-def: $vgpr66
                                        ; implicit-def: $vgpr64
                                        ; implicit-def: $vgpr62
                                        ; implicit-def: $vgpr34_vgpr35
                                        ; implicit-def: $vgpr30_vgpr31
                                        ; implicit-def: $vgpr26_vgpr27
                                        ; implicit-def: $vgpr6_vgpr7
	s_cbranch_scc1 .LBB217_45
; %bb.69:                               ;   in Loop: Header=BB217_46 Depth=1
	v_lshlrev_b32_e32 v4, 2, v117
	v_lshlrev_b32_e32 v5, 2, v116
	;; [unrolled: 1-line block ×3, first 2 shown]
	s_wait_loadcnt 0x0
	s_barrier_signal -1
	s_barrier_wait -1
	global_inv scope:SCOPE_SE
	ds_store_b32 v4, v101
	ds_store_b32 v5, v108
	;; [unrolled: 1-line block ×3, first 2 shown]
	v_lshlrev_b32_e32 v7, 2, v114
	v_add_nc_u32_e32 v4, v4, v4
	v_lshlrev_b32_e32 v24, 2, v113
	v_add_nc_u32_e32 v5, v5, v5
	v_lshlrev_b32_e32 v25, 2, v111
	v_add_nc_u32_e32 v6, v6, v6
	v_lshlrev_b32_e32 v26, 2, v110
	v_lshlrev_b32_e32 v27, 2, v109
	ds_store_b32 v7, v106
	ds_store_b32 v24, v105
	;; [unrolled: 1-line block ×5, first 2 shown]
	s_wait_loadcnt_dscnt 0x0
	s_barrier_signal -1
	s_barrier_wait -1
	global_inv scope:SCOPE_SE
	ds_load_2addr_b32 v[61:62], v95 offset1:32
	ds_load_2addr_b32 v[63:64], v95 offset0:64 offset1:96
	ds_load_2addr_b32 v[65:66], v95 offset0:128 offset1:160
	;; [unrolled: 1-line block ×3, first 2 shown]
	s_wait_loadcnt_dscnt 0x0
	s_barrier_signal -1
	s_barrier_wait -1
	global_inv scope:SCOPE_SE
	ds_store_b64 v4, v[59:60]
	ds_store_b64 v5, v[57:58]
	;; [unrolled: 1-line block ×3, first 2 shown]
	v_add_nc_u32_e32 v4, v7, v7
	v_add_nc_u32_e32 v5, v24, v24
	;; [unrolled: 1-line block ×5, first 2 shown]
	ds_store_b64 v4, v[53:54]
	ds_store_b64 v5, v[51:52]
	;; [unrolled: 1-line block ×5, first 2 shown]
	s_wait_loadcnt_dscnt 0x0
	s_barrier_signal -1
	s_barrier_wait -1
	global_inv scope:SCOPE_SE
	ds_load_2addr_b64 v[4:7], v96 offset1:32
	ds_load_2addr_b64 v[24:27], v96 offset0:64 offset1:96
	ds_load_2addr_b64 v[28:31], v96 offset0:128 offset1:160
	;; [unrolled: 1-line block ×3, first 2 shown]
	s_add_co_i32 s24, s24, 8
	s_add_co_i32 s25, s25, -8
	s_mov_b32 s20, 0
	s_wait_loadcnt_dscnt 0x0
	s_barrier_signal -1
	s_barrier_wait -1
	global_inv scope:SCOPE_SE
	s_branch .LBB217_45
.LBB217_70:
	v_mad_co_u64_u32 v[2:3], null, s28, v40, 0
	v_mov_b32_e32 v16, v1
	v_dual_mov_b32 v6, v1 :: v_dual_mov_b32 v7, v1
	v_dual_mov_b32 v8, v1 :: v_dual_mov_b32 v9, v1
	;; [unrolled: 1-line block ×3, first 2 shown]
	v_mad_co_u64_u32 v[3:4], null, s29, v40, v[3:4]
	v_dual_mov_b32 v4, v1 :: v_dual_mov_b32 v5, v1
	v_dual_mov_b32 v12, v1 :: v_dual_mov_b32 v15, v1
	s_delay_alu instid0(VALU_DEP_3) | instskip(NEXT) | instid1(VALU_DEP_1)
	v_lshlrev_b64_e32 v[2:3], 3, v[2:3]
	v_add_co_u32 v2, vcc_lo, s34, v2
	s_wait_alu 0xfffd
	s_delay_alu instid0(VALU_DEP_2)
	v_add_co_ci_u32_e64 v3, null, s35, v3, vcc_lo
	global_load_b64 v[13:14], v[2:3], off
	v_dual_mov_b32 v2, v1 :: v_dual_mov_b32 v3, v1
	s_or_b32 exec_lo, exec_lo, s0
	s_and_saveexec_b32 s0, s3
	s_cbranch_execz .LBB217_36
.LBB217_71:
	v_mad_co_u64_u32 v[1:2], null, s28, v17, 0
	s_delay_alu instid0(VALU_DEP_1) | instskip(NEXT) | instid1(VALU_DEP_1)
	v_mad_co_u64_u32 v[34:35], null, s29, v17, v[2:3]
	v_mov_b32_e32 v2, v34
	s_delay_alu instid0(VALU_DEP_1) | instskip(NEXT) | instid1(VALU_DEP_1)
	v_lshlrev_b64_e32 v[1:2], 3, v[1:2]
	v_add_co_u32 v1, vcc_lo, s34, v1
	s_wait_alu 0xfffd
	s_delay_alu instid0(VALU_DEP_2)
	v_add_co_ci_u32_e64 v2, null, s35, v2, vcc_lo
	global_load_b64 v[1:2], v[1:2], off
	s_or_b32 exec_lo, exec_lo, s0
	s_and_saveexec_b32 s0, s4
	s_cbranch_execz .LBB217_37
.LBB217_72:
	v_mad_co_u64_u32 v[15:16], null, s28, v18, 0
	s_delay_alu instid0(VALU_DEP_1) | instskip(NEXT) | instid1(VALU_DEP_1)
	v_mad_co_u64_u32 v[16:17], null, s29, v18, v[16:17]
	v_lshlrev_b64_e32 v[15:16], 3, v[15:16]
	s_delay_alu instid0(VALU_DEP_1) | instskip(SKIP_1) | instid1(VALU_DEP_2)
	v_add_co_u32 v15, vcc_lo, s34, v15
	s_wait_alu 0xfffd
	v_add_co_ci_u32_e64 v16, null, s35, v16, vcc_lo
	global_load_b64 v[15:16], v[15:16], off
	s_or_b32 exec_lo, exec_lo, s0
	s_and_saveexec_b32 s0, s5
	s_cbranch_execz .LBB217_38
.LBB217_73:
	v_mad_co_u64_u32 v[3:4], null, s28, v19, 0
	s_delay_alu instid0(VALU_DEP_1) | instskip(NEXT) | instid1(VALU_DEP_1)
	v_mad_co_u64_u32 v[17:18], null, s29, v19, v[4:5]
	v_mov_b32_e32 v4, v17
	s_delay_alu instid0(VALU_DEP_1) | instskip(NEXT) | instid1(VALU_DEP_1)
	v_lshlrev_b64_e32 v[3:4], 3, v[3:4]
	v_add_co_u32 v3, vcc_lo, s34, v3
	s_wait_alu 0xfffd
	s_delay_alu instid0(VALU_DEP_2)
	v_add_co_ci_u32_e64 v4, null, s35, v4, vcc_lo
	global_load_b64 v[3:4], v[3:4], off
	s_or_b32 exec_lo, exec_lo, s0
	s_and_saveexec_b32 s0, s6
	s_cbranch_execz .LBB217_39
.LBB217_74:
	v_mad_co_u64_u32 v[5:6], null, s28, v20, 0
	s_delay_alu instid0(VALU_DEP_1) | instskip(NEXT) | instid1(VALU_DEP_1)
	v_mad_co_u64_u32 v[17:18], null, s29, v20, v[6:7]
	v_mov_b32_e32 v6, v17
	s_delay_alu instid0(VALU_DEP_1) | instskip(NEXT) | instid1(VALU_DEP_1)
	v_lshlrev_b64_e32 v[5:6], 3, v[5:6]
	v_add_co_u32 v5, vcc_lo, s34, v5
	s_wait_alu 0xfffd
	s_delay_alu instid0(VALU_DEP_2)
	v_add_co_ci_u32_e64 v6, null, s35, v6, vcc_lo
	global_load_b64 v[5:6], v[5:6], off
	s_or_b32 exec_lo, exec_lo, s0
	s_and_saveexec_b32 s0, s7
	s_cbranch_execz .LBB217_40
.LBB217_75:
	v_mad_co_u64_u32 v[7:8], null, s28, v21, 0
	s_delay_alu instid0(VALU_DEP_1) | instskip(NEXT) | instid1(VALU_DEP_1)
	v_mad_co_u64_u32 v[17:18], null, s29, v21, v[8:9]
	v_mov_b32_e32 v8, v17
	s_delay_alu instid0(VALU_DEP_1) | instskip(NEXT) | instid1(VALU_DEP_1)
	v_lshlrev_b64_e32 v[7:8], 3, v[7:8]
	v_add_co_u32 v7, vcc_lo, s34, v7
	s_wait_alu 0xfffd
	s_delay_alu instid0(VALU_DEP_2)
	v_add_co_ci_u32_e64 v8, null, s35, v8, vcc_lo
	global_load_b64 v[7:8], v[7:8], off
	s_or_b32 exec_lo, exec_lo, s0
	s_and_saveexec_b32 s0, s8
	s_cbranch_execz .LBB217_41
.LBB217_76:
	v_mad_co_u64_u32 v[9:10], null, s28, v22, 0
	s_delay_alu instid0(VALU_DEP_1) | instskip(NEXT) | instid1(VALU_DEP_1)
	v_mad_co_u64_u32 v[17:18], null, s29, v22, v[10:11]
	v_mov_b32_e32 v10, v17
	s_delay_alu instid0(VALU_DEP_1) | instskip(NEXT) | instid1(VALU_DEP_1)
	v_lshlrev_b64_e32 v[9:10], 3, v[9:10]
	v_add_co_u32 v9, vcc_lo, s34, v9
	s_wait_alu 0xfffd
	s_delay_alu instid0(VALU_DEP_2)
	v_add_co_ci_u32_e64 v10, null, s35, v10, vcc_lo
	global_load_b64 v[9:10], v[9:10], off
	s_or_b32 exec_lo, exec_lo, s0
	s_xor_b32 s0, s15, -1
	s_and_saveexec_b32 s1, s9
	s_cbranch_execnz .LBB217_42
	s_branch .LBB217_43
.LBB217_77:
                                        ; implicit-def: $vgpr34_vgpr35
                                        ; implicit-def: $vgpr38_vgpr39
                                        ; implicit-def: $vgpr26_vgpr27
                                        ; implicit-def: $vgpr30_vgpr31
                                        ; implicit-def: $vgpr0_vgpr1_vgpr2_vgpr3_vgpr4_vgpr5_vgpr6_vgpr7
	s_cbranch_execnz .LBB217_79
	s_branch .LBB217_106
.LBB217_78:
	v_lshlrev_b32_e32 v24, 2, v117
	v_lshlrev_b32_e32 v27, 2, v114
	;; [unrolled: 1-line block ×8, first 2 shown]
	s_wait_loadcnt 0x0
	s_barrier_signal -1
	s_barrier_wait -1
	global_inv scope:SCOPE_SE
	ds_store_b32 v24, v101
	ds_store_b32 v25, v108
	;; [unrolled: 1-line block ×8, first 2 shown]
	s_wait_loadcnt_dscnt 0x0
	s_barrier_signal -1
	s_barrier_wait -1
	global_inv scope:SCOPE_SE
	ds_load_b128 v[0:3], v87
	ds_load_b128 v[4:7], v87 offset:16
	v_add_nc_u32_e32 v24, v24, v24
	v_add_nc_u32_e32 v25, v25, v25
	;; [unrolled: 1-line block ×3, first 2 shown]
	s_wait_loadcnt_dscnt 0x0
	s_barrier_signal -1
	s_barrier_wait -1
	global_inv scope:SCOPE_SE
	ds_store_b64 v24, v[59:60]
	ds_store_b64 v25, v[57:58]
	;; [unrolled: 1-line block ×3, first 2 shown]
	v_add_nc_u32_e32 v24, v27, v27
	v_add_nc_u32_e32 v25, v28, v28
	;; [unrolled: 1-line block ×5, first 2 shown]
	ds_store_b64 v24, v[53:54]
	ds_store_b64 v25, v[51:52]
	;; [unrolled: 1-line block ×5, first 2 shown]
	v_lshl_add_u32 v32, v40, 5, v87
	s_wait_loadcnt_dscnt 0x0
	s_barrier_signal -1
	s_barrier_wait -1
	v_cmp_lt_i32_e32 vcc_lo, -1, v0
	global_inv scope:SCOPE_SE
	ds_load_b128 v[28:31], v32
	ds_load_b128 v[24:27], v32 offset:16
	ds_load_b128 v[36:39], v32 offset:32
	;; [unrolled: 1-line block ×3, first 2 shown]
	s_wait_alu 0xfffd
	v_cndmask_b32_e64 v49, 0x80000000, -1, vcc_lo
	v_cmp_lt_i32_e32 vcc_lo, -1, v1
	s_delay_alu instid0(VALU_DEP_2) | instskip(SKIP_3) | instid1(VALU_DEP_2)
	v_xor_b32_e32 v0, v49, v0
	s_wait_alu 0xfffd
	v_cndmask_b32_e64 v50, 0x80000000, -1, vcc_lo
	v_cmp_lt_i32_e32 vcc_lo, -1, v2
	v_xor_b32_e32 v1, v50, v1
	s_wait_alu 0xfffd
	v_cndmask_b32_e64 v51, 0x80000000, -1, vcc_lo
	v_cmp_lt_i32_e32 vcc_lo, -1, v3
	s_delay_alu instid0(VALU_DEP_2) | instskip(SKIP_3) | instid1(VALU_DEP_2)
	v_xor_b32_e32 v2, v51, v2
	s_wait_alu 0xfffd
	v_cndmask_b32_e64 v49, 0x80000000, -1, vcc_lo
	v_cmp_lt_i32_e32 vcc_lo, -1, v4
	v_xor_b32_e32 v3, v49, v3
	;; [unrolled: 9-line block ×3, first 2 shown]
	s_wait_alu 0xfffd
	v_cndmask_b32_e64 v52, 0x80000000, -1, vcc_lo
	v_cmp_lt_i32_e32 vcc_lo, -1, v7
	s_delay_alu instid0(VALU_DEP_2) | instskip(SKIP_2) | instid1(VALU_DEP_1)
	v_xor_b32_e32 v6, v52, v6
	s_wait_alu 0xfffd
	v_cndmask_b32_e64 v53, 0x80000000, -1, vcc_lo
	v_xor_b32_e32 v7, v53, v7
	s_branch .LBB217_106
.LBB217_79:
	v_cmp_gt_i32_e32 vcc_lo, 0, v47
	v_or_b32_e32 v7, v91, v92
	s_wait_dscnt 0x2
	v_and_or_b32 v25, 0x1f00, v89, v91
	s_mov_b32 s24, 0
	s_getpc_b64 s[0:1]
	s_sext_i32_i16 s1, s1
	s_add_co_u32 s0, s0, _ZN7rocprim17ROCPRIM_400000_NS16block_radix_sortIfLj128ELj8ElLj1ELj1ELj0ELNS0_26block_radix_rank_algorithmE1ELNS0_18block_padding_hintE2ELNS0_4arch9wavefront6targetE0EE19radix_bits_per_passE@rel32@lo+8
	s_add_co_ci_u32 s1, s1, _ZN7rocprim17ROCPRIM_400000_NS16block_radix_sortIfLj128ELj8ElLj1ELj1ELj0ELNS0_26block_radix_rank_algorithmE1ELNS0_18block_padding_hintE2ELNS0_4arch9wavefront6targetE0EE19radix_bits_per_passE@rel32@hi+16
	s_wait_alu 0xfffd
	v_cndmask_b32_e64 v0, 0x7fffffff, 0, vcc_lo
	v_cmp_gt_i32_e32 vcc_lo, 0, v48
	s_mov_b32 s25, s24
	s_mov_b32 s26, s24
	;; [unrolled: 1-line block ×3, first 2 shown]
	v_xor_b32_e32 v0, v0, v47
	s_wait_alu 0xfffd
	v_cndmask_b32_e64 v1, 0x7fffffff, 0, vcc_lo
	v_cmp_gt_i32_e32 vcc_lo, 0, v45
	v_lshlrev_b32_e32 v26, 5, v7
	s_load_b32 s21, s[0:1], 0x0
	v_cmp_gt_u32_e64 s15, 4, v40
	v_xor_b32_e32 v1, v1, v48
	v_cndmask_b32_e64 v2, 0x7fffffff, 0, vcc_lo
	v_cmp_gt_i32_e32 vcc_lo, 0, v46
	v_cmp_lt_u32_e64 s16, 31, v40
	v_cmp_eq_u32_e64 s17, 0, v40
	v_add_nc_u32_e32 v48, -4, v88
	v_xor_b32_e32 v2, v2, v45
	s_wait_alu 0xfffd
	v_cndmask_b32_e64 v3, 0x7fffffff, 0, vcc_lo
	v_cmp_gt_i32_e32 vcc_lo, 0, v43
	v_lshlrev_b32_e32 v45, 2, v25
	v_add_nc_u32_e32 v50, v87, v90
	s_delay_alu instid0(VALU_DEP_4) | instskip(SKIP_4) | instid1(VALU_DEP_3)
	v_xor_b32_e32 v3, v3, v46
	s_wait_alu 0xfffd
	v_cndmask_b32_e64 v4, 0x7fffffff, 0, vcc_lo
	v_cmp_gt_i32_e32 vcc_lo, 0, v44
	v_add_nc_u32_e32 v46, v45, v45
	v_xor_b32_e32 v4, v4, v43
	s_wait_alu 0xfffd
	v_cndmask_b32_e64 v5, 0x7fffffff, 0, vcc_lo
	v_cmp_gt_i32_e32 vcc_lo, 0, v41
	s_delay_alu instid0(VALU_DEP_2) | instskip(SKIP_3) | instid1(VALU_DEP_2)
	v_xor_b32_e32 v5, v5, v44
	s_wait_alu 0xfffd
	v_cndmask_b32_e64 v6, 0x7fffffff, 0, vcc_lo
	v_cmp_gt_i32_e32 vcc_lo, 0, v42
	v_xor_b32_e32 v6, v6, v41
	s_wait_alu 0xfffd
	v_cndmask_b32_e64 v24, 0x7fffffff, 0, vcc_lo
	s_delay_alu instid0(VALU_DEP_1)
	v_xor_b32_e32 v7, v24, v42
	ds_store_b128 v26, v[0:3]
	ds_store_b128 v26, v[4:7] offset:16
	v_add_nc_u32_e32 v0, v26, v26
	; wave barrier
	s_wait_dscnt 0x3
	ds_load_2addr_b32 v[36:37], v45 offset1:32
	ds_load_2addr_b32 v[38:39], v45 offset0:64 offset1:96
	ds_load_2addr_b32 v[41:42], v45 offset0:128 offset1:160
	;; [unrolled: 1-line block ×3, first 2 shown]
	s_wait_loadcnt_dscnt 0x0
	s_barrier_signal -1
	s_barrier_wait -1
	global_inv scope:SCOPE_SE
	ds_store_b128 v0, v[20:23]
	ds_store_b128 v0, v[16:19] offset:16
	ds_store_b128 v0, v[12:15] offset:32
	;; [unrolled: 1-line block ×3, first 2 shown]
	; wave barrier
	ds_load_2addr_b64 v[4:7], v46 offset1:32
	ds_load_2addr_b64 v[8:11], v46 offset0:64 offset1:96
	ds_load_2addr_b64 v[12:15], v46 offset0:128 offset1:160
	;; [unrolled: 1-line block ×3, first 2 shown]
	s_wait_loadcnt_dscnt 0x0
	s_barrier_signal -1
	s_barrier_wait -1
	global_inv scope:SCOPE_SE
	s_load_b32 s10, s[36:37], 0xc
	v_and_b32_e32 v2, 15, v91
	v_and_b32_e32 v3, 16, v91
	s_delay_alu instid0(VALU_DEP_2) | instskip(SKIP_1) | instid1(VALU_DEP_3)
	v_cmp_lt_u32_e64 s1, 1, v2
	v_cmp_lt_u32_e64 s12, 7, v2
	v_cmp_eq_u32_e64 s13, 0, v3
	s_wait_kmcnt 0x0
	s_lshr_b32 s11, s10, 16
	s_and_b32 s0, s10, 0xffff
	s_wait_alu 0xfffe
	v_mad_u32_u24 v0, v94, s11, v93
	v_sub_co_u32 v20, s10, v91, 1
	v_cmp_lt_u32_e64 s11, 3, v2
	s_delay_alu instid0(VALU_DEP_3) | instskip(SKIP_1) | instid1(VALU_DEP_4)
	v_mad_co_u64_u32 v[0:1], null, v0, s0, v[40:41]
	v_min_u32_e32 v1, 0x60, v92
	v_cmp_gt_i32_e32 vcc_lo, 0, v20
	v_cmp_eq_u32_e64 s0, 0, v2
	s_delay_alu instid0(VALU_DEP_3) | instskip(SKIP_3) | instid1(VALU_DEP_3)
	v_or_b32_e32 v1, 31, v1
	s_wait_alu 0xfffd
	v_cndmask_b32_e32 v2, v20, v91, vcc_lo
	v_lshrrev_b32_e32 v0, 3, v0
	v_cmp_eq_u32_e64 s14, v40, v1
	v_and_b32_e32 v1, 3, v91
	s_delay_alu instid0(VALU_DEP_4) | instskip(NEXT) | instid1(VALU_DEP_4)
	v_lshlrev_b32_e32 v47, 2, v2
	v_and_b32_e32 v49, 0x1ffffffc, v0
	s_delay_alu instid0(VALU_DEP_3)
	v_cmp_eq_u32_e64 s18, 0, v1
	v_cmp_lt_u32_e64 s19, 1, v1
	v_dual_mov_b32 v0, s24 :: v_dual_mov_b32 v1, s25
	v_dual_mov_b32 v2, s26 :: v_dual_mov_b32 v3, s27
	s_mov_b32 s25, 32
	s_branch .LBB217_81
.LBB217_80:                             ;   in Loop: Header=BB217_81 Depth=1
	s_wait_alu 0xfffe
	s_and_not1_b32 vcc_lo, exec_lo, s20
	s_wait_alu 0xfffe
	s_cbranch_vccz .LBB217_105
.LBB217_81:                             ; =>This Inner Loop Header: Depth=1
	s_wait_alu 0xfffe
	s_min_u32 s20, s21, s25
	ds_store_b128 v87, v[0:3] offset:16
	ds_store_b128 v87, v[0:3] offset:32
	s_wait_alu 0xfffe
	s_lshl_b32 s20, -1, s20
	s_wait_loadcnt_dscnt 0x0
	s_wait_alu 0xfffe
	s_not_b32 s26, s20
	v_mov_b32_e32 v51, v36
	s_barrier_signal -1
	s_barrier_wait -1
	global_inv scope:SCOPE_SE
	v_cmp_ne_u32_e32 vcc_lo, 0x80000000, v51
	; wave barrier
	v_mov_b32_e32 v53, v43
	v_mov_b32_e32 v55, v41
	s_wait_alu 0xfffd
	v_dual_mov_b32 v57, v38 :: v_dual_cndmask_b32 v20, 0x7fffffff, v51
	v_mov_b32_e32 v56, v39
	v_dual_mov_b32 v58, v37 :: v_dual_mov_b32 v31, v9
	v_mov_b32_e32 v30, v8
	s_delay_alu instid0(VALU_DEP_4) | instskip(SKIP_3) | instid1(VALU_DEP_3)
	v_lshrrev_b32_e32 v20, s24, v20
	v_dual_mov_b32 v33, v7 :: v_dual_mov_b32 v32, v6
	v_dual_mov_b32 v35, v5 :: v_dual_mov_b32 v34, v4
	s_wait_alu 0xfffe
	v_and_b32_e32 v36, s26, v20
	v_mov_b32_e32 v52, v44
	s_delay_alu instid0(VALU_DEP_2)
	v_dual_mov_b32 v54, v42 :: v_dual_lshlrev_b32 v23, 28, v36
	v_and_b32_e32 v20, 1, v36
	v_lshlrev_b32_e32 v21, 30, v36
	v_lshlrev_b32_e32 v22, 29, v36
	;; [unrolled: 1-line block ×4, first 2 shown]
	v_add_co_u32 v20, s20, v20, -1
	s_wait_alu 0xf1ff
	v_cndmask_b32_e64 v24, 0, 1, s20
	v_not_b32_e32 v28, v21
	v_cmp_gt_i32_e64 s20, 0, v21
	v_not_b32_e32 v21, v22
	v_lshlrev_b32_e32 v27, 25, v36
	v_cmp_ne_u32_e32 vcc_lo, 0, v24
	v_ashrrev_i32_e32 v28, 31, v28
	v_lshlrev_b32_e32 v24, 24, v36
	v_ashrrev_i32_e32 v21, 31, v21
	v_lshlrev_b32_e32 v4, 4, v36
	s_wait_alu 0xfffd
	v_xor_b32_e32 v20, vcc_lo, v20
	v_cmp_gt_i32_e32 vcc_lo, 0, v22
	v_not_b32_e32 v22, v23
	s_wait_alu 0xf1ff
	v_xor_b32_e32 v28, s20, v28
	v_cmp_gt_i32_e64 s20, 0, v23
	v_and_b32_e32 v20, exec_lo, v20
	v_not_b32_e32 v23, v25
	v_ashrrev_i32_e32 v22, 31, v22
	s_wait_alu 0xfffd
	v_xor_b32_e32 v21, vcc_lo, v21
	v_cmp_gt_i32_e32 vcc_lo, 0, v25
	v_and_b32_e32 v20, v20, v28
	v_not_b32_e32 v25, v26
	v_ashrrev_i32_e32 v23, 31, v23
	s_wait_alu 0xf1ff
	v_xor_b32_e32 v22, s20, v22
	v_cmp_gt_i32_e64 s20, 0, v26
	v_and_b32_e32 v20, v20, v21
	v_not_b32_e32 v21, v27
	v_ashrrev_i32_e32 v25, 31, v25
	s_wait_alu 0xfffd
	v_xor_b32_e32 v23, vcc_lo, v23
	v_cmp_gt_i32_e32 vcc_lo, 0, v27
	v_and_b32_e32 v20, v20, v22
	v_not_b32_e32 v22, v24
	v_ashrrev_i32_e32 v21, 31, v21
	s_wait_alu 0xf1ff
	v_xor_b32_e32 v25, s20, v25
	v_cmp_gt_i32_e64 s20, 0, v24
	v_and_b32_e32 v20, v20, v23
	v_ashrrev_i32_e32 v22, 31, v22
	s_wait_alu 0xfffd
	v_xor_b32_e32 v21, vcc_lo, v21
	v_dual_mov_b32 v27, v13 :: v_dual_mov_b32 v26, v12
	v_and_b32_e32 v20, v20, v25
	s_wait_alu 0xf1ff
	v_xor_b32_e32 v28, s20, v22
	v_dual_mov_b32 v25, v15 :: v_dual_mov_b32 v24, v14
	v_mov_b32_e32 v23, v17
	v_and_b32_e32 v29, v20, v21
	v_dual_mov_b32 v21, v19 :: v_dual_mov_b32 v20, v18
	v_dual_mov_b32 v22, v16 :: v_dual_add_nc_u32 v13, v49, v4
	s_delay_alu instid0(VALU_DEP_3) | instskip(SKIP_1) | instid1(VALU_DEP_2)
	v_dual_mov_b32 v29, v11 :: v_dual_and_b32 v14, v29, v28
	v_mov_b32_e32 v28, v10
	v_mbcnt_lo_u32_b32 v12, v14, 0
	v_cmp_ne_u32_e64 s20, 0, v14
	s_delay_alu instid0(VALU_DEP_2)
	v_cmp_eq_u32_e32 vcc_lo, 0, v12
	s_and_b32 s27, s20, vcc_lo
	s_wait_alu 0xfffe
	s_and_saveexec_b32 s20, s27
; %bb.82:                               ;   in Loop: Header=BB217_81 Depth=1
	v_bcnt_u32_b32 v4, v14, 0
	ds_store_b32 v13, v4 offset:16
; %bb.83:                               ;   in Loop: Header=BB217_81 Depth=1
	s_wait_alu 0xfffe
	s_or_b32 exec_lo, exec_lo, s20
	v_cmp_ne_u32_e32 vcc_lo, 0x80000000, v58
	; wave barrier
	s_wait_alu 0xfffd
	v_cndmask_b32_e32 v4, 0x7fffffff, v58, vcc_lo
	s_delay_alu instid0(VALU_DEP_1) | instskip(NEXT) | instid1(VALU_DEP_1)
	v_lshrrev_b32_e32 v4, s24, v4
	v_and_b32_e32 v4, s26, v4
	s_delay_alu instid0(VALU_DEP_1)
	v_and_b32_e32 v5, 1, v4
	v_lshlrev_b32_e32 v6, 30, v4
	v_lshlrev_b32_e32 v7, 29, v4
	;; [unrolled: 1-line block ×4, first 2 shown]
	v_add_co_u32 v5, s20, v5, -1
	s_wait_alu 0xf1ff
	v_cndmask_b32_e64 v9, 0, 1, s20
	v_not_b32_e32 v15, v6
	v_cmp_gt_i32_e64 s20, 0, v6
	v_not_b32_e32 v6, v7
	v_lshlrev_b32_e32 v11, 26, v4
	v_cmp_ne_u32_e32 vcc_lo, 0, v9
	v_ashrrev_i32_e32 v15, 31, v15
	v_lshlrev_b32_e32 v14, 25, v4
	v_ashrrev_i32_e32 v6, 31, v6
	v_lshlrev_b32_e32 v9, 24, v4
	s_wait_alu 0xfffd
	v_xor_b32_e32 v5, vcc_lo, v5
	v_cmp_gt_i32_e32 vcc_lo, 0, v7
	v_not_b32_e32 v7, v8
	s_wait_alu 0xf1ff
	v_xor_b32_e32 v15, s20, v15
	v_cmp_gt_i32_e64 s20, 0, v8
	v_and_b32_e32 v5, exec_lo, v5
	v_not_b32_e32 v8, v10
	v_ashrrev_i32_e32 v7, 31, v7
	s_wait_alu 0xfffd
	v_xor_b32_e32 v6, vcc_lo, v6
	v_cmp_gt_i32_e32 vcc_lo, 0, v10
	v_and_b32_e32 v5, v5, v15
	v_not_b32_e32 v10, v11
	v_ashrrev_i32_e32 v8, 31, v8
	s_wait_alu 0xf1ff
	v_xor_b32_e32 v7, s20, v7
	v_cmp_gt_i32_e64 s20, 0, v11
	v_and_b32_e32 v5, v5, v6
	v_not_b32_e32 v6, v14
	v_ashrrev_i32_e32 v10, 31, v10
	s_wait_alu 0xfffd
	v_xor_b32_e32 v8, vcc_lo, v8
	v_cmp_gt_i32_e32 vcc_lo, 0, v14
	v_and_b32_e32 v5, v5, v7
	v_not_b32_e32 v7, v9
	v_ashrrev_i32_e32 v6, 31, v6
	s_wait_alu 0xf1ff
	v_xor_b32_e32 v10, s20, v10
	v_lshlrev_b32_e32 v4, 4, v4
	v_and_b32_e32 v5, v5, v8
	v_cmp_gt_i32_e64 s20, 0, v9
	v_ashrrev_i32_e32 v7, 31, v7
	s_wait_alu 0xfffd
	v_xor_b32_e32 v6, vcc_lo, v6
	v_add_nc_u32_e32 v16, v49, v4
	v_and_b32_e32 v5, v5, v10
	s_wait_alu 0xf1ff
	v_xor_b32_e32 v4, s20, v7
	ds_load_b32 v14, v16 offset:16
	v_and_b32_e32 v5, v5, v6
	; wave barrier
	s_delay_alu instid0(VALU_DEP_1) | instskip(NEXT) | instid1(VALU_DEP_1)
	v_and_b32_e32 v4, v5, v4
	v_mbcnt_lo_u32_b32 v15, v4, 0
	v_cmp_ne_u32_e64 s20, 0, v4
	s_delay_alu instid0(VALU_DEP_2)
	v_cmp_eq_u32_e32 vcc_lo, 0, v15
	s_and_b32 s27, s20, vcc_lo
	s_wait_alu 0xfffe
	s_and_saveexec_b32 s20, s27
	s_cbranch_execz .LBB217_85
; %bb.84:                               ;   in Loop: Header=BB217_81 Depth=1
	s_wait_dscnt 0x0
	v_bcnt_u32_b32 v4, v4, v14
	ds_store_b32 v16, v4 offset:16
.LBB217_85:                             ;   in Loop: Header=BB217_81 Depth=1
	s_wait_alu 0xfffe
	s_or_b32 exec_lo, exec_lo, s20
	v_cmp_ne_u32_e32 vcc_lo, 0x80000000, v57
	; wave barrier
	s_wait_alu 0xfffd
	v_cndmask_b32_e32 v4, 0x7fffffff, v57, vcc_lo
	s_delay_alu instid0(VALU_DEP_1) | instskip(NEXT) | instid1(VALU_DEP_1)
	v_lshrrev_b32_e32 v4, s24, v4
	v_and_b32_e32 v4, s26, v4
	s_delay_alu instid0(VALU_DEP_1)
	v_and_b32_e32 v5, 1, v4
	v_lshlrev_b32_e32 v6, 30, v4
	v_lshlrev_b32_e32 v7, 29, v4
	;; [unrolled: 1-line block ×4, first 2 shown]
	v_add_co_u32 v5, s20, v5, -1
	s_wait_alu 0xf1ff
	v_cndmask_b32_e64 v9, 0, 1, s20
	v_not_b32_e32 v18, v6
	v_cmp_gt_i32_e64 s20, 0, v6
	v_not_b32_e32 v6, v7
	v_lshlrev_b32_e32 v11, 26, v4
	v_cmp_ne_u32_e32 vcc_lo, 0, v9
	v_ashrrev_i32_e32 v18, 31, v18
	v_lshlrev_b32_e32 v17, 25, v4
	v_ashrrev_i32_e32 v6, 31, v6
	v_lshlrev_b32_e32 v9, 24, v4
	s_wait_alu 0xfffd
	v_xor_b32_e32 v5, vcc_lo, v5
	v_cmp_gt_i32_e32 vcc_lo, 0, v7
	v_not_b32_e32 v7, v8
	s_wait_alu 0xf1ff
	v_xor_b32_e32 v18, s20, v18
	v_cmp_gt_i32_e64 s20, 0, v8
	v_and_b32_e32 v5, exec_lo, v5
	v_not_b32_e32 v8, v10
	v_ashrrev_i32_e32 v7, 31, v7
	s_wait_alu 0xfffd
	v_xor_b32_e32 v6, vcc_lo, v6
	v_cmp_gt_i32_e32 vcc_lo, 0, v10
	v_and_b32_e32 v5, v5, v18
	v_not_b32_e32 v10, v11
	v_ashrrev_i32_e32 v8, 31, v8
	s_wait_alu 0xf1ff
	v_xor_b32_e32 v7, s20, v7
	v_cmp_gt_i32_e64 s20, 0, v11
	v_and_b32_e32 v5, v5, v6
	v_not_b32_e32 v6, v17
	v_ashrrev_i32_e32 v10, 31, v10
	s_wait_alu 0xfffd
	v_xor_b32_e32 v8, vcc_lo, v8
	v_cmp_gt_i32_e32 vcc_lo, 0, v17
	v_and_b32_e32 v5, v5, v7
	v_not_b32_e32 v7, v9
	v_ashrrev_i32_e32 v6, 31, v6
	s_wait_alu 0xf1ff
	v_xor_b32_e32 v10, s20, v10
	v_lshlrev_b32_e32 v4, 4, v4
	v_and_b32_e32 v5, v5, v8
	v_cmp_gt_i32_e64 s20, 0, v9
	v_ashrrev_i32_e32 v7, 31, v7
	s_wait_alu 0xfffd
	v_xor_b32_e32 v6, vcc_lo, v6
	v_add_nc_u32_e32 v19, v49, v4
	v_and_b32_e32 v5, v5, v10
	s_wait_alu 0xf1ff
	v_xor_b32_e32 v4, s20, v7
	ds_load_b32 v17, v19 offset:16
	v_and_b32_e32 v5, v5, v6
	; wave barrier
	s_delay_alu instid0(VALU_DEP_1) | instskip(NEXT) | instid1(VALU_DEP_1)
	v_and_b32_e32 v4, v5, v4
	v_mbcnt_lo_u32_b32 v18, v4, 0
	v_cmp_ne_u32_e64 s20, 0, v4
	s_delay_alu instid0(VALU_DEP_2)
	v_cmp_eq_u32_e32 vcc_lo, 0, v18
	s_and_b32 s27, s20, vcc_lo
	s_wait_alu 0xfffe
	s_and_saveexec_b32 s20, s27
	s_cbranch_execz .LBB217_87
; %bb.86:                               ;   in Loop: Header=BB217_81 Depth=1
	s_wait_dscnt 0x0
	v_bcnt_u32_b32 v4, v4, v17
	ds_store_b32 v19, v4 offset:16
.LBB217_87:                             ;   in Loop: Header=BB217_81 Depth=1
	s_wait_alu 0xfffe
	s_or_b32 exec_lo, exec_lo, s20
	v_cmp_ne_u32_e32 vcc_lo, 0x80000000, v56
	; wave barrier
	s_wait_alu 0xfffd
	v_cndmask_b32_e32 v4, 0x7fffffff, v56, vcc_lo
	s_delay_alu instid0(VALU_DEP_1) | instskip(NEXT) | instid1(VALU_DEP_1)
	v_lshrrev_b32_e32 v4, s24, v4
	v_and_b32_e32 v4, s26, v4
	s_delay_alu instid0(VALU_DEP_1)
	v_and_b32_e32 v5, 1, v4
	v_lshlrev_b32_e32 v6, 30, v4
	v_lshlrev_b32_e32 v7, 29, v4
	;; [unrolled: 1-line block ×4, first 2 shown]
	v_add_co_u32 v5, s20, v5, -1
	s_wait_alu 0xf1ff
	v_cndmask_b32_e64 v9, 0, 1, s20
	v_not_b32_e32 v37, v6
	v_cmp_gt_i32_e64 s20, 0, v6
	v_not_b32_e32 v6, v7
	v_lshlrev_b32_e32 v11, 26, v4
	v_cmp_ne_u32_e32 vcc_lo, 0, v9
	v_ashrrev_i32_e32 v37, 31, v37
	v_lshlrev_b32_e32 v36, 25, v4
	v_ashrrev_i32_e32 v6, 31, v6
	v_lshlrev_b32_e32 v9, 24, v4
	s_wait_alu 0xfffd
	v_xor_b32_e32 v5, vcc_lo, v5
	v_cmp_gt_i32_e32 vcc_lo, 0, v7
	v_not_b32_e32 v7, v8
	s_wait_alu 0xf1ff
	v_xor_b32_e32 v37, s20, v37
	v_cmp_gt_i32_e64 s20, 0, v8
	v_and_b32_e32 v5, exec_lo, v5
	v_not_b32_e32 v8, v10
	v_ashrrev_i32_e32 v7, 31, v7
	s_wait_alu 0xfffd
	v_xor_b32_e32 v6, vcc_lo, v6
	v_cmp_gt_i32_e32 vcc_lo, 0, v10
	v_and_b32_e32 v5, v5, v37
	v_not_b32_e32 v10, v11
	v_ashrrev_i32_e32 v8, 31, v8
	s_wait_alu 0xf1ff
	v_xor_b32_e32 v7, s20, v7
	v_cmp_gt_i32_e64 s20, 0, v11
	v_and_b32_e32 v5, v5, v6
	v_not_b32_e32 v6, v36
	v_ashrrev_i32_e32 v10, 31, v10
	s_wait_alu 0xfffd
	v_xor_b32_e32 v8, vcc_lo, v8
	v_cmp_gt_i32_e32 vcc_lo, 0, v36
	v_and_b32_e32 v5, v5, v7
	v_not_b32_e32 v7, v9
	v_ashrrev_i32_e32 v6, 31, v6
	s_wait_alu 0xf1ff
	v_xor_b32_e32 v10, s20, v10
	v_lshlrev_b32_e32 v4, 4, v4
	v_and_b32_e32 v5, v5, v8
	v_cmp_gt_i32_e64 s20, 0, v9
	v_ashrrev_i32_e32 v7, 31, v7
	s_wait_alu 0xfffd
	v_xor_b32_e32 v6, vcc_lo, v6
	v_add_nc_u32_e32 v38, v49, v4
	v_and_b32_e32 v5, v5, v10
	s_wait_alu 0xf1ff
	v_xor_b32_e32 v4, s20, v7
	ds_load_b32 v36, v38 offset:16
	v_and_b32_e32 v5, v5, v6
	; wave barrier
	s_delay_alu instid0(VALU_DEP_1) | instskip(NEXT) | instid1(VALU_DEP_1)
	v_and_b32_e32 v4, v5, v4
	v_mbcnt_lo_u32_b32 v37, v4, 0
	v_cmp_ne_u32_e64 s20, 0, v4
	s_delay_alu instid0(VALU_DEP_2)
	v_cmp_eq_u32_e32 vcc_lo, 0, v37
	s_and_b32 s27, s20, vcc_lo
	s_wait_alu 0xfffe
	s_and_saveexec_b32 s20, s27
	s_cbranch_execz .LBB217_89
; %bb.88:                               ;   in Loop: Header=BB217_81 Depth=1
	s_wait_dscnt 0x0
	v_bcnt_u32_b32 v4, v4, v36
	ds_store_b32 v38, v4 offset:16
.LBB217_89:                             ;   in Loop: Header=BB217_81 Depth=1
	s_wait_alu 0xfffe
	s_or_b32 exec_lo, exec_lo, s20
	v_cmp_ne_u32_e32 vcc_lo, 0x80000000, v55
	; wave barrier
	s_wait_alu 0xfffd
	v_cndmask_b32_e32 v4, 0x7fffffff, v55, vcc_lo
	s_delay_alu instid0(VALU_DEP_1) | instskip(NEXT) | instid1(VALU_DEP_1)
	v_lshrrev_b32_e32 v4, s24, v4
	v_and_b32_e32 v4, s26, v4
	s_delay_alu instid0(VALU_DEP_1)
	v_and_b32_e32 v5, 1, v4
	v_lshlrev_b32_e32 v6, 30, v4
	v_lshlrev_b32_e32 v7, 29, v4
	;; [unrolled: 1-line block ×4, first 2 shown]
	v_add_co_u32 v5, s20, v5, -1
	s_wait_alu 0xf1ff
	v_cndmask_b32_e64 v9, 0, 1, s20
	v_not_b32_e32 v41, v6
	v_cmp_gt_i32_e64 s20, 0, v6
	v_not_b32_e32 v6, v7
	v_lshlrev_b32_e32 v11, 26, v4
	v_cmp_ne_u32_e32 vcc_lo, 0, v9
	v_ashrrev_i32_e32 v41, 31, v41
	v_lshlrev_b32_e32 v39, 25, v4
	v_ashrrev_i32_e32 v6, 31, v6
	v_lshlrev_b32_e32 v9, 24, v4
	s_wait_alu 0xfffd
	v_xor_b32_e32 v5, vcc_lo, v5
	v_cmp_gt_i32_e32 vcc_lo, 0, v7
	v_not_b32_e32 v7, v8
	s_wait_alu 0xf1ff
	v_xor_b32_e32 v41, s20, v41
	v_cmp_gt_i32_e64 s20, 0, v8
	v_and_b32_e32 v5, exec_lo, v5
	v_not_b32_e32 v8, v10
	v_ashrrev_i32_e32 v7, 31, v7
	s_wait_alu 0xfffd
	v_xor_b32_e32 v6, vcc_lo, v6
	v_cmp_gt_i32_e32 vcc_lo, 0, v10
	v_and_b32_e32 v5, v5, v41
	v_not_b32_e32 v10, v11
	v_ashrrev_i32_e32 v8, 31, v8
	s_wait_alu 0xf1ff
	v_xor_b32_e32 v7, s20, v7
	v_cmp_gt_i32_e64 s20, 0, v11
	v_and_b32_e32 v5, v5, v6
	v_not_b32_e32 v6, v39
	v_ashrrev_i32_e32 v10, 31, v10
	s_wait_alu 0xfffd
	v_xor_b32_e32 v8, vcc_lo, v8
	v_cmp_gt_i32_e32 vcc_lo, 0, v39
	v_and_b32_e32 v5, v5, v7
	v_not_b32_e32 v7, v9
	v_ashrrev_i32_e32 v6, 31, v6
	s_wait_alu 0xf1ff
	v_xor_b32_e32 v10, s20, v10
	v_lshlrev_b32_e32 v4, 4, v4
	v_and_b32_e32 v5, v5, v8
	v_cmp_gt_i32_e64 s20, 0, v9
	v_ashrrev_i32_e32 v7, 31, v7
	s_wait_alu 0xfffd
	v_xor_b32_e32 v6, vcc_lo, v6
	v_add_nc_u32_e32 v42, v49, v4
	v_and_b32_e32 v5, v5, v10
	s_wait_alu 0xf1ff
	v_xor_b32_e32 v4, s20, v7
	ds_load_b32 v39, v42 offset:16
	v_and_b32_e32 v5, v5, v6
	; wave barrier
	s_delay_alu instid0(VALU_DEP_1) | instskip(NEXT) | instid1(VALU_DEP_1)
	v_and_b32_e32 v4, v5, v4
	v_mbcnt_lo_u32_b32 v41, v4, 0
	v_cmp_ne_u32_e64 s20, 0, v4
	s_delay_alu instid0(VALU_DEP_2)
	v_cmp_eq_u32_e32 vcc_lo, 0, v41
	s_and_b32 s27, s20, vcc_lo
	s_wait_alu 0xfffe
	s_and_saveexec_b32 s20, s27
	s_cbranch_execz .LBB217_91
; %bb.90:                               ;   in Loop: Header=BB217_81 Depth=1
	s_wait_dscnt 0x0
	v_bcnt_u32_b32 v4, v4, v39
	ds_store_b32 v42, v4 offset:16
.LBB217_91:                             ;   in Loop: Header=BB217_81 Depth=1
	s_wait_alu 0xfffe
	s_or_b32 exec_lo, exec_lo, s20
	v_cmp_ne_u32_e32 vcc_lo, 0x80000000, v54
	; wave barrier
	s_wait_alu 0xfffd
	v_cndmask_b32_e32 v4, 0x7fffffff, v54, vcc_lo
	s_delay_alu instid0(VALU_DEP_1) | instskip(NEXT) | instid1(VALU_DEP_1)
	v_lshrrev_b32_e32 v4, s24, v4
	v_and_b32_e32 v4, s26, v4
	s_delay_alu instid0(VALU_DEP_1)
	v_and_b32_e32 v5, 1, v4
	v_lshlrev_b32_e32 v6, 30, v4
	v_lshlrev_b32_e32 v7, 29, v4
	;; [unrolled: 1-line block ×4, first 2 shown]
	v_add_co_u32 v5, s20, v5, -1
	s_wait_alu 0xf1ff
	v_cndmask_b32_e64 v9, 0, 1, s20
	v_not_b32_e32 v44, v6
	v_cmp_gt_i32_e64 s20, 0, v6
	v_not_b32_e32 v6, v7
	v_lshlrev_b32_e32 v11, 26, v4
	v_cmp_ne_u32_e32 vcc_lo, 0, v9
	v_ashrrev_i32_e32 v44, 31, v44
	v_lshlrev_b32_e32 v43, 25, v4
	v_ashrrev_i32_e32 v6, 31, v6
	v_lshlrev_b32_e32 v9, 24, v4
	s_wait_alu 0xfffd
	v_xor_b32_e32 v5, vcc_lo, v5
	v_cmp_gt_i32_e32 vcc_lo, 0, v7
	v_not_b32_e32 v7, v8
	s_wait_alu 0xf1ff
	v_xor_b32_e32 v44, s20, v44
	v_cmp_gt_i32_e64 s20, 0, v8
	v_and_b32_e32 v5, exec_lo, v5
	v_not_b32_e32 v8, v10
	v_ashrrev_i32_e32 v7, 31, v7
	s_wait_alu 0xfffd
	v_xor_b32_e32 v6, vcc_lo, v6
	v_cmp_gt_i32_e32 vcc_lo, 0, v10
	v_and_b32_e32 v5, v5, v44
	v_not_b32_e32 v10, v11
	v_ashrrev_i32_e32 v8, 31, v8
	s_wait_alu 0xf1ff
	v_xor_b32_e32 v7, s20, v7
	v_cmp_gt_i32_e64 s20, 0, v11
	v_and_b32_e32 v5, v5, v6
	v_not_b32_e32 v6, v43
	v_ashrrev_i32_e32 v10, 31, v10
	s_wait_alu 0xfffd
	v_xor_b32_e32 v8, vcc_lo, v8
	v_cmp_gt_i32_e32 vcc_lo, 0, v43
	v_and_b32_e32 v5, v5, v7
	v_not_b32_e32 v7, v9
	v_ashrrev_i32_e32 v6, 31, v6
	s_wait_alu 0xf1ff
	v_xor_b32_e32 v10, s20, v10
	v_lshlrev_b32_e32 v4, 4, v4
	v_and_b32_e32 v5, v5, v8
	v_cmp_gt_i32_e64 s20, 0, v9
	v_ashrrev_i32_e32 v7, 31, v7
	s_wait_alu 0xfffd
	v_xor_b32_e32 v6, vcc_lo, v6
	v_add_nc_u32_e32 v44, v49, v4
	v_and_b32_e32 v5, v5, v10
	s_wait_alu 0xf1ff
	v_xor_b32_e32 v4, s20, v7
	ds_load_b32 v43, v44 offset:16
	v_and_b32_e32 v5, v5, v6
	; wave barrier
	s_delay_alu instid0(VALU_DEP_1) | instskip(NEXT) | instid1(VALU_DEP_1)
	v_and_b32_e32 v4, v5, v4
	v_mbcnt_lo_u32_b32 v59, v4, 0
	v_cmp_ne_u32_e64 s20, 0, v4
	s_delay_alu instid0(VALU_DEP_2)
	v_cmp_eq_u32_e32 vcc_lo, 0, v59
	s_and_b32 s27, s20, vcc_lo
	s_wait_alu 0xfffe
	s_and_saveexec_b32 s20, s27
	s_cbranch_execz .LBB217_93
; %bb.92:                               ;   in Loop: Header=BB217_81 Depth=1
	s_wait_dscnt 0x0
	v_bcnt_u32_b32 v4, v4, v43
	ds_store_b32 v44, v4 offset:16
.LBB217_93:                             ;   in Loop: Header=BB217_81 Depth=1
	s_wait_alu 0xfffe
	s_or_b32 exec_lo, exec_lo, s20
	v_cmp_ne_u32_e32 vcc_lo, 0x80000000, v53
	; wave barrier
	s_wait_alu 0xfffd
	v_cndmask_b32_e32 v4, 0x7fffffff, v53, vcc_lo
	s_delay_alu instid0(VALU_DEP_1) | instskip(NEXT) | instid1(VALU_DEP_1)
	v_lshrrev_b32_e32 v4, s24, v4
	v_and_b32_e32 v4, s26, v4
	s_delay_alu instid0(VALU_DEP_1)
	v_and_b32_e32 v5, 1, v4
	v_lshlrev_b32_e32 v6, 30, v4
	v_lshlrev_b32_e32 v7, 29, v4
	;; [unrolled: 1-line block ×4, first 2 shown]
	v_add_co_u32 v5, s20, v5, -1
	s_wait_alu 0xf1ff
	v_cndmask_b32_e64 v9, 0, 1, s20
	v_not_b32_e32 v61, v6
	v_cmp_gt_i32_e64 s20, 0, v6
	v_not_b32_e32 v6, v7
	v_lshlrev_b32_e32 v11, 26, v4
	v_cmp_ne_u32_e32 vcc_lo, 0, v9
	v_ashrrev_i32_e32 v61, 31, v61
	v_lshlrev_b32_e32 v60, 25, v4
	v_ashrrev_i32_e32 v6, 31, v6
	v_lshlrev_b32_e32 v9, 24, v4
	s_wait_alu 0xfffd
	v_xor_b32_e32 v5, vcc_lo, v5
	v_cmp_gt_i32_e32 vcc_lo, 0, v7
	v_not_b32_e32 v7, v8
	s_wait_alu 0xf1ff
	v_xor_b32_e32 v61, s20, v61
	v_cmp_gt_i32_e64 s20, 0, v8
	v_and_b32_e32 v5, exec_lo, v5
	v_not_b32_e32 v8, v10
	v_ashrrev_i32_e32 v7, 31, v7
	s_wait_alu 0xfffd
	v_xor_b32_e32 v6, vcc_lo, v6
	v_cmp_gt_i32_e32 vcc_lo, 0, v10
	v_and_b32_e32 v5, v5, v61
	v_not_b32_e32 v10, v11
	v_ashrrev_i32_e32 v8, 31, v8
	s_wait_alu 0xf1ff
	v_xor_b32_e32 v7, s20, v7
	v_cmp_gt_i32_e64 s20, 0, v11
	v_and_b32_e32 v5, v5, v6
	v_not_b32_e32 v6, v60
	v_ashrrev_i32_e32 v10, 31, v10
	s_wait_alu 0xfffd
	v_xor_b32_e32 v8, vcc_lo, v8
	v_cmp_gt_i32_e32 vcc_lo, 0, v60
	v_and_b32_e32 v5, v5, v7
	v_not_b32_e32 v7, v9
	v_ashrrev_i32_e32 v6, 31, v6
	s_wait_alu 0xf1ff
	v_xor_b32_e32 v10, s20, v10
	v_lshlrev_b32_e32 v4, 4, v4
	v_and_b32_e32 v5, v5, v8
	v_cmp_gt_i32_e64 s20, 0, v9
	v_ashrrev_i32_e32 v7, 31, v7
	s_wait_alu 0xfffd
	v_xor_b32_e32 v6, vcc_lo, v6
	v_add_nc_u32_e32 v61, v49, v4
	v_and_b32_e32 v5, v5, v10
	s_wait_alu 0xf1ff
	v_xor_b32_e32 v4, s20, v7
	ds_load_b32 v60, v61 offset:16
	v_and_b32_e32 v5, v5, v6
	; wave barrier
	s_delay_alu instid0(VALU_DEP_1) | instskip(NEXT) | instid1(VALU_DEP_1)
	v_and_b32_e32 v4, v5, v4
	v_mbcnt_lo_u32_b32 v62, v4, 0
	v_cmp_ne_u32_e64 s20, 0, v4
	s_delay_alu instid0(VALU_DEP_2)
	v_cmp_eq_u32_e32 vcc_lo, 0, v62
	s_and_b32 s27, s20, vcc_lo
	s_wait_alu 0xfffe
	s_and_saveexec_b32 s20, s27
	s_cbranch_execz .LBB217_95
; %bb.94:                               ;   in Loop: Header=BB217_81 Depth=1
	s_wait_dscnt 0x0
	v_bcnt_u32_b32 v4, v4, v60
	ds_store_b32 v61, v4 offset:16
.LBB217_95:                             ;   in Loop: Header=BB217_81 Depth=1
	s_wait_alu 0xfffe
	s_or_b32 exec_lo, exec_lo, s20
	v_cmp_ne_u32_e32 vcc_lo, 0x80000000, v52
	; wave barrier
	s_wait_alu 0xfffd
	v_cndmask_b32_e32 v4, 0x7fffffff, v52, vcc_lo
	s_delay_alu instid0(VALU_DEP_1) | instskip(NEXT) | instid1(VALU_DEP_1)
	v_lshrrev_b32_e32 v4, s24, v4
	v_and_b32_e32 v4, s26, v4
	s_delay_alu instid0(VALU_DEP_1)
	v_and_b32_e32 v5, 1, v4
	v_lshlrev_b32_e32 v6, 30, v4
	v_lshlrev_b32_e32 v7, 29, v4
	;; [unrolled: 1-line block ×4, first 2 shown]
	v_add_co_u32 v5, s20, v5, -1
	s_wait_alu 0xf1ff
	v_cndmask_b32_e64 v9, 0, 1, s20
	v_not_b32_e32 v64, v6
	v_cmp_gt_i32_e64 s20, 0, v6
	v_not_b32_e32 v6, v7
	v_lshlrev_b32_e32 v11, 26, v4
	v_cmp_ne_u32_e32 vcc_lo, 0, v9
	v_ashrrev_i32_e32 v64, 31, v64
	v_lshlrev_b32_e32 v63, 25, v4
	v_ashrrev_i32_e32 v6, 31, v6
	v_lshlrev_b32_e32 v9, 24, v4
	s_wait_alu 0xfffd
	v_xor_b32_e32 v5, vcc_lo, v5
	v_cmp_gt_i32_e32 vcc_lo, 0, v7
	v_not_b32_e32 v7, v8
	s_wait_alu 0xf1ff
	v_xor_b32_e32 v64, s20, v64
	v_cmp_gt_i32_e64 s20, 0, v8
	v_and_b32_e32 v5, exec_lo, v5
	v_not_b32_e32 v8, v10
	v_ashrrev_i32_e32 v7, 31, v7
	s_wait_alu 0xfffd
	v_xor_b32_e32 v6, vcc_lo, v6
	v_cmp_gt_i32_e32 vcc_lo, 0, v10
	v_and_b32_e32 v5, v5, v64
	v_not_b32_e32 v10, v11
	v_ashrrev_i32_e32 v8, 31, v8
	s_wait_alu 0xf1ff
	v_xor_b32_e32 v7, s20, v7
	v_cmp_gt_i32_e64 s20, 0, v11
	v_and_b32_e32 v5, v5, v6
	v_not_b32_e32 v6, v63
	v_ashrrev_i32_e32 v10, 31, v10
	s_wait_alu 0xfffd
	v_xor_b32_e32 v8, vcc_lo, v8
	v_cmp_gt_i32_e32 vcc_lo, 0, v63
	v_and_b32_e32 v5, v5, v7
	v_not_b32_e32 v7, v9
	v_ashrrev_i32_e32 v6, 31, v6
	s_wait_alu 0xf1ff
	v_xor_b32_e32 v10, s20, v10
	v_lshlrev_b32_e32 v4, 4, v4
	v_and_b32_e32 v5, v5, v8
	v_cmp_gt_i32_e64 s20, 0, v9
	v_ashrrev_i32_e32 v7, 31, v7
	s_wait_alu 0xfffd
	v_xor_b32_e32 v6, vcc_lo, v6
	v_add_nc_u32_e32 v63, v49, v4
	v_and_b32_e32 v5, v5, v10
	s_wait_alu 0xf1ff
	v_xor_b32_e32 v4, s20, v7
	ds_load_b32 v68, v63 offset:16
	v_and_b32_e32 v5, v5, v6
	; wave barrier
	s_delay_alu instid0(VALU_DEP_1) | instskip(NEXT) | instid1(VALU_DEP_1)
	v_and_b32_e32 v4, v5, v4
	v_mbcnt_lo_u32_b32 v89, v4, 0
	v_cmp_ne_u32_e64 s20, 0, v4
	s_delay_alu instid0(VALU_DEP_2)
	v_cmp_eq_u32_e32 vcc_lo, 0, v89
	s_and_b32 s26, s20, vcc_lo
	s_wait_alu 0xfffe
	s_and_saveexec_b32 s20, s26
	s_cbranch_execz .LBB217_97
; %bb.96:                               ;   in Loop: Header=BB217_81 Depth=1
	s_wait_dscnt 0x0
	v_bcnt_u32_b32 v4, v4, v68
	ds_store_b32 v63, v4 offset:16
.LBB217_97:                             ;   in Loop: Header=BB217_81 Depth=1
	s_wait_alu 0xfffe
	s_or_b32 exec_lo, exec_lo, s20
	; wave barrier
	s_wait_loadcnt_dscnt 0x0
	s_barrier_signal -1
	s_barrier_wait -1
	global_inv scope:SCOPE_SE
	ds_load_b128 v[8:11], v87 offset:16
	ds_load_b128 v[4:7], v87 offset:32
	s_wait_dscnt 0x1
	v_add_nc_u32_e32 v64, v9, v8
	s_delay_alu instid0(VALU_DEP_1) | instskip(SKIP_1) | instid1(VALU_DEP_1)
	v_add3_u32 v64, v64, v10, v11
	s_wait_dscnt 0x0
	v_add3_u32 v64, v64, v4, v5
	s_delay_alu instid0(VALU_DEP_1) | instskip(NEXT) | instid1(VALU_DEP_1)
	v_add3_u32 v7, v64, v6, v7
	v_mov_b32_dpp v64, v7 row_shr:1 row_mask:0xf bank_mask:0xf
	s_delay_alu instid0(VALU_DEP_1) | instskip(NEXT) | instid1(VALU_DEP_1)
	v_cndmask_b32_e64 v64, v64, 0, s0
	v_add_nc_u32_e32 v7, v64, v7
	s_delay_alu instid0(VALU_DEP_1) | instskip(NEXT) | instid1(VALU_DEP_1)
	v_mov_b32_dpp v64, v7 row_shr:2 row_mask:0xf bank_mask:0xf
	v_cndmask_b32_e64 v64, 0, v64, s1
	s_delay_alu instid0(VALU_DEP_1) | instskip(NEXT) | instid1(VALU_DEP_1)
	v_add_nc_u32_e32 v7, v7, v64
	v_mov_b32_dpp v64, v7 row_shr:4 row_mask:0xf bank_mask:0xf
	s_delay_alu instid0(VALU_DEP_1) | instskip(NEXT) | instid1(VALU_DEP_1)
	v_cndmask_b32_e64 v64, 0, v64, s11
	v_add_nc_u32_e32 v7, v7, v64
	s_delay_alu instid0(VALU_DEP_1) | instskip(NEXT) | instid1(VALU_DEP_1)
	v_mov_b32_dpp v64, v7 row_shr:8 row_mask:0xf bank_mask:0xf
	v_cndmask_b32_e64 v64, 0, v64, s12
	s_delay_alu instid0(VALU_DEP_1) | instskip(SKIP_3) | instid1(VALU_DEP_1)
	v_add_nc_u32_e32 v7, v7, v64
	ds_swizzle_b32 v64, v7 offset:swizzle(BROADCAST,32,15)
	s_wait_dscnt 0x0
	v_cndmask_b32_e64 v64, v64, 0, s13
	v_add_nc_u32_e32 v7, v7, v64
	s_and_saveexec_b32 s20, s14
; %bb.98:                               ;   in Loop: Header=BB217_81 Depth=1
	ds_store_b32 v88, v7
; %bb.99:                               ;   in Loop: Header=BB217_81 Depth=1
	s_wait_alu 0xfffe
	s_or_b32 exec_lo, exec_lo, s20
	s_wait_loadcnt_dscnt 0x0
	s_barrier_signal -1
	s_barrier_wait -1
	global_inv scope:SCOPE_SE
	s_and_saveexec_b32 s20, s15
	s_cbranch_execz .LBB217_101
; %bb.100:                              ;   in Loop: Header=BB217_81 Depth=1
	ds_load_b32 v64, v50
	s_wait_dscnt 0x0
	v_mov_b32_dpp v65, v64 row_shr:1 row_mask:0xf bank_mask:0xf
	s_delay_alu instid0(VALU_DEP_1) | instskip(NEXT) | instid1(VALU_DEP_1)
	v_cndmask_b32_e64 v65, v65, 0, s18
	v_add_nc_u32_e32 v64, v65, v64
	s_delay_alu instid0(VALU_DEP_1) | instskip(NEXT) | instid1(VALU_DEP_1)
	v_mov_b32_dpp v65, v64 row_shr:2 row_mask:0xf bank_mask:0xf
	v_cndmask_b32_e64 v65, 0, v65, s19
	s_delay_alu instid0(VALU_DEP_1)
	v_add_nc_u32_e32 v64, v64, v65
	ds_store_b32 v50, v64
.LBB217_101:                            ;   in Loop: Header=BB217_81 Depth=1
	s_wait_alu 0xfffe
	s_or_b32 exec_lo, exec_lo, s20
	v_mov_b32_e32 v64, 0
	s_wait_loadcnt_dscnt 0x0
	s_barrier_signal -1
	s_barrier_wait -1
	global_inv scope:SCOPE_SE
	s_and_saveexec_b32 s20, s16
; %bb.102:                              ;   in Loop: Header=BB217_81 Depth=1
	ds_load_b32 v64, v48
; %bb.103:                              ;   in Loop: Header=BB217_81 Depth=1
	s_wait_alu 0xfffe
	s_or_b32 exec_lo, exec_lo, s20
	s_wait_dscnt 0x0
	v_add_nc_u32_e32 v7, v64, v7
	s_cmp_gt_u32 s24, 23
	s_mov_b32 s20, -1
	ds_bpermute_b32 v7, v47, v7
	s_wait_dscnt 0x0
	v_cndmask_b32_e64 v7, v7, v64, s10
	s_delay_alu instid0(VALU_DEP_1) | instskip(NEXT) | instid1(VALU_DEP_1)
	v_cndmask_b32_e64 v7, v7, 0, s17
	v_add_nc_u32_e32 v8, v7, v8
	s_delay_alu instid0(VALU_DEP_1) | instskip(NEXT) | instid1(VALU_DEP_1)
	v_add_nc_u32_e32 v9, v8, v9
	v_add_nc_u32_e32 v10, v9, v10
	s_delay_alu instid0(VALU_DEP_1) | instskip(NEXT) | instid1(VALU_DEP_1)
	v_add_nc_u32_e32 v64, v10, v11
	;; [unrolled: 3-line block ×3, first 2 shown]
	v_add_nc_u32_e32 v67, v66, v6
	ds_store_b128 v87, v[7:10] offset:16
	ds_store_b128 v87, v[64:67] offset:32
	s_wait_loadcnt_dscnt 0x0
	s_barrier_signal -1
	s_barrier_wait -1
	global_inv scope:SCOPE_SE
	ds_load_b32 v4, v13 offset:16
	ds_load_b32 v5, v16 offset:16
	;; [unrolled: 1-line block ×8, first 2 shown]
	s_wait_dscnt 0x7
	v_add_nc_u32_e32 v67, v4, v12
	s_wait_dscnt 0x6
	v_add3_u32 v66, v15, v14, v5
	s_wait_dscnt 0x5
	v_add3_u32 v65, v18, v17, v6
	;; [unrolled: 2-line block ×7, first 2 shown]
                                        ; implicit-def: $vgpr44
                                        ; implicit-def: $vgpr42
                                        ; implicit-def: $vgpr39
                                        ; implicit-def: $vgpr37
                                        ; implicit-def: $vgpr18_vgpr19
                                        ; implicit-def: $vgpr14_vgpr15
                                        ; implicit-def: $vgpr10_vgpr11
                                        ; implicit-def: $vgpr6_vgpr7
	s_cbranch_scc1 .LBB217_80
; %bb.104:                              ;   in Loop: Header=BB217_81 Depth=1
	v_lshlrev_b32_e32 v4, 2, v67
	v_lshlrev_b32_e32 v5, 2, v66
	v_lshlrev_b32_e32 v6, 2, v65
	s_wait_loadcnt 0x0
	s_barrier_signal -1
	s_barrier_wait -1
	global_inv scope:SCOPE_SE
	ds_store_b32 v4, v51
	ds_store_b32 v5, v58
	;; [unrolled: 1-line block ×3, first 2 shown]
	v_lshlrev_b32_e32 v7, 2, v64
	v_add_nc_u32_e32 v4, v4, v4
	v_lshlrev_b32_e32 v8, 2, v63
	v_add_nc_u32_e32 v5, v5, v5
	;; [unrolled: 2-line block ×3, first 2 shown]
	v_lshlrev_b32_e32 v10, 2, v60
	v_lshlrev_b32_e32 v11, 2, v59
	ds_store_b32 v7, v56
	ds_store_b32 v8, v55
	;; [unrolled: 1-line block ×5, first 2 shown]
	s_wait_loadcnt_dscnt 0x0
	s_barrier_signal -1
	s_barrier_wait -1
	global_inv scope:SCOPE_SE
	ds_load_2addr_b32 v[36:37], v45 offset1:32
	ds_load_2addr_b32 v[38:39], v45 offset0:64 offset1:96
	ds_load_2addr_b32 v[41:42], v45 offset0:128 offset1:160
	;; [unrolled: 1-line block ×3, first 2 shown]
	s_wait_loadcnt_dscnt 0x0
	s_barrier_signal -1
	s_barrier_wait -1
	global_inv scope:SCOPE_SE
	ds_store_b64 v4, v[34:35]
	ds_store_b64 v5, v[32:33]
	;; [unrolled: 1-line block ×3, first 2 shown]
	v_add_nc_u32_e32 v4, v7, v7
	v_add_nc_u32_e32 v5, v8, v8
	;; [unrolled: 1-line block ×5, first 2 shown]
	ds_store_b64 v4, v[28:29]
	ds_store_b64 v5, v[26:27]
	;; [unrolled: 1-line block ×5, first 2 shown]
	s_wait_loadcnt_dscnt 0x0
	s_barrier_signal -1
	s_barrier_wait -1
	global_inv scope:SCOPE_SE
	ds_load_2addr_b64 v[4:7], v46 offset1:32
	ds_load_2addr_b64 v[8:11], v46 offset0:64 offset1:96
	ds_load_2addr_b64 v[12:15], v46 offset0:128 offset1:160
	ds_load_2addr_b64 v[16:19], v46 offset0:192 offset1:224
	s_add_co_i32 s24, s24, 8
	s_add_co_i32 s25, s25, -8
	s_mov_b32 s20, 0
	s_wait_loadcnt_dscnt 0x0
	s_barrier_signal -1
	s_barrier_wait -1
	global_inv scope:SCOPE_SE
	s_branch .LBB217_80
.LBB217_105:
	v_lshlrev_b32_e32 v8, 2, v67
	v_lshlrev_b32_e32 v11, 2, v64
	v_lshlrev_b32_e32 v9, 2, v66
	v_lshlrev_b32_e32 v12, 2, v63
	v_lshlrev_b32_e32 v10, 2, v65
	v_lshlrev_b32_e32 v13, 2, v61
	v_lshlrev_b32_e32 v14, 2, v60
	v_lshlrev_b32_e32 v15, 2, v59
	s_wait_loadcnt 0x0
	s_barrier_signal -1
	s_barrier_wait -1
	global_inv scope:SCOPE_SE
	ds_store_b32 v8, v51
	ds_store_b32 v9, v58
	ds_store_b32 v10, v57
	ds_store_b32 v11, v56
	ds_store_b32 v12, v55
	ds_store_b32 v13, v54
	ds_store_b32 v14, v53
	ds_store_b32 v15, v52
	s_wait_loadcnt_dscnt 0x0
	s_barrier_signal -1
	s_barrier_wait -1
	global_inv scope:SCOPE_SE
	ds_load_b128 v[0:3], v87
	ds_load_b128 v[4:7], v87 offset:16
	v_add_nc_u32_e32 v8, v8, v8
	v_add_nc_u32_e32 v9, v9, v9
	;; [unrolled: 1-line block ×3, first 2 shown]
	s_wait_loadcnt_dscnt 0x0
	s_barrier_signal -1
	s_barrier_wait -1
	global_inv scope:SCOPE_SE
	ds_store_b64 v8, v[34:35]
	ds_store_b64 v9, v[32:33]
	;; [unrolled: 1-line block ×3, first 2 shown]
	v_add_nc_u32_e32 v8, v11, v11
	v_add_nc_u32_e32 v9, v12, v12
	;; [unrolled: 1-line block ×5, first 2 shown]
	ds_store_b64 v8, v[28:29]
	ds_store_b64 v9, v[26:27]
	;; [unrolled: 1-line block ×5, first 2 shown]
	v_lshl_add_u32 v8, v40, 5, v87
	s_wait_loadcnt_dscnt 0x0
	s_barrier_signal -1
	s_barrier_wait -1
	v_cmp_gt_i32_e32 vcc_lo, 0, v0
	global_inv scope:SCOPE_SE
	ds_load_b128 v[28:31], v8
	ds_load_b128 v[24:27], v8 offset:16
	ds_load_b128 v[36:39], v8 offset:32
	;; [unrolled: 1-line block ×3, first 2 shown]
	s_wait_alu 0xfffd
	v_cndmask_b32_e64 v9, 0x7fffffff, 0, vcc_lo
	v_cmp_gt_i32_e32 vcc_lo, 0, v1
	s_delay_alu instid0(VALU_DEP_2) | instskip(SKIP_3) | instid1(VALU_DEP_2)
	v_xor_b32_e32 v0, v9, v0
	s_wait_alu 0xfffd
	v_cndmask_b32_e64 v10, 0x7fffffff, 0, vcc_lo
	v_cmp_gt_i32_e32 vcc_lo, 0, v2
	v_xor_b32_e32 v1, v10, v1
	s_wait_alu 0xfffd
	v_cndmask_b32_e64 v11, 0x7fffffff, 0, vcc_lo
	v_cmp_gt_i32_e32 vcc_lo, 0, v3
	s_delay_alu instid0(VALU_DEP_2) | instskip(SKIP_3) | instid1(VALU_DEP_2)
	v_xor_b32_e32 v2, v11, v2
	s_wait_alu 0xfffd
	v_cndmask_b32_e64 v8, 0x7fffffff, 0, vcc_lo
	v_cmp_gt_i32_e32 vcc_lo, 0, v4
	v_xor_b32_e32 v3, v8, v3
	;; [unrolled: 9-line block ×3, first 2 shown]
	s_wait_alu 0xfffd
	v_cndmask_b32_e64 v11, 0x7fffffff, 0, vcc_lo
	v_cmp_gt_i32_e32 vcc_lo, 0, v7
	s_delay_alu instid0(VALU_DEP_2) | instskip(SKIP_2) | instid1(VALU_DEP_1)
	v_xor_b32_e32 v6, v11, v6
	s_wait_alu 0xfffd
	v_cndmask_b32_e64 v12, 0x7fffffff, 0, vcc_lo
	v_xor_b32_e32 v7, v12, v7
.LBB217_106:
	v_mad_co_u64_u32 v[9:10], null, s22, v40, 0
	s_wait_loadcnt_dscnt 0x0
	s_barrier_signal -1
	s_barrier_wait -1
	global_inv scope:SCOPE_SE
	ds_store_2addr_b32 v77, v0, v1 offset1:1
	ds_store_2addr_b32 v77, v2, v3 offset0:2 offset1:3
	ds_store_2addr_b32 v77, v4, v5 offset0:4 offset1:5
	;; [unrolled: 1-line block ×3, first 2 shown]
	s_wait_loadcnt_dscnt 0x0
	v_mov_b32_e32 v0, v10
	s_barrier_signal -1
	s_barrier_wait -1
	global_inv scope:SCOPE_SE
	ds_load_b32 v8, v70 offset:512
	ds_load_b32 v7, v71 offset:1024
	ds_load_b32 v6, v72 offset:1536
	ds_load_b32 v5, v73 offset:2048
	ds_load_b32 v4, v74 offset:2560
	ds_load_b32 v3, v75 offset:3072
	ds_load_b32 v2, v76 offset:3584
	v_mad_co_u64_u32 v[0:1], null, s23, v40, v[0:1]
	s_delay_alu instid0(VALU_DEP_1) | instskip(NEXT) | instid1(VALU_DEP_1)
	v_mov_b32_e32 v10, v0
	v_lshlrev_b64_e32 v[0:1], 2, v[9:10]
	s_delay_alu instid0(VALU_DEP_1) | instskip(SKIP_1) | instid1(VALU_DEP_2)
	v_add_co_u32 v0, vcc_lo, s30, v0
	s_wait_alu 0xfffd
	v_add_co_ci_u32_e64 v1, null, s31, v1, vcc_lo
	s_and_saveexec_b32 s0, s2
	s_cbranch_execnz .LBB217_125
; %bb.107:
	s_wait_alu 0xfffe
	s_or_b32 exec_lo, exec_lo, s0
	s_and_saveexec_b32 s0, s3
	s_cbranch_execnz .LBB217_126
.LBB217_108:
	s_wait_alu 0xfffe
	s_or_b32 exec_lo, exec_lo, s0
	s_and_saveexec_b32 s0, s4
	s_cbranch_execnz .LBB217_127
.LBB217_109:
	s_wait_alu 0xfffe
	s_or_b32 exec_lo, exec_lo, s0
	s_and_saveexec_b32 s0, s5
	s_cbranch_execnz .LBB217_128
.LBB217_110:
	s_wait_alu 0xfffe
	s_or_b32 exec_lo, exec_lo, s0
	s_and_saveexec_b32 s0, s6
	s_cbranch_execnz .LBB217_129
.LBB217_111:
	s_wait_alu 0xfffe
	s_or_b32 exec_lo, exec_lo, s0
	s_and_saveexec_b32 s0, s7
	s_cbranch_execnz .LBB217_130
.LBB217_112:
	s_wait_alu 0xfffe
	s_or_b32 exec_lo, exec_lo, s0
	s_and_saveexec_b32 s0, s8
	s_cbranch_execnz .LBB217_131
.LBB217_113:
	s_wait_alu 0xfffe
	s_or_b32 exec_lo, exec_lo, s0
	s_and_saveexec_b32 s0, s9
	s_cbranch_execz .LBB217_115
.LBB217_114:
	v_mad_co_u64_u32 v[0:1], null, 0xe00, s22, v[0:1]
	s_wait_dscnt 0x0
	s_delay_alu instid0(VALU_DEP_1) | instskip(NEXT) | instid1(VALU_DEP_1)
	v_mad_co_u64_u32 v[3:4], null, 0xe00, s23, v[1:2]
	v_mov_b32_e32 v1, v3
	global_store_b32 v[0:1], v2, off
.LBB217_115:
	s_wait_alu 0xfffe
	s_or_b32 exec_lo, exec_lo, s0
	s_wait_dscnt 0x0
	v_mad_co_u64_u32 v[2:3], null, s28, v40, 0
	s_wait_loadcnt 0x0
	s_wait_storecnt 0x0
	s_barrier_signal -1
	s_barrier_wait -1
	global_inv scope:SCOPE_SE
	ds_store_2addr_b64 v86, v[28:29], v[30:31] offset1:1
	ds_store_2addr_b64 v86, v[24:25], v[26:27] offset0:2 offset1:3
	ds_store_2addr_b64 v86, v[36:37], v[38:39] offset0:4 offset1:5
	;; [unrolled: 1-line block ×3, first 2 shown]
	s_wait_loadcnt_dscnt 0x0
	v_mov_b32_e32 v0, v3
	s_barrier_signal -1
	s_barrier_wait -1
	global_inv scope:SCOPE_SE
	v_mad_co_u64_u32 v[3:4], null, s29, v40, v[0:1]
	ds_load_b64 v[14:15], v79 offset:1024
	ds_load_b64 v[12:13], v80 offset:2048
	ds_load_b64 v[10:11], v81 offset:3072
	ds_load_b64 v[8:9], v82 offset:4096
	ds_load_b64 v[6:7], v83 offset:5120
	ds_load_b64 v[4:5], v84 offset:6144
	ds_load_b64 v[0:1], v85 offset:7168
	v_lshlrev_b64_e32 v[2:3], 3, v[2:3]
	s_delay_alu instid0(VALU_DEP_1) | instskip(SKIP_1) | instid1(VALU_DEP_2)
	v_add_co_u32 v2, vcc_lo, s34, v2
	s_wait_alu 0xfffd
	v_add_co_ci_u32_e64 v3, null, s35, v3, vcc_lo
	s_and_saveexec_b32 s0, s2
	s_cbranch_execnz .LBB217_132
; %bb.116:
	s_wait_alu 0xfffe
	s_or_b32 exec_lo, exec_lo, s0
	s_and_saveexec_b32 s0, s3
	s_cbranch_execnz .LBB217_133
.LBB217_117:
	s_wait_alu 0xfffe
	s_or_b32 exec_lo, exec_lo, s0
	s_and_saveexec_b32 s0, s4
	s_cbranch_execnz .LBB217_134
.LBB217_118:
	s_wait_alu 0xfffe
	s_or_b32 exec_lo, exec_lo, s0
	s_and_saveexec_b32 s0, s5
	s_cbranch_execnz .LBB217_135
.LBB217_119:
	s_wait_alu 0xfffe
	s_or_b32 exec_lo, exec_lo, s0
	s_and_saveexec_b32 s0, s6
	s_cbranch_execnz .LBB217_136
.LBB217_120:
	s_wait_alu 0xfffe
	s_or_b32 exec_lo, exec_lo, s0
	s_and_saveexec_b32 s0, s7
	s_cbranch_execnz .LBB217_137
.LBB217_121:
	s_wait_alu 0xfffe
	s_or_b32 exec_lo, exec_lo, s0
	s_and_saveexec_b32 s0, s8
	s_cbranch_execnz .LBB217_138
.LBB217_122:
	s_wait_alu 0xfffe
	s_or_b32 exec_lo, exec_lo, s0
	s_and_saveexec_b32 s0, s9
	s_cbranch_execz .LBB217_124
.LBB217_123:
	v_mad_co_u64_u32 v[2:3], null, 0x1c00, s28, v[2:3]
	s_wait_dscnt 0x1
	s_delay_alu instid0(VALU_DEP_1)
	v_mad_co_u64_u32 v[3:4], null, 0x1c00, s29, v[3:4]
	s_wait_dscnt 0x0
	global_store_b64 v[2:3], v[0:1], off
.LBB217_124:
	s_nop 0
	s_sendmsg sendmsg(MSG_DEALLOC_VGPRS)
	s_endpgm
.LBB217_125:
	ds_load_b32 v9, v69
	s_wait_dscnt 0x0
	global_store_b32 v[0:1], v9, off
	s_wait_alu 0xfffe
	s_or_b32 exec_lo, exec_lo, s0
	s_and_saveexec_b32 s0, s3
	s_cbranch_execz .LBB217_108
.LBB217_126:
	s_lshl_b64 s[10:11], s[22:23], 9
	s_wait_alu 0xfffe
	v_add_co_u32 v9, vcc_lo, v0, s10
	s_wait_alu 0xfffd
	v_add_co_ci_u32_e64 v10, null, s11, v1, vcc_lo
	s_wait_dscnt 0x6
	global_store_b32 v[9:10], v8, off
	s_or_b32 exec_lo, exec_lo, s0
	s_and_saveexec_b32 s0, s4
	s_cbranch_execz .LBB217_109
.LBB217_127:
	s_lshl_b64 s[10:11], s[22:23], 10
	s_wait_dscnt 0x6
	s_wait_alu 0xfffe
	v_add_co_u32 v8, vcc_lo, v0, s10
	s_wait_alu 0xfffd
	v_add_co_ci_u32_e64 v9, null, s11, v1, vcc_lo
	s_wait_dscnt 0x5
	global_store_b32 v[8:9], v7, off
	s_or_b32 exec_lo, exec_lo, s0
	s_and_saveexec_b32 s0, s5
	s_cbranch_execz .LBB217_110
.LBB217_128:
	s_wait_dscnt 0x5
	v_mad_co_u64_u32 v[7:8], null, 0x600, s22, v[0:1]
	s_delay_alu instid0(VALU_DEP_1)
	v_mad_co_u64_u32 v[8:9], null, 0x600, s23, v[8:9]
	s_wait_dscnt 0x4
	global_store_b32 v[7:8], v6, off
	s_wait_alu 0xfffe
	s_or_b32 exec_lo, exec_lo, s0
	s_and_saveexec_b32 s0, s6
	s_cbranch_execz .LBB217_111
.LBB217_129:
	s_lshl_b64 s[10:11], s[22:23], 11
	s_wait_dscnt 0x4
	s_wait_alu 0xfffe
	v_add_co_u32 v6, vcc_lo, v0, s10
	s_wait_alu 0xfffd
	v_add_co_ci_u32_e64 v7, null, s11, v1, vcc_lo
	s_wait_dscnt 0x3
	global_store_b32 v[6:7], v5, off
	s_or_b32 exec_lo, exec_lo, s0
	s_and_saveexec_b32 s0, s7
	s_cbranch_execz .LBB217_112
.LBB217_130:
	s_wait_dscnt 0x3
	v_mad_co_u64_u32 v[5:6], null, 0xa00, s22, v[0:1]
	s_delay_alu instid0(VALU_DEP_1)
	v_mad_co_u64_u32 v[6:7], null, 0xa00, s23, v[6:7]
	s_wait_dscnt 0x2
	global_store_b32 v[5:6], v4, off
	s_wait_alu 0xfffe
	s_or_b32 exec_lo, exec_lo, s0
	s_and_saveexec_b32 s0, s8
	s_cbranch_execz .LBB217_113
.LBB217_131:
	s_wait_dscnt 0x2
	v_mad_co_u64_u32 v[4:5], null, 0xc00, s22, v[0:1]
	s_delay_alu instid0(VALU_DEP_1)
	v_mad_co_u64_u32 v[5:6], null, 0xc00, s23, v[5:6]
	s_wait_dscnt 0x1
	global_store_b32 v[4:5], v3, off
	s_wait_alu 0xfffe
	s_or_b32 exec_lo, exec_lo, s0
	s_and_saveexec_b32 s0, s9
	s_cbranch_execnz .LBB217_114
	s_branch .LBB217_115
.LBB217_132:
	ds_load_b64 v[16:17], v78
	s_wait_dscnt 0x0
	global_store_b64 v[2:3], v[16:17], off
	s_wait_alu 0xfffe
	s_or_b32 exec_lo, exec_lo, s0
	s_and_saveexec_b32 s0, s3
	s_cbranch_execz .LBB217_117
.LBB217_133:
	s_lshl_b64 s[2:3], s[28:29], 10
	s_wait_alu 0xfffe
	v_add_co_u32 v16, vcc_lo, v2, s2
	s_wait_alu 0xfffd
	v_add_co_ci_u32_e64 v17, null, s3, v3, vcc_lo
	s_wait_dscnt 0x6
	global_store_b64 v[16:17], v[14:15], off
	s_or_b32 exec_lo, exec_lo, s0
	s_and_saveexec_b32 s0, s4
	s_cbranch_execz .LBB217_118
.LBB217_134:
	s_lshl_b64 s[2:3], s[28:29], 11
	s_wait_dscnt 0x6
	s_wait_alu 0xfffe
	v_add_co_u32 v14, vcc_lo, v2, s2
	s_wait_alu 0xfffd
	v_add_co_ci_u32_e64 v15, null, s3, v3, vcc_lo
	s_wait_dscnt 0x5
	global_store_b64 v[14:15], v[12:13], off
	s_or_b32 exec_lo, exec_lo, s0
	s_and_saveexec_b32 s0, s5
	s_cbranch_execz .LBB217_119
.LBB217_135:
	s_wait_dscnt 0x5
	v_mad_co_u64_u32 v[12:13], null, 0xc00, s28, v[2:3]
	s_delay_alu instid0(VALU_DEP_1)
	v_mad_co_u64_u32 v[13:14], null, 0xc00, s29, v[13:14]
	s_wait_dscnt 0x4
	global_store_b64 v[12:13], v[10:11], off
	s_wait_alu 0xfffe
	s_or_b32 exec_lo, exec_lo, s0
	s_and_saveexec_b32 s0, s6
	s_cbranch_execz .LBB217_120
.LBB217_136:
	s_lshl_b64 s[2:3], s[28:29], 12
	s_wait_dscnt 0x4
	s_wait_alu 0xfffe
	v_add_co_u32 v10, vcc_lo, v2, s2
	s_wait_alu 0xfffd
	v_add_co_ci_u32_e64 v11, null, s3, v3, vcc_lo
	s_wait_dscnt 0x3
	global_store_b64 v[10:11], v[8:9], off
	s_or_b32 exec_lo, exec_lo, s0
	s_and_saveexec_b32 s0, s7
	s_cbranch_execz .LBB217_121
.LBB217_137:
	s_wait_dscnt 0x3
	v_mad_co_u64_u32 v[8:9], null, 0x1400, s28, v[2:3]
	s_delay_alu instid0(VALU_DEP_1)
	v_mad_co_u64_u32 v[9:10], null, 0x1400, s29, v[9:10]
	s_wait_dscnt 0x2
	global_store_b64 v[8:9], v[6:7], off
	s_wait_alu 0xfffe
	s_or_b32 exec_lo, exec_lo, s0
	s_and_saveexec_b32 s0, s8
	s_cbranch_execz .LBB217_122
.LBB217_138:
	s_wait_dscnt 0x2
	v_mad_co_u64_u32 v[6:7], null, 0x1800, s28, v[2:3]
	s_delay_alu instid0(VALU_DEP_1)
	v_mad_co_u64_u32 v[7:8], null, 0x1800, s29, v[7:8]
	s_wait_dscnt 0x1
	global_store_b64 v[6:7], v[4:5], off
	s_wait_alu 0xfffe
	s_or_b32 exec_lo, exec_lo, s0
	s_and_saveexec_b32 s0, s9
	s_cbranch_execnz .LBB217_123
	s_branch .LBB217_124
	.section	.rodata,"a",@progbits
	.p2align	6, 0x0
	.amdhsa_kernel _ZN2at6native18radixSortKVInPlaceILin1ELin1ELi128ELi8EflmEEvNS_4cuda6detail10TensorInfoIT3_T5_EES6_S6_S6_NS4_IT4_S6_EES6_b
		.amdhsa_group_segment_fixed_size 8448
		.amdhsa_private_segment_fixed_size 0
		.amdhsa_kernarg_size 1128
		.amdhsa_user_sgpr_count 2
		.amdhsa_user_sgpr_dispatch_ptr 0
		.amdhsa_user_sgpr_queue_ptr 0
		.amdhsa_user_sgpr_kernarg_segment_ptr 1
		.amdhsa_user_sgpr_dispatch_id 0
		.amdhsa_user_sgpr_private_segment_size 0
		.amdhsa_wavefront_size32 1
		.amdhsa_uses_dynamic_stack 0
		.amdhsa_enable_private_segment 0
		.amdhsa_system_sgpr_workgroup_id_x 1
		.amdhsa_system_sgpr_workgroup_id_y 1
		.amdhsa_system_sgpr_workgroup_id_z 1
		.amdhsa_system_sgpr_workgroup_info 0
		.amdhsa_system_vgpr_workitem_id 2
		.amdhsa_next_free_vgpr 120
		.amdhsa_next_free_sgpr 38
		.amdhsa_reserve_vcc 1
		.amdhsa_float_round_mode_32 0
		.amdhsa_float_round_mode_16_64 0
		.amdhsa_float_denorm_mode_32 3
		.amdhsa_float_denorm_mode_16_64 3
		.amdhsa_fp16_overflow 0
		.amdhsa_workgroup_processor_mode 1
		.amdhsa_memory_ordered 1
		.amdhsa_forward_progress 1
		.amdhsa_inst_pref_size 131
		.amdhsa_round_robin_scheduling 0
		.amdhsa_exception_fp_ieee_invalid_op 0
		.amdhsa_exception_fp_denorm_src 0
		.amdhsa_exception_fp_ieee_div_zero 0
		.amdhsa_exception_fp_ieee_overflow 0
		.amdhsa_exception_fp_ieee_underflow 0
		.amdhsa_exception_fp_ieee_inexact 0
		.amdhsa_exception_int_div_zero 0
	.end_amdhsa_kernel
	.section	.text._ZN2at6native18radixSortKVInPlaceILin1ELin1ELi128ELi8EflmEEvNS_4cuda6detail10TensorInfoIT3_T5_EES6_S6_S6_NS4_IT4_S6_EES6_b,"axG",@progbits,_ZN2at6native18radixSortKVInPlaceILin1ELin1ELi128ELi8EflmEEvNS_4cuda6detail10TensorInfoIT3_T5_EES6_S6_S6_NS4_IT4_S6_EES6_b,comdat
.Lfunc_end217:
	.size	_ZN2at6native18radixSortKVInPlaceILin1ELin1ELi128ELi8EflmEEvNS_4cuda6detail10TensorInfoIT3_T5_EES6_S6_S6_NS4_IT4_S6_EES6_b, .Lfunc_end217-_ZN2at6native18radixSortKVInPlaceILin1ELin1ELi128ELi8EflmEEvNS_4cuda6detail10TensorInfoIT3_T5_EES6_S6_S6_NS4_IT4_S6_EES6_b
                                        ; -- End function
	.set _ZN2at6native18radixSortKVInPlaceILin1ELin1ELi128ELi8EflmEEvNS_4cuda6detail10TensorInfoIT3_T5_EES6_S6_S6_NS4_IT4_S6_EES6_b.num_vgpr, 120
	.set _ZN2at6native18radixSortKVInPlaceILin1ELin1ELi128ELi8EflmEEvNS_4cuda6detail10TensorInfoIT3_T5_EES6_S6_S6_NS4_IT4_S6_EES6_b.num_agpr, 0
	.set _ZN2at6native18radixSortKVInPlaceILin1ELin1ELi128ELi8EflmEEvNS_4cuda6detail10TensorInfoIT3_T5_EES6_S6_S6_NS4_IT4_S6_EES6_b.numbered_sgpr, 38
	.set _ZN2at6native18radixSortKVInPlaceILin1ELin1ELi128ELi8EflmEEvNS_4cuda6detail10TensorInfoIT3_T5_EES6_S6_S6_NS4_IT4_S6_EES6_b.num_named_barrier, 0
	.set _ZN2at6native18radixSortKVInPlaceILin1ELin1ELi128ELi8EflmEEvNS_4cuda6detail10TensorInfoIT3_T5_EES6_S6_S6_NS4_IT4_S6_EES6_b.private_seg_size, 0
	.set _ZN2at6native18radixSortKVInPlaceILin1ELin1ELi128ELi8EflmEEvNS_4cuda6detail10TensorInfoIT3_T5_EES6_S6_S6_NS4_IT4_S6_EES6_b.uses_vcc, 1
	.set _ZN2at6native18radixSortKVInPlaceILin1ELin1ELi128ELi8EflmEEvNS_4cuda6detail10TensorInfoIT3_T5_EES6_S6_S6_NS4_IT4_S6_EES6_b.uses_flat_scratch, 0
	.set _ZN2at6native18radixSortKVInPlaceILin1ELin1ELi128ELi8EflmEEvNS_4cuda6detail10TensorInfoIT3_T5_EES6_S6_S6_NS4_IT4_S6_EES6_b.has_dyn_sized_stack, 0
	.set _ZN2at6native18radixSortKVInPlaceILin1ELin1ELi128ELi8EflmEEvNS_4cuda6detail10TensorInfoIT3_T5_EES6_S6_S6_NS4_IT4_S6_EES6_b.has_recursion, 0
	.set _ZN2at6native18radixSortKVInPlaceILin1ELin1ELi128ELi8EflmEEvNS_4cuda6detail10TensorInfoIT3_T5_EES6_S6_S6_NS4_IT4_S6_EES6_b.has_indirect_call, 0
	.section	.AMDGPU.csdata,"",@progbits
; Kernel info:
; codeLenInByte = 16672
; TotalNumSgprs: 40
; NumVgprs: 120
; ScratchSize: 0
; MemoryBound: 0
; FloatMode: 240
; IeeeMode: 1
; LDSByteSize: 8448 bytes/workgroup (compile time only)
; SGPRBlocks: 0
; VGPRBlocks: 14
; NumSGPRsForWavesPerEU: 40
; NumVGPRsForWavesPerEU: 120
; Occupancy: 12
; WaveLimiterHint : 1
; COMPUTE_PGM_RSRC2:SCRATCH_EN: 0
; COMPUTE_PGM_RSRC2:USER_SGPR: 2
; COMPUTE_PGM_RSRC2:TRAP_HANDLER: 0
; COMPUTE_PGM_RSRC2:TGID_X_EN: 1
; COMPUTE_PGM_RSRC2:TGID_Y_EN: 1
; COMPUTE_PGM_RSRC2:TGID_Z_EN: 1
; COMPUTE_PGM_RSRC2:TIDIG_COMP_CNT: 2
	.section	.text._ZN2at6native18radixSortKVInPlaceILin1ELin1ELi32ELi4EflmEEvNS_4cuda6detail10TensorInfoIT3_T5_EES6_S6_S6_NS4_IT4_S6_EES6_b,"axG",@progbits,_ZN2at6native18radixSortKVInPlaceILin1ELin1ELi32ELi4EflmEEvNS_4cuda6detail10TensorInfoIT3_T5_EES6_S6_S6_NS4_IT4_S6_EES6_b,comdat
	.protected	_ZN2at6native18radixSortKVInPlaceILin1ELin1ELi32ELi4EflmEEvNS_4cuda6detail10TensorInfoIT3_T5_EES6_S6_S6_NS4_IT4_S6_EES6_b ; -- Begin function _ZN2at6native18radixSortKVInPlaceILin1ELin1ELi32ELi4EflmEEvNS_4cuda6detail10TensorInfoIT3_T5_EES6_S6_S6_NS4_IT4_S6_EES6_b
	.globl	_ZN2at6native18radixSortKVInPlaceILin1ELin1ELi32ELi4EflmEEvNS_4cuda6detail10TensorInfoIT3_T5_EES6_S6_S6_NS4_IT4_S6_EES6_b
	.p2align	8
	.type	_ZN2at6native18radixSortKVInPlaceILin1ELin1ELi32ELi4EflmEEvNS_4cuda6detail10TensorInfoIT3_T5_EES6_S6_S6_NS4_IT4_S6_EES6_b,@function
_ZN2at6native18radixSortKVInPlaceILin1ELin1ELi32ELi4EflmEEvNS_4cuda6detail10TensorInfoIT3_T5_EES6_S6_S6_NS4_IT4_S6_EES6_b: ; @_ZN2at6native18radixSortKVInPlaceILin1ELin1ELi32ELi4EflmEEvNS_4cuda6detail10TensorInfoIT3_T5_EES6_S6_S6_NS4_IT4_S6_EES6_b
; %bb.0:
	s_clause 0x1
	s_load_b64 s[2:3], s[0:1], 0x368
	s_load_b128 s[4:7], s[0:1], 0x1a0
	s_wait_kmcnt 0x0
	s_lshr_b32 s7, ttmp7, 16
	s_and_b32 s8, ttmp7, 0xffff
	s_mul_i32 s3, s3, s7
	s_delay_alu instid0(SALU_CYCLE_1) | instskip(NEXT) | instid1(SALU_CYCLE_1)
	s_add_co_i32 s3, s3, s8
	s_mul_i32 s2, s3, s2
	s_mov_b32 s3, 0
	s_add_co_i32 s2, s2, ttmp9
	s_delay_alu instid0(SALU_CYCLE_1)
	v_cmp_le_u64_e64 s4, s[4:5], s[2:3]
	s_and_b32 vcc_lo, exec_lo, s4
	s_cbranch_vccnz .LBB218_76
; %bb.1:
	s_clause 0x1
	s_load_b32 s7, s[0:1], 0x198
	s_load_b64 s[14:15], s[0:1], 0x1b0
	s_mov_b64 s[4:5], 0
	s_mov_b64 s[8:9], s[2:3]
	s_wait_kmcnt 0x0
	s_cmp_lt_i32 s7, 2
	s_cbranch_scc1 .LBB218_9
; %bb.2:
	s_mov_b32 s10, 0
	s_add_co_i32 s4, s7, -1
	s_mov_b32 s5, s10
	s_add_co_i32 s7, s7, 1
	s_wait_alu 0xfffe
	s_lshl_b64 s[4:5], s[4:5], 3
	s_mov_b64 s[16:17], s[2:3]
	s_wait_alu 0xfffe
	s_add_nc_u64 s[8:9], s[0:1], s[4:5]
	s_mov_b64 s[4:5], 0
	s_add_nc_u64 s[12:13], s[8:9], 8
.LBB218_3:                              ; =>This Inner Loop Header: Depth=1
	s_load_b64 s[18:19], s[12:13], 0x0
	s_wait_kmcnt 0x0
	s_or_b64 s[8:9], s[16:17], s[18:19]
	s_wait_alu 0xfffe
	s_mov_b32 s11, s9
                                        ; implicit-def: $sgpr8_sgpr9
	s_delay_alu instid0(SALU_CYCLE_1)
	s_cmp_lg_u64 s[10:11], 0
	s_mov_b32 s11, -1
	s_cbranch_scc0 .LBB218_5
; %bb.4:                                ;   in Loop: Header=BB218_3 Depth=1
	s_cvt_f32_u32 s8, s18
	s_cvt_f32_u32 s9, s19
	s_sub_nc_u64 s[20:21], 0, s[18:19]
	s_mov_b32 s23, s10
	s_mov_b32 s27, s10
	s_wait_alu 0xfffe
	s_fmamk_f32 s8, s9, 0x4f800000, s8
	s_wait_alu 0xfffe
	s_delay_alu instid0(SALU_CYCLE_2) | instskip(NEXT) | instid1(TRANS32_DEP_1)
	v_s_rcp_f32 s8, s8
	s_mul_f32 s8, s8, 0x5f7ffffc
	s_wait_alu 0xfffe
	s_delay_alu instid0(SALU_CYCLE_2) | instskip(SKIP_1) | instid1(SALU_CYCLE_2)
	s_mul_f32 s9, s8, 0x2f800000
	s_wait_alu 0xfffe
	s_trunc_f32 s9, s9
	s_wait_alu 0xfffe
	s_delay_alu instid0(SALU_CYCLE_2) | instskip(SKIP_2) | instid1(SALU_CYCLE_1)
	s_fmamk_f32 s8, s9, 0xcf800000, s8
	s_cvt_u32_f32 s9, s9
	s_wait_alu 0xfffe
	s_cvt_u32_f32 s8, s8
	s_wait_alu 0xfffe
	s_delay_alu instid0(SALU_CYCLE_2) | instskip(NEXT) | instid1(SALU_CYCLE_1)
	s_mul_u64 s[24:25], s[20:21], s[8:9]
	s_mul_hi_u32 s29, s8, s25
	s_mul_i32 s28, s8, s25
	s_mul_hi_u32 s22, s8, s24
	s_mul_i32 s26, s9, s24
	s_add_nc_u64 s[22:23], s[22:23], s[28:29]
	s_mul_hi_u32 s11, s9, s24
	s_mul_hi_u32 s30, s9, s25
	s_add_co_u32 s22, s22, s26
	s_add_co_ci_u32 s26, s23, s11
	s_mul_i32 s24, s9, s25
	s_add_co_ci_u32 s25, s30, 0
	s_delay_alu instid0(SALU_CYCLE_1) | instskip(SKIP_3) | instid1(SALU_CYCLE_1)
	s_add_nc_u64 s[22:23], s[26:27], s[24:25]
	s_mov_b32 s25, s10
	s_add_co_u32 s8, s8, s22
	s_cselect_b32 s11, -1, 0
	s_cmp_lg_u32 s11, 0
	s_add_co_ci_u32 s9, s9, s23
	s_mov_b32 s23, s10
	s_wait_alu 0xfffe
	s_mul_u64 s[20:21], s[20:21], s[8:9]
	s_delay_alu instid0(SALU_CYCLE_1)
	s_mul_hi_u32 s27, s8, s21
	s_mul_i32 s26, s8, s21
	s_mul_hi_u32 s22, s8, s20
	s_mul_i32 s24, s9, s20
	s_add_nc_u64 s[22:23], s[22:23], s[26:27]
	s_mul_hi_u32 s11, s9, s20
	s_mul_hi_u32 s28, s9, s21
	s_mul_i32 s20, s9, s21
	s_add_co_u32 s21, s22, s24
	s_add_co_ci_u32 s24, s23, s11
	s_add_co_ci_u32 s21, s28, 0
	s_mov_b32 s23, s10
	s_add_nc_u64 s[20:21], s[24:25], s[20:21]
	s_delay_alu instid0(SALU_CYCLE_1)
	s_add_co_u32 s8, s8, s20
	s_cselect_b32 s11, -1, 0
	s_wait_alu 0xfffe
	s_mul_hi_u32 s22, s16, s8
	s_cmp_lg_u32 s11, 0
	s_mul_hi_u32 s11, s17, s8
	s_add_co_ci_u32 s20, s9, s21
	s_mul_i32 s21, s17, s8
	s_mul_hi_u32 s9, s16, s20
	s_mul_i32 s8, s16, s20
	s_mul_hi_u32 s26, s17, s20
	s_wait_alu 0xfffe
	s_add_nc_u64 s[8:9], s[22:23], s[8:9]
	s_mul_i32 s20, s17, s20
	s_wait_alu 0xfffe
	s_add_co_u32 s8, s8, s21
	s_add_co_ci_u32 s24, s9, s11
	s_add_co_ci_u32 s21, s26, 0
	s_delay_alu instid0(SALU_CYCLE_1) | instskip(SKIP_2) | instid1(SALU_CYCLE_1)
	s_add_nc_u64 s[8:9], s[24:25], s[20:21]
	s_wait_alu 0xfffe
	s_mul_u64 s[20:21], s[18:19], s[8:9]
	s_sub_co_u32 s11, s16, s20
	s_cselect_b32 s20, -1, 0
	s_sub_co_i32 s22, s17, s21
	s_cmp_lg_u32 s20, 0
	s_sub_co_ci_u32 s22, s22, s19
	s_sub_co_u32 s23, s11, s18
	s_cselect_b32 s24, -1, 0
	s_delay_alu instid0(SALU_CYCLE_1) | instskip(SKIP_1) | instid1(SALU_CYCLE_1)
	s_cmp_lg_u32 s24, 0
	s_sub_co_ci_u32 s22, s22, 0
	s_cmp_ge_u32 s22, s19
	s_cselect_b32 s24, -1, 0
	s_cmp_ge_u32 s23, s18
	s_cselect_b32 s25, -1, 0
	s_cmp_eq_u32 s22, s19
	s_add_nc_u64 s[22:23], s[8:9], 1
	s_cselect_b32 s26, s25, s24
	s_add_nc_u64 s[24:25], s[8:9], 2
	s_cmp_lg_u32 s26, 0
	s_cselect_b32 s22, s24, s22
	s_cselect_b32 s23, s25, s23
	s_cmp_lg_u32 s20, 0
	s_sub_co_ci_u32 s20, s17, s21
	s_delay_alu instid0(SALU_CYCLE_1)
	s_cmp_ge_u32 s20, s19
	s_cselect_b32 s21, -1, 0
	s_cmp_ge_u32 s11, s18
	s_cselect_b32 s11, -1, 0
	s_cmp_eq_u32 s20, s19
	s_cselect_b32 s11, s11, s21
	s_delay_alu instid0(SALU_CYCLE_1)
	s_cmp_lg_u32 s11, 0
	s_mov_b32 s11, 0
	s_cselect_b32 s9, s23, s9
	s_cselect_b32 s8, s22, s8
.LBB218_5:                              ;   in Loop: Header=BB218_3 Depth=1
	s_and_not1_b32 vcc_lo, exec_lo, s11
	s_cbranch_vccnz .LBB218_7
; %bb.6:                                ;   in Loop: Header=BB218_3 Depth=1
	v_cvt_f32_u32_e32 v1, s18
	s_sub_co_i32 s9, 0, s18
	s_delay_alu instid0(VALU_DEP_1) | instskip(NEXT) | instid1(TRANS32_DEP_1)
	v_rcp_iflag_f32_e32 v1, v1
	v_mul_f32_e32 v1, 0x4f7ffffe, v1
	s_delay_alu instid0(VALU_DEP_1) | instskip(NEXT) | instid1(VALU_DEP_1)
	v_cvt_u32_f32_e32 v1, v1
	v_readfirstlane_b32 s8, v1
	s_wait_alu 0xfffe
	s_mul_i32 s9, s9, s8
	s_wait_alu 0xfffe
	s_mul_hi_u32 s9, s8, s9
	s_wait_alu 0xfffe
	s_add_co_i32 s8, s8, s9
	s_wait_alu 0xfffe
	s_mul_hi_u32 s8, s16, s8
	s_wait_alu 0xfffe
	s_mul_i32 s9, s8, s18
	s_add_co_i32 s11, s8, 1
	s_wait_alu 0xfffe
	s_sub_co_i32 s9, s16, s9
	s_wait_alu 0xfffe
	s_sub_co_i32 s20, s9, s18
	s_cmp_ge_u32 s9, s18
	s_cselect_b32 s8, s11, s8
	s_cselect_b32 s9, s20, s9
	s_wait_alu 0xfffe
	s_add_co_i32 s11, s8, 1
	s_cmp_ge_u32 s9, s18
	s_mov_b32 s9, s10
	s_cselect_b32 s8, s11, s8
.LBB218_7:                              ;   in Loop: Header=BB218_3 Depth=1
	s_load_b64 s[20:21], s[12:13], 0xc8
	s_mul_u64 s[18:19], s[8:9], s[18:19]
	s_add_co_i32 s7, s7, -1
	s_wait_alu 0xfffe
	s_sub_nc_u64 s[16:17], s[16:17], s[18:19]
	s_cmp_gt_u32 s7, 2
	s_add_nc_u64 s[12:13], s[12:13], -8
	s_wait_kmcnt 0x0
	s_mul_u64 s[16:17], s[20:21], s[16:17]
	s_delay_alu instid0(SALU_CYCLE_1)
	s_add_nc_u64 s[4:5], s[16:17], s[4:5]
	s_cbranch_scc0 .LBB218_9
; %bb.8:                                ;   in Loop: Header=BB218_3 Depth=1
	s_mov_b64 s[16:17], s[8:9]
	s_branch .LBB218_3
.LBB218_9:
	s_load_b32 s7, s[0:1], 0x350
	s_add_nc_u64 s[22:23], s[0:1], 0x368
	s_mov_b64 s[12:13], 0
	s_wait_kmcnt 0x0
	s_cmp_lt_i32 s7, 2
	s_cbranch_scc1 .LBB218_17
; %bb.10:
	s_mov_b32 s10, 0
	s_add_co_i32 s12, s7, -1
	s_mov_b32 s13, s10
	s_add_co_i32 s7, s7, 1
	s_lshl_b64 s[12:13], s[12:13], 3
	s_delay_alu instid0(SALU_CYCLE_1) | instskip(NEXT) | instid1(SALU_CYCLE_1)
	s_add_nc_u64 s[12:13], s[0:1], s[12:13]
	s_add_nc_u64 s[16:17], s[12:13], 0x1c0
	s_mov_b64 s[12:13], 0
.LBB218_11:                             ; =>This Inner Loop Header: Depth=1
	s_load_b64 s[18:19], s[16:17], 0x0
	s_wait_kmcnt 0x0
	s_or_b64 s[20:21], s[2:3], s[18:19]
	s_delay_alu instid0(SALU_CYCLE_1)
	s_mov_b32 s11, s21
                                        ; implicit-def: $sgpr20_sgpr21
	s_wait_alu 0xfffe
	s_cmp_lg_u64 s[10:11], 0
	s_mov_b32 s11, -1
	s_cbranch_scc0 .LBB218_13
; %bb.12:                               ;   in Loop: Header=BB218_11 Depth=1
	s_cvt_f32_u32 s11, s18
	s_cvt_f32_u32 s20, s19
	s_sub_nc_u64 s[24:25], 0, s[18:19]
	s_mov_b32 s27, s10
	s_mov_b32 s31, s10
	s_wait_alu 0xfffe
	s_fmamk_f32 s11, s20, 0x4f800000, s11
	s_wait_alu 0xfffe
	s_delay_alu instid0(SALU_CYCLE_2) | instskip(NEXT) | instid1(TRANS32_DEP_1)
	v_s_rcp_f32 s11, s11
	s_mul_f32 s11, s11, 0x5f7ffffc
	s_wait_alu 0xfffe
	s_delay_alu instid0(SALU_CYCLE_2) | instskip(NEXT) | instid1(SALU_CYCLE_3)
	s_mul_f32 s20, s11, 0x2f800000
	s_trunc_f32 s20, s20
	s_delay_alu instid0(SALU_CYCLE_3) | instskip(SKIP_2) | instid1(SALU_CYCLE_1)
	s_fmamk_f32 s11, s20, 0xcf800000, s11
	s_cvt_u32_f32 s21, s20
	s_wait_alu 0xfffe
	s_cvt_u32_f32 s20, s11
	s_delay_alu instid0(SALU_CYCLE_3) | instskip(NEXT) | instid1(SALU_CYCLE_1)
	s_mul_u64 s[28:29], s[24:25], s[20:21]
	s_mul_hi_u32 s35, s20, s29
	s_mul_i32 s34, s20, s29
	s_mul_hi_u32 s26, s20, s28
	s_mul_i32 s30, s21, s28
	s_add_nc_u64 s[26:27], s[26:27], s[34:35]
	s_mul_hi_u32 s11, s21, s28
	s_mul_hi_u32 s33, s21, s29
	s_add_co_u32 s26, s26, s30
	s_wait_alu 0xfffe
	s_add_co_ci_u32 s30, s27, s11
	s_mul_i32 s28, s21, s29
	s_add_co_ci_u32 s29, s33, 0
	s_delay_alu instid0(SALU_CYCLE_1)
	s_add_nc_u64 s[26:27], s[30:31], s[28:29]
	s_mov_b32 s29, s10
	s_add_co_u32 s20, s20, s26
	s_cselect_b32 s11, -1, 0
	s_wait_alu 0xfffe
	s_cmp_lg_u32 s11, 0
	s_add_co_ci_u32 s21, s21, s27
	s_mov_b32 s27, s10
	s_mul_u64 s[24:25], s[24:25], s[20:21]
	s_delay_alu instid0(SALU_CYCLE_1)
	s_mul_hi_u32 s31, s20, s25
	s_mul_i32 s30, s20, s25
	s_mul_hi_u32 s26, s20, s24
	s_mul_i32 s28, s21, s24
	s_add_nc_u64 s[26:27], s[26:27], s[30:31]
	s_mul_hi_u32 s11, s21, s24
	s_mul_hi_u32 s33, s21, s25
	s_mul_i32 s24, s21, s25
	s_add_co_u32 s25, s26, s28
	s_wait_alu 0xfffe
	s_add_co_ci_u32 s28, s27, s11
	s_add_co_ci_u32 s25, s33, 0
	s_mov_b32 s27, s10
	s_add_nc_u64 s[24:25], s[28:29], s[24:25]
	s_delay_alu instid0(SALU_CYCLE_1)
	s_add_co_u32 s11, s20, s24
	s_cselect_b32 s20, -1, 0
	s_wait_alu 0xfffe
	s_mul_hi_u32 s26, s2, s11
	s_cmp_lg_u32 s20, 0
	s_mul_hi_u32 s28, s3, s11
	s_add_co_ci_u32 s24, s21, s25
	s_mul_i32 s11, s3, s11
	s_mul_hi_u32 s21, s2, s24
	s_mul_i32 s20, s2, s24
	s_mul_hi_u32 s25, s3, s24
	s_add_nc_u64 s[20:21], s[26:27], s[20:21]
	s_mul_i32 s24, s3, s24
	s_wait_alu 0xfffe
	s_add_co_u32 s11, s20, s11
	s_add_co_ci_u32 s28, s21, s28
	s_add_co_ci_u32 s25, s25, 0
	s_delay_alu instid0(SALU_CYCLE_1) | instskip(NEXT) | instid1(SALU_CYCLE_1)
	s_add_nc_u64 s[20:21], s[28:29], s[24:25]
	s_mul_u64 s[24:25], s[18:19], s[20:21]
	s_delay_alu instid0(SALU_CYCLE_1)
	s_sub_co_u32 s11, s2, s24
	s_cselect_b32 s24, -1, 0
	s_sub_co_i32 s26, s3, s25
	s_cmp_lg_u32 s24, 0
	s_sub_co_ci_u32 s26, s26, s19
	s_wait_alu 0xfffe
	s_sub_co_u32 s27, s11, s18
	s_cselect_b32 s28, -1, 0
	s_delay_alu instid0(SALU_CYCLE_1) | instskip(SKIP_1) | instid1(SALU_CYCLE_1)
	s_cmp_lg_u32 s28, 0
	s_sub_co_ci_u32 s26, s26, 0
	s_cmp_ge_u32 s26, s19
	s_cselect_b32 s28, -1, 0
	s_cmp_ge_u32 s27, s18
	s_cselect_b32 s29, -1, 0
	s_cmp_eq_u32 s26, s19
	s_add_nc_u64 s[26:27], s[20:21], 1
	s_cselect_b32 s30, s29, s28
	s_add_nc_u64 s[28:29], s[20:21], 2
	s_cmp_lg_u32 s30, 0
	s_cselect_b32 s26, s28, s26
	s_cselect_b32 s27, s29, s27
	s_cmp_lg_u32 s24, 0
	s_sub_co_ci_u32 s24, s3, s25
	s_delay_alu instid0(SALU_CYCLE_1)
	s_cmp_ge_u32 s24, s19
	s_cselect_b32 s25, -1, 0
	s_cmp_ge_u32 s11, s18
	s_cselect_b32 s11, -1, 0
	s_cmp_eq_u32 s24, s19
	s_wait_alu 0xfffe
	s_cselect_b32 s11, s11, s25
	s_wait_alu 0xfffe
	s_cmp_lg_u32 s11, 0
	s_mov_b32 s11, 0
	s_cselect_b32 s21, s27, s21
	s_cselect_b32 s20, s26, s20
.LBB218_13:                             ;   in Loop: Header=BB218_11 Depth=1
	s_wait_alu 0xfffe
	s_and_not1_b32 vcc_lo, exec_lo, s11
	s_cbranch_vccnz .LBB218_15
; %bb.14:                               ;   in Loop: Header=BB218_11 Depth=1
	v_cvt_f32_u32_e32 v1, s18
	s_sub_co_i32 s20, 0, s18
	s_delay_alu instid0(VALU_DEP_1) | instskip(NEXT) | instid1(TRANS32_DEP_1)
	v_rcp_iflag_f32_e32 v1, v1
	v_mul_f32_e32 v1, 0x4f7ffffe, v1
	s_delay_alu instid0(VALU_DEP_1) | instskip(NEXT) | instid1(VALU_DEP_1)
	v_cvt_u32_f32_e32 v1, v1
	v_readfirstlane_b32 s11, v1
	s_mul_i32 s20, s20, s11
	s_delay_alu instid0(SALU_CYCLE_1) | instskip(NEXT) | instid1(SALU_CYCLE_1)
	s_mul_hi_u32 s20, s11, s20
	s_add_co_i32 s11, s11, s20
	s_wait_alu 0xfffe
	s_mul_hi_u32 s11, s2, s11
	s_wait_alu 0xfffe
	s_mul_i32 s20, s11, s18
	s_add_co_i32 s21, s11, 1
	s_sub_co_i32 s20, s2, s20
	s_delay_alu instid0(SALU_CYCLE_1)
	s_sub_co_i32 s24, s20, s18
	s_cmp_ge_u32 s20, s18
	s_cselect_b32 s11, s21, s11
	s_cselect_b32 s20, s24, s20
	s_wait_alu 0xfffe
	s_add_co_i32 s21, s11, 1
	s_cmp_ge_u32 s20, s18
	s_cselect_b32 s20, s21, s11
	s_mov_b32 s21, s10
.LBB218_15:                             ;   in Loop: Header=BB218_11 Depth=1
	s_load_b64 s[24:25], s[16:17], 0xc8
	s_mul_u64 s[18:19], s[20:21], s[18:19]
	s_add_co_i32 s7, s7, -1
	s_wait_alu 0xfffe
	s_sub_nc_u64 s[2:3], s[2:3], s[18:19]
	s_cmp_gt_u32 s7, 2
	s_add_nc_u64 s[16:17], s[16:17], -8
	s_wait_kmcnt 0x0
	s_wait_alu 0xfffe
	s_mul_u64 s[2:3], s[24:25], s[2:3]
	s_wait_alu 0xfffe
	s_add_nc_u64 s[12:13], s[2:3], s[12:13]
	s_cbranch_scc0 .LBB218_18
; %bb.16:                               ;   in Loop: Header=BB218_11 Depth=1
	s_mov_b64 s[2:3], s[20:21]
	s_branch .LBB218_11
.LBB218_17:
	s_mov_b64 s[20:21], s[2:3]
.LBB218_18:
	s_clause 0x2
	s_load_b64 s[2:3], s[0:1], 0xd0
	s_load_b32 s7, s[0:1], 0x360
	s_load_b64 s[16:17], s[0:1], 0x0
	s_wait_kmcnt 0x0
	s_mul_u64 s[10:11], s[2:3], s[8:9]
	s_bitcmp1_b32 s7, 0
	s_cselect_b32 s7, -1, 0
	s_delay_alu instid0(SALU_CYCLE_1)
	s_and_b32 s3, s7, exec_lo
	s_cselect_b32 s8, -1, 0x7fffffff
	s_wait_alu 0xfffe
	s_lshl_b64 s[18:19], s[10:11], 2
	s_mov_b32 s9, s8
	s_mov_b32 s10, s8
	;; [unrolled: 1-line block ×3, first 2 shown]
	v_and_b32_e32 v17, 0x3ff, v0
	s_wait_alu 0xfffe
	v_dual_mov_b32 v1, s8 :: v_dual_mov_b32 v4, s11
	v_dual_mov_b32 v2, s9 :: v_dual_mov_b32 v3, s10
	v_mov_b32_e32 v6, s8
	v_cmp_gt_u32_e64 s2, s6, v17
	s_add_nc_u64 s[16:17], s[16:17], s[18:19]
	s_lshl_b64 s[4:5], s[4:5], 2
	s_wait_alu 0xfffe
	s_add_nc_u64 s[18:19], s[16:17], s[4:5]
	s_and_saveexec_b32 s3, s2
	s_cbranch_execz .LBB218_20
; %bb.19:
	v_mad_co_u64_u32 v[1:2], null, s14, v17, 0
	s_delay_alu instid0(VALU_DEP_1) | instskip(NEXT) | instid1(VALU_DEP_1)
	v_mad_co_u64_u32 v[2:3], null, s15, v17, v[2:3]
	v_lshlrev_b64_e32 v[1:2], 2, v[1:2]
	s_wait_alu 0xfffe
	s_delay_alu instid0(VALU_DEP_1) | instskip(NEXT) | instid1(VALU_DEP_1)
	v_add_co_u32 v1, vcc_lo, s18, v1
	v_add_co_ci_u32_e64 v2, null, s19, v2, vcc_lo
	global_load_b32 v6, v[1:2], off
	v_dual_mov_b32 v1, s8 :: v_dual_mov_b32 v2, s9
	v_dual_mov_b32 v3, s10 :: v_dual_mov_b32 v4, s11
.LBB218_20:
	s_wait_alu 0xfffe
	s_or_b32 exec_lo, exec_lo, s3
	v_add_nc_u32_e32 v5, 32, v17
	s_delay_alu instid0(VALU_DEP_1)
	v_cmp_gt_u32_e64 s3, s6, v5
	s_and_saveexec_b32 s4, s3
	s_cbranch_execz .LBB218_22
; %bb.21:
	v_mad_co_u64_u32 v[1:2], null, s14, v5, 0
	s_delay_alu instid0(VALU_DEP_1) | instskip(NEXT) | instid1(VALU_DEP_1)
	v_mad_co_u64_u32 v[7:8], null, s15, v5, v[2:3]
	v_mov_b32_e32 v2, v7
	s_delay_alu instid0(VALU_DEP_1) | instskip(NEXT) | instid1(VALU_DEP_1)
	v_lshlrev_b64_e32 v[1:2], 2, v[1:2]
	v_add_co_u32 v1, vcc_lo, s18, v1
	s_wait_alu 0xfffd
	s_delay_alu instid0(VALU_DEP_2)
	v_add_co_ci_u32_e64 v2, null, s19, v2, vcc_lo
	global_load_b32 v2, v[1:2], off
.LBB218_22:
	s_wait_alu 0xfffe
	s_or_b32 exec_lo, exec_lo, s4
	v_add_nc_u32_e32 v9, 64, v17
	s_delay_alu instid0(VALU_DEP_1)
	v_cmp_gt_u32_e64 s4, s6, v9
	s_and_saveexec_b32 s5, s4
	s_cbranch_execz .LBB218_24
; %bb.23:
	v_mad_co_u64_u32 v[7:8], null, s14, v9, 0
	s_delay_alu instid0(VALU_DEP_1) | instskip(SKIP_1) | instid1(VALU_DEP_1)
	v_mov_b32_e32 v1, v8
	s_wait_loadcnt 0x0
	v_mad_co_u64_u32 v[10:11], null, s15, v9, v[1:2]
	s_delay_alu instid0(VALU_DEP_1) | instskip(NEXT) | instid1(VALU_DEP_1)
	v_mov_b32_e32 v8, v10
	v_lshlrev_b64_e32 v[7:8], 2, v[7:8]
	s_delay_alu instid0(VALU_DEP_1) | instskip(SKIP_1) | instid1(VALU_DEP_2)
	v_add_co_u32 v7, vcc_lo, s18, v7
	s_wait_alu 0xfffd
	v_add_co_ci_u32_e64 v8, null, s19, v8, vcc_lo
	global_load_b32 v3, v[7:8], off
.LBB218_24:
	s_wait_alu 0xfffe
	s_or_b32 exec_lo, exec_lo, s5
	s_clause 0x1
	s_load_b64 s[10:11], s[0:1], 0x288
	s_load_b64 s[8:9], s[0:1], 0x1b8
	v_add_nc_u32_e32 v10, 0x60, v17
	s_delay_alu instid0(VALU_DEP_1)
	v_cmp_gt_u32_e64 s5, s6, v10
	s_and_saveexec_b32 s6, s5
	s_cbranch_execz .LBB218_26
; %bb.25:
	v_mad_co_u64_u32 v[7:8], null, s14, v10, 0
	s_delay_alu instid0(VALU_DEP_1) | instskip(SKIP_1) | instid1(VALU_DEP_1)
	v_mov_b32_e32 v1, v8
	s_wait_loadcnt 0x0
	v_mad_co_u64_u32 v[11:12], null, s15, v10, v[1:2]
	s_delay_alu instid0(VALU_DEP_1) | instskip(NEXT) | instid1(VALU_DEP_1)
	v_mov_b32_e32 v8, v11
	v_lshlrev_b64_e32 v[7:8], 2, v[7:8]
	s_delay_alu instid0(VALU_DEP_1) | instskip(SKIP_1) | instid1(VALU_DEP_2)
	v_add_co_u32 v7, vcc_lo, s18, v7
	s_wait_alu 0xfffd
	v_add_co_ci_u32_e64 v8, null, s19, v8, vcc_lo
	global_load_b32 v4, v[7:8], off
.LBB218_26:
	s_wait_alu 0xfffe
	s_or_b32 exec_lo, exec_lo, s6
	v_lshrrev_b32_e32 v1, 5, v17
	v_lshrrev_b32_e32 v7, 5, v5
	;; [unrolled: 1-line block ×3, first 2 shown]
	v_lshlrev_b32_e32 v38, 2, v17
	v_lshrrev_b32_e32 v12, 5, v10
	v_add_nc_u32_e32 v1, v1, v17
	v_add_nc_u32_e32 v11, v7, v17
	v_lshrrev_b32_e32 v7, 3, v17
	v_add_nc_u32_e32 v13, v8, v17
	v_add_nc_u32_e32 v12, v12, v17
	v_lshlrev_b32_e32 v34, 2, v1
	v_lshlrev_b32_e32 v35, 2, v11
	v_add_nc_u32_e32 v1, v7, v38
	v_lshlrev_b32_e32 v36, 2, v13
	v_lshlrev_b32_e32 v37, 2, v12
	s_load_b64 s[16:17], s[0:1], 0x358
	s_wait_loadcnt 0x0
	ds_store_b32 v34, v6
	ds_store_b32 v35, v2 offset:128
	v_lshlrev_b32_e32 v39, 2, v1
	ds_store_b32 v36, v3 offset:256
	ds_store_b32 v37, v4 offset:384
	s_wait_dscnt 0x0
	; wave barrier
	global_inv scope:SCOPE_SE
	ds_load_2addr_b32 v[20:21], v39 offset1:1
	ds_load_2addr_b32 v[18:19], v39 offset0:2 offset1:3
	s_wait_kmcnt 0x0
	s_mul_u64 s[0:1], s[10:11], s[20:21]
	v_mov_b32_e32 v1, 0
	s_lshl_b64 s[0:1], s[0:1], 3
	v_dual_mov_b32 v3, 0 :: v_dual_mov_b32 v2, 0
	v_mov_b32_e32 v4, 0
	s_add_nc_u64 s[0:1], s[8:9], s[0:1]
	s_lshl_b64 s[8:9], s[12:13], 3
	s_wait_loadcnt_dscnt 0x0
	s_wait_alu 0xfffe
	s_add_nc_u64 s[20:21], s[0:1], s[8:9]
	; wave barrier
	global_inv scope:SCOPE_SE
	s_and_saveexec_b32 s0, s2
	s_cbranch_execz .LBB218_28
; %bb.27:
	v_mad_co_u64_u32 v[3:4], null, s16, v17, 0
	s_delay_alu instid0(VALU_DEP_1) | instskip(NEXT) | instid1(VALU_DEP_1)
	v_mad_co_u64_u32 v[6:7], null, s17, v17, v[4:5]
	v_mov_b32_e32 v4, v6
	s_delay_alu instid0(VALU_DEP_1) | instskip(NEXT) | instid1(VALU_DEP_1)
	v_lshlrev_b64_e32 v[3:4], 3, v[3:4]
	v_add_co_u32 v3, vcc_lo, s20, v3
	s_wait_alu 0xfffd
	s_delay_alu instid0(VALU_DEP_2)
	v_add_co_ci_u32_e64 v4, null, s21, v4, vcc_lo
	global_load_b64 v[3:4], v[3:4], off
.LBB218_28:
	s_or_b32 exec_lo, exec_lo, s0
	s_and_saveexec_b32 s0, s3
	s_cbranch_execz .LBB218_30
; %bb.29:
	v_mad_co_u64_u32 v[1:2], null, s16, v5, 0
	s_wait_loadcnt 0x0
	s_delay_alu instid0(VALU_DEP_1) | instskip(NEXT) | instid1(VALU_DEP_1)
	v_mad_co_u64_u32 v[5:6], null, s17, v5, v[2:3]
	v_mov_b32_e32 v2, v5
	s_delay_alu instid0(VALU_DEP_1) | instskip(NEXT) | instid1(VALU_DEP_1)
	v_lshlrev_b64_e32 v[1:2], 3, v[1:2]
	v_add_co_u32 v1, vcc_lo, s20, v1
	s_wait_alu 0xfffd
	s_delay_alu instid0(VALU_DEP_2)
	v_add_co_ci_u32_e64 v2, null, s21, v2, vcc_lo
	global_load_b64 v[1:2], v[1:2], off
.LBB218_30:
	s_or_b32 exec_lo, exec_lo, s0
	v_mov_b32_e32 v5, 0
	v_dual_mov_b32 v6, 0 :: v_dual_mov_b32 v7, 0
	v_mov_b32_e32 v8, 0
	s_and_saveexec_b32 s0, s4
	s_cbranch_execz .LBB218_32
; %bb.31:
	v_mad_co_u64_u32 v[7:8], null, s16, v9, 0
	s_delay_alu instid0(VALU_DEP_1) | instskip(NEXT) | instid1(VALU_DEP_1)
	v_mad_co_u64_u32 v[8:9], null, s17, v9, v[8:9]
	v_lshlrev_b64_e32 v[7:8], 3, v[7:8]
	s_delay_alu instid0(VALU_DEP_1) | instskip(SKIP_1) | instid1(VALU_DEP_2)
	v_add_co_u32 v7, vcc_lo, s20, v7
	s_wait_alu 0xfffd
	v_add_co_ci_u32_e64 v8, null, s21, v8, vcc_lo
	global_load_b64 v[7:8], v[7:8], off
.LBB218_32:
	s_or_b32 exec_lo, exec_lo, s0
	s_xor_b32 s6, s7, -1
	s_and_saveexec_b32 s0, s5
	s_cbranch_execz .LBB218_34
; %bb.33:
	v_mad_co_u64_u32 v[5:6], null, s16, v10, 0
	s_wait_loadcnt 0x0
	s_delay_alu instid0(VALU_DEP_1) | instskip(NEXT) | instid1(VALU_DEP_1)
	v_mad_co_u64_u32 v[9:10], null, s17, v10, v[6:7]
	v_mov_b32_e32 v6, v9
	s_delay_alu instid0(VALU_DEP_1) | instskip(NEXT) | instid1(VALU_DEP_1)
	v_lshlrev_b64_e32 v[5:6], 3, v[5:6]
	v_add_co_u32 v5, vcc_lo, s20, v5
	s_wait_alu 0xfffd
	s_delay_alu instid0(VALU_DEP_2)
	v_add_co_ci_u32_e64 v6, null, s21, v6, vcc_lo
	global_load_b64 v[5:6], v[5:6], off
.LBB218_34:
	s_or_b32 exec_lo, exec_lo, s0
	v_add_nc_u32_e32 v40, v34, v34
	v_lshlrev_b32_e32 v43, 3, v12
	v_add_nc_u32_e32 v44, v39, v39
	v_lshlrev_b32_e32 v41, 3, v11
	v_lshlrev_b32_e32 v42, 3, v13
	s_wait_loadcnt 0x0
	ds_store_b64 v40, v[3:4]
	ds_store_b64 v41, v[1:2] offset:256
	ds_store_b64 v42, v[7:8] offset:512
	;; [unrolled: 1-line block ×3, first 2 shown]
	s_wait_dscnt 0x0
	; wave barrier
	global_inv scope:SCOPE_SE
	ds_load_2addr_b64 v[5:8], v44 offset1:1
	ds_load_2addr_b64 v[1:4], v44 offset0:2 offset1:3
	v_mbcnt_lo_u32_b32 v46, -1, 0
	s_wait_alu 0xfffe
	s_and_b32 vcc_lo, exec_lo, s6
	v_bfe_u32 v50, v0, 10, 10
	v_bfe_u32 v51, v0, 20, 10
	v_lshlrev_b32_e32 v45, 5, v17
	v_and_b32_e32 v53, 3, v46
	v_and_b32_e32 v52, 28, v46
	;; [unrolled: 1-line block ×4, first 2 shown]
	v_cmp_eq_u32_e64 s6, 31, v17
	v_cmp_eq_u32_e64 s1, 0, v53
	;; [unrolled: 1-line block ×6, first 2 shown]
	v_and_or_b32 v47, 0xf80, v38, v46
	s_mov_b32 s13, 0
	s_mov_b32 s9, -1
	; wave barrier
	s_wait_loadcnt_dscnt 0x0
	global_inv scope:SCOPE_SE
                                        ; implicit-def: $vgpr9_vgpr10_vgpr11_vgpr12
	s_wait_alu 0xfffe
	s_cbranch_vccz .LBB218_50
; %bb.35:
	v_cmp_lt_i32_e32 vcc_lo, -1, v20
	ds_bpermute_b32 v13, v52, v5
	ds_bpermute_b32 v22, v52, v6
	;; [unrolled: 1-line block ×4, first 2 shown]
	s_wait_alu 0xfffd
	v_cndmask_b32_e64 v0, -1, 0x80000000, vcc_lo
	v_cmp_lt_i32_e32 vcc_lo, -1, v21
	ds_bpermute_b32 v33, v52, v1
	ds_bpermute_b32 v54, v52, v2
	ds_bpermute_b32 v55, v52, v5 offset:32
	v_xor_b32_e32 v0, v0, v20
	s_wait_alu 0xfffd
	v_cndmask_b32_e64 v9, -1, 0x80000000, vcc_lo
	v_cmp_lt_i32_e32 vcc_lo, -1, v18
	ds_bpermute_b32 v56, v52, v2 offset:96
	s_wait_loadcnt_dscnt 0x0
	ds_bpermute_b32 v12, v52, v0
	v_xor_b32_e32 v9, v9, v21
	s_wait_alu 0xfffd
	v_cndmask_b32_e64 v10, -1, 0x80000000, vcc_lo
	v_cmp_lt_i32_e32 vcc_lo, -1, v19
	ds_bpermute_b32 v14, v52, v0 offset:32
	ds_bpermute_b32 v15, v52, v0 offset:64
	ds_bpermute_b32 v16, v52, v9
	v_xor_b32_e32 v10, v10, v18
	s_wait_alu 0xfffd
	v_cndmask_b32_e64 v11, -1, 0x80000000, vcc_lo
	ds_bpermute_b32 v23, v52, v9 offset:32
	ds_bpermute_b32 v24, v52, v9 offset:64
	;; [unrolled: 1-line block ×3, first 2 shown]
	ds_bpermute_b32 v25, v52, v10
	v_xor_b32_e32 v11, v11, v19
	ds_bpermute_b32 v28, v52, v10 offset:32
	ds_bpermute_b32 v9, v52, v9 offset:96
	;; [unrolled: 1-line block ×4, first 2 shown]
	ds_bpermute_b32 v30, v52, v11
	ds_bpermute_b32 v31, v52, v11 offset:32
	s_wait_dscnt 0xd
	v_cndmask_b32_e64 v12, 0, v12, s1
	v_cndmask_b32_e64 v22, 0, v22, s1
	;; [unrolled: 1-line block ×3, first 2 shown]
	; wave barrier
	s_wait_dscnt 0x0
	global_inv scope:SCOPE_SE
	v_cndmask_b32_e64 v14, 0, v14, s1
	v_cndmask_b32_e64 v15, 0, v15, s1
	;; [unrolled: 1-line block ×3, first 2 shown]
	ds_bpermute_b32 v16, v52, v11 offset:64
	ds_bpermute_b32 v11, v52, v11 offset:96
	v_cndmask_b32_e64 v14, v14, v23, s0
	ds_bpermute_b32 v23, v52, v6 offset:32
	v_cndmask_b32_e64 v15, v15, v24, s0
	s_wait_alu 0xf1ff
	v_cndmask_b32_e64 v12, v12, v25, s8
	ds_bpermute_b32 v25, v52, v3
	ds_bpermute_b32 v24, v52, v8 offset:32
	v_cndmask_b32_e64 v0, 0, v0, s1
	v_cndmask_b32_e64 v14, v14, v28, s8
	ds_bpermute_b32 v28, v52, v7 offset:32
	v_cndmask_b32_e64 v30, v12, v30, s7
	ds_bpermute_b32 v12, v52, v4
	v_cndmask_b32_e64 v0, v0, v9, s0
	v_cndmask_b32_e64 v9, v22, v27, s0
	v_cndmask_b32_e64 v13, v13, v26, s0
	v_cndmask_b32_e64 v15, v15, v29, s8
	ds_bpermute_b32 v29, v52, v2 offset:32
	v_cndmask_b32_e64 v0, v0, v10, s8
	v_cndmask_b32_e64 v9, v9, v54, s8
	;; [unrolled: 1-line block ×3, first 2 shown]
	s_wait_dscnt 0x7
	v_cndmask_b32_e64 v32, v15, v16, s7
	v_cndmask_b32_e64 v16, 0, v55, s1
	s_wait_dscnt 0x5
	v_cndmask_b32_e64 v15, 0, v23, s1
	v_cndmask_b32_e64 v33, v0, v11, s7
	ds_bpermute_b32 v22, v52, v4 offset:32
	ds_bpermute_b32 v23, v52, v7 offset:64
	v_cndmask_b32_e64 v31, v14, v31, s7
	s_wait_dscnt 0x5
	v_cndmask_b32_e64 v0, v15, v24, s0
	ds_bpermute_b32 v24, v52, v6 offset:96
	ds_bpermute_b32 v14, v52, v6 offset:64
	s_wait_dscnt 0x6
	v_cndmask_b32_e64 v11, v16, v28, s0
	s_wait_dscnt 0x5
	v_cndmask_b32_e64 v10, v9, v12, s7
	v_cndmask_b32_e64 v9, v13, v25, s7
	ds_bpermute_b32 v13, v52, v5 offset:64
	ds_bpermute_b32 v12, v52, v1 offset:32
	ds_bpermute_b32 v26, v52, v5 offset:96
	ds_bpermute_b32 v27, v52, v1 offset:64
	ds_bpermute_b32 v28, v52, v8 offset:96
	s_wait_dscnt 0x9
	v_cndmask_b32_e64 v0, v0, v29, s8
	ds_bpermute_b32 v15, v52, v8 offset:64
	ds_bpermute_b32 v16, v52, v3 offset:32
	;; [unrolled: 1-line block ×4, first 2 shown]
	s_load_b32 s9, s[22:23], 0xc
	ds_bpermute_b32 v25, v52, v2 offset:64
	ds_bpermute_b32 v57, v52, v1 offset:96
	;; [unrolled: 1-line block ×3, first 2 shown]
	s_getpc_b64 s[10:11]
	s_wait_alu 0xfffe
	s_sext_i32_i16 s11, s11
	s_add_co_u32 s10, s10, _ZN7rocprim17ROCPRIM_400000_NS16block_radix_sortIfLj32ELj4ElLj1ELj1ELj0ELNS0_26block_radix_rank_algorithmE1ELNS0_18block_padding_hintE2ELNS0_4arch9wavefront6targetE0EE19radix_bits_per_passE@rel32@lo+12
	s_wait_alu 0xfffe
	s_add_co_ci_u32 s11, s11, _ZN7rocprim17ROCPRIM_400000_NS16block_radix_sortIfLj32ELj4ElLj1ELj1ELj0ELNS0_26block_radix_rank_algorithmE1ELNS0_18block_padding_hintE2ELNS0_4arch9wavefront6targetE0EE19radix_bits_per_passE@rel32@hi+24
	ds_bpermute_b32 v54, v52, v4 offset:64
	s_wait_dscnt 0xd
	v_cndmask_b32_e64 v14, 0, v14, s1
	s_mov_b32 s26, 32
	s_wait_dscnt 0xc
	v_cndmask_b32_e64 v13, 0, v13, s1
	s_wait_dscnt 0xb
	v_cndmask_b32_e64 v11, v11, v12, s8
	v_cndmask_b32_e64 v12, v0, v22, s7
	s_wait_dscnt 0xa
	v_cndmask_b32_e64 v22, 0, v26, s1
	v_cndmask_b32_e64 v0, v13, v23, s0
	;; [unrolled: 1-line block ×3, first 2 shown]
	s_wait_dscnt 0x7
	v_cndmask_b32_e64 v14, v14, v15, s0
	ds_bpermute_b32 v15, v52, v3 offset:96
	s_wait_dscnt 0x7
	v_cndmask_b32_e64 v11, v11, v16, s7
	v_cndmask_b32_e64 v0, v0, v27, s8
	;; [unrolled: 1-line block ×3, first 2 shown]
	s_wait_dscnt 0x5
	v_cndmask_b32_e64 v16, v22, v55, s0
	s_wait_kmcnt 0x0
	s_lshr_b32 s24, s9, 16
	s_wait_dscnt 0x4
	v_cndmask_b32_e64 v14, v14, v25, s8
	v_cndmask_b32_e64 v13, v0, v29, s7
	;; [unrolled: 1-line block ×3, first 2 shown]
	v_mad_u32_u24 v22, v51, s24, v50
	s_wait_dscnt 0x3
	v_cndmask_b32_e64 v24, v16, v57, s8
	s_load_b32 s24, s[10:11], 0x0
	s_and_b32 s8, s9, 0xffff
	s_wait_dscnt 0x2
	v_cndmask_b32_e64 v16, v0, v58, s7
	v_sub_co_u32 v0, s25, v46, 1
	s_wait_alu 0xfffe
	v_mad_co_u64_u32 v[22:23], null, v22, s8, v[17:18]
	s_wait_dscnt 0x1
	v_cndmask_b32_e64 v14, v14, v54, s7
	v_cmp_gt_i32_e32 vcc_lo, 0, v0
	s_wait_dscnt 0x0
	v_cndmask_b32_e64 v15, v24, v15, s7
	v_cmp_eq_u32_e64 s7, 0, v49
	v_cmp_lt_u32_e64 s8, 1, v49
	v_cmp_lt_u32_e64 s9, 3, v49
	s_wait_alu 0xfffd
	v_dual_cndmask_b32 v23, v0, v46 :: v_dual_lshlrev_b32 v0, 2, v47
	v_lshrrev_b32_e32 v22, 3, v22
	v_cmp_lt_u32_e64 s10, 7, v49
	v_cmp_eq_u32_e64 s11, 0, v48
	s_delay_alu instid0(VALU_DEP_4) | instskip(NEXT) | instid1(VALU_DEP_4)
	v_lshlrev_b32_e32 v54, 2, v23
	v_dual_mov_b32 v56, 0 :: v_dual_and_b32 v55, 0x1ffffffc, v22
	v_add_nc_u32_e32 v57, v0, v0
	s_or_b32 s25, s12, s25
	s_branch .LBB218_37
.LBB218_36:                             ;   in Loop: Header=BB218_37 Depth=1
	s_wait_alu 0xfffe
	s_and_not1_b32 vcc_lo, exec_lo, s12
	s_wait_alu 0xfffe
	s_cbranch_vccz .LBB218_49
.LBB218_37:                             ; =>This Inner Loop Header: Depth=1
	v_mov_b32_e32 v58, v30
	s_wait_kmcnt 0x0
	s_min_u32 s12, s24, s26
	ds_store_2addr_b32 v45, v56, v56 offset0:1 offset1:2
	ds_store_2addr_b32 v45, v56, v56 offset0:3 offset1:4
	ds_store_2addr_b32 v45, v56, v56 offset0:5 offset1:6
	ds_store_2addr_b32 v45, v56, v56 offset0:7 offset1:8
	s_wait_alu 0xfffe
	s_lshl_b32 s12, -1, s12
	s_wait_loadcnt_dscnt 0x0
	v_cmp_ne_u32_e32 vcc_lo, 0x7fffffff, v58
	s_wait_alu 0xfffe
	s_not_b32 s27, s12
	; wave barrier
	global_inv scope:SCOPE_SE
	; wave barrier
	s_wait_alu 0xfffd
	v_dual_cndmask_b32 v22, 0x80000000, v58 :: v_dual_mov_b32 v59, v33
	v_dual_mov_b32 v61, v31 :: v_dual_mov_b32 v60, v32
	s_delay_alu instid0(VALU_DEP_2) | instskip(SKIP_1) | instid1(VALU_DEP_1)
	v_lshrrev_b32_e32 v22, s13, v22
	s_wait_alu 0xfffe
	v_and_b32_e32 v62, s27, v22
	s_delay_alu instid0(VALU_DEP_1)
	v_and_b32_e32 v22, 1, v62
	v_lshlrev_b32_e32 v23, 30, v62
	v_lshlrev_b32_e32 v24, 29, v62
	;; [unrolled: 1-line block ×4, first 2 shown]
	v_add_co_u32 v22, s12, v22, -1
	s_wait_alu 0xf1ff
	v_cndmask_b32_e64 v26, 0, 1, s12
	v_not_b32_e32 v30, v23
	v_cmp_gt_i32_e64 s12, 0, v23
	v_not_b32_e32 v23, v24
	v_lshlrev_b32_e32 v28, 26, v62
	v_cmp_ne_u32_e32 vcc_lo, 0, v26
	v_ashrrev_i32_e32 v30, 31, v30
	v_lshlrev_b32_e32 v29, 25, v62
	v_ashrrev_i32_e32 v23, 31, v23
	v_lshlrev_b32_e32 v26, 24, v62
	s_wait_alu 0xfffd
	v_xor_b32_e32 v22, vcc_lo, v22
	v_cmp_gt_i32_e32 vcc_lo, 0, v24
	v_not_b32_e32 v24, v25
	s_wait_alu 0xf1ff
	v_xor_b32_e32 v30, s12, v30
	v_cmp_gt_i32_e64 s12, 0, v25
	v_and_b32_e32 v22, exec_lo, v22
	v_not_b32_e32 v25, v27
	v_ashrrev_i32_e32 v24, 31, v24
	s_wait_alu 0xfffd
	v_xor_b32_e32 v23, vcc_lo, v23
	v_cmp_gt_i32_e32 vcc_lo, 0, v27
	v_and_b32_e32 v22, v22, v30
	v_not_b32_e32 v27, v28
	v_ashrrev_i32_e32 v25, 31, v25
	s_wait_alu 0xf1ff
	v_xor_b32_e32 v24, s12, v24
	v_cmp_gt_i32_e64 s12, 0, v28
	v_and_b32_e32 v22, v22, v23
	v_not_b32_e32 v23, v29
	v_ashrrev_i32_e32 v27, 31, v27
	s_wait_alu 0xfffd
	v_xor_b32_e32 v25, vcc_lo, v25
	v_cmp_gt_i32_e32 vcc_lo, 0, v29
	v_and_b32_e32 v22, v22, v24
	v_ashrrev_i32_e32 v23, 31, v23
	s_wait_alu 0xf1ff
	v_xor_b32_e32 v27, s12, v27
	v_mov_b32_e32 v29, v10
	v_not_b32_e32 v24, v26
	v_and_b32_e32 v22, v22, v25
	v_cmp_gt_i32_e64 s12, 0, v26
	s_wait_alu 0xfffd
	v_xor_b32_e32 v23, vcc_lo, v23
	v_mov_b32_e32 v28, v9
	v_ashrrev_i32_e32 v24, 31, v24
	v_dual_mov_b32 v27, v12 :: v_dual_and_b32 v22, v22, v27
	v_mov_b32_e32 v26, v11
	v_lshl_add_u32 v31, v62, 2, v55
	s_wait_alu 0xf1ff
	v_xor_b32_e32 v24, s12, v24
	v_and_b32_e32 v22, v22, v23
	s_delay_alu instid0(VALU_DEP_1) | instskip(SKIP_2) | instid1(VALU_DEP_3)
	v_dual_mov_b32 v23, v16 :: v_dual_and_b32 v32, v22, v24
	v_dual_mov_b32 v25, v14 :: v_dual_mov_b32 v22, v15
	v_mov_b32_e32 v24, v13
	v_mbcnt_lo_u32_b32 v30, v32, 0
	v_cmp_ne_u32_e64 s12, 0, v32
	s_delay_alu instid0(VALU_DEP_2) | instskip(SKIP_1) | instid1(SALU_CYCLE_1)
	v_cmp_eq_u32_e32 vcc_lo, 0, v30
	s_and_b32 s28, s12, vcc_lo
	s_and_saveexec_b32 s12, s28
; %bb.38:                               ;   in Loop: Header=BB218_37 Depth=1
	v_bcnt_u32_b32 v9, v32, 0
	ds_store_b32 v31, v9 offset:4
; %bb.39:                               ;   in Loop: Header=BB218_37 Depth=1
	s_wait_alu 0xfffe
	s_or_b32 exec_lo, exec_lo, s12
	v_cmp_ne_u32_e32 vcc_lo, 0x7fffffff, v61
	; wave barrier
	s_wait_alu 0xfffd
	v_cndmask_b32_e32 v9, 0x80000000, v61, vcc_lo
	s_delay_alu instid0(VALU_DEP_1) | instskip(NEXT) | instid1(VALU_DEP_1)
	v_lshrrev_b32_e32 v9, s13, v9
	v_and_b32_e32 v9, s27, v9
	s_delay_alu instid0(VALU_DEP_1)
	v_and_b32_e32 v10, 1, v9
	v_lshlrev_b32_e32 v11, 30, v9
	v_lshlrev_b32_e32 v12, 29, v9
	;; [unrolled: 1-line block ×4, first 2 shown]
	v_add_co_u32 v10, s12, v10, -1
	s_wait_alu 0xf1ff
	v_cndmask_b32_e64 v14, 0, 1, s12
	v_not_b32_e32 v33, v11
	v_cmp_gt_i32_e64 s12, 0, v11
	v_not_b32_e32 v11, v12
	v_lshlrev_b32_e32 v16, 26, v9
	v_cmp_ne_u32_e32 vcc_lo, 0, v14
	v_ashrrev_i32_e32 v33, 31, v33
	v_lshlrev_b32_e32 v32, 25, v9
	v_ashrrev_i32_e32 v11, 31, v11
	v_lshlrev_b32_e32 v14, 24, v9
	s_wait_alu 0xfffd
	v_xor_b32_e32 v10, vcc_lo, v10
	v_cmp_gt_i32_e32 vcc_lo, 0, v12
	v_not_b32_e32 v12, v13
	s_wait_alu 0xf1ff
	v_xor_b32_e32 v33, s12, v33
	v_cmp_gt_i32_e64 s12, 0, v13
	v_and_b32_e32 v10, exec_lo, v10
	v_not_b32_e32 v13, v15
	v_ashrrev_i32_e32 v12, 31, v12
	s_wait_alu 0xfffd
	v_xor_b32_e32 v11, vcc_lo, v11
	v_cmp_gt_i32_e32 vcc_lo, 0, v15
	v_and_b32_e32 v10, v10, v33
	v_not_b32_e32 v15, v16
	v_ashrrev_i32_e32 v13, 31, v13
	s_wait_alu 0xf1ff
	v_xor_b32_e32 v12, s12, v12
	v_cmp_gt_i32_e64 s12, 0, v16
	v_and_b32_e32 v10, v10, v11
	v_not_b32_e32 v11, v32
	v_ashrrev_i32_e32 v15, 31, v15
	s_wait_alu 0xfffd
	v_xor_b32_e32 v13, vcc_lo, v13
	v_cmp_gt_i32_e32 vcc_lo, 0, v32
	v_and_b32_e32 v10, v10, v12
	v_not_b32_e32 v12, v14
	v_ashrrev_i32_e32 v11, 31, v11
	s_wait_alu 0xf1ff
	v_xor_b32_e32 v15, s12, v15
	v_cmp_gt_i32_e64 s12, 0, v14
	v_and_b32_e32 v10, v10, v13
	v_ashrrev_i32_e32 v12, 31, v12
	s_wait_alu 0xfffd
	v_xor_b32_e32 v11, vcc_lo, v11
	v_lshl_add_u32 v32, v9, 2, v55
	v_and_b32_e32 v10, v10, v15
	s_wait_alu 0xf1ff
	v_xor_b32_e32 v9, s12, v12
	ds_load_b32 v33, v32 offset:4
	v_and_b32_e32 v10, v10, v11
	; wave barrier
	s_delay_alu instid0(VALU_DEP_1) | instskip(NEXT) | instid1(VALU_DEP_1)
	v_and_b32_e32 v9, v10, v9
	v_mbcnt_lo_u32_b32 v62, v9, 0
	v_cmp_ne_u32_e64 s12, 0, v9
	s_delay_alu instid0(VALU_DEP_2) | instskip(SKIP_1) | instid1(SALU_CYCLE_1)
	v_cmp_eq_u32_e32 vcc_lo, 0, v62
	s_and_b32 s28, s12, vcc_lo
	s_and_saveexec_b32 s12, s28
	s_cbranch_execz .LBB218_41
; %bb.40:                               ;   in Loop: Header=BB218_37 Depth=1
	s_wait_dscnt 0x0
	v_bcnt_u32_b32 v9, v9, v33
	ds_store_b32 v32, v9 offset:4
.LBB218_41:                             ;   in Loop: Header=BB218_37 Depth=1
	s_wait_alu 0xfffe
	s_or_b32 exec_lo, exec_lo, s12
	v_cmp_ne_u32_e32 vcc_lo, 0x7fffffff, v60
	; wave barrier
	s_wait_alu 0xfffd
	v_cndmask_b32_e32 v9, 0x80000000, v60, vcc_lo
	s_delay_alu instid0(VALU_DEP_1) | instskip(NEXT) | instid1(VALU_DEP_1)
	v_lshrrev_b32_e32 v9, s13, v9
	v_and_b32_e32 v9, s27, v9
	s_delay_alu instid0(VALU_DEP_1)
	v_and_b32_e32 v10, 1, v9
	v_lshlrev_b32_e32 v11, 30, v9
	v_lshlrev_b32_e32 v12, 29, v9
	;; [unrolled: 1-line block ×4, first 2 shown]
	v_add_co_u32 v10, s12, v10, -1
	s_wait_alu 0xf1ff
	v_cndmask_b32_e64 v14, 0, 1, s12
	v_not_b32_e32 v64, v11
	v_cmp_gt_i32_e64 s12, 0, v11
	v_not_b32_e32 v11, v12
	v_lshlrev_b32_e32 v16, 26, v9
	v_cmp_ne_u32_e32 vcc_lo, 0, v14
	v_ashrrev_i32_e32 v64, 31, v64
	v_lshlrev_b32_e32 v63, 25, v9
	v_ashrrev_i32_e32 v11, 31, v11
	v_lshlrev_b32_e32 v14, 24, v9
	s_wait_alu 0xfffd
	v_xor_b32_e32 v10, vcc_lo, v10
	v_cmp_gt_i32_e32 vcc_lo, 0, v12
	v_not_b32_e32 v12, v13
	s_wait_alu 0xf1ff
	v_xor_b32_e32 v64, s12, v64
	v_cmp_gt_i32_e64 s12, 0, v13
	v_and_b32_e32 v10, exec_lo, v10
	v_not_b32_e32 v13, v15
	v_ashrrev_i32_e32 v12, 31, v12
	s_wait_alu 0xfffd
	v_xor_b32_e32 v11, vcc_lo, v11
	v_cmp_gt_i32_e32 vcc_lo, 0, v15
	v_and_b32_e32 v10, v10, v64
	v_not_b32_e32 v15, v16
	v_ashrrev_i32_e32 v13, 31, v13
	s_wait_alu 0xf1ff
	v_xor_b32_e32 v12, s12, v12
	v_cmp_gt_i32_e64 s12, 0, v16
	v_and_b32_e32 v10, v10, v11
	v_not_b32_e32 v11, v63
	v_ashrrev_i32_e32 v15, 31, v15
	s_wait_alu 0xfffd
	v_xor_b32_e32 v13, vcc_lo, v13
	v_cmp_gt_i32_e32 vcc_lo, 0, v63
	v_and_b32_e32 v10, v10, v12
	v_not_b32_e32 v12, v14
	v_ashrrev_i32_e32 v11, 31, v11
	s_wait_alu 0xf1ff
	v_xor_b32_e32 v15, s12, v15
	v_cmp_gt_i32_e64 s12, 0, v14
	v_and_b32_e32 v10, v10, v13
	v_ashrrev_i32_e32 v12, 31, v12
	s_wait_alu 0xfffd
	v_xor_b32_e32 v11, vcc_lo, v11
	v_lshl_add_u32 v63, v9, 2, v55
	v_and_b32_e32 v10, v10, v15
	s_wait_alu 0xf1ff
	v_xor_b32_e32 v9, s12, v12
	ds_load_b32 v64, v63 offset:4
	v_and_b32_e32 v10, v10, v11
	; wave barrier
	s_delay_alu instid0(VALU_DEP_1) | instskip(NEXT) | instid1(VALU_DEP_1)
	v_and_b32_e32 v9, v10, v9
	v_mbcnt_lo_u32_b32 v65, v9, 0
	v_cmp_ne_u32_e64 s12, 0, v9
	s_delay_alu instid0(VALU_DEP_2) | instskip(SKIP_1) | instid1(SALU_CYCLE_1)
	v_cmp_eq_u32_e32 vcc_lo, 0, v65
	s_and_b32 s28, s12, vcc_lo
	s_and_saveexec_b32 s12, s28
	s_cbranch_execz .LBB218_43
; %bb.42:                               ;   in Loop: Header=BB218_37 Depth=1
	s_wait_dscnt 0x0
	v_bcnt_u32_b32 v9, v9, v64
	ds_store_b32 v63, v9 offset:4
.LBB218_43:                             ;   in Loop: Header=BB218_37 Depth=1
	s_wait_alu 0xfffe
	s_or_b32 exec_lo, exec_lo, s12
	v_cmp_ne_u32_e32 vcc_lo, 0x7fffffff, v59
	; wave barrier
	s_wait_alu 0xfffd
	v_cndmask_b32_e32 v9, 0x80000000, v59, vcc_lo
	s_delay_alu instid0(VALU_DEP_1) | instskip(NEXT) | instid1(VALU_DEP_1)
	v_lshrrev_b32_e32 v9, s13, v9
	v_and_b32_e32 v9, s27, v9
	s_delay_alu instid0(VALU_DEP_1)
	v_and_b32_e32 v10, 1, v9
	v_lshlrev_b32_e32 v11, 30, v9
	v_lshlrev_b32_e32 v12, 29, v9
	;; [unrolled: 1-line block ×4, first 2 shown]
	v_add_co_u32 v10, s12, v10, -1
	s_wait_alu 0xf1ff
	v_cndmask_b32_e64 v14, 0, 1, s12
	v_not_b32_e32 v67, v11
	v_cmp_gt_i32_e64 s12, 0, v11
	v_not_b32_e32 v11, v12
	v_lshlrev_b32_e32 v16, 26, v9
	v_cmp_ne_u32_e32 vcc_lo, 0, v14
	v_ashrrev_i32_e32 v67, 31, v67
	v_lshlrev_b32_e32 v66, 25, v9
	v_ashrrev_i32_e32 v11, 31, v11
	v_lshlrev_b32_e32 v14, 24, v9
	s_wait_alu 0xfffd
	v_xor_b32_e32 v10, vcc_lo, v10
	v_cmp_gt_i32_e32 vcc_lo, 0, v12
	v_not_b32_e32 v12, v13
	s_wait_alu 0xf1ff
	v_xor_b32_e32 v67, s12, v67
	v_cmp_gt_i32_e64 s12, 0, v13
	v_and_b32_e32 v10, exec_lo, v10
	v_not_b32_e32 v13, v15
	v_ashrrev_i32_e32 v12, 31, v12
	s_wait_alu 0xfffd
	v_xor_b32_e32 v11, vcc_lo, v11
	v_cmp_gt_i32_e32 vcc_lo, 0, v15
	v_and_b32_e32 v10, v10, v67
	v_not_b32_e32 v15, v16
	v_ashrrev_i32_e32 v13, 31, v13
	s_wait_alu 0xf1ff
	v_xor_b32_e32 v12, s12, v12
	v_cmp_gt_i32_e64 s12, 0, v16
	v_and_b32_e32 v10, v10, v11
	v_not_b32_e32 v11, v66
	v_ashrrev_i32_e32 v15, 31, v15
	s_wait_alu 0xfffd
	v_xor_b32_e32 v13, vcc_lo, v13
	v_cmp_gt_i32_e32 vcc_lo, 0, v66
	v_and_b32_e32 v10, v10, v12
	v_not_b32_e32 v12, v14
	v_ashrrev_i32_e32 v11, 31, v11
	s_wait_alu 0xf1ff
	v_xor_b32_e32 v15, s12, v15
	v_cmp_gt_i32_e64 s12, 0, v14
	v_and_b32_e32 v10, v10, v13
	v_ashrrev_i32_e32 v12, 31, v12
	s_wait_alu 0xfffd
	v_xor_b32_e32 v11, vcc_lo, v11
	v_lshl_add_u32 v66, v9, 2, v55
	v_and_b32_e32 v10, v10, v15
	s_wait_alu 0xf1ff
	v_xor_b32_e32 v9, s12, v12
	ds_load_b32 v68, v66 offset:4
	v_and_b32_e32 v10, v10, v11
	; wave barrier
	s_delay_alu instid0(VALU_DEP_1) | instskip(NEXT) | instid1(VALU_DEP_1)
	v_and_b32_e32 v9, v10, v9
	v_mbcnt_lo_u32_b32 v69, v9, 0
	v_cmp_ne_u32_e64 s12, 0, v9
	s_delay_alu instid0(VALU_DEP_2)
	v_cmp_eq_u32_e32 vcc_lo, 0, v69
	s_and_b32 s27, s12, vcc_lo
	s_wait_alu 0xfffe
	s_and_saveexec_b32 s12, s27
	s_cbranch_execz .LBB218_45
; %bb.44:                               ;   in Loop: Header=BB218_37 Depth=1
	s_wait_dscnt 0x0
	v_bcnt_u32_b32 v9, v9, v68
	ds_store_b32 v66, v9 offset:4
.LBB218_45:                             ;   in Loop: Header=BB218_37 Depth=1
	s_wait_alu 0xfffe
	s_or_b32 exec_lo, exec_lo, s12
	; wave barrier
	; wave barrier
	s_wait_loadcnt_dscnt 0x0
	global_inv scope:SCOPE_SE
	ds_load_2addr_b32 v[15:16], v45 offset0:1 offset1:2
	ds_load_2addr_b32 v[13:14], v45 offset0:3 offset1:4
	;; [unrolled: 1-line block ×4, first 2 shown]
	s_wait_dscnt 0x3
	v_add_nc_u32_e32 v67, v16, v15
	s_wait_dscnt 0x2
	s_delay_alu instid0(VALU_DEP_1) | instskip(SKIP_1) | instid1(VALU_DEP_1)
	v_add3_u32 v67, v67, v13, v14
	s_wait_dscnt 0x1
	v_add3_u32 v67, v67, v11, v12
	s_wait_dscnt 0x0
	s_delay_alu instid0(VALU_DEP_1) | instskip(NEXT) | instid1(VALU_DEP_1)
	v_add3_u32 v10, v67, v9, v10
	v_mov_b32_dpp v67, v10 row_shr:1 row_mask:0xf bank_mask:0xf
	s_delay_alu instid0(VALU_DEP_1) | instskip(NEXT) | instid1(VALU_DEP_1)
	v_cndmask_b32_e64 v67, v67, 0, s7
	v_add_nc_u32_e32 v10, v67, v10
	s_delay_alu instid0(VALU_DEP_1) | instskip(NEXT) | instid1(VALU_DEP_1)
	v_mov_b32_dpp v67, v10 row_shr:2 row_mask:0xf bank_mask:0xf
	v_cndmask_b32_e64 v67, 0, v67, s8
	s_delay_alu instid0(VALU_DEP_1) | instskip(NEXT) | instid1(VALU_DEP_1)
	v_add_nc_u32_e32 v10, v10, v67
	v_mov_b32_dpp v67, v10 row_shr:4 row_mask:0xf bank_mask:0xf
	s_delay_alu instid0(VALU_DEP_1) | instskip(NEXT) | instid1(VALU_DEP_1)
	v_cndmask_b32_e64 v67, 0, v67, s9
	v_add_nc_u32_e32 v10, v10, v67
	s_delay_alu instid0(VALU_DEP_1) | instskip(NEXT) | instid1(VALU_DEP_1)
	v_mov_b32_dpp v67, v10 row_shr:8 row_mask:0xf bank_mask:0xf
	v_cndmask_b32_e64 v67, 0, v67, s10
	s_delay_alu instid0(VALU_DEP_1) | instskip(SKIP_3) | instid1(VALU_DEP_1)
	v_add_nc_u32_e32 v10, v10, v67
	ds_swizzle_b32 v67, v10 offset:swizzle(BROADCAST,32,15)
	s_wait_dscnt 0x0
	v_cndmask_b32_e64 v67, v67, 0, s11
	v_add_nc_u32_e32 v10, v10, v67
	s_and_saveexec_b32 s12, s6
; %bb.46:                               ;   in Loop: Header=BB218_37 Depth=1
	ds_store_b32 v56, v10
; %bb.47:                               ;   in Loop: Header=BB218_37 Depth=1
	s_wait_alu 0xfffe
	s_or_b32 exec_lo, exec_lo, s12
	ds_bpermute_b32 v10, v54, v10
	; wave barrier
	s_wait_loadcnt_dscnt 0x0
	global_inv scope:SCOPE_SE
	s_cmp_gt_u32 s13, 23
	s_mov_b32 s12, -1
	v_cndmask_b32_e64 v10, v10, 0, s25
	s_delay_alu instid0(VALU_DEP_1) | instskip(NEXT) | instid1(VALU_DEP_1)
	v_add_nc_u32_e32 v15, v10, v15
	v_add_nc_u32_e32 v16, v15, v16
	s_delay_alu instid0(VALU_DEP_1) | instskip(NEXT) | instid1(VALU_DEP_1)
	v_add_nc_u32_e32 v13, v16, v13
	v_add_nc_u32_e32 v14, v13, v14
	;; [unrolled: 3-line block ×3, first 2 shown]
	s_delay_alu instid0(VALU_DEP_1)
	v_add_nc_u32_e32 v9, v12, v9
	ds_store_2addr_b32 v45, v10, v15 offset0:1 offset1:2
	ds_store_2addr_b32 v45, v16, v13 offset0:3 offset1:4
	;; [unrolled: 1-line block ×4, first 2 shown]
	; wave barrier
	s_wait_loadcnt_dscnt 0x0
	global_inv scope:SCOPE_SE
	ds_load_b32 v9, v31 offset:4
	ds_load_b32 v10, v32 offset:4
	;; [unrolled: 1-line block ×4, first 2 shown]
                                        ; implicit-def: $vgpr15_vgpr16
	s_wait_dscnt 0x3
	v_add_nc_u32_e32 v67, v9, v30
	s_wait_dscnt 0x2
	v_add3_u32 v66, v62, v33, v10
	s_wait_dscnt 0x1
	v_add3_u32 v63, v65, v64, v11
	;; [unrolled: 2-line block ×3, first 2 shown]
                                        ; implicit-def: $vgpr33
                                        ; implicit-def: $vgpr31
                                        ; implicit-def: $vgpr11_vgpr12
	s_cbranch_scc1 .LBB218_36
; %bb.48:                               ;   in Loop: Header=BB218_37 Depth=1
	v_lshlrev_b32_e32 v9, 2, v67
	v_lshlrev_b32_e32 v10, 2, v66
	;; [unrolled: 1-line block ×4, first 2 shown]
	s_wait_loadcnt 0x0
	; wave barrier
	global_inv scope:SCOPE_SE
	ds_store_b32 v9, v58
	ds_store_b32 v10, v61
	;; [unrolled: 1-line block ×4, first 2 shown]
	v_add_nc_u32_e32 v9, v9, v9
	v_add_nc_u32_e32 v10, v10, v10
	;; [unrolled: 1-line block ×4, first 2 shown]
	; wave barrier
	s_wait_loadcnt_dscnt 0x0
	global_inv scope:SCOPE_SE
	ds_load_2addr_b32 v[30:31], v0 offset1:32
	ds_load_2addr_b32 v[32:33], v0 offset0:64 offset1:96
	; wave barrier
	s_wait_loadcnt_dscnt 0x0
	global_inv scope:SCOPE_SE
	ds_store_b64 v9, v[28:29]
	ds_store_b64 v10, v[26:27]
	;; [unrolled: 1-line block ×4, first 2 shown]
	; wave barrier
	s_wait_loadcnt_dscnt 0x0
	global_inv scope:SCOPE_SE
	ds_load_2addr_b64 v[9:12], v57 offset1:32
	ds_load_2addr_b64 v[13:16], v57 offset0:64 offset1:96
	s_add_co_i32 s13, s13, 8
	s_add_co_i32 s26, s26, -8
	s_mov_b32 s12, 0
	; wave barrier
	s_wait_loadcnt_dscnt 0x0
	global_inv scope:SCOPE_SE
	s_branch .LBB218_36
.LBB218_49:
	v_lshlrev_b32_e32 v0, 2, v67
	v_lshlrev_b32_e32 v14, 2, v63
	v_lshlrev_b32_e32 v9, 2, v38
	v_lshlrev_b32_e32 v13, 2, v66
	v_lshlrev_b32_e32 v15, 2, v62
	s_wait_loadcnt 0x0
	; wave barrier
	global_inv scope:SCOPE_SE
	ds_store_b32 v0, v58
	ds_store_b32 v13, v61
	;; [unrolled: 1-line block ×4, first 2 shown]
	; wave barrier
	s_wait_loadcnt_dscnt 0x0
	global_inv scope:SCOPE_SE
	ds_load_b128 v[9:12], v9
	v_add_nc_u32_e32 v0, v0, v0
	v_add_nc_u32_e32 v13, v13, v13
	;; [unrolled: 1-line block ×3, first 2 shown]
	; wave barrier
	s_wait_loadcnt_dscnt 0x0
	global_inv scope:SCOPE_SE
	ds_store_b64 v0, v[28:29]
	ds_store_b64 v13, v[26:27]
	;; [unrolled: 1-line block ×3, first 2 shown]
	v_add_nc_u32_e32 v15, v15, v15
	s_mov_b32 s9, 0
	ds_store_b64 v15, v[22:23]
	; wave barrier
	s_wait_loadcnt_dscnt 0x0
	global_inv scope:SCOPE_SE
	v_cmp_lt_i32_e32 vcc_lo, -1, v9
	s_wait_alu 0xfffd
	v_cndmask_b32_e64 v0, 0x80000000, -1, vcc_lo
	v_cmp_lt_i32_e32 vcc_lo, -1, v10
	s_delay_alu instid0(VALU_DEP_2) | instskip(SKIP_3) | instid1(VALU_DEP_2)
	v_xor_b32_e32 v9, v0, v9
	s_wait_alu 0xfffd
	v_cndmask_b32_e64 v13, 0x80000000, -1, vcc_lo
	v_cmp_lt_i32_e32 vcc_lo, -1, v11
	v_xor_b32_e32 v10, v13, v10
	s_wait_alu 0xfffd
	v_cndmask_b32_e64 v14, 0x80000000, -1, vcc_lo
	v_cmp_lt_i32_e32 vcc_lo, -1, v12
	s_delay_alu instid0(VALU_DEP_2) | instskip(SKIP_2) | instid1(VALU_DEP_1)
	v_xor_b32_e32 v11, v14, v11
	s_wait_alu 0xfffd
	v_cndmask_b32_e64 v16, 0x80000000, -1, vcc_lo
	v_xor_b32_e32 v12, v16, v12
.LBB218_50:
	s_wait_alu 0xfffe
	s_and_b32 vcc_lo, exec_lo, s9
	s_wait_alu 0xfffe
	s_cbranch_vccz .LBB218_66
; %bb.51:
	v_cmp_gt_i32_e32 vcc_lo, 0, v20
	ds_bpermute_b32 v25, v52, v8
	ds_bpermute_b32 v13, v52, v5
	;; [unrolled: 1-line block ×4, first 2 shown]
	s_wait_alu 0xfffd
	v_cndmask_b32_e64 v0, 0x7fffffff, 0, vcc_lo
	v_cmp_gt_i32_e32 vcc_lo, 0, v21
	ds_bpermute_b32 v28, v52, v2
	v_cmp_eq_u32_e64 s6, 3, v53
	ds_bpermute_b32 v31, v52, v8 offset:32
	v_xor_b32_e32 v0, v0, v20
	s_wait_alu 0xfffd
	v_cndmask_b32_e64 v9, 0x7fffffff, 0, vcc_lo
	v_cmp_gt_i32_e32 vcc_lo, 0, v18
	ds_bpermute_b32 v20, v52, v6
	s_wait_loadcnt_dscnt 0x0
	ds_bpermute_b32 v12, v52, v0
	v_xor_b32_e32 v9, v9, v21
	s_wait_alu 0xfffd
	v_cndmask_b32_e64 v10, 0x7fffffff, 0, vcc_lo
	v_cmp_gt_i32_e32 vcc_lo, 0, v19
	ds_bpermute_b32 v14, v52, v0 offset:32
	ds_bpermute_b32 v15, v52, v0 offset:64
	ds_bpermute_b32 v16, v52, v9
	v_xor_b32_e32 v10, v10, v18
	s_wait_alu 0xfffd
	v_cndmask_b32_e64 v11, 0x7fffffff, 0, vcc_lo
	ds_bpermute_b32 v18, v52, v9 offset:32
	ds_bpermute_b32 v21, v52, v9 offset:64
	;; [unrolled: 1-line block ×4, first 2 shown]
	v_xor_b32_e32 v11, v11, v19
	ds_bpermute_b32 v19, v52, v10
	ds_bpermute_b32 v24, v52, v10 offset:64
	ds_bpermute_b32 v9, v52, v9 offset:96
	v_cmp_eq_u32_e32 vcc_lo, 2, v53
	ds_bpermute_b32 v26, v52, v11
	ds_bpermute_b32 v10, v52, v10 offset:96
	s_wait_dscnt 0xc
	v_cndmask_b32_e64 v12, 0, v12, s1
	ds_bpermute_b32 v29, v52, v11 offset:32
	ds_bpermute_b32 v30, v52, v11 offset:64
	ds_bpermute_b32 v11, v52, v11 offset:96
	s_wait_dscnt 0xe
	v_cndmask_b32_e64 v14, 0, v14, s1
	s_wait_dscnt 0xd
	v_cndmask_b32_e64 v15, 0, v15, s1
	;; [unrolled: 2-line block ×3, first 2 shown]
	ds_bpermute_b32 v16, v52, v5 offset:32
	v_cndmask_b32_e64 v13, 0, v13, s1
	s_wait_dscnt 0xc
	v_cndmask_b32_e64 v14, v14, v18, s0
	s_wait_dscnt 0xb
	;; [unrolled: 2-line block ×3, first 2 shown]
	v_cndmask_b32_e64 v0, 0, v0, s1
	v_cndmask_b32_e64 v21, 0, v20, s1
	;; [unrolled: 1-line block ×3, first 2 shown]
	s_wait_dscnt 0x7
	s_wait_alu 0xfffd
	v_dual_cndmask_b32 v12, v12, v19 :: v_dual_cndmask_b32 v15, v15, v24
	ds_bpermute_b32 v24, v52, v4
	s_wait_dscnt 0x7
	v_cndmask_b32_e64 v0, v0, v9, s0
	v_cndmask_b32_e64 v9, v21, v25, s0
	v_cndmask_b32_e32 v14, v14, v23, vcc_lo
	s_wait_dscnt 0x6
	s_wait_alu 0xf1ff
	v_cndmask_b32_e64 v18, v12, v26, s6
	ds_bpermute_b32 v12, v52, v6 offset:32
	ds_bpermute_b32 v23, v52, v7 offset:32
	ds_bpermute_b32 v26, v52, v3
	s_wait_dscnt 0x8
	v_dual_cndmask_b32 v0, v0, v10 :: v_dual_cndmask_b32 v13, v13, v27
	v_cndmask_b32_e32 v9, v9, v28, vcc_lo
	s_wait_dscnt 0x4
	v_cndmask_b32_e64 v10, 0, v16, s1
	v_cndmask_b32_e64 v19, v14, v29, s6
	ds_bpermute_b32 v14, v52, v6 offset:64
	v_cndmask_b32_e64 v21, v0, v11, s6
	ds_bpermute_b32 v6, v52, v6 offset:96
	ds_bpermute_b32 v22, v52, v8 offset:64
	;; [unrolled: 1-line block ×5, first 2 shown]
	; wave barrier
	s_wait_dscnt 0x0
	global_inv scope:SCOPE_SE
	s_load_b32 s7, s[22:23], 0xc
	ds_bpermute_b32 v27, v52, v4 offset:64
	ds_bpermute_b32 v28, v52, v1 offset:96
	;; [unrolled: 1-line block ×3, first 2 shown]
	v_cndmask_b32_e64 v12, 0, v12, s1
	v_cndmask_b32_e64 v0, v10, v23, s0
	;; [unrolled: 1-line block ×4, first 2 shown]
	ds_bpermute_b32 v13, v52, v5 offset:64
	v_cndmask_b32_e64 v11, v12, v31, s0
	ds_bpermute_b32 v12, v52, v2 offset:32
	ds_bpermute_b32 v23, v52, v7 offset:64
	;; [unrolled: 1-line block ×7, first 2 shown]
	v_cndmask_b32_e64 v14, 0, v14, s1
	v_cndmask_b32_e64 v6, 0, v6, s1
	;; [unrolled: 1-line block ×3, first 2 shown]
	ds_bpermute_b32 v15, v52, v3 offset:32
	ds_bpermute_b32 v26, v52, v3 offset:64
	v_cmp_eq_u32_e64 s9, 31, v17
	v_cndmask_b32_e64 v6, v6, v8, s0
	s_mov_b32 s12, 0
	s_mov_b32 s22, 32
	s_wait_dscnt 0x9
	v_cndmask_b32_e64 v1, 0, v13, s1
	ds_bpermute_b32 v13, v52, v3 offset:96
	s_wait_dscnt 0x7
	v_cndmask_b32_e64 v5, 0, v5, s1
	v_cndmask_b32_e64 v1, v1, v23, s0
	v_cndmask_b32_e32 v3, v11, v12, vcc_lo
	v_cndmask_b32_e64 v11, v14, v22, s0
	s_wait_dscnt 0x4
	v_cndmask_b32_e32 v2, v6, v2, vcc_lo
	v_cndmask_b32_e64 v5, v5, v7, s0
	v_cndmask_b32_e32 v8, v1, v25, vcc_lo
	v_cndmask_b32_e64 v12, v3, v16, s6
	v_cndmask_b32_e32 v3, v11, v24, vcc_lo
	s_getpc_b64 s[0:1]
	s_wait_alu 0xfffe
	s_sext_i32_i16 s1, s1
	s_add_co_u32 s0, s0, _ZN7rocprim17ROCPRIM_400000_NS16block_radix_sortIfLj32ELj4ElLj1ELj1ELj0ELNS0_26block_radix_rank_algorithmE1ELNS0_18block_padding_hintE2ELNS0_4arch9wavefront6targetE0EE19radix_bits_per_passE@rel32@lo+12
	s_wait_alu 0xfffe
	s_add_co_ci_u32 s1, s1, _ZN7rocprim17ROCPRIM_400000_NS16block_radix_sortIfLj32ELj4ElLj1ELj1ELj0ELNS0_26block_radix_rank_algorithmE1ELNS0_18block_padding_hintE2ELNS0_4arch9wavefront6targetE0EE19radix_bits_per_passE@rel32@hi+24
	s_wait_kmcnt 0x0
	s_lshr_b32 s8, s7, 16
	v_dual_cndmask_b32 v5, v5, v28 :: v_dual_lshlrev_b32 v22, 2, v47
	v_cndmask_b32_e64 v1, v3, v27, s6
	v_cndmask_b32_e64 v3, v2, v4, s6
	s_wait_alu 0xfffe
	v_mad_u32_u24 v4, v51, s8, v50
	s_load_b32 s11, s[0:1], 0x0
	s_and_b32 s0, s7, 0xffff
	s_wait_dscnt 0x0
	v_cndmask_b32_e64 v2, v5, v13, s6
	v_cmp_lt_u32_e64 s1, 1, v49
	s_wait_alu 0xfffe
	v_mad_co_u64_u32 v[4:5], null, v4, s0, v[17:18]
	v_sub_co_u32 v5, s10, v46, 1
	v_cndmask_b32_e32 v0, v0, v32, vcc_lo
	v_cmp_eq_u32_e64 s0, 0, v49
	v_cmp_lt_u32_e64 s7, 7, v49
	s_delay_alu instid0(VALU_DEP_4)
	v_cmp_gt_i32_e32 vcc_lo, 0, v5
	v_lshrrev_b32_e32 v4, 3, v4
	v_cmp_eq_u32_e64 s8, 0, v48
	v_mov_b32_e32 v25, 0
	s_wait_alu 0xfffd
	v_cndmask_b32_e32 v5, v5, v46, vcc_lo
	v_cmp_eq_u32_e32 vcc_lo, 0, v17
	v_cndmask_b32_e64 v11, v0, v15, s6
	v_cndmask_b32_e64 v0, v8, v26, s6
	v_cmp_lt_u32_e64 s6, 3, v49
	v_lshlrev_b32_e32 v23, 2, v5
	v_and_b32_e32 v24, 0x1ffffffc, v4
	v_add_nc_u32_e32 v26, v22, v22
	s_or_b32 s13, vcc_lo, s10
	s_branch .LBB218_53
.LBB218_52:                             ;   in Loop: Header=BB218_53 Depth=1
	s_wait_alu 0xfffe
	s_and_not1_b32 vcc_lo, exec_lo, s10
	s_wait_alu 0xfffe
	s_cbranch_vccz .LBB218_65
.LBB218_53:                             ; =>This Inner Loop Header: Depth=1
	s_wait_kmcnt 0x0
	s_min_u32 s10, s11, s22
	ds_store_2addr_b32 v45, v25, v25 offset0:1 offset1:2
	ds_store_2addr_b32 v45, v25, v25 offset0:3 offset1:4
	;; [unrolled: 1-line block ×4, first 2 shown]
	s_wait_alu 0xfffe
	s_lshl_b32 s10, -1, s10
	s_wait_loadcnt_dscnt 0x0
	s_wait_alu 0xfffe
	s_not_b32 s23, s10
	v_mov_b32_e32 v27, v18
	; wave barrier
	global_inv scope:SCOPE_SE
	; wave barrier
	v_mov_b32_e32 v29, v20
	v_cmp_ne_u32_e32 vcc_lo, 0x80000000, v27
	v_mov_b32_e32 v28, v21
	v_mov_b32_e32 v30, v19
	s_wait_alu 0xfffd
	v_cndmask_b32_e32 v4, 0x7fffffff, v27, vcc_lo
	s_delay_alu instid0(VALU_DEP_1) | instskip(SKIP_1) | instid1(VALU_DEP_1)
	v_lshrrev_b32_e32 v4, s12, v4
	s_wait_alu 0xfffe
	v_and_b32_e32 v18, s23, v4
	s_delay_alu instid0(VALU_DEP_1)
	v_and_b32_e32 v4, 1, v18
	v_lshlrev_b32_e32 v5, 30, v18
	v_lshlrev_b32_e32 v6, 29, v18
	;; [unrolled: 1-line block ×4, first 2 shown]
	v_add_co_u32 v4, s10, v4, -1
	s_wait_alu 0xf1ff
	v_cndmask_b32_e64 v8, 0, 1, s10
	v_not_b32_e32 v16, v5
	v_cmp_gt_i32_e64 s10, 0, v5
	v_not_b32_e32 v5, v6
	v_lshlrev_b32_e32 v14, 26, v18
	v_cmp_ne_u32_e32 vcc_lo, 0, v8
	v_ashrrev_i32_e32 v16, 31, v16
	v_lshlrev_b32_e32 v15, 25, v18
	v_ashrrev_i32_e32 v5, 31, v5
	v_lshlrev_b32_e32 v8, 24, v18
	s_wait_alu 0xfffd
	v_xor_b32_e32 v4, vcc_lo, v4
	v_cmp_gt_i32_e32 vcc_lo, 0, v6
	v_not_b32_e32 v6, v7
	s_wait_alu 0xf1ff
	v_xor_b32_e32 v16, s10, v16
	v_cmp_gt_i32_e64 s10, 0, v7
	v_and_b32_e32 v4, exec_lo, v4
	v_not_b32_e32 v7, v13
	v_ashrrev_i32_e32 v6, 31, v6
	s_wait_alu 0xfffd
	v_xor_b32_e32 v5, vcc_lo, v5
	v_cmp_gt_i32_e32 vcc_lo, 0, v13
	v_and_b32_e32 v4, v4, v16
	v_not_b32_e32 v13, v14
	v_ashrrev_i32_e32 v7, 31, v7
	s_wait_alu 0xf1ff
	v_xor_b32_e32 v6, s10, v6
	v_cmp_gt_i32_e64 s10, 0, v14
	v_and_b32_e32 v4, v4, v5
	v_ashrrev_i32_e32 v13, 31, v13
	s_wait_alu 0xfffd
	v_xor_b32_e32 v7, vcc_lo, v7
	v_not_b32_e32 v5, v15
	v_cmp_gt_i32_e32 vcc_lo, 0, v15
	v_and_b32_e32 v4, v4, v6
	s_wait_alu 0xf1ff
	v_xor_b32_e32 v13, s10, v13
	v_mov_b32_e32 v16, v10
	v_ashrrev_i32_e32 v5, 31, v5
	v_dual_mov_b32 v15, v9 :: v_dual_and_b32 v4, v4, v7
	v_lshl_add_u32 v18, v18, 2, v24
	s_wait_alu 0xfffd
	s_delay_alu instid0(VALU_DEP_3) | instskip(NEXT) | instid1(VALU_DEP_3)
	v_xor_b32_e32 v5, vcc_lo, v5
	v_and_b32_e32 v4, v4, v13
	v_dual_mov_b32 v14, v12 :: v_dual_mov_b32 v13, v11
	v_not_b32_e32 v6, v8
	v_cmp_gt_i32_e64 s10, 0, v8
	s_delay_alu instid0(VALU_DEP_4) | instskip(NEXT) | instid1(VALU_DEP_3)
	v_and_b32_e32 v4, v4, v5
	v_ashrrev_i32_e32 v6, 31, v6
	s_wait_alu 0xf1ff
	s_delay_alu instid0(VALU_DEP_1) | instskip(NEXT) | instid1(VALU_DEP_1)
	v_xor_b32_e32 v6, s10, v6
	v_dual_mov_b32 v5, v3 :: v_dual_and_b32 v8, v4, v6
	v_dual_mov_b32 v7, v1 :: v_dual_mov_b32 v4, v2
	v_mov_b32_e32 v6, v0
	s_delay_alu instid0(VALU_DEP_3) | instskip(SKIP_1) | instid1(VALU_DEP_2)
	v_mbcnt_lo_u32_b32 v12, v8, 0
	v_cmp_ne_u32_e64 s10, 0, v8
	v_cmp_eq_u32_e32 vcc_lo, 0, v12
	s_and_b32 s24, s10, vcc_lo
	s_wait_alu 0xfffe
	s_and_saveexec_b32 s10, s24
; %bb.54:                               ;   in Loop: Header=BB218_53 Depth=1
	v_bcnt_u32_b32 v0, v8, 0
	ds_store_b32 v18, v0 offset:4
; %bb.55:                               ;   in Loop: Header=BB218_53 Depth=1
	s_wait_alu 0xfffe
	s_or_b32 exec_lo, exec_lo, s10
	v_cmp_ne_u32_e32 vcc_lo, 0x80000000, v30
	; wave barrier
	s_wait_alu 0xfffd
	v_cndmask_b32_e32 v0, 0x7fffffff, v30, vcc_lo
	s_delay_alu instid0(VALU_DEP_1) | instskip(NEXT) | instid1(VALU_DEP_1)
	v_lshrrev_b32_e32 v0, s12, v0
	v_and_b32_e32 v0, s23, v0
	s_delay_alu instid0(VALU_DEP_1)
	v_and_b32_e32 v1, 1, v0
	v_lshlrev_b32_e32 v2, 30, v0
	v_lshlrev_b32_e32 v3, 29, v0
	;; [unrolled: 1-line block ×4, first 2 shown]
	v_add_co_u32 v1, s10, v1, -1
	s_wait_alu 0xf1ff
	v_cndmask_b32_e64 v9, 0, 1, s10
	v_not_b32_e32 v20, v2
	v_cmp_gt_i32_e64 s10, 0, v2
	v_not_b32_e32 v2, v3
	v_lshlrev_b32_e32 v11, 26, v0
	v_cmp_ne_u32_e32 vcc_lo, 0, v9
	v_ashrrev_i32_e32 v20, 31, v20
	v_lshlrev_b32_e32 v19, 25, v0
	v_ashrrev_i32_e32 v2, 31, v2
	v_lshlrev_b32_e32 v9, 24, v0
	s_wait_alu 0xfffd
	v_xor_b32_e32 v1, vcc_lo, v1
	v_cmp_gt_i32_e32 vcc_lo, 0, v3
	v_not_b32_e32 v3, v8
	s_wait_alu 0xf1ff
	v_xor_b32_e32 v20, s10, v20
	v_cmp_gt_i32_e64 s10, 0, v8
	v_and_b32_e32 v1, exec_lo, v1
	v_not_b32_e32 v8, v10
	v_ashrrev_i32_e32 v3, 31, v3
	s_wait_alu 0xfffd
	v_xor_b32_e32 v2, vcc_lo, v2
	v_cmp_gt_i32_e32 vcc_lo, 0, v10
	v_and_b32_e32 v1, v1, v20
	v_not_b32_e32 v10, v11
	v_ashrrev_i32_e32 v8, 31, v8
	s_wait_alu 0xf1ff
	v_xor_b32_e32 v3, s10, v3
	v_cmp_gt_i32_e64 s10, 0, v11
	v_and_b32_e32 v1, v1, v2
	v_not_b32_e32 v2, v19
	v_ashrrev_i32_e32 v10, 31, v10
	s_wait_alu 0xfffd
	v_xor_b32_e32 v8, vcc_lo, v8
	v_cmp_gt_i32_e32 vcc_lo, 0, v19
	v_and_b32_e32 v1, v1, v3
	v_not_b32_e32 v3, v9
	v_ashrrev_i32_e32 v2, 31, v2
	s_wait_alu 0xf1ff
	v_xor_b32_e32 v10, s10, v10
	v_cmp_gt_i32_e64 s10, 0, v9
	v_and_b32_e32 v1, v1, v8
	v_ashrrev_i32_e32 v3, 31, v3
	s_wait_alu 0xfffd
	v_xor_b32_e32 v2, vcc_lo, v2
	v_lshl_add_u32 v19, v0, 2, v24
	v_and_b32_e32 v1, v1, v10
	s_wait_alu 0xf1ff
	v_xor_b32_e32 v0, s10, v3
	ds_load_b32 v20, v19 offset:4
	v_and_b32_e32 v1, v1, v2
	; wave barrier
	s_delay_alu instid0(VALU_DEP_1) | instskip(NEXT) | instid1(VALU_DEP_1)
	v_and_b32_e32 v0, v1, v0
	v_mbcnt_lo_u32_b32 v21, v0, 0
	v_cmp_ne_u32_e64 s10, 0, v0
	s_delay_alu instid0(VALU_DEP_2)
	v_cmp_eq_u32_e32 vcc_lo, 0, v21
	s_and_b32 s24, s10, vcc_lo
	s_wait_alu 0xfffe
	s_and_saveexec_b32 s10, s24
	s_cbranch_execz .LBB218_57
; %bb.56:                               ;   in Loop: Header=BB218_53 Depth=1
	s_wait_dscnt 0x0
	v_bcnt_u32_b32 v0, v0, v20
	ds_store_b32 v19, v0 offset:4
.LBB218_57:                             ;   in Loop: Header=BB218_53 Depth=1
	s_wait_alu 0xfffe
	s_or_b32 exec_lo, exec_lo, s10
	v_cmp_ne_u32_e32 vcc_lo, 0x80000000, v29
	; wave barrier
	s_wait_alu 0xfffd
	v_cndmask_b32_e32 v0, 0x7fffffff, v29, vcc_lo
	s_delay_alu instid0(VALU_DEP_1) | instskip(NEXT) | instid1(VALU_DEP_1)
	v_lshrrev_b32_e32 v0, s12, v0
	v_and_b32_e32 v0, s23, v0
	s_delay_alu instid0(VALU_DEP_1)
	v_and_b32_e32 v1, 1, v0
	v_lshlrev_b32_e32 v2, 30, v0
	v_lshlrev_b32_e32 v3, 29, v0
	;; [unrolled: 1-line block ×4, first 2 shown]
	v_add_co_u32 v1, s10, v1, -1
	s_wait_alu 0xf1ff
	v_cndmask_b32_e64 v9, 0, 1, s10
	v_not_b32_e32 v32, v2
	v_cmp_gt_i32_e64 s10, 0, v2
	v_not_b32_e32 v2, v3
	v_lshlrev_b32_e32 v11, 26, v0
	v_cmp_ne_u32_e32 vcc_lo, 0, v9
	v_ashrrev_i32_e32 v32, 31, v32
	v_lshlrev_b32_e32 v31, 25, v0
	v_ashrrev_i32_e32 v2, 31, v2
	v_lshlrev_b32_e32 v9, 24, v0
	s_wait_alu 0xfffd
	v_xor_b32_e32 v1, vcc_lo, v1
	v_cmp_gt_i32_e32 vcc_lo, 0, v3
	v_not_b32_e32 v3, v8
	s_wait_alu 0xf1ff
	v_xor_b32_e32 v32, s10, v32
	v_cmp_gt_i32_e64 s10, 0, v8
	v_and_b32_e32 v1, exec_lo, v1
	v_not_b32_e32 v8, v10
	v_ashrrev_i32_e32 v3, 31, v3
	s_wait_alu 0xfffd
	v_xor_b32_e32 v2, vcc_lo, v2
	v_cmp_gt_i32_e32 vcc_lo, 0, v10
	v_and_b32_e32 v1, v1, v32
	v_not_b32_e32 v10, v11
	v_ashrrev_i32_e32 v8, 31, v8
	s_wait_alu 0xf1ff
	v_xor_b32_e32 v3, s10, v3
	v_cmp_gt_i32_e64 s10, 0, v11
	v_and_b32_e32 v1, v1, v2
	v_not_b32_e32 v2, v31
	v_ashrrev_i32_e32 v10, 31, v10
	s_wait_alu 0xfffd
	v_xor_b32_e32 v8, vcc_lo, v8
	v_cmp_gt_i32_e32 vcc_lo, 0, v31
	v_and_b32_e32 v1, v1, v3
	v_not_b32_e32 v3, v9
	v_ashrrev_i32_e32 v2, 31, v2
	s_wait_alu 0xf1ff
	v_xor_b32_e32 v10, s10, v10
	v_cmp_gt_i32_e64 s10, 0, v9
	v_and_b32_e32 v1, v1, v8
	v_ashrrev_i32_e32 v3, 31, v3
	s_wait_alu 0xfffd
	v_xor_b32_e32 v2, vcc_lo, v2
	v_lshl_add_u32 v31, v0, 2, v24
	v_and_b32_e32 v1, v1, v10
	s_wait_alu 0xf1ff
	v_xor_b32_e32 v0, s10, v3
	ds_load_b32 v32, v31 offset:4
	v_and_b32_e32 v1, v1, v2
	; wave barrier
	s_delay_alu instid0(VALU_DEP_1) | instskip(NEXT) | instid1(VALU_DEP_1)
	v_and_b32_e32 v0, v1, v0
	v_mbcnt_lo_u32_b32 v33, v0, 0
	v_cmp_ne_u32_e64 s10, 0, v0
	s_delay_alu instid0(VALU_DEP_2)
	v_cmp_eq_u32_e32 vcc_lo, 0, v33
	s_and_b32 s24, s10, vcc_lo
	s_wait_alu 0xfffe
	s_and_saveexec_b32 s10, s24
	s_cbranch_execz .LBB218_59
; %bb.58:                               ;   in Loop: Header=BB218_53 Depth=1
	s_wait_dscnt 0x0
	v_bcnt_u32_b32 v0, v0, v32
	ds_store_b32 v31, v0 offset:4
.LBB218_59:                             ;   in Loop: Header=BB218_53 Depth=1
	s_wait_alu 0xfffe
	s_or_b32 exec_lo, exec_lo, s10
	v_cmp_ne_u32_e32 vcc_lo, 0x80000000, v28
	; wave barrier
	s_wait_alu 0xfffd
	v_cndmask_b32_e32 v0, 0x7fffffff, v28, vcc_lo
	s_delay_alu instid0(VALU_DEP_1) | instskip(NEXT) | instid1(VALU_DEP_1)
	v_lshrrev_b32_e32 v0, s12, v0
	v_and_b32_e32 v0, s23, v0
	s_delay_alu instid0(VALU_DEP_1)
	v_and_b32_e32 v1, 1, v0
	v_lshlrev_b32_e32 v2, 30, v0
	v_lshlrev_b32_e32 v3, 29, v0
	;; [unrolled: 1-line block ×4, first 2 shown]
	v_add_co_u32 v1, s10, v1, -1
	s_wait_alu 0xf1ff
	v_cndmask_b32_e64 v9, 0, 1, s10
	v_not_b32_e32 v47, v2
	v_cmp_gt_i32_e64 s10, 0, v2
	v_not_b32_e32 v2, v3
	v_lshlrev_b32_e32 v11, 26, v0
	v_cmp_ne_u32_e32 vcc_lo, 0, v9
	v_ashrrev_i32_e32 v47, 31, v47
	v_lshlrev_b32_e32 v46, 25, v0
	v_ashrrev_i32_e32 v2, 31, v2
	v_lshlrev_b32_e32 v9, 24, v0
	s_wait_alu 0xfffd
	v_xor_b32_e32 v1, vcc_lo, v1
	v_cmp_gt_i32_e32 vcc_lo, 0, v3
	v_not_b32_e32 v3, v8
	s_wait_alu 0xf1ff
	v_xor_b32_e32 v47, s10, v47
	v_cmp_gt_i32_e64 s10, 0, v8
	v_and_b32_e32 v1, exec_lo, v1
	v_not_b32_e32 v8, v10
	v_ashrrev_i32_e32 v3, 31, v3
	s_wait_alu 0xfffd
	v_xor_b32_e32 v2, vcc_lo, v2
	v_cmp_gt_i32_e32 vcc_lo, 0, v10
	v_and_b32_e32 v1, v1, v47
	v_not_b32_e32 v10, v11
	v_ashrrev_i32_e32 v8, 31, v8
	s_wait_alu 0xf1ff
	v_xor_b32_e32 v3, s10, v3
	v_cmp_gt_i32_e64 s10, 0, v11
	v_and_b32_e32 v1, v1, v2
	v_not_b32_e32 v2, v46
	v_ashrrev_i32_e32 v10, 31, v10
	s_wait_alu 0xfffd
	v_xor_b32_e32 v8, vcc_lo, v8
	v_cmp_gt_i32_e32 vcc_lo, 0, v46
	v_and_b32_e32 v1, v1, v3
	v_not_b32_e32 v3, v9
	v_ashrrev_i32_e32 v2, 31, v2
	s_wait_alu 0xf1ff
	v_xor_b32_e32 v10, s10, v10
	v_cmp_gt_i32_e64 s10, 0, v9
	v_and_b32_e32 v1, v1, v8
	v_ashrrev_i32_e32 v3, 31, v3
	s_wait_alu 0xfffd
	v_xor_b32_e32 v2, vcc_lo, v2
	v_lshl_add_u32 v46, v0, 2, v24
	v_and_b32_e32 v1, v1, v10
	s_wait_alu 0xf1ff
	v_xor_b32_e32 v0, s10, v3
	ds_load_b32 v48, v46 offset:4
	v_and_b32_e32 v1, v1, v2
	; wave barrier
	s_delay_alu instid0(VALU_DEP_1) | instskip(NEXT) | instid1(VALU_DEP_1)
	v_and_b32_e32 v0, v1, v0
	v_mbcnt_lo_u32_b32 v49, v0, 0
	v_cmp_ne_u32_e64 s10, 0, v0
	s_delay_alu instid0(VALU_DEP_2)
	v_cmp_eq_u32_e32 vcc_lo, 0, v49
	s_and_b32 s23, s10, vcc_lo
	s_wait_alu 0xfffe
	s_and_saveexec_b32 s10, s23
	s_cbranch_execz .LBB218_61
; %bb.60:                               ;   in Loop: Header=BB218_53 Depth=1
	s_wait_dscnt 0x0
	v_bcnt_u32_b32 v0, v0, v48
	ds_store_b32 v46, v0 offset:4
.LBB218_61:                             ;   in Loop: Header=BB218_53 Depth=1
	s_wait_alu 0xfffe
	s_or_b32 exec_lo, exec_lo, s10
	; wave barrier
	; wave barrier
	s_wait_loadcnt_dscnt 0x0
	global_inv scope:SCOPE_SE
	ds_load_2addr_b32 v[10:11], v45 offset0:1 offset1:2
	ds_load_2addr_b32 v[8:9], v45 offset0:3 offset1:4
	;; [unrolled: 1-line block ×4, first 2 shown]
	s_wait_dscnt 0x3
	v_add_nc_u32_e32 v47, v11, v10
	s_wait_dscnt 0x2
	s_delay_alu instid0(VALU_DEP_1) | instskip(SKIP_1) | instid1(VALU_DEP_1)
	v_add3_u32 v47, v47, v8, v9
	s_wait_dscnt 0x1
	v_add3_u32 v47, v47, v2, v3
	s_wait_dscnt 0x0
	s_delay_alu instid0(VALU_DEP_1) | instskip(NEXT) | instid1(VALU_DEP_1)
	v_add3_u32 v1, v47, v0, v1
	v_mov_b32_dpp v47, v1 row_shr:1 row_mask:0xf bank_mask:0xf
	s_delay_alu instid0(VALU_DEP_1) | instskip(NEXT) | instid1(VALU_DEP_1)
	v_cndmask_b32_e64 v47, v47, 0, s0
	v_add_nc_u32_e32 v1, v47, v1
	s_delay_alu instid0(VALU_DEP_1) | instskip(NEXT) | instid1(VALU_DEP_1)
	v_mov_b32_dpp v47, v1 row_shr:2 row_mask:0xf bank_mask:0xf
	v_cndmask_b32_e64 v47, 0, v47, s1
	s_delay_alu instid0(VALU_DEP_1) | instskip(NEXT) | instid1(VALU_DEP_1)
	v_add_nc_u32_e32 v1, v1, v47
	v_mov_b32_dpp v47, v1 row_shr:4 row_mask:0xf bank_mask:0xf
	s_delay_alu instid0(VALU_DEP_1) | instskip(NEXT) | instid1(VALU_DEP_1)
	v_cndmask_b32_e64 v47, 0, v47, s6
	v_add_nc_u32_e32 v1, v1, v47
	s_delay_alu instid0(VALU_DEP_1) | instskip(NEXT) | instid1(VALU_DEP_1)
	v_mov_b32_dpp v47, v1 row_shr:8 row_mask:0xf bank_mask:0xf
	v_cndmask_b32_e64 v47, 0, v47, s7
	s_delay_alu instid0(VALU_DEP_1) | instskip(SKIP_3) | instid1(VALU_DEP_1)
	v_add_nc_u32_e32 v1, v1, v47
	ds_swizzle_b32 v47, v1 offset:swizzle(BROADCAST,32,15)
	s_wait_dscnt 0x0
	v_cndmask_b32_e64 v47, v47, 0, s8
	v_add_nc_u32_e32 v1, v1, v47
	s_and_saveexec_b32 s10, s9
; %bb.62:                               ;   in Loop: Header=BB218_53 Depth=1
	ds_store_b32 v25, v1
; %bb.63:                               ;   in Loop: Header=BB218_53 Depth=1
	s_wait_alu 0xfffe
	s_or_b32 exec_lo, exec_lo, s10
	ds_bpermute_b32 v1, v23, v1
	; wave barrier
	s_wait_loadcnt_dscnt 0x0
	global_inv scope:SCOPE_SE
	s_cmp_gt_u32 s12, 23
	s_mov_b32 s10, -1
	v_cndmask_b32_e64 v1, v1, 0, s13
	s_delay_alu instid0(VALU_DEP_1) | instskip(NEXT) | instid1(VALU_DEP_1)
	v_add_nc_u32_e32 v10, v1, v10
	v_add_nc_u32_e32 v11, v10, v11
	s_delay_alu instid0(VALU_DEP_1) | instskip(NEXT) | instid1(VALU_DEP_1)
	v_add_nc_u32_e32 v8, v11, v8
	v_add_nc_u32_e32 v9, v8, v9
	;; [unrolled: 3-line block ×3, first 2 shown]
	s_delay_alu instid0(VALU_DEP_1)
	v_add_nc_u32_e32 v0, v3, v0
	ds_store_2addr_b32 v45, v1, v10 offset0:1 offset1:2
	ds_store_2addr_b32 v45, v11, v8 offset0:3 offset1:4
	ds_store_2addr_b32 v45, v9, v2 offset0:5 offset1:6
	ds_store_2addr_b32 v45, v3, v0 offset0:7 offset1:8
	; wave barrier
	s_wait_loadcnt_dscnt 0x0
	global_inv scope:SCOPE_SE
	ds_load_b32 v0, v18 offset:4
	ds_load_b32 v1, v19 offset:4
	ds_load_b32 v2, v31 offset:4
	ds_load_b32 v3, v46 offset:4
                                        ; implicit-def: $vgpr19
	s_wait_dscnt 0x3
	v_add_nc_u32_e32 v47, v0, v12
	s_wait_dscnt 0x2
	v_add3_u32 v46, v21, v20, v1
	s_wait_dscnt 0x1
	v_add3_u32 v31, v33, v32, v2
	;; [unrolled: 2-line block ×3, first 2 shown]
                                        ; implicit-def: $vgpr21
                                        ; implicit-def: $vgpr2_vgpr3
                                        ; implicit-def: $vgpr11_vgpr12
	s_cbranch_scc1 .LBB218_52
; %bb.64:                               ;   in Loop: Header=BB218_53 Depth=1
	v_lshlrev_b32_e32 v0, 2, v47
	v_lshlrev_b32_e32 v1, 2, v46
	;; [unrolled: 1-line block ×4, first 2 shown]
	s_wait_loadcnt 0x0
	; wave barrier
	global_inv scope:SCOPE_SE
	ds_store_b32 v0, v27
	ds_store_b32 v1, v30
	;; [unrolled: 1-line block ×4, first 2 shown]
	v_add_nc_u32_e32 v0, v0, v0
	v_add_nc_u32_e32 v1, v1, v1
	;; [unrolled: 1-line block ×4, first 2 shown]
	; wave barrier
	s_wait_loadcnt_dscnt 0x0
	global_inv scope:SCOPE_SE
	ds_load_2addr_b32 v[18:19], v22 offset1:32
	ds_load_2addr_b32 v[20:21], v22 offset0:64 offset1:96
	; wave barrier
	s_wait_loadcnt_dscnt 0x0
	global_inv scope:SCOPE_SE
	ds_store_b64 v0, v[15:16]
	ds_store_b64 v1, v[13:14]
	;; [unrolled: 1-line block ×4, first 2 shown]
	; wave barrier
	s_wait_loadcnt_dscnt 0x0
	global_inv scope:SCOPE_SE
	ds_load_2addr_b64 v[9:12], v26 offset1:32
	ds_load_2addr_b64 v[0:3], v26 offset0:64 offset1:96
	s_add_co_i32 s12, s12, 8
	s_add_co_i32 s22, s22, -8
	s_mov_b32 s10, 0
	; wave barrier
	s_wait_loadcnt_dscnt 0x0
	global_inv scope:SCOPE_SE
	s_branch .LBB218_52
.LBB218_65:
	v_lshlrev_b32_e32 v9, 2, v47
	v_lshlrev_b32_e32 v11, 2, v31
	;; [unrolled: 1-line block ×5, first 2 shown]
	s_wait_loadcnt 0x0
	; wave barrier
	global_inv scope:SCOPE_SE
	ds_store_b32 v9, v27
	ds_store_b32 v10, v30
	;; [unrolled: 1-line block ×4, first 2 shown]
	; wave barrier
	s_wait_loadcnt_dscnt 0x0
	global_inv scope:SCOPE_SE
	ds_load_b128 v[0:3], v0
	v_add_nc_u32_e32 v9, v9, v9
	; wave barrier
	s_wait_loadcnt_dscnt 0x0
	global_inv scope:SCOPE_SE
	v_add_nc_u32_e32 v18, v11, v11
	v_add_nc_u32_e32 v10, v10, v10
	ds_store_b64 v9, v[15:16]
	v_add_nc_u32_e32 v8, v8, v8
	ds_store_b64 v10, v[13:14]
	ds_store_b64 v18, v[6:7]
	;; [unrolled: 1-line block ×3, first 2 shown]
	; wave barrier
	s_wait_loadcnt_dscnt 0x0
	global_inv scope:SCOPE_SE
	v_cmp_gt_i32_e32 vcc_lo, 0, v0
	s_wait_alu 0xfffd
	v_cndmask_b32_e64 v9, 0x7fffffff, 0, vcc_lo
	v_cmp_gt_i32_e32 vcc_lo, 0, v1
	s_delay_alu instid0(VALU_DEP_2) | instskip(SKIP_3) | instid1(VALU_DEP_2)
	v_xor_b32_e32 v9, v9, v0
	s_wait_alu 0xfffd
	v_cndmask_b32_e64 v11, 0x7fffffff, 0, vcc_lo
	v_cmp_gt_i32_e32 vcc_lo, 0, v2
	v_xor_b32_e32 v10, v11, v1
	s_wait_alu 0xfffd
	v_cndmask_b32_e64 v12, 0x7fffffff, 0, vcc_lo
	v_cmp_gt_i32_e32 vcc_lo, 0, v3
	s_delay_alu instid0(VALU_DEP_2) | instskip(SKIP_2) | instid1(VALU_DEP_1)
	v_xor_b32_e32 v11, v12, v2
	s_wait_alu 0xfffd
	v_cndmask_b32_e64 v15, 0x7fffffff, 0, vcc_lo
	v_xor_b32_e32 v12, v15, v3
.LBB218_66:
	v_mad_co_u64_u32 v[13:14], null, s14, v17, 0
	v_lshlrev_b32_e32 v0, 3, v38
	ds_load_b128 v[4:7], v0
	ds_load_b128 v[0:3], v0 offset:16
	v_mov_b32_e32 v8, v14
	; wave barrier
	s_wait_loadcnt_dscnt 0x0
	global_inv scope:SCOPE_SE
	ds_store_2addr_b32 v39, v9, v10 offset1:1
	ds_store_2addr_b32 v39, v11, v12 offset0:2 offset1:3
	s_wait_loadcnt_dscnt 0x0
	v_mad_co_u64_u32 v[14:15], null, s15, v17, v[8:9]
	; wave barrier
	global_inv scope:SCOPE_SE
	ds_load_b32 v12, v35 offset:128
	ds_load_b32 v11, v36 offset:256
	;; [unrolled: 1-line block ×3, first 2 shown]
	v_lshlrev_b64_e32 v[8:9], 2, v[13:14]
	s_delay_alu instid0(VALU_DEP_1) | instskip(SKIP_1) | instid1(VALU_DEP_2)
	v_add_co_u32 v8, vcc_lo, s18, v8
	s_wait_alu 0xfffd
	v_add_co_ci_u32_e64 v9, null, s19, v9, vcc_lo
	s_and_saveexec_b32 s0, s2
	s_cbranch_execnz .LBB218_77
; %bb.67:
	s_wait_alu 0xfffe
	s_or_b32 exec_lo, exec_lo, s0
	s_and_saveexec_b32 s0, s3
	s_cbranch_execnz .LBB218_78
.LBB218_68:
	s_wait_alu 0xfffe
	s_or_b32 exec_lo, exec_lo, s0
	s_and_saveexec_b32 s0, s4
	s_cbranch_execnz .LBB218_79
.LBB218_69:
	s_wait_alu 0xfffe
	s_or_b32 exec_lo, exec_lo, s0
	s_and_saveexec_b32 s0, s5
	s_cbranch_execz .LBB218_71
.LBB218_70:
	v_mad_co_u64_u32 v[8:9], null, 0x180, s14, v[8:9]
	s_wait_dscnt 0x0
	s_delay_alu instid0(VALU_DEP_1) | instskip(NEXT) | instid1(VALU_DEP_1)
	v_mad_co_u64_u32 v[11:12], null, 0x180, s15, v[9:10]
	v_mov_b32_e32 v9, v11
	global_store_b32 v[8:9], v10, off
.LBB218_71:
	s_wait_alu 0xfffe
	s_or_b32 exec_lo, exec_lo, s0
	v_mad_co_u64_u32 v[8:9], null, s16, v17, 0
	s_wait_storecnt 0x0
	; wave barrier
	s_wait_loadcnt_dscnt 0x0
	global_inv scope:SCOPE_SE
	ds_store_2addr_b64 v44, v[4:5], v[6:7] offset1:1
	ds_store_2addr_b64 v44, v[0:1], v[2:3] offset0:2 offset1:3
	; wave barrier
	s_wait_loadcnt_dscnt 0x0
	global_inv scope:SCOPE_SE
	ds_load_b64 v[6:7], v41 offset:256
	ds_load_b64 v[4:5], v42 offset:512
	;; [unrolled: 1-line block ×3, first 2 shown]
	v_mad_co_u64_u32 v[9:10], null, s17, v17, v[9:10]
	s_delay_alu instid0(VALU_DEP_1) | instskip(NEXT) | instid1(VALU_DEP_1)
	v_lshlrev_b64_e32 v[2:3], 3, v[8:9]
	v_add_co_u32 v2, vcc_lo, s20, v2
	s_wait_alu 0xfffd
	s_delay_alu instid0(VALU_DEP_2)
	v_add_co_ci_u32_e64 v3, null, s21, v3, vcc_lo
	s_and_saveexec_b32 s0, s2
	s_cbranch_execnz .LBB218_80
; %bb.72:
	s_wait_alu 0xfffe
	s_or_b32 exec_lo, exec_lo, s0
	s_and_saveexec_b32 s0, s3
	s_cbranch_execnz .LBB218_81
.LBB218_73:
	s_wait_alu 0xfffe
	s_or_b32 exec_lo, exec_lo, s0
	s_and_saveexec_b32 s0, s4
	s_cbranch_execnz .LBB218_82
.LBB218_74:
	s_wait_alu 0xfffe
	s_or_b32 exec_lo, exec_lo, s0
	s_and_saveexec_b32 s0, s5
	s_cbranch_execz .LBB218_76
.LBB218_75:
	v_mad_co_u64_u32 v[2:3], null, 0x300, s16, v[2:3]
	s_wait_dscnt 0x1
	s_delay_alu instid0(VALU_DEP_1)
	v_mad_co_u64_u32 v[3:4], null, 0x300, s17, v[3:4]
	s_wait_dscnt 0x0
	global_store_b64 v[2:3], v[0:1], off
.LBB218_76:
	s_endpgm
.LBB218_77:
	ds_load_b32 v13, v34
	s_wait_dscnt 0x0
	global_store_b32 v[8:9], v13, off
	s_wait_alu 0xfffe
	s_or_b32 exec_lo, exec_lo, s0
	s_and_saveexec_b32 s0, s3
	s_cbranch_execz .LBB218_68
.LBB218_78:
	s_lshl_b64 s[6:7], s[14:15], 7
	s_wait_alu 0xfffe
	v_add_co_u32 v13, vcc_lo, v8, s6
	s_wait_alu 0xfffd
	v_add_co_ci_u32_e64 v14, null, s7, v9, vcc_lo
	s_wait_dscnt 0x2
	global_store_b32 v[13:14], v12, off
	s_or_b32 exec_lo, exec_lo, s0
	s_and_saveexec_b32 s0, s4
	s_cbranch_execz .LBB218_69
.LBB218_79:
	s_lshl_b64 s[6:7], s[14:15], 8
	s_wait_dscnt 0x2
	s_wait_alu 0xfffe
	v_add_co_u32 v12, vcc_lo, v8, s6
	s_wait_alu 0xfffd
	v_add_co_ci_u32_e64 v13, null, s7, v9, vcc_lo
	s_wait_dscnt 0x1
	global_store_b32 v[12:13], v11, off
	s_or_b32 exec_lo, exec_lo, s0
	s_and_saveexec_b32 s0, s5
	s_cbranch_execnz .LBB218_70
	s_branch .LBB218_71
.LBB218_80:
	ds_load_b64 v[8:9], v40
	s_wait_dscnt 0x0
	global_store_b64 v[2:3], v[8:9], off
	s_wait_alu 0xfffe
	s_or_b32 exec_lo, exec_lo, s0
	s_and_saveexec_b32 s0, s3
	s_cbranch_execz .LBB218_73
.LBB218_81:
	s_lshl_b64 s[2:3], s[16:17], 8
	s_wait_alu 0xfffe
	v_add_co_u32 v8, vcc_lo, v2, s2
	s_wait_alu 0xfffd
	v_add_co_ci_u32_e64 v9, null, s3, v3, vcc_lo
	s_wait_dscnt 0x2
	global_store_b64 v[8:9], v[6:7], off
	s_or_b32 exec_lo, exec_lo, s0
	s_and_saveexec_b32 s0, s4
	s_cbranch_execz .LBB218_74
.LBB218_82:
	s_lshl_b64 s[2:3], s[16:17], 9
	s_wait_dscnt 0x2
	s_wait_alu 0xfffe
	v_add_co_u32 v6, vcc_lo, v2, s2
	s_wait_alu 0xfffd
	v_add_co_ci_u32_e64 v7, null, s3, v3, vcc_lo
	s_wait_dscnt 0x1
	global_store_b64 v[6:7], v[4:5], off
	s_or_b32 exec_lo, exec_lo, s0
	s_and_saveexec_b32 s0, s5
	s_cbranch_execnz .LBB218_75
	s_branch .LBB218_76
	.section	.rodata,"a",@progbits
	.p2align	6, 0x0
	.amdhsa_kernel _ZN2at6native18radixSortKVInPlaceILin1ELin1ELi32ELi4EflmEEvNS_4cuda6detail10TensorInfoIT3_T5_EES6_S6_S6_NS4_IT4_S6_EES6_b
		.amdhsa_group_segment_fixed_size 1056
		.amdhsa_private_segment_fixed_size 0
		.amdhsa_kernarg_size 1128
		.amdhsa_user_sgpr_count 2
		.amdhsa_user_sgpr_dispatch_ptr 0
		.amdhsa_user_sgpr_queue_ptr 0
		.amdhsa_user_sgpr_kernarg_segment_ptr 1
		.amdhsa_user_sgpr_dispatch_id 0
		.amdhsa_user_sgpr_private_segment_size 0
		.amdhsa_wavefront_size32 1
		.amdhsa_uses_dynamic_stack 0
		.amdhsa_enable_private_segment 0
		.amdhsa_system_sgpr_workgroup_id_x 1
		.amdhsa_system_sgpr_workgroup_id_y 1
		.amdhsa_system_sgpr_workgroup_id_z 1
		.amdhsa_system_sgpr_workgroup_info 0
		.amdhsa_system_vgpr_workitem_id 2
		.amdhsa_next_free_vgpr 70
		.amdhsa_next_free_sgpr 36
		.amdhsa_reserve_vcc 1
		.amdhsa_float_round_mode_32 0
		.amdhsa_float_round_mode_16_64 0
		.amdhsa_float_denorm_mode_32 3
		.amdhsa_float_denorm_mode_16_64 3
		.amdhsa_fp16_overflow 0
		.amdhsa_workgroup_processor_mode 1
		.amdhsa_memory_ordered 1
		.amdhsa_forward_progress 1
		.amdhsa_inst_pref_size 89
		.amdhsa_round_robin_scheduling 0
		.amdhsa_exception_fp_ieee_invalid_op 0
		.amdhsa_exception_fp_denorm_src 0
		.amdhsa_exception_fp_ieee_div_zero 0
		.amdhsa_exception_fp_ieee_overflow 0
		.amdhsa_exception_fp_ieee_underflow 0
		.amdhsa_exception_fp_ieee_inexact 0
		.amdhsa_exception_int_div_zero 0
	.end_amdhsa_kernel
	.section	.text._ZN2at6native18radixSortKVInPlaceILin1ELin1ELi32ELi4EflmEEvNS_4cuda6detail10TensorInfoIT3_T5_EES6_S6_S6_NS4_IT4_S6_EES6_b,"axG",@progbits,_ZN2at6native18radixSortKVInPlaceILin1ELin1ELi32ELi4EflmEEvNS_4cuda6detail10TensorInfoIT3_T5_EES6_S6_S6_NS4_IT4_S6_EES6_b,comdat
.Lfunc_end218:
	.size	_ZN2at6native18radixSortKVInPlaceILin1ELin1ELi32ELi4EflmEEvNS_4cuda6detail10TensorInfoIT3_T5_EES6_S6_S6_NS4_IT4_S6_EES6_b, .Lfunc_end218-_ZN2at6native18radixSortKVInPlaceILin1ELin1ELi32ELi4EflmEEvNS_4cuda6detail10TensorInfoIT3_T5_EES6_S6_S6_NS4_IT4_S6_EES6_b
                                        ; -- End function
	.set _ZN2at6native18radixSortKVInPlaceILin1ELin1ELi32ELi4EflmEEvNS_4cuda6detail10TensorInfoIT3_T5_EES6_S6_S6_NS4_IT4_S6_EES6_b.num_vgpr, 70
	.set _ZN2at6native18radixSortKVInPlaceILin1ELin1ELi32ELi4EflmEEvNS_4cuda6detail10TensorInfoIT3_T5_EES6_S6_S6_NS4_IT4_S6_EES6_b.num_agpr, 0
	.set _ZN2at6native18radixSortKVInPlaceILin1ELin1ELi32ELi4EflmEEvNS_4cuda6detail10TensorInfoIT3_T5_EES6_S6_S6_NS4_IT4_S6_EES6_b.numbered_sgpr, 36
	.set _ZN2at6native18radixSortKVInPlaceILin1ELin1ELi32ELi4EflmEEvNS_4cuda6detail10TensorInfoIT3_T5_EES6_S6_S6_NS4_IT4_S6_EES6_b.num_named_barrier, 0
	.set _ZN2at6native18radixSortKVInPlaceILin1ELin1ELi32ELi4EflmEEvNS_4cuda6detail10TensorInfoIT3_T5_EES6_S6_S6_NS4_IT4_S6_EES6_b.private_seg_size, 0
	.set _ZN2at6native18radixSortKVInPlaceILin1ELin1ELi32ELi4EflmEEvNS_4cuda6detail10TensorInfoIT3_T5_EES6_S6_S6_NS4_IT4_S6_EES6_b.uses_vcc, 1
	.set _ZN2at6native18radixSortKVInPlaceILin1ELin1ELi32ELi4EflmEEvNS_4cuda6detail10TensorInfoIT3_T5_EES6_S6_S6_NS4_IT4_S6_EES6_b.uses_flat_scratch, 0
	.set _ZN2at6native18radixSortKVInPlaceILin1ELin1ELi32ELi4EflmEEvNS_4cuda6detail10TensorInfoIT3_T5_EES6_S6_S6_NS4_IT4_S6_EES6_b.has_dyn_sized_stack, 0
	.set _ZN2at6native18radixSortKVInPlaceILin1ELin1ELi32ELi4EflmEEvNS_4cuda6detail10TensorInfoIT3_T5_EES6_S6_S6_NS4_IT4_S6_EES6_b.has_recursion, 0
	.set _ZN2at6native18radixSortKVInPlaceILin1ELin1ELi32ELi4EflmEEvNS_4cuda6detail10TensorInfoIT3_T5_EES6_S6_S6_NS4_IT4_S6_EES6_b.has_indirect_call, 0
	.section	.AMDGPU.csdata,"",@progbits
; Kernel info:
; codeLenInByte = 11308
; TotalNumSgprs: 38
; NumVgprs: 70
; ScratchSize: 0
; MemoryBound: 0
; FloatMode: 240
; IeeeMode: 1
; LDSByteSize: 1056 bytes/workgroup (compile time only)
; SGPRBlocks: 0
; VGPRBlocks: 8
; NumSGPRsForWavesPerEU: 38
; NumVGPRsForWavesPerEU: 70
; Occupancy: 16
; WaveLimiterHint : 1
; COMPUTE_PGM_RSRC2:SCRATCH_EN: 0
; COMPUTE_PGM_RSRC2:USER_SGPR: 2
; COMPUTE_PGM_RSRC2:TRAP_HANDLER: 0
; COMPUTE_PGM_RSRC2:TGID_X_EN: 1
; COMPUTE_PGM_RSRC2:TGID_Y_EN: 1
; COMPUTE_PGM_RSRC2:TGID_Z_EN: 1
; COMPUTE_PGM_RSRC2:TIDIG_COMP_CNT: 2
	.section	.text._ZN2at6native18radixSortKVInPlaceILin1ELin1ELi16ELi2EflmEEvNS_4cuda6detail10TensorInfoIT3_T5_EES6_S6_S6_NS4_IT4_S6_EES6_b,"axG",@progbits,_ZN2at6native18radixSortKVInPlaceILin1ELin1ELi16ELi2EflmEEvNS_4cuda6detail10TensorInfoIT3_T5_EES6_S6_S6_NS4_IT4_S6_EES6_b,comdat
	.protected	_ZN2at6native18radixSortKVInPlaceILin1ELin1ELi16ELi2EflmEEvNS_4cuda6detail10TensorInfoIT3_T5_EES6_S6_S6_NS4_IT4_S6_EES6_b ; -- Begin function _ZN2at6native18radixSortKVInPlaceILin1ELin1ELi16ELi2EflmEEvNS_4cuda6detail10TensorInfoIT3_T5_EES6_S6_S6_NS4_IT4_S6_EES6_b
	.globl	_ZN2at6native18radixSortKVInPlaceILin1ELin1ELi16ELi2EflmEEvNS_4cuda6detail10TensorInfoIT3_T5_EES6_S6_S6_NS4_IT4_S6_EES6_b
	.p2align	8
	.type	_ZN2at6native18radixSortKVInPlaceILin1ELin1ELi16ELi2EflmEEvNS_4cuda6detail10TensorInfoIT3_T5_EES6_S6_S6_NS4_IT4_S6_EES6_b,@function
_ZN2at6native18radixSortKVInPlaceILin1ELin1ELi16ELi2EflmEEvNS_4cuda6detail10TensorInfoIT3_T5_EES6_S6_S6_NS4_IT4_S6_EES6_b: ; @_ZN2at6native18radixSortKVInPlaceILin1ELin1ELi16ELi2EflmEEvNS_4cuda6detail10TensorInfoIT3_T5_EES6_S6_S6_NS4_IT4_S6_EES6_b
; %bb.0:
	s_clause 0x1
	s_load_b64 s[2:3], s[0:1], 0x368
	s_load_b128 s[4:7], s[0:1], 0x1a0
	s_wait_kmcnt 0x0
	s_lshr_b32 s7, ttmp7, 16
	s_and_b32 s8, ttmp7, 0xffff
	s_mul_i32 s3, s3, s7
	s_delay_alu instid0(SALU_CYCLE_1) | instskip(NEXT) | instid1(SALU_CYCLE_1)
	s_add_co_i32 s3, s3, s8
	s_mul_i32 s2, s3, s2
	s_mov_b32 s3, 0
	s_add_co_i32 s2, s2, ttmp9
	s_delay_alu instid0(SALU_CYCLE_1)
	v_cmp_le_u64_e64 s4, s[4:5], s[2:3]
	s_and_b32 vcc_lo, exec_lo, s4
	s_cbranch_vccnz .LBB219_68
; %bb.1:
	s_clause 0x1
	s_load_b32 s7, s[0:1], 0x198
	s_load_b64 s[16:17], s[0:1], 0x1b0
	s_mov_b64 s[4:5], 0
	s_mov_b64 s[10:11], s[2:3]
	s_wait_kmcnt 0x0
	s_cmp_lt_i32 s7, 2
	s_cbranch_scc1 .LBB219_9
; %bb.2:
	s_mov_b32 s8, 0
	s_add_co_i32 s4, s7, -1
	s_mov_b32 s5, s8
	s_add_co_i32 s7, s7, 1
	s_wait_alu 0xfffe
	s_lshl_b64 s[4:5], s[4:5], 3
	s_mov_b64 s[14:15], s[2:3]
	s_wait_alu 0xfffe
	s_add_nc_u64 s[10:11], s[0:1], s[4:5]
	s_mov_b64 s[4:5], 0
	s_add_nc_u64 s[12:13], s[10:11], 8
.LBB219_3:                              ; =>This Inner Loop Header: Depth=1
	s_load_b64 s[18:19], s[12:13], 0x0
	s_wait_kmcnt 0x0
	s_or_b64 s[10:11], s[14:15], s[18:19]
	s_delay_alu instid0(SALU_CYCLE_1)
	s_mov_b32 s9, s11
                                        ; implicit-def: $sgpr10_sgpr11
	s_wait_alu 0xfffe
	s_cmp_lg_u64 s[8:9], 0
	s_mov_b32 s9, -1
	s_cbranch_scc0 .LBB219_5
; %bb.4:                                ;   in Loop: Header=BB219_3 Depth=1
	s_cvt_f32_u32 s9, s18
	s_cvt_f32_u32 s10, s19
	s_sub_nc_u64 s[20:21], 0, s[18:19]
	s_mov_b32 s23, s8
	s_mov_b32 s27, s8
	s_wait_alu 0xfffe
	s_fmamk_f32 s9, s10, 0x4f800000, s9
	s_wait_alu 0xfffe
	s_delay_alu instid0(SALU_CYCLE_2) | instskip(NEXT) | instid1(TRANS32_DEP_1)
	v_s_rcp_f32 s9, s9
	s_mul_f32 s9, s9, 0x5f7ffffc
	s_wait_alu 0xfffe
	s_delay_alu instid0(SALU_CYCLE_2) | instskip(NEXT) | instid1(SALU_CYCLE_3)
	s_mul_f32 s10, s9, 0x2f800000
	s_trunc_f32 s10, s10
	s_delay_alu instid0(SALU_CYCLE_3) | instskip(SKIP_2) | instid1(SALU_CYCLE_1)
	s_fmamk_f32 s9, s10, 0xcf800000, s9
	s_cvt_u32_f32 s11, s10
	s_wait_alu 0xfffe
	s_cvt_u32_f32 s10, s9
	s_delay_alu instid0(SALU_CYCLE_3) | instskip(NEXT) | instid1(SALU_CYCLE_1)
	s_mul_u64 s[24:25], s[20:21], s[10:11]
	s_mul_hi_u32 s29, s10, s25
	s_mul_i32 s28, s10, s25
	s_mul_hi_u32 s22, s10, s24
	s_mul_i32 s26, s11, s24
	s_add_nc_u64 s[22:23], s[22:23], s[28:29]
	s_mul_hi_u32 s9, s11, s24
	s_mul_hi_u32 s30, s11, s25
	s_add_co_u32 s22, s22, s26
	s_wait_alu 0xfffe
	s_add_co_ci_u32 s26, s23, s9
	s_mul_i32 s24, s11, s25
	s_add_co_ci_u32 s25, s30, 0
	s_delay_alu instid0(SALU_CYCLE_1)
	s_add_nc_u64 s[22:23], s[26:27], s[24:25]
	s_mov_b32 s25, s8
	s_add_co_u32 s10, s10, s22
	s_cselect_b32 s9, -1, 0
	s_wait_alu 0xfffe
	s_cmp_lg_u32 s9, 0
	s_add_co_ci_u32 s11, s11, s23
	s_mov_b32 s23, s8
	s_mul_u64 s[20:21], s[20:21], s[10:11]
	s_delay_alu instid0(SALU_CYCLE_1)
	s_mul_hi_u32 s27, s10, s21
	s_mul_i32 s26, s10, s21
	s_mul_hi_u32 s22, s10, s20
	s_mul_i32 s24, s11, s20
	s_add_nc_u64 s[22:23], s[22:23], s[26:27]
	s_mul_hi_u32 s9, s11, s20
	s_mul_hi_u32 s28, s11, s21
	s_mul_i32 s20, s11, s21
	s_add_co_u32 s21, s22, s24
	s_wait_alu 0xfffe
	s_add_co_ci_u32 s24, s23, s9
	s_add_co_ci_u32 s21, s28, 0
	s_mov_b32 s23, s8
	s_add_nc_u64 s[20:21], s[24:25], s[20:21]
	s_delay_alu instid0(SALU_CYCLE_1)
	s_add_co_u32 s9, s10, s20
	s_cselect_b32 s10, -1, 0
	s_wait_alu 0xfffe
	s_mul_hi_u32 s22, s14, s9
	s_cmp_lg_u32 s10, 0
	s_mul_hi_u32 s24, s15, s9
	s_add_co_ci_u32 s20, s11, s21
	s_mul_i32 s9, s15, s9
	s_mul_hi_u32 s11, s14, s20
	s_mul_i32 s10, s14, s20
	s_mul_hi_u32 s21, s15, s20
	s_add_nc_u64 s[10:11], s[22:23], s[10:11]
	s_mul_i32 s20, s15, s20
	s_wait_alu 0xfffe
	s_add_co_u32 s9, s10, s9
	s_add_co_ci_u32 s24, s11, s24
	s_add_co_ci_u32 s21, s21, 0
	s_delay_alu instid0(SALU_CYCLE_1) | instskip(NEXT) | instid1(SALU_CYCLE_1)
	s_add_nc_u64 s[10:11], s[24:25], s[20:21]
	s_mul_u64 s[20:21], s[18:19], s[10:11]
	s_delay_alu instid0(SALU_CYCLE_1)
	s_sub_co_u32 s9, s14, s20
	s_cselect_b32 s20, -1, 0
	s_sub_co_i32 s22, s15, s21
	s_cmp_lg_u32 s20, 0
	s_sub_co_ci_u32 s22, s22, s19
	s_wait_alu 0xfffe
	s_sub_co_u32 s23, s9, s18
	s_cselect_b32 s24, -1, 0
	s_delay_alu instid0(SALU_CYCLE_1) | instskip(SKIP_1) | instid1(SALU_CYCLE_1)
	s_cmp_lg_u32 s24, 0
	s_sub_co_ci_u32 s22, s22, 0
	s_cmp_ge_u32 s22, s19
	s_cselect_b32 s24, -1, 0
	s_cmp_ge_u32 s23, s18
	s_cselect_b32 s25, -1, 0
	s_cmp_eq_u32 s22, s19
	s_add_nc_u64 s[22:23], s[10:11], 1
	s_cselect_b32 s26, s25, s24
	s_add_nc_u64 s[24:25], s[10:11], 2
	s_cmp_lg_u32 s26, 0
	s_cselect_b32 s22, s24, s22
	s_cselect_b32 s23, s25, s23
	s_cmp_lg_u32 s20, 0
	s_sub_co_ci_u32 s20, s15, s21
	s_delay_alu instid0(SALU_CYCLE_1)
	s_cmp_ge_u32 s20, s19
	s_cselect_b32 s21, -1, 0
	s_cmp_ge_u32 s9, s18
	s_cselect_b32 s9, -1, 0
	s_cmp_eq_u32 s20, s19
	s_wait_alu 0xfffe
	s_cselect_b32 s9, s9, s21
	s_wait_alu 0xfffe
	s_cmp_lg_u32 s9, 0
	s_mov_b32 s9, 0
	s_cselect_b32 s11, s23, s11
	s_cselect_b32 s10, s22, s10
.LBB219_5:                              ;   in Loop: Header=BB219_3 Depth=1
	s_wait_alu 0xfffe
	s_and_not1_b32 vcc_lo, exec_lo, s9
	s_cbranch_vccnz .LBB219_7
; %bb.6:                                ;   in Loop: Header=BB219_3 Depth=1
	v_cvt_f32_u32_e32 v1, s18
	s_sub_co_i32 s10, 0, s18
	s_delay_alu instid0(VALU_DEP_1) | instskip(NEXT) | instid1(TRANS32_DEP_1)
	v_rcp_iflag_f32_e32 v1, v1
	v_mul_f32_e32 v1, 0x4f7ffffe, v1
	s_delay_alu instid0(VALU_DEP_1) | instskip(NEXT) | instid1(VALU_DEP_1)
	v_cvt_u32_f32_e32 v1, v1
	v_readfirstlane_b32 s9, v1
	s_mul_i32 s10, s10, s9
	s_delay_alu instid0(SALU_CYCLE_1) | instskip(NEXT) | instid1(SALU_CYCLE_1)
	s_mul_hi_u32 s10, s9, s10
	s_add_co_i32 s9, s9, s10
	s_wait_alu 0xfffe
	s_mul_hi_u32 s9, s14, s9
	s_wait_alu 0xfffe
	s_mul_i32 s10, s9, s18
	s_add_co_i32 s11, s9, 1
	s_sub_co_i32 s10, s14, s10
	s_delay_alu instid0(SALU_CYCLE_1)
	s_sub_co_i32 s20, s10, s18
	s_cmp_ge_u32 s10, s18
	s_cselect_b32 s9, s11, s9
	s_cselect_b32 s10, s20, s10
	s_wait_alu 0xfffe
	s_add_co_i32 s11, s9, 1
	s_cmp_ge_u32 s10, s18
	s_cselect_b32 s10, s11, s9
	s_mov_b32 s11, s8
.LBB219_7:                              ;   in Loop: Header=BB219_3 Depth=1
	s_load_b64 s[20:21], s[12:13], 0xc8
	s_mul_u64 s[18:19], s[10:11], s[18:19]
	s_add_co_i32 s7, s7, -1
	s_wait_alu 0xfffe
	s_sub_nc_u64 s[14:15], s[14:15], s[18:19]
	s_cmp_gt_u32 s7, 2
	s_add_nc_u64 s[12:13], s[12:13], -8
	s_wait_kmcnt 0x0
	s_mul_u64 s[14:15], s[20:21], s[14:15]
	s_delay_alu instid0(SALU_CYCLE_1)
	s_add_nc_u64 s[4:5], s[14:15], s[4:5]
	s_cbranch_scc0 .LBB219_9
; %bb.8:                                ;   in Loop: Header=BB219_3 Depth=1
	s_mov_b64 s[14:15], s[10:11]
	s_branch .LBB219_3
.LBB219_9:
	s_load_b32 s7, s[0:1], 0x350
	s_mov_b64 s[8:9], 0
	s_wait_kmcnt 0x0
	s_cmp_lt_i32 s7, 2
	s_cbranch_scc1 .LBB219_17
; %bb.10:
	s_mov_b32 s12, 0
	s_add_co_i32 s8, s7, -1
	s_mov_b32 s9, s12
	s_add_co_i32 s7, s7, 1
	s_wait_alu 0xfffe
	s_lshl_b64 s[8:9], s[8:9], 3
	s_wait_alu 0xfffe
	s_add_nc_u64 s[8:9], s[0:1], s[8:9]
	s_wait_alu 0xfffe
	s_add_nc_u64 s[14:15], s[8:9], 0x1c0
	s_mov_b64 s[8:9], 0
.LBB219_11:                             ; =>This Inner Loop Header: Depth=1
	s_load_b64 s[18:19], s[14:15], 0x0
                                        ; implicit-def: $sgpr22_sgpr23
	s_wait_kmcnt 0x0
	s_or_b64 s[20:21], s[2:3], s[18:19]
	s_delay_alu instid0(SALU_CYCLE_1)
	s_mov_b32 s13, s21
	s_wait_alu 0xfffe
	s_cmp_lg_u64 s[12:13], 0
	s_mov_b32 s13, -1
	s_cbranch_scc0 .LBB219_13
; %bb.12:                               ;   in Loop: Header=BB219_11 Depth=1
	s_cvt_f32_u32 s13, s18
	s_cvt_f32_u32 s20, s19
	s_sub_nc_u64 s[22:23], 0, s[18:19]
	s_mov_b32 s25, s12
	s_mov_b32 s29, s12
	s_wait_alu 0xfffe
	s_fmamk_f32 s13, s20, 0x4f800000, s13
	s_wait_alu 0xfffe
	s_delay_alu instid0(SALU_CYCLE_2) | instskip(NEXT) | instid1(TRANS32_DEP_1)
	v_s_rcp_f32 s13, s13
	s_mul_f32 s13, s13, 0x5f7ffffc
	s_wait_alu 0xfffe
	s_delay_alu instid0(SALU_CYCLE_2) | instskip(NEXT) | instid1(SALU_CYCLE_3)
	s_mul_f32 s20, s13, 0x2f800000
	s_trunc_f32 s20, s20
	s_delay_alu instid0(SALU_CYCLE_3) | instskip(SKIP_2) | instid1(SALU_CYCLE_1)
	s_fmamk_f32 s13, s20, 0xcf800000, s13
	s_cvt_u32_f32 s21, s20
	s_wait_alu 0xfffe
	s_cvt_u32_f32 s20, s13
	s_delay_alu instid0(SALU_CYCLE_3) | instskip(NEXT) | instid1(SALU_CYCLE_1)
	s_mul_u64 s[26:27], s[22:23], s[20:21]
	s_mul_hi_u32 s31, s20, s27
	s_mul_i32 s30, s20, s27
	s_mul_hi_u32 s24, s20, s26
	s_mul_i32 s28, s21, s26
	s_add_nc_u64 s[24:25], s[24:25], s[30:31]
	s_mul_hi_u32 s13, s21, s26
	s_mul_hi_u32 s33, s21, s27
	s_add_co_u32 s24, s24, s28
	s_wait_alu 0xfffe
	s_add_co_ci_u32 s28, s25, s13
	s_mul_i32 s26, s21, s27
	s_add_co_ci_u32 s27, s33, 0
	s_delay_alu instid0(SALU_CYCLE_1)
	s_add_nc_u64 s[24:25], s[28:29], s[26:27]
	s_mov_b32 s27, s12
	s_add_co_u32 s20, s20, s24
	s_cselect_b32 s13, -1, 0
	s_wait_alu 0xfffe
	s_cmp_lg_u32 s13, 0
	s_add_co_ci_u32 s21, s21, s25
	s_mov_b32 s25, s12
	s_mul_u64 s[22:23], s[22:23], s[20:21]
	s_delay_alu instid0(SALU_CYCLE_1)
	s_mul_hi_u32 s29, s20, s23
	s_mul_i32 s28, s20, s23
	s_mul_hi_u32 s24, s20, s22
	s_mul_i32 s26, s21, s22
	s_add_nc_u64 s[24:25], s[24:25], s[28:29]
	s_mul_hi_u32 s13, s21, s22
	s_mul_hi_u32 s30, s21, s23
	s_mul_i32 s22, s21, s23
	s_add_co_u32 s23, s24, s26
	s_wait_alu 0xfffe
	s_add_co_ci_u32 s26, s25, s13
	s_add_co_ci_u32 s23, s30, 0
	s_mov_b32 s25, s12
	s_add_nc_u64 s[22:23], s[26:27], s[22:23]
	s_delay_alu instid0(SALU_CYCLE_1)
	s_add_co_u32 s13, s20, s22
	s_cselect_b32 s20, -1, 0
	s_wait_alu 0xfffe
	s_mul_hi_u32 s24, s2, s13
	s_cmp_lg_u32 s20, 0
	s_mul_hi_u32 s26, s3, s13
	s_add_co_ci_u32 s22, s21, s23
	s_mul_i32 s13, s3, s13
	s_mul_hi_u32 s21, s2, s22
	s_mul_i32 s20, s2, s22
	s_mul_hi_u32 s23, s3, s22
	s_add_nc_u64 s[20:21], s[24:25], s[20:21]
	s_mul_i32 s22, s3, s22
	s_wait_alu 0xfffe
	s_add_co_u32 s13, s20, s13
	s_add_co_ci_u32 s26, s21, s26
	s_add_co_ci_u32 s23, s23, 0
	s_delay_alu instid0(SALU_CYCLE_1) | instskip(NEXT) | instid1(SALU_CYCLE_1)
	s_add_nc_u64 s[20:21], s[26:27], s[22:23]
	s_mul_u64 s[22:23], s[18:19], s[20:21]
	s_delay_alu instid0(SALU_CYCLE_1)
	s_sub_co_u32 s13, s2, s22
	s_cselect_b32 s22, -1, 0
	s_sub_co_i32 s24, s3, s23
	s_cmp_lg_u32 s22, 0
	s_sub_co_ci_u32 s24, s24, s19
	s_wait_alu 0xfffe
	s_sub_co_u32 s25, s13, s18
	s_cselect_b32 s26, -1, 0
	s_delay_alu instid0(SALU_CYCLE_1) | instskip(SKIP_1) | instid1(SALU_CYCLE_1)
	s_cmp_lg_u32 s26, 0
	s_sub_co_ci_u32 s24, s24, 0
	s_cmp_ge_u32 s24, s19
	s_cselect_b32 s26, -1, 0
	s_cmp_ge_u32 s25, s18
	s_cselect_b32 s27, -1, 0
	s_cmp_eq_u32 s24, s19
	s_add_nc_u64 s[24:25], s[20:21], 1
	s_cselect_b32 s28, s27, s26
	s_add_nc_u64 s[26:27], s[20:21], 2
	s_cmp_lg_u32 s28, 0
	s_cselect_b32 s24, s26, s24
	s_cselect_b32 s25, s27, s25
	s_cmp_lg_u32 s22, 0
	s_sub_co_ci_u32 s22, s3, s23
	s_delay_alu instid0(SALU_CYCLE_1)
	s_cmp_ge_u32 s22, s19
	s_cselect_b32 s23, -1, 0
	s_cmp_ge_u32 s13, s18
	s_cselect_b32 s13, -1, 0
	s_cmp_eq_u32 s22, s19
	s_wait_alu 0xfffe
	s_cselect_b32 s13, s13, s23
	s_wait_alu 0xfffe
	s_cmp_lg_u32 s13, 0
	s_mov_b32 s13, 0
	s_cselect_b32 s23, s25, s21
	s_cselect_b32 s22, s24, s20
.LBB219_13:                             ;   in Loop: Header=BB219_11 Depth=1
	s_wait_alu 0xfffe
	s_and_not1_b32 vcc_lo, exec_lo, s13
	s_cbranch_vccnz .LBB219_15
; %bb.14:                               ;   in Loop: Header=BB219_11 Depth=1
	v_cvt_f32_u32_e32 v1, s18
	s_sub_co_i32 s20, 0, s18
	s_mov_b32 s23, s12
	s_delay_alu instid0(VALU_DEP_1) | instskip(NEXT) | instid1(TRANS32_DEP_1)
	v_rcp_iflag_f32_e32 v1, v1
	v_mul_f32_e32 v1, 0x4f7ffffe, v1
	s_delay_alu instid0(VALU_DEP_1) | instskip(NEXT) | instid1(VALU_DEP_1)
	v_cvt_u32_f32_e32 v1, v1
	v_readfirstlane_b32 s13, v1
	s_mul_i32 s20, s20, s13
	s_delay_alu instid0(SALU_CYCLE_1) | instskip(NEXT) | instid1(SALU_CYCLE_1)
	s_mul_hi_u32 s20, s13, s20
	s_add_co_i32 s13, s13, s20
	s_wait_alu 0xfffe
	s_mul_hi_u32 s13, s2, s13
	s_wait_alu 0xfffe
	s_mul_i32 s20, s13, s18
	s_add_co_i32 s21, s13, 1
	s_sub_co_i32 s20, s2, s20
	s_delay_alu instid0(SALU_CYCLE_1)
	s_sub_co_i32 s22, s20, s18
	s_cmp_ge_u32 s20, s18
	s_cselect_b32 s13, s21, s13
	s_cselect_b32 s20, s22, s20
	s_wait_alu 0xfffe
	s_add_co_i32 s21, s13, 1
	s_cmp_ge_u32 s20, s18
	s_cselect_b32 s22, s21, s13
.LBB219_15:                             ;   in Loop: Header=BB219_11 Depth=1
	s_load_b64 s[20:21], s[14:15], 0xc8
	s_mul_u64 s[18:19], s[22:23], s[18:19]
	s_add_co_i32 s7, s7, -1
	s_wait_alu 0xfffe
	s_sub_nc_u64 s[2:3], s[2:3], s[18:19]
	s_cmp_gt_u32 s7, 2
	s_add_nc_u64 s[14:15], s[14:15], -8
	s_wait_kmcnt 0x0
	s_wait_alu 0xfffe
	s_mul_u64 s[2:3], s[20:21], s[2:3]
	s_wait_alu 0xfffe
	s_add_nc_u64 s[8:9], s[2:3], s[8:9]
	s_cbranch_scc0 .LBB219_18
; %bb.16:                               ;   in Loop: Header=BB219_11 Depth=1
	s_mov_b64 s[2:3], s[22:23]
	s_branch .LBB219_11
.LBB219_17:
	s_mov_b64 s[22:23], s[2:3]
.LBB219_18:
	s_clause 0x2
	s_load_b64 s[2:3], s[0:1], 0xd0
	s_load_b32 s7, s[0:1], 0x360
	s_load_b64 s[12:13], s[0:1], 0x0
	s_wait_kmcnt 0x0
	s_mul_u64 s[14:15], s[2:3], s[10:11]
	s_bitcmp1_b32 s7, 0
	v_cmp_gt_u32_e64 s2, s6, v0
	s_cselect_b32 s7, -1, 0
	s_wait_alu 0xfffe
	s_and_b32 s3, s7, exec_lo
	s_cselect_b32 s10, -1, 0x7fffffff
	s_lshl_b64 s[14:15], s[14:15], 2
	s_mov_b32 s11, s10
	s_delay_alu instid0(SALU_CYCLE_1)
	v_dual_mov_b32 v1, s10 :: v_dual_mov_b32 v2, s11
	s_add_nc_u64 s[12:13], s[12:13], s[14:15]
	s_lshl_b64 s[4:5], s[4:5], 2
	s_wait_alu 0xfffe
	s_add_nc_u64 s[20:21], s[12:13], s[4:5]
	s_and_saveexec_b32 s3, s2
	s_cbranch_execz .LBB219_20
; %bb.19:
	v_mad_co_u64_u32 v[1:2], null, s16, v0, 0
	s_delay_alu instid0(VALU_DEP_1) | instskip(NEXT) | instid1(VALU_DEP_1)
	v_mad_co_u64_u32 v[2:3], null, s17, v0, v[2:3]
	v_lshlrev_b64_e32 v[1:2], 2, v[1:2]
	s_delay_alu instid0(VALU_DEP_1) | instskip(NEXT) | instid1(VALU_DEP_1)
	v_add_co_u32 v1, vcc_lo, s20, v1
	v_add_co_ci_u32_e64 v2, null, s21, v2, vcc_lo
	global_load_b32 v1, v[1:2], off
	v_mov_b32_e32 v2, s11
.LBB219_20:
	s_wait_alu 0xfffe
	s_or_b32 exec_lo, exec_lo, s3
	s_clause 0x1
	s_load_b64 s[10:11], s[0:1], 0x288
	s_load_b64 s[4:5], s[0:1], 0x1b8
	v_or_b32_e32 v5, 16, v0
	s_delay_alu instid0(VALU_DEP_1)
	v_cmp_gt_u32_e64 s3, s6, v5
	s_and_saveexec_b32 s6, s3
	s_cbranch_execz .LBB219_22
; %bb.21:
	v_mad_co_u64_u32 v[2:3], null, s16, v5, 0
	s_delay_alu instid0(VALU_DEP_1) | instskip(NEXT) | instid1(VALU_DEP_1)
	v_mad_co_u64_u32 v[3:4], null, s17, v5, v[3:4]
	v_lshlrev_b64_e32 v[2:3], 2, v[2:3]
	s_delay_alu instid0(VALU_DEP_1) | instskip(SKIP_1) | instid1(VALU_DEP_2)
	v_add_co_u32 v2, vcc_lo, s20, v2
	s_wait_alu 0xfffd
	v_add_co_ci_u32_e64 v3, null, s21, v3, vcc_lo
	global_load_b32 v2, v[2:3], off
.LBB219_22:
	s_wait_alu 0xfffe
	s_or_b32 exec_lo, exec_lo, s6
	v_lshlrev_b32_e32 v20, 2, v0
	v_lshlrev_b32_e32 v19, 3, v0
	s_load_b64 s[18:19], s[0:1], 0x358
	s_wait_kmcnt 0x0
	s_mul_u64 s[0:1], s[10:11], s[22:23]
	s_delay_alu instid0(SALU_CYCLE_1)
	s_lshl_b64 s[0:1], s[0:1], 3
	s_wait_loadcnt 0x0
	ds_store_2addr_b32 v20, v1, v2 offset1:16
	v_mov_b32_e32 v1, 0
	v_mov_b32_e32 v3, 0
	s_wait_dscnt 0x0
	; wave barrier
	global_inv scope:SCOPE_SE
	v_mov_b32_e32 v4, 0
	ds_load_2addr_b32 v[13:14], v19 offset1:1
	v_mov_b32_e32 v2, v1
	s_add_nc_u64 s[0:1], s[4:5], s[0:1]
	s_lshl_b64 s[4:5], s[8:9], 3
	s_wait_loadcnt_dscnt 0x0
	s_wait_alu 0xfffe
	s_add_nc_u64 s[22:23], s[0:1], s[4:5]
	; wave barrier
	global_inv scope:SCOPE_SE
	s_and_saveexec_b32 s0, s2
	s_cbranch_execz .LBB219_24
; %bb.23:
	v_mad_co_u64_u32 v[2:3], null, s18, v0, 0
	s_delay_alu instid0(VALU_DEP_1) | instskip(NEXT) | instid1(VALU_DEP_1)
	v_mad_co_u64_u32 v[3:4], null, s19, v0, v[3:4]
	v_lshlrev_b64_e32 v[2:3], 3, v[2:3]
	s_delay_alu instid0(VALU_DEP_1) | instskip(SKIP_1) | instid1(VALU_DEP_2)
	v_add_co_u32 v2, vcc_lo, s22, v2
	s_wait_alu 0xfffd
	v_add_co_ci_u32_e64 v3, null, s23, v3, vcc_lo
	global_load_b64 v[3:4], v[2:3], off
	v_mov_b32_e32 v2, v1
.LBB219_24:
	s_or_b32 exec_lo, exec_lo, s0
	v_lshlrev_b32_e32 v6, 1, v0
	s_xor_b32 s8, s7, -1
	s_and_saveexec_b32 s0, s3
	s_cbranch_execz .LBB219_26
; %bb.25:
	v_mad_co_u64_u32 v[1:2], null, s18, v5, 0
	s_wait_loadcnt 0x0
	s_delay_alu instid0(VALU_DEP_1) | instskip(NEXT) | instid1(VALU_DEP_1)
	v_mad_co_u64_u32 v[7:8], null, s19, v5, v[2:3]
	v_mov_b32_e32 v2, v7
	s_delay_alu instid0(VALU_DEP_1) | instskip(NEXT) | instid1(VALU_DEP_1)
	v_lshlrev_b64_e32 v[1:2], 3, v[1:2]
	v_add_co_u32 v1, vcc_lo, s22, v1
	s_wait_alu 0xfffd
	s_delay_alu instid0(VALU_DEP_2)
	v_add_co_ci_u32_e64 v2, null, s23, v2, vcc_lo
	global_load_b64 v[1:2], v[1:2], off
.LBB219_26:
	s_or_b32 exec_lo, exec_lo, s0
	v_lshlrev_b32_e32 v5, 2, v6
	v_mbcnt_lo_u32_b32 v6, -1, 0
	s_getpc_b64 s[0:1]
	s_sext_i32_i16 s1, s1
	s_add_co_u32 s0, s0, _ZN7rocprim17ROCPRIM_400000_NS16block_radix_sortIfLj16ELj2ElLj1ELj1ELj0ELNS0_26block_radix_rank_algorithmE1ELNS0_18block_padding_hintE2ELNS0_4arch9wavefront6targetE0EE19radix_bits_per_passE@rel32@lo+8
	s_add_co_ci_u32 s1, s1, _ZN7rocprim17ROCPRIM_400000_NS16block_radix_sortIfLj16ELj2ElLj1ELj1ELj0ELNS0_26block_radix_rank_algorithmE1ELNS0_18block_padding_hintE2ELNS0_4arch9wavefront6targetE0EE19radix_bits_per_passE@rel32@hi+16
	v_lshlrev_b32_e32 v25, 5, v0
	s_load_b32 s15, s[0:1], 0x0
	v_add_nc_u32_e32 v22, v19, v5
	v_sub_co_u32 v7, s24, v6, 1
	v_and_b32_e32 v8, 16, v6
	v_and_b32_e32 v5, 15, v6
	v_mad_i32_i24 v24, 0xffffffe8, v0, v25
	v_cmp_gt_u32_e64 s0, 0x80, v0
	v_cmp_eq_u32_e64 s7, 15, v0
	v_cmp_lt_i32_e32 vcc_lo, v7, v8
	v_add_nc_u32_e32 v21, v20, v20
	v_cmp_eq_u32_e64 s1, 0, v5
	v_cmp_lt_u32_e64 s4, 1, v5
	v_cmp_lt_u32_e64 s5, 3, v5
	s_wait_alu 0xfffd
	v_cndmask_b32_e32 v6, v7, v6, vcc_lo
	s_wait_loadcnt 0x0
	ds_store_b64 v21, v[3:4]
	ds_store_b64 v19, v[1:2] offset:128
	s_wait_dscnt 0x0
	; wave barrier
	global_inv scope:SCOPE_SE
	ds_load_2addr_b64 v[1:4], v22 offset1:1
	v_cmp_lt_u32_e64 s6, 7, v5
	v_lshlrev_b32_e32 v26, 2, v6
	v_lshl_add_u32 v23, v0, 3, v24
	s_and_b32 vcc_lo, exec_lo, s8
	v_cmp_gt_u32_e64 s8, 0x70, v0
	v_cmp_gt_u32_e64 s9, 0x60, v0
	;; [unrolled: 1-line block ×7, first 2 shown]
	s_mov_b32 s25, 0
	s_mov_b32 s26, -1
	; wave barrier
	s_wait_loadcnt_dscnt 0x0
	global_inv scope:SCOPE_SE
	s_wait_alu 0xfffe
	s_cbranch_vccz .LBB219_42
; %bb.27:
	v_cmp_lt_i32_e32 vcc_lo, -1, v13
	v_mov_b32_e32 v8, v4
	v_mov_b32_e32 v28, 0
	s_mov_b32 s26, 32
	v_mov_b32_e32 v7, v3
	s_wait_alu 0xfffd
	v_cndmask_b32_e64 v5, -1, 0x80000000, vcc_lo
	v_cmp_lt_i32_e32 vcc_lo, -1, v14
	s_delay_alu instid0(VALU_DEP_2) | instskip(SKIP_2) | instid1(VALU_DEP_1)
	v_xor_b32_e32 v9, v5, v13
	s_wait_alu 0xfffd
	v_cndmask_b32_e64 v6, -1, 0x80000000, vcc_lo
	v_xor_b32_e32 v10, v6, v14
	v_dual_mov_b32 v6, v2 :: v_dual_mov_b32 v5, v1
	s_branch .LBB219_29
.LBB219_28:                             ;   in Loop: Header=BB219_29 Depth=1
	s_wait_alu 0xfffe
	s_and_not1_b32 vcc_lo, exec_lo, s27
	s_wait_alu 0xfffe
	s_cbranch_vccz .LBB219_43
.LBB219_29:                             ; =>This Inner Loop Header: Depth=1
	s_delay_alu instid0(VALU_DEP_2) | instskip(NEXT) | instid1(VALU_DEP_2)
	v_dual_mov_b32 v27, v10 :: v_dual_mov_b32 v16, v8
	v_dual_mov_b32 v29, v9 :: v_dual_mov_b32 v18, v6
	v_mov_b32_e32 v15, v7
	v_mov_b32_e32 v17, v5
	s_and_saveexec_b32 s27, s0
	s_cbranch_execz .LBB219_38
; %bb.30:                               ;   in Loop: Header=BB219_29 Depth=1
	ds_store_b32 v20, v28
	s_and_b32 exec_lo, exec_lo, s8
	s_cbranch_execz .LBB219_38
; %bb.31:                               ;   in Loop: Header=BB219_29 Depth=1
	ds_store_b32 v20, v28 offset:64
	s_and_b32 exec_lo, exec_lo, s9
	s_cbranch_execz .LBB219_38
; %bb.32:                               ;   in Loop: Header=BB219_29 Depth=1
	ds_store_b32 v20, v28 offset:128
	;; [unrolled: 4-line block ×6, first 2 shown]
	s_and_b32 exec_lo, exec_lo, s14
; %bb.37:                               ;   in Loop: Header=BB219_29 Depth=1
	ds_store_b32 v20, v28 offset:448
.LBB219_38:                             ;   in Loop: Header=BB219_29 Depth=1
	s_wait_alu 0xfffe
	s_or_b32 exec_lo, exec_lo, s27
	v_cmp_ne_u32_e32 vcc_lo, 0x7fffffff, v29
	s_wait_kmcnt 0x0
	s_min_u32 s27, s15, s26
	s_wait_alu 0xfffe
	s_lshl_b32 s27, -1, s27
	s_wait_alu 0xfffe
	s_not_b32 s27, s27
	s_wait_alu 0xfffd
	v_cndmask_b32_e32 v5, 0x80000000, v29, vcc_lo
	v_cmp_ne_u32_e32 vcc_lo, 0x7fffffff, v27
	s_delay_alu instid0(VALU_DEP_2) | instskip(SKIP_1) | instid1(VALU_DEP_1)
	v_lshrrev_b32_e32 v5, s25, v5
	s_wait_alu 0xfffe
	v_and_b32_e32 v5, s27, v5
	s_delay_alu instid0(VALU_DEP_1) | instskip(SKIP_1) | instid1(VALU_DEP_2)
	v_lshlrev_b32_e32 v6, 4, v5
	v_lshrrev_b32_e32 v5, 2, v5
	v_and_or_b32 v6, 0x70, v6, v0
	s_delay_alu instid0(VALU_DEP_2) | instskip(NEXT) | instid1(VALU_DEP_1)
	v_and_b32_e32 v5, 0x1ffffffe, v5
	v_lshl_add_u32 v30, v6, 2, v5
	s_wait_alu 0xfffd
	v_cndmask_b32_e32 v5, 0x80000000, v27, vcc_lo
	ds_load_u16 v31, v30
	v_lshrrev_b32_e32 v5, s25, v5
	s_delay_alu instid0(VALU_DEP_1) | instskip(NEXT) | instid1(VALU_DEP_1)
	v_and_b32_e32 v5, s27, v5
	v_lshlrev_b32_e32 v6, 4, v5
	v_lshrrev_b32_e32 v5, 2, v5
	s_delay_alu instid0(VALU_DEP_2) | instskip(NEXT) | instid1(VALU_DEP_2)
	v_and_or_b32 v6, 0x70, v6, v0
	v_and_b32_e32 v5, 0x1ffffffe, v5
	s_wait_dscnt 0x0
	v_add_nc_u16 v7, v31, 1
	s_delay_alu instid0(VALU_DEP_2)
	v_lshl_add_u32 v32, v6, 2, v5
	ds_store_b16 v30, v7
	ds_load_u16 v33, v32
	s_wait_dscnt 0x0
	v_add_nc_u16 v5, v33, 1
	ds_store_b16 v32, v5
	; wave barrier
	s_wait_loadcnt_dscnt 0x0
	global_inv scope:SCOPE_SE
	ds_load_b128 v[9:12], v25
	ds_load_b128 v[5:8], v25 offset:16
	s_wait_dscnt 0x1
	v_add_nc_u32_e32 v34, v10, v9
	s_delay_alu instid0(VALU_DEP_1) | instskip(SKIP_1) | instid1(VALU_DEP_1)
	v_add3_u32 v34, v34, v11, v12
	s_wait_dscnt 0x0
	v_add3_u32 v34, v34, v5, v6
	s_delay_alu instid0(VALU_DEP_1) | instskip(NEXT) | instid1(VALU_DEP_1)
	v_add3_u32 v8, v34, v7, v8
	v_mov_b32_dpp v34, v8 row_shr:1 row_mask:0xf bank_mask:0xf
	s_delay_alu instid0(VALU_DEP_1) | instskip(NEXT) | instid1(VALU_DEP_1)
	v_cndmask_b32_e64 v34, v34, 0, s1
	v_add_nc_u32_e32 v8, v34, v8
	s_delay_alu instid0(VALU_DEP_1) | instskip(NEXT) | instid1(VALU_DEP_1)
	v_mov_b32_dpp v34, v8 row_shr:2 row_mask:0xf bank_mask:0xf
	v_cndmask_b32_e64 v34, 0, v34, s4
	s_delay_alu instid0(VALU_DEP_1) | instskip(NEXT) | instid1(VALU_DEP_1)
	v_add_nc_u32_e32 v8, v8, v34
	v_mov_b32_dpp v34, v8 row_shr:4 row_mask:0xf bank_mask:0xf
	s_delay_alu instid0(VALU_DEP_1) | instskip(NEXT) | instid1(VALU_DEP_1)
	v_cndmask_b32_e64 v34, 0, v34, s5
	v_add_nc_u32_e32 v8, v8, v34
	s_delay_alu instid0(VALU_DEP_1) | instskip(NEXT) | instid1(VALU_DEP_1)
	v_mov_b32_dpp v34, v8 row_shr:8 row_mask:0xf bank_mask:0xf
	v_cndmask_b32_e64 v34, 0, v34, s6
	s_delay_alu instid0(VALU_DEP_1)
	v_add_nc_u32_e32 v8, v8, v34
	s_and_saveexec_b32 s27, s7
; %bb.39:                               ;   in Loop: Header=BB219_29 Depth=1
	ds_store_b32 v28, v8 offset:512
; %bb.40:                               ;   in Loop: Header=BB219_29 Depth=1
	s_wait_alu 0xfffe
	s_or_b32 exec_lo, exec_lo, s27
	ds_bpermute_b32 v8, v26, v8
	; wave barrier
	s_wait_loadcnt_dscnt 0x0
	global_inv scope:SCOPE_SE
	ds_load_b32 v34, v28 offset:512
	s_cmp_gt_u32 s25, 27
	s_mov_b32 s27, -1
	v_cndmask_b32_e64 v8, v8, 0, s24
	s_wait_dscnt 0x0
	s_delay_alu instid0(VALU_DEP_1) | instskip(NEXT) | instid1(VALU_DEP_1)
	v_lshl_add_u32 v8, v34, 16, v8
	v_add_nc_u32_e32 v9, v8, v9
	s_delay_alu instid0(VALU_DEP_1) | instskip(NEXT) | instid1(VALU_DEP_1)
	v_add_nc_u32_e32 v10, v9, v10
	v_add_nc_u32_e32 v11, v10, v11
	s_delay_alu instid0(VALU_DEP_1) | instskip(NEXT) | instid1(VALU_DEP_1)
	v_add_nc_u32_e32 v34, v11, v12
	;; [unrolled: 3-line block ×3, first 2 shown]
	v_add_nc_u32_e32 v37, v36, v7
	v_and_b32_e32 v7, 0xffff, v31
	ds_store_b128 v25, v[8:11]
	ds_store_b128 v25, v[34:37] offset:16
	; wave barrier
	s_wait_loadcnt_dscnt 0x0
	global_inv scope:SCOPE_SE
	ds_load_u16 v5, v30
	ds_load_u16 v6, v32
	v_and_b32_e32 v8, 0xffff, v33
                                        ; implicit-def: $vgpr10
	s_wait_dscnt 0x1
	v_add_nc_u32_e32 v12, v5, v7
	s_wait_dscnt 0x0
	s_delay_alu instid0(VALU_DEP_2)
	v_add_nc_u32_e32 v11, v6, v8
                                        ; implicit-def: $vgpr7_vgpr8
	s_cbranch_scc1 .LBB219_28
; %bb.41:                               ;   in Loop: Header=BB219_29 Depth=1
	s_delay_alu instid0(VALU_DEP_2) | instskip(NEXT) | instid1(VALU_DEP_2)
	v_lshlrev_b32_e32 v5, 2, v12
	v_lshlrev_b32_e32 v6, 2, v11
	s_wait_loadcnt 0x0
	; wave barrier
	global_inv scope:SCOPE_SE
	s_add_co_i32 s25, s25, 4
	ds_store_b32 v5, v29
	ds_store_b32 v6, v27
	v_add_nc_u32_e32 v5, v5, v5
	v_add_nc_u32_e32 v6, v6, v6
	; wave barrier
	s_wait_loadcnt_dscnt 0x0
	global_inv scope:SCOPE_SE
	ds_load_b64 v[9:10], v24
	; wave barrier
	s_wait_loadcnt_dscnt 0x0
	global_inv scope:SCOPE_SE
	ds_store_b64 v5, v[17:18]
	ds_store_b64 v6, v[15:16]
	; wave barrier
	s_wait_loadcnt_dscnt 0x0
	global_inv scope:SCOPE_SE
	ds_load_b128 v[5:8], v23
	s_add_co_i32 s26, s26, -4
	s_mov_b32 s27, 0
	; wave barrier
	s_wait_loadcnt_dscnt 0x0
	global_inv scope:SCOPE_SE
	s_branch .LBB219_28
.LBB219_42:
                                        ; implicit-def: $vgpr7_vgpr8
                                        ; implicit-def: $vgpr9_vgpr10
	s_and_b32 vcc_lo, exec_lo, s26
	s_wait_alu 0xfffe
	s_cbranch_vccnz .LBB219_44
	s_branch .LBB219_60
.LBB219_43:
	v_lshlrev_b32_e32 v5, 2, v12
	v_lshlrev_b32_e32 v6, 2, v11
	s_wait_loadcnt 0x0
	; wave barrier
	global_inv scope:SCOPE_SE
	ds_store_b32 v5, v29
	ds_store_b32 v6, v27
	; wave barrier
	s_wait_loadcnt_dscnt 0x0
	global_inv scope:SCOPE_SE
	ds_load_b64 v[9:10], v24
	v_add_nc_u32_e32 v5, v5, v5
	v_add_nc_u32_e32 v6, v6, v6
	; wave barrier
	s_wait_loadcnt_dscnt 0x0
	global_inv scope:SCOPE_SE
	ds_store_b64 v5, v[17:18]
	ds_store_b64 v6, v[15:16]
	; wave barrier
	s_wait_loadcnt_dscnt 0x0
	global_inv scope:SCOPE_SE
	ds_load_b128 v[5:8], v23
	v_cmp_lt_i32_e32 vcc_lo, -1, v9
	s_wait_alu 0xfffd
	v_cndmask_b32_e64 v11, 0x80000000, -1, vcc_lo
	v_cmp_lt_i32_e32 vcc_lo, -1, v10
	s_delay_alu instid0(VALU_DEP_2) | instskip(SKIP_2) | instid1(VALU_DEP_1)
	v_xor_b32_e32 v9, v11, v9
	s_wait_alu 0xfffd
	v_cndmask_b32_e64 v12, 0x80000000, -1, vcc_lo
	v_xor_b32_e32 v10, v12, v10
	s_branch .LBB219_60
.LBB219_44:
	v_cmp_gt_i32_e32 vcc_lo, 0, v13
	s_wait_dscnt 0x0
	v_mul_i32_i24_e32 v7, -12, v0
	v_cmp_gt_u32_e64 s8, 0x70, v0
	v_cmp_gt_u32_e64 s9, 0x60, v0
	;; [unrolled: 1-line block ×3, first 2 shown]
	s_wait_alu 0xfffd
	v_cndmask_b32_e64 v5, 0x7fffffff, 0, vcc_lo
	v_cmp_gt_i32_e32 vcc_lo, 0, v14
	v_cmp_gt_u32_e64 s11, 64, v0
	v_cmp_gt_u32_e64 s12, 48, v0
	v_cmp_gt_u32_e64 s13, 32, v0
	v_xor_b32_e32 v5, v5, v13
	s_wait_alu 0xfffd
	v_cndmask_b32_e64 v6, 0x7fffffff, 0, vcc_lo
	v_cmp_gt_u32_e64 s14, 16, v0
	v_add_nc_u32_e32 v13, v23, v7
	v_mov_b32_e32 v15, 0
	s_mov_b32 s25, 0
	v_xor_b32_e32 v6, v6, v14
	s_mov_b32 s26, 32
	s_branch .LBB219_46
.LBB219_45:                             ;   in Loop: Header=BB219_46 Depth=1
	s_wait_alu 0xfffe
	s_and_not1_b32 vcc_lo, exec_lo, s27
	s_wait_alu 0xfffe
	s_cbranch_vccz .LBB219_59
.LBB219_46:                             ; =>This Inner Loop Header: Depth=1
	v_mov_b32_e32 v10, v4
	v_mov_b32_e32 v12, v2
	v_dual_mov_b32 v14, v6 :: v_dual_mov_b32 v9, v3
	v_dual_mov_b32 v16, v5 :: v_dual_mov_b32 v11, v1
	s_and_saveexec_b32 s27, s0
	s_cbranch_execz .LBB219_55
; %bb.47:                               ;   in Loop: Header=BB219_46 Depth=1
	ds_store_b32 v13, v15
	s_and_b32 exec_lo, exec_lo, s8
	s_cbranch_execz .LBB219_55
; %bb.48:                               ;   in Loop: Header=BB219_46 Depth=1
	ds_store_b32 v13, v15 offset:64
	s_and_b32 exec_lo, exec_lo, s9
	s_cbranch_execz .LBB219_55
; %bb.49:                               ;   in Loop: Header=BB219_46 Depth=1
	ds_store_b32 v13, v15 offset:128
	;; [unrolled: 4-line block ×6, first 2 shown]
	s_and_b32 exec_lo, exec_lo, s14
; %bb.54:                               ;   in Loop: Header=BB219_46 Depth=1
	ds_store_b32 v13, v15 offset:448
.LBB219_55:                             ;   in Loop: Header=BB219_46 Depth=1
	s_wait_alu 0xfffe
	s_or_b32 exec_lo, exec_lo, s27
	v_cmp_ne_u32_e32 vcc_lo, 0x80000000, v16
	s_wait_kmcnt 0x0
	s_min_u32 s27, s15, s26
	s_wait_alu 0xfffe
	s_lshl_b32 s27, -1, s27
	s_wait_alu 0xfffe
	s_not_b32 s27, s27
	s_wait_alu 0xfffd
	v_cndmask_b32_e32 v1, 0x7fffffff, v16, vcc_lo
	v_cmp_ne_u32_e32 vcc_lo, 0x80000000, v14
	s_delay_alu instid0(VALU_DEP_2) | instskip(SKIP_1) | instid1(VALU_DEP_1)
	v_lshrrev_b32_e32 v1, s25, v1
	s_wait_alu 0xfffe
	v_and_b32_e32 v1, s27, v1
	s_delay_alu instid0(VALU_DEP_1) | instskip(SKIP_1) | instid1(VALU_DEP_2)
	v_lshlrev_b32_e32 v2, 4, v1
	v_lshrrev_b32_e32 v1, 2, v1
	v_and_or_b32 v2, 0x70, v2, v0
	s_delay_alu instid0(VALU_DEP_2) | instskip(NEXT) | instid1(VALU_DEP_1)
	v_and_b32_e32 v1, 0x1ffffffe, v1
	v_lshl_add_u32 v17, v2, 2, v1
	s_wait_alu 0xfffd
	v_cndmask_b32_e32 v1, 0x7fffffff, v14, vcc_lo
	ds_load_u16 v18, v17
	v_lshrrev_b32_e32 v1, s25, v1
	s_delay_alu instid0(VALU_DEP_1) | instskip(NEXT) | instid1(VALU_DEP_1)
	v_and_b32_e32 v1, s27, v1
	v_lshlrev_b32_e32 v2, 4, v1
	v_lshrrev_b32_e32 v1, 2, v1
	s_delay_alu instid0(VALU_DEP_2) | instskip(NEXT) | instid1(VALU_DEP_2)
	v_and_or_b32 v2, 0x70, v2, v0
	v_and_b32_e32 v1, 0x1ffffffe, v1
	s_wait_dscnt 0x0
	v_add_nc_u16 v3, v18, 1
	s_delay_alu instid0(VALU_DEP_2)
	v_lshl_add_u32 v27, v2, 2, v1
	ds_store_b16 v17, v3
	ds_load_u16 v28, v27
	s_wait_dscnt 0x0
	v_add_nc_u16 v1, v28, 1
	ds_store_b16 v27, v1
	; wave barrier
	s_wait_loadcnt_dscnt 0x0
	global_inv scope:SCOPE_SE
	ds_load_b128 v[5:8], v25
	ds_load_b128 v[1:4], v25 offset:16
	s_wait_dscnt 0x1
	v_add_nc_u32_e32 v29, v6, v5
	s_delay_alu instid0(VALU_DEP_1) | instskip(SKIP_1) | instid1(VALU_DEP_1)
	v_add3_u32 v29, v29, v7, v8
	s_wait_dscnt 0x0
	v_add3_u32 v29, v29, v1, v2
	s_delay_alu instid0(VALU_DEP_1) | instskip(NEXT) | instid1(VALU_DEP_1)
	v_add3_u32 v4, v29, v3, v4
	v_mov_b32_dpp v29, v4 row_shr:1 row_mask:0xf bank_mask:0xf
	s_delay_alu instid0(VALU_DEP_1) | instskip(NEXT) | instid1(VALU_DEP_1)
	v_cndmask_b32_e64 v29, v29, 0, s1
	v_add_nc_u32_e32 v4, v29, v4
	s_delay_alu instid0(VALU_DEP_1) | instskip(NEXT) | instid1(VALU_DEP_1)
	v_mov_b32_dpp v29, v4 row_shr:2 row_mask:0xf bank_mask:0xf
	v_cndmask_b32_e64 v29, 0, v29, s4
	s_delay_alu instid0(VALU_DEP_1) | instskip(NEXT) | instid1(VALU_DEP_1)
	v_add_nc_u32_e32 v4, v4, v29
	v_mov_b32_dpp v29, v4 row_shr:4 row_mask:0xf bank_mask:0xf
	s_delay_alu instid0(VALU_DEP_1) | instskip(NEXT) | instid1(VALU_DEP_1)
	v_cndmask_b32_e64 v29, 0, v29, s5
	v_add_nc_u32_e32 v4, v4, v29
	s_delay_alu instid0(VALU_DEP_1) | instskip(NEXT) | instid1(VALU_DEP_1)
	v_mov_b32_dpp v29, v4 row_shr:8 row_mask:0xf bank_mask:0xf
	v_cndmask_b32_e64 v29, 0, v29, s6
	s_delay_alu instid0(VALU_DEP_1)
	v_add_nc_u32_e32 v4, v4, v29
	s_and_saveexec_b32 s27, s7
; %bb.56:                               ;   in Loop: Header=BB219_46 Depth=1
	ds_store_b32 v15, v4 offset:512
; %bb.57:                               ;   in Loop: Header=BB219_46 Depth=1
	s_wait_alu 0xfffe
	s_or_b32 exec_lo, exec_lo, s27
	ds_bpermute_b32 v4, v26, v4
	; wave barrier
	s_wait_loadcnt_dscnt 0x0
	global_inv scope:SCOPE_SE
	ds_load_b32 v29, v15 offset:512
	s_cmp_gt_u32 s25, 27
	s_mov_b32 s27, -1
	v_cndmask_b32_e64 v4, v4, 0, s24
	s_wait_dscnt 0x0
	s_delay_alu instid0(VALU_DEP_1) | instskip(NEXT) | instid1(VALU_DEP_1)
	v_lshl_add_u32 v4, v29, 16, v4
	v_add_nc_u32_e32 v5, v4, v5
	s_delay_alu instid0(VALU_DEP_1) | instskip(NEXT) | instid1(VALU_DEP_1)
	v_add_nc_u32_e32 v6, v5, v6
	v_add_nc_u32_e32 v7, v6, v7
	s_delay_alu instid0(VALU_DEP_1) | instskip(NEXT) | instid1(VALU_DEP_1)
	v_add_nc_u32_e32 v29, v7, v8
	;; [unrolled: 3-line block ×3, first 2 shown]
	v_add_nc_u32_e32 v32, v31, v3
	v_and_b32_e32 v3, 0xffff, v18
	ds_store_b128 v25, v[4:7]
	ds_store_b128 v25, v[29:32] offset:16
	; wave barrier
	s_wait_loadcnt_dscnt 0x0
	global_inv scope:SCOPE_SE
	ds_load_u16 v1, v17
	ds_load_u16 v2, v27
	v_and_b32_e32 v4, 0xffff, v28
                                        ; implicit-def: $vgpr6
	s_wait_dscnt 0x1
	v_add_nc_u32_e32 v8, v1, v3
	s_wait_dscnt 0x0
	s_delay_alu instid0(VALU_DEP_2)
	v_add_nc_u32_e32 v7, v2, v4
                                        ; implicit-def: $vgpr3_vgpr4
	s_cbranch_scc1 .LBB219_45
; %bb.58:                               ;   in Loop: Header=BB219_46 Depth=1
	s_delay_alu instid0(VALU_DEP_2) | instskip(NEXT) | instid1(VALU_DEP_2)
	v_lshlrev_b32_e32 v1, 2, v8
	v_lshlrev_b32_e32 v2, 2, v7
	s_wait_loadcnt 0x0
	; wave barrier
	global_inv scope:SCOPE_SE
	s_add_co_i32 s25, s25, 4
	ds_store_b32 v1, v16
	ds_store_b32 v2, v14
	v_add_nc_u32_e32 v1, v1, v1
	v_add_nc_u32_e32 v2, v2, v2
	; wave barrier
	s_wait_loadcnt_dscnt 0x0
	global_inv scope:SCOPE_SE
	ds_load_b64 v[5:6], v24
	; wave barrier
	s_wait_loadcnt_dscnt 0x0
	global_inv scope:SCOPE_SE
	ds_store_b64 v1, v[11:12]
	ds_store_b64 v2, v[9:10]
	; wave barrier
	s_wait_loadcnt_dscnt 0x0
	global_inv scope:SCOPE_SE
	ds_load_b128 v[1:4], v23
	s_add_co_i32 s26, s26, -4
	s_mov_b32 s27, 0
	; wave barrier
	s_wait_loadcnt_dscnt 0x0
	global_inv scope:SCOPE_SE
	s_branch .LBB219_45
.LBB219_59:
	v_lshlrev_b32_e32 v3, 2, v8
	v_lshlrev_b32_e32 v4, 2, v7
	s_wait_loadcnt 0x0
	; wave barrier
	global_inv scope:SCOPE_SE
	ds_store_b32 v3, v16
	ds_store_b32 v4, v14
	; wave barrier
	s_wait_loadcnt_dscnt 0x0
	global_inv scope:SCOPE_SE
	ds_load_b64 v[1:2], v24
	v_add_nc_u32_e32 v3, v3, v3
	v_add_nc_u32_e32 v4, v4, v4
	; wave barrier
	s_wait_loadcnt_dscnt 0x0
	global_inv scope:SCOPE_SE
	ds_store_b64 v3, v[11:12]
	ds_store_b64 v4, v[9:10]
	; wave barrier
	s_wait_loadcnt_dscnt 0x0
	global_inv scope:SCOPE_SE
	ds_load_b128 v[5:8], v23
	v_cmp_gt_i32_e32 vcc_lo, 0, v1
	s_wait_alu 0xfffd
	v_cndmask_b32_e64 v3, 0x7fffffff, 0, vcc_lo
	v_cmp_gt_i32_e32 vcc_lo, 0, v2
	s_delay_alu instid0(VALU_DEP_2) | instskip(SKIP_2) | instid1(VALU_DEP_1)
	v_xor_b32_e32 v9, v3, v1
	s_wait_alu 0xfffd
	v_cndmask_b32_e64 v4, 0x7fffffff, 0, vcc_lo
	v_xor_b32_e32 v10, v4, v2
.LBB219_60:
	v_mad_co_u64_u32 v[1:2], null, s16, v0, 0
	; wave barrier
	s_wait_loadcnt_dscnt 0x0
	global_inv scope:SCOPE_SE
	ds_store_2addr_b32 v19, v9, v10 offset1:1
	; wave barrier
	s_wait_loadcnt_dscnt 0x0
	global_inv scope:SCOPE_SE
	v_mad_co_u64_u32 v[2:3], null, s17, v0, v[2:3]
	ds_load_b32 v3, v20 offset:64
	v_lshlrev_b64_e32 v[1:2], 2, v[1:2]
	s_delay_alu instid0(VALU_DEP_1) | instskip(SKIP_1) | instid1(VALU_DEP_2)
	v_add_co_u32 v1, vcc_lo, s20, v1
	s_wait_alu 0xfffd
	v_add_co_ci_u32_e64 v2, null, s21, v2, vcc_lo
	s_and_saveexec_b32 s0, s2
	s_cbranch_execz .LBB219_62
; %bb.61:
	ds_load_b32 v4, v20
	s_wait_dscnt 0x0
	global_store_b32 v[1:2], v4, off
.LBB219_62:
	s_wait_alu 0xfffe
	s_or_b32 exec_lo, exec_lo, s0
	s_and_saveexec_b32 s0, s3
	s_cbranch_execz .LBB219_64
; %bb.63:
	s_lshl_b64 s[4:5], s[16:17], 6
	s_wait_alu 0xfffe
	v_add_co_u32 v1, vcc_lo, v1, s4
	s_wait_alu 0xfffd
	v_add_co_ci_u32_e64 v2, null, s5, v2, vcc_lo
	s_wait_dscnt 0x0
	global_store_b32 v[1:2], v3, off
.LBB219_64:
	s_wait_alu 0xfffe
	s_or_b32 exec_lo, exec_lo, s0
	s_wait_dscnt 0x0
	v_mad_co_u64_u32 v[2:3], null, s18, v0, 0
	s_wait_loadcnt 0x0
	s_wait_storecnt 0x0
	; wave barrier
	global_inv scope:SCOPE_SE
	ds_store_2addr_b64 v22, v[5:6], v[7:8] offset1:1
	; wave barrier
	s_wait_loadcnt_dscnt 0x0
	global_inv scope:SCOPE_SE
	v_mov_b32_e32 v1, v3
	s_delay_alu instid0(VALU_DEP_1) | instskip(SKIP_2) | instid1(VALU_DEP_1)
	v_mad_co_u64_u32 v[3:4], null, s19, v0, v[1:2]
	ds_load_b64 v[0:1], v19 offset:128
	v_lshlrev_b64_e32 v[2:3], 3, v[2:3]
	v_add_co_u32 v2, vcc_lo, s22, v2
	s_wait_alu 0xfffd
	s_delay_alu instid0(VALU_DEP_2)
	v_add_co_ci_u32_e64 v3, null, s23, v3, vcc_lo
	s_and_saveexec_b32 s0, s2
	s_cbranch_execz .LBB219_66
; %bb.65:
	ds_load_b64 v[4:5], v21
	s_wait_dscnt 0x0
	global_store_b64 v[2:3], v[4:5], off
.LBB219_66:
	s_wait_alu 0xfffe
	s_or_b32 exec_lo, exec_lo, s0
	s_and_saveexec_b32 s0, s3
	s_cbranch_execz .LBB219_68
; %bb.67:
	s_lshl_b64 s[0:1], s[18:19], 7
	s_wait_alu 0xfffe
	v_add_co_u32 v2, vcc_lo, v2, s0
	s_wait_alu 0xfffd
	v_add_co_ci_u32_e64 v3, null, s1, v3, vcc_lo
	s_wait_dscnt 0x0
	global_store_b64 v[2:3], v[0:1], off
.LBB219_68:
	s_endpgm
	.section	.rodata,"a",@progbits
	.p2align	6, 0x0
	.amdhsa_kernel _ZN2at6native18radixSortKVInPlaceILin1ELin1ELi16ELi2EflmEEvNS_4cuda6detail10TensorInfoIT3_T5_EES6_S6_S6_NS4_IT4_S6_EES6_b
		.amdhsa_group_segment_fixed_size 528
		.amdhsa_private_segment_fixed_size 0
		.amdhsa_kernarg_size 1128
		.amdhsa_user_sgpr_count 2
		.amdhsa_user_sgpr_dispatch_ptr 0
		.amdhsa_user_sgpr_queue_ptr 0
		.amdhsa_user_sgpr_kernarg_segment_ptr 1
		.amdhsa_user_sgpr_dispatch_id 0
		.amdhsa_user_sgpr_private_segment_size 0
		.amdhsa_wavefront_size32 1
		.amdhsa_uses_dynamic_stack 0
		.amdhsa_enable_private_segment 0
		.amdhsa_system_sgpr_workgroup_id_x 1
		.amdhsa_system_sgpr_workgroup_id_y 1
		.amdhsa_system_sgpr_workgroup_id_z 1
		.amdhsa_system_sgpr_workgroup_info 0
		.amdhsa_system_vgpr_workitem_id 0
		.amdhsa_next_free_vgpr 38
		.amdhsa_next_free_sgpr 34
		.amdhsa_reserve_vcc 1
		.amdhsa_float_round_mode_32 0
		.amdhsa_float_round_mode_16_64 0
		.amdhsa_float_denorm_mode_32 3
		.amdhsa_float_denorm_mode_16_64 3
		.amdhsa_fp16_overflow 0
		.amdhsa_workgroup_processor_mode 1
		.amdhsa_memory_ordered 1
		.amdhsa_forward_progress 1
		.amdhsa_inst_pref_size 43
		.amdhsa_round_robin_scheduling 0
		.amdhsa_exception_fp_ieee_invalid_op 0
		.amdhsa_exception_fp_denorm_src 0
		.amdhsa_exception_fp_ieee_div_zero 0
		.amdhsa_exception_fp_ieee_overflow 0
		.amdhsa_exception_fp_ieee_underflow 0
		.amdhsa_exception_fp_ieee_inexact 0
		.amdhsa_exception_int_div_zero 0
	.end_amdhsa_kernel
	.section	.text._ZN2at6native18radixSortKVInPlaceILin1ELin1ELi16ELi2EflmEEvNS_4cuda6detail10TensorInfoIT3_T5_EES6_S6_S6_NS4_IT4_S6_EES6_b,"axG",@progbits,_ZN2at6native18radixSortKVInPlaceILin1ELin1ELi16ELi2EflmEEvNS_4cuda6detail10TensorInfoIT3_T5_EES6_S6_S6_NS4_IT4_S6_EES6_b,comdat
.Lfunc_end219:
	.size	_ZN2at6native18radixSortKVInPlaceILin1ELin1ELi16ELi2EflmEEvNS_4cuda6detail10TensorInfoIT3_T5_EES6_S6_S6_NS4_IT4_S6_EES6_b, .Lfunc_end219-_ZN2at6native18radixSortKVInPlaceILin1ELin1ELi16ELi2EflmEEvNS_4cuda6detail10TensorInfoIT3_T5_EES6_S6_S6_NS4_IT4_S6_EES6_b
                                        ; -- End function
	.set _ZN2at6native18radixSortKVInPlaceILin1ELin1ELi16ELi2EflmEEvNS_4cuda6detail10TensorInfoIT3_T5_EES6_S6_S6_NS4_IT4_S6_EES6_b.num_vgpr, 38
	.set _ZN2at6native18radixSortKVInPlaceILin1ELin1ELi16ELi2EflmEEvNS_4cuda6detail10TensorInfoIT3_T5_EES6_S6_S6_NS4_IT4_S6_EES6_b.num_agpr, 0
	.set _ZN2at6native18radixSortKVInPlaceILin1ELin1ELi16ELi2EflmEEvNS_4cuda6detail10TensorInfoIT3_T5_EES6_S6_S6_NS4_IT4_S6_EES6_b.numbered_sgpr, 34
	.set _ZN2at6native18radixSortKVInPlaceILin1ELin1ELi16ELi2EflmEEvNS_4cuda6detail10TensorInfoIT3_T5_EES6_S6_S6_NS4_IT4_S6_EES6_b.num_named_barrier, 0
	.set _ZN2at6native18radixSortKVInPlaceILin1ELin1ELi16ELi2EflmEEvNS_4cuda6detail10TensorInfoIT3_T5_EES6_S6_S6_NS4_IT4_S6_EES6_b.private_seg_size, 0
	.set _ZN2at6native18radixSortKVInPlaceILin1ELin1ELi16ELi2EflmEEvNS_4cuda6detail10TensorInfoIT3_T5_EES6_S6_S6_NS4_IT4_S6_EES6_b.uses_vcc, 1
	.set _ZN2at6native18radixSortKVInPlaceILin1ELin1ELi16ELi2EflmEEvNS_4cuda6detail10TensorInfoIT3_T5_EES6_S6_S6_NS4_IT4_S6_EES6_b.uses_flat_scratch, 0
	.set _ZN2at6native18radixSortKVInPlaceILin1ELin1ELi16ELi2EflmEEvNS_4cuda6detail10TensorInfoIT3_T5_EES6_S6_S6_NS4_IT4_S6_EES6_b.has_dyn_sized_stack, 0
	.set _ZN2at6native18radixSortKVInPlaceILin1ELin1ELi16ELi2EflmEEvNS_4cuda6detail10TensorInfoIT3_T5_EES6_S6_S6_NS4_IT4_S6_EES6_b.has_recursion, 0
	.set _ZN2at6native18radixSortKVInPlaceILin1ELin1ELi16ELi2EflmEEvNS_4cuda6detail10TensorInfoIT3_T5_EES6_S6_S6_NS4_IT4_S6_EES6_b.has_indirect_call, 0
	.section	.AMDGPU.csdata,"",@progbits
; Kernel info:
; codeLenInByte = 5500
; TotalNumSgprs: 36
; NumVgprs: 38
; ScratchSize: 0
; MemoryBound: 0
; FloatMode: 240
; IeeeMode: 1
; LDSByteSize: 528 bytes/workgroup (compile time only)
; SGPRBlocks: 0
; VGPRBlocks: 4
; NumSGPRsForWavesPerEU: 36
; NumVGPRsForWavesPerEU: 38
; Occupancy: 16
; WaveLimiterHint : 1
; COMPUTE_PGM_RSRC2:SCRATCH_EN: 0
; COMPUTE_PGM_RSRC2:USER_SGPR: 2
; COMPUTE_PGM_RSRC2:TRAP_HANDLER: 0
; COMPUTE_PGM_RSRC2:TGID_X_EN: 1
; COMPUTE_PGM_RSRC2:TGID_Y_EN: 1
; COMPUTE_PGM_RSRC2:TGID_Z_EN: 1
; COMPUTE_PGM_RSRC2:TIDIG_COMP_CNT: 0
	.section	.text._ZN2at6native18radixSortKVInPlaceILin2ELin1ELi512ELi8EN3c104HalfEljEEvNS_4cuda6detail10TensorInfoIT3_T5_EES8_S8_S8_NS6_IT4_S8_EES8_b,"axG",@progbits,_ZN2at6native18radixSortKVInPlaceILin2ELin1ELi512ELi8EN3c104HalfEljEEvNS_4cuda6detail10TensorInfoIT3_T5_EES8_S8_S8_NS6_IT4_S8_EES8_b,comdat
	.protected	_ZN2at6native18radixSortKVInPlaceILin2ELin1ELi512ELi8EN3c104HalfEljEEvNS_4cuda6detail10TensorInfoIT3_T5_EES8_S8_S8_NS6_IT4_S8_EES8_b ; -- Begin function _ZN2at6native18radixSortKVInPlaceILin2ELin1ELi512ELi8EN3c104HalfEljEEvNS_4cuda6detail10TensorInfoIT3_T5_EES8_S8_S8_NS6_IT4_S8_EES8_b
	.globl	_ZN2at6native18radixSortKVInPlaceILin2ELin1ELi512ELi8EN3c104HalfEljEEvNS_4cuda6detail10TensorInfoIT3_T5_EES8_S8_S8_NS6_IT4_S8_EES8_b
	.p2align	8
	.type	_ZN2at6native18radixSortKVInPlaceILin2ELin1ELi512ELi8EN3c104HalfEljEEvNS_4cuda6detail10TensorInfoIT3_T5_EES8_S8_S8_NS6_IT4_S8_EES8_b,@function
_ZN2at6native18radixSortKVInPlaceILin2ELin1ELi512ELi8EN3c104HalfEljEEvNS_4cuda6detail10TensorInfoIT3_T5_EES8_S8_S8_NS6_IT4_S8_EES8_b: ; @_ZN2at6native18radixSortKVInPlaceILin2ELin1ELi512ELi8EN3c104HalfEljEEvNS_4cuda6detail10TensorInfoIT3_T5_EES8_S8_S8_NS6_IT4_S8_EES8_b
; %bb.0:
	s_clause 0x1
	s_load_b64 s[2:3], s[0:1], 0x1c8
	s_load_b96 s[24:26], s[0:1], 0xd8
	s_lshr_b32 s4, ttmp7, 16
	s_wait_kmcnt 0x0
	s_mul_i32 s3, s3, s4
	s_and_b32 s4, ttmp7, 0xffff
	s_delay_alu instid0(SALU_CYCLE_1) | instskip(NEXT) | instid1(SALU_CYCLE_1)
	s_add_co_i32 s3, s3, s4
	s_mul_i32 s4, s3, s2
	s_delay_alu instid0(SALU_CYCLE_1) | instskip(NEXT) | instid1(SALU_CYCLE_1)
	s_add_co_i32 s4, s4, ttmp9
	s_cmp_ge_u32 s4, s24
	s_cbranch_scc1 .LBB220_146
; %bb.1:
	s_load_b32 s2, s[0:1], 0x1b8
	s_add_nc_u64 s[10:11], s[0:1], 0xe8
	s_mov_b32 s9, 0
	s_mov_b32 s12, s4
	s_wait_kmcnt 0x0
	s_cmp_lt_i32 s2, 2
	s_cbranch_scc1 .LBB220_4
; %bb.2:
	s_add_co_i32 s8, s2, -1
	s_add_co_i32 s5, s2, 1
	s_lshl_b64 s[6:7], s[8:9], 2
	s_mov_b32 s12, s4
	s_add_nc_u64 s[6:7], s[10:11], s[6:7]
	s_delay_alu instid0(SALU_CYCLE_1)
	s_add_nc_u64 s[2:3], s[6:7], 8
.LBB220_3:                              ; =>This Inner Loop Header: Depth=1
	s_clause 0x1
	s_load_b32 s6, s[2:3], 0x0
	s_load_b32 s7, s[2:3], 0x64
	s_mov_b32 s14, s12
	s_add_nc_u64 s[2:3], s[2:3], -4
	s_wait_kmcnt 0x0
	s_cvt_f32_u32 s8, s6
	s_sub_co_i32 s13, 0, s6
	s_wait_alu 0xfffe
	s_delay_alu instid0(SALU_CYCLE_1) | instskip(NEXT) | instid1(TRANS32_DEP_1)
	v_rcp_iflag_f32_e32 v1, s8
	v_readfirstlane_b32 s8, v1
	s_mul_f32 s8, s8, 0x4f7ffffe
	s_wait_alu 0xfffe
	s_delay_alu instid0(SALU_CYCLE_2) | instskip(SKIP_1) | instid1(SALU_CYCLE_2)
	s_cvt_u32_f32 s8, s8
	s_wait_alu 0xfffe
	s_mul_i32 s13, s13, s8
	s_delay_alu instid0(SALU_CYCLE_1) | instskip(NEXT) | instid1(SALU_CYCLE_1)
	s_mul_hi_u32 s13, s8, s13
	s_add_co_i32 s8, s8, s13
	s_wait_alu 0xfffe
	s_mul_hi_u32 s8, s12, s8
	s_wait_alu 0xfffe
	s_mul_i32 s12, s8, s6
	s_add_co_i32 s13, s8, 1
	s_sub_co_i32 s12, s14, s12
	s_delay_alu instid0(SALU_CYCLE_1)
	s_sub_co_i32 s15, s12, s6
	s_cmp_ge_u32 s12, s6
	s_cselect_b32 s8, s13, s8
	s_cselect_b32 s12, s15, s12
	s_wait_alu 0xfffe
	s_add_co_i32 s13, s8, 1
	s_cmp_ge_u32 s12, s6
	s_cselect_b32 s12, s13, s8
	s_add_co_i32 s5, s5, -1
	s_mul_i32 s6, s12, s6
	s_delay_alu instid0(SALU_CYCLE_1) | instskip(NEXT) | instid1(SALU_CYCLE_1)
	s_sub_co_i32 s6, s14, s6
	s_mul_i32 s6, s7, s6
	s_delay_alu instid0(SALU_CYCLE_1)
	s_add_co_i32 s9, s6, s9
	s_cmp_gt_u32 s5, 2
	s_cbranch_scc1 .LBB220_3
.LBB220_4:
	s_clause 0x2
	s_load_b64 s[28:29], s[0:1], 0x1c0
	s_load_b64 s[2:3], s[0:1], 0x0
	s_load_b32 s5, s[0:1], 0x6c
	s_add_nc_u64 s[34:35], s[0:1], 0x1c8
	s_mov_b32 s0, 0xffff
	s_wait_kmcnt 0x0
	s_bitcmp1_b32 s29, 0
	s_mul_i32 s4, s5, s4
	s_cselect_b32 s8, -1, 0
	s_mov_b32 s5, 0
	s_wait_alu 0xfffe
	s_and_b32 s1, s8, exec_lo
	s_cselect_b32 s13, s0, 0x7fff
	s_delay_alu instid0(SALU_CYCLE_1) | instskip(SKIP_1) | instid1(SALU_CYCLE_1)
	v_dual_mov_b32 v1, s13 :: v_dual_and_b32 v46, 0x3ff, v0
	s_lshl_b64 s[4:5], s[4:5], 1
	s_add_nc_u64 s[30:31], s[2:3], s[4:5]
	s_delay_alu instid0(VALU_DEP_1)
	v_mul_lo_u32 v44, s26, v46
	v_cmp_gt_u32_e64 s0, s25, v46
	s_and_saveexec_b32 s1, s0
	s_cbranch_execz .LBB220_6
; %bb.5:
	v_mov_b32_e32 v45, 0
	s_delay_alu instid0(VALU_DEP_1) | instskip(NEXT) | instid1(VALU_DEP_1)
	v_lshlrev_b64_e32 v[1:2], 1, v[44:45]
	v_add_co_u32 v1, vcc_lo, s30, v1
	s_delay_alu instid0(VALU_DEP_1)
	v_add_co_ci_u32_e64 v2, null, s31, v2, vcc_lo
	global_load_u16 v1, v[1:2], off
.LBB220_6:
	s_or_b32 exec_lo, exec_lo, s1
	v_dual_mov_b32 v2, s13 :: v_dual_add_nc_u32 v15, 0x200, v46
	s_delay_alu instid0(VALU_DEP_1)
	v_cmp_gt_u32_e64 s1, s25, v15
	s_and_saveexec_b32 s2, s1
	s_cbranch_execz .LBB220_8
; %bb.7:
	v_mul_lo_u32 v2, s26, v15
	v_mov_b32_e32 v3, 0
	s_delay_alu instid0(VALU_DEP_1) | instskip(NEXT) | instid1(VALU_DEP_1)
	v_lshlrev_b64_e32 v[2:3], 1, v[2:3]
	v_add_co_u32 v2, vcc_lo, s30, v2
	s_wait_alu 0xfffd
	s_delay_alu instid0(VALU_DEP_2)
	v_add_co_ci_u32_e64 v3, null, s31, v3, vcc_lo
	global_load_u16 v2, v[2:3], off
.LBB220_8:
	s_or_b32 exec_lo, exec_lo, s2
	v_or_b32_e32 v16, 0x400, v46
	v_mov_b32_e32 v3, s13
	s_delay_alu instid0(VALU_DEP_2)
	v_cmp_gt_u32_e64 s2, s25, v16
	s_and_saveexec_b32 s3, s2
	s_cbranch_execz .LBB220_10
; %bb.9:
	v_mul_lo_u32 v3, s26, v16
	v_mov_b32_e32 v4, 0
	s_delay_alu instid0(VALU_DEP_1) | instskip(NEXT) | instid1(VALU_DEP_1)
	v_lshlrev_b64_e32 v[3:4], 1, v[3:4]
	v_add_co_u32 v3, vcc_lo, s30, v3
	s_wait_alu 0xfffd
	s_delay_alu instid0(VALU_DEP_2)
	v_add_co_ci_u32_e64 v4, null, s31, v4, vcc_lo
	global_load_u16 v3, v[3:4], off
.LBB220_10:
	s_or_b32 exec_lo, exec_lo, s3
	v_dual_mov_b32 v4, s13 :: v_dual_add_nc_u32 v17, 0x600, v46
	s_delay_alu instid0(VALU_DEP_1)
	v_cmp_gt_u32_e64 s3, s25, v17
	s_and_saveexec_b32 s4, s3
	s_cbranch_execz .LBB220_12
; %bb.11:
	v_mul_lo_u32 v4, s26, v17
	v_mov_b32_e32 v5, 0
	s_delay_alu instid0(VALU_DEP_1) | instskip(NEXT) | instid1(VALU_DEP_1)
	v_lshlrev_b64_e32 v[4:5], 1, v[4:5]
	v_add_co_u32 v4, vcc_lo, s30, v4
	s_wait_alu 0xfffd
	s_delay_alu instid0(VALU_DEP_2)
	v_add_co_ci_u32_e64 v5, null, s31, v5, vcc_lo
	global_load_u16 v4, v[4:5], off
.LBB220_12:
	s_or_b32 exec_lo, exec_lo, s4
	v_or_b32_e32 v18, 0x800, v46
	v_mov_b32_e32 v5, s13
	s_delay_alu instid0(VALU_DEP_2)
	v_cmp_gt_u32_e64 s4, s25, v18
	s_and_saveexec_b32 s5, s4
	s_cbranch_execz .LBB220_14
; %bb.13:
	v_mul_lo_u32 v5, s26, v18
	v_mov_b32_e32 v6, 0
	s_delay_alu instid0(VALU_DEP_1) | instskip(NEXT) | instid1(VALU_DEP_1)
	v_lshlrev_b64_e32 v[5:6], 1, v[5:6]
	v_add_co_u32 v5, vcc_lo, s30, v5
	s_wait_alu 0xfffd
	s_delay_alu instid0(VALU_DEP_2)
	v_add_co_ci_u32_e64 v6, null, s31, v6, vcc_lo
	global_load_u16 v5, v[5:6], off
.LBB220_14:
	s_or_b32 exec_lo, exec_lo, s5
	v_dual_mov_b32 v6, s13 :: v_dual_add_nc_u32 v19, 0xa00, v46
	s_delay_alu instid0(VALU_DEP_1)
	v_cmp_gt_u32_e64 s5, s25, v19
	s_and_saveexec_b32 s6, s5
	s_cbranch_execz .LBB220_16
; %bb.15:
	v_mul_lo_u32 v6, s26, v19
	v_mov_b32_e32 v7, 0
	s_delay_alu instid0(VALU_DEP_1) | instskip(NEXT) | instid1(VALU_DEP_1)
	v_lshlrev_b64_e32 v[6:7], 1, v[6:7]
	v_add_co_u32 v6, vcc_lo, s30, v6
	s_wait_alu 0xfffd
	s_delay_alu instid0(VALU_DEP_2)
	v_add_co_ci_u32_e64 v7, null, s31, v7, vcc_lo
	global_load_u16 v6, v[6:7], off
.LBB220_16:
	s_or_b32 exec_lo, exec_lo, s6
	v_or_b32_e32 v20, 0xc00, v46
	v_mov_b32_e32 v7, s13
	s_delay_alu instid0(VALU_DEP_2)
	v_cmp_gt_u32_e64 s6, s25, v20
	s_and_saveexec_b32 s7, s6
	s_cbranch_execz .LBB220_18
; %bb.17:
	v_mul_lo_u32 v7, s26, v20
	v_mov_b32_e32 v8, 0
	s_delay_alu instid0(VALU_DEP_1) | instskip(NEXT) | instid1(VALU_DEP_1)
	v_lshlrev_b64_e32 v[7:8], 1, v[7:8]
	v_add_co_u32 v7, vcc_lo, s30, v7
	s_wait_alu 0xfffd
	s_delay_alu instid0(VALU_DEP_2)
	v_add_co_ci_u32_e64 v8, null, s31, v8, vcc_lo
	global_load_u16 v7, v[7:8], off
.LBB220_18:
	s_or_b32 exec_lo, exec_lo, s7
	s_clause 0x1
	s_load_b32 s14, s[10:11], 0x6c
	s_load_b64 s[10:11], s[10:11], 0x0
	v_dual_mov_b32 v8, s13 :: v_dual_add_nc_u32 v21, 0xe00, v46
	s_delay_alu instid0(VALU_DEP_1)
	v_cmp_gt_u32_e64 s7, s25, v21
	s_and_saveexec_b32 s13, s7
	s_cbranch_execz .LBB220_20
; %bb.19:
	v_mul_lo_u32 v8, s26, v21
	v_mov_b32_e32 v9, 0
	s_delay_alu instid0(VALU_DEP_1) | instskip(NEXT) | instid1(VALU_DEP_1)
	v_lshlrev_b64_e32 v[8:9], 1, v[8:9]
	v_add_co_u32 v8, vcc_lo, s30, v8
	s_wait_alu 0xfffd
	s_delay_alu instid0(VALU_DEP_2)
	v_add_co_ci_u32_e64 v9, null, s31, v9, vcc_lo
	global_load_u16 v8, v[8:9], off
.LBB220_20:
	s_wait_alu 0xfffe
	s_or_b32 exec_lo, exec_lo, s13
	v_lshrrev_b32_e32 v9, 4, v46
	v_lshrrev_b32_e32 v10, 4, v15
	;; [unrolled: 1-line block ×5, first 2 shown]
	v_dual_mov_b32 v42, 0 :: v_dual_and_b32 v9, 60, v9
	v_lshlrev_b32_e32 v12, 1, v46
	v_and_b32_e32 v10, 0x7c, v10
	v_and_b32_e32 v11, 0x7c, v11
	s_wait_kmcnt 0x0
	s_mul_i32 s12, s14, s12
	v_mov_b32_e32 v43, v42
	v_add_nc_u32_e32 v51, v9, v12
	v_add_nc_u32_e32 v45, v10, v12
	;; [unrolled: 1-line block ×3, first 2 shown]
	v_and_b32_e32 v9, 0xfc, v13
	v_lshrrev_b32_e32 v10, 4, v18
	v_lshrrev_b32_e32 v11, 4, v19
	;; [unrolled: 1-line block ×3, first 2 shown]
	v_mul_lo_u32 v41, s28, v46
	v_add_nc_u32_e32 v53, v9, v12
	v_and_b32_e32 v9, 0xbc, v10
	v_and_b32_e32 v10, 0xfc, v11
	;; [unrolled: 1-line block ×4, first 2 shown]
	v_lshrrev_b32_e32 v14, 1, v46
	v_add_nc_u32_e32 v54, v9, v12
	v_add_nc_u32_e32 v55, v10, v12
	;; [unrolled: 1-line block ×4, first 2 shown]
	v_and_b32_e32 v9, 0x1fc, v14
	v_mov_b32_e32 v13, 0
	v_dual_mov_b32 v11, v42 :: v_dual_mov_b32 v12, v42
	v_mov_b32_e32 v14, 0
	s_delay_alu instid0(VALU_DEP_4)
	v_lshl_add_u32 v58, v46, 4, v9
	s_wait_loadcnt 0x0
	ds_store_b16 v51, v1
	ds_store_b16 v45, v2 offset:1024
	ds_store_b16 v52, v3 offset:2048
	;; [unrolled: 1-line block ×7, first 2 shown]
	s_wait_dscnt 0x0
	s_barrier_signal -1
	s_barrier_wait -1
	global_inv scope:SCOPE_SE
	ds_load_2addr_b32 v[49:50], v58 offset1:1
	ds_load_2addr_b32 v[47:48], v58 offset0:2 offset1:3
	s_wait_alu 0xfffe
	s_add_co_i32 s12, s12, s9
	s_mov_b32 s13, 0
	v_dual_mov_b32 v9, v42 :: v_dual_mov_b32 v10, v42
	v_dual_mov_b32 v1, v42 :: v_dual_mov_b32 v2, v42
	;; [unrolled: 1-line block ×5, first 2 shown]
	s_wait_alu 0xfffe
	s_lshl_b64 s[12:13], s[12:13], 3
	s_wait_loadcnt_dscnt 0x0
	s_wait_alu 0xfffe
	s_add_nc_u64 s[24:25], s[10:11], s[12:13]
	s_barrier_signal -1
	s_barrier_wait -1
	global_inv scope:SCOPE_SE
	s_and_saveexec_b32 s9, s0
	s_cbranch_execnz .LBB220_76
; %bb.21:
	s_wait_alu 0xfffe
	s_or_b32 exec_lo, exec_lo, s9
	s_and_saveexec_b32 s9, s1
	s_cbranch_execnz .LBB220_77
.LBB220_22:
	s_wait_alu 0xfffe
	s_or_b32 exec_lo, exec_lo, s9
	s_and_saveexec_b32 s9, s2
	s_cbranch_execnz .LBB220_78
.LBB220_23:
	s_wait_alu 0xfffe
	s_or_b32 exec_lo, exec_lo, s9
	s_and_saveexec_b32 s9, s3
	s_cbranch_execnz .LBB220_79
.LBB220_24:
	s_wait_alu 0xfffe
	s_or_b32 exec_lo, exec_lo, s9
	s_and_saveexec_b32 s9, s4
	s_cbranch_execnz .LBB220_80
.LBB220_25:
	s_wait_alu 0xfffe
	s_or_b32 exec_lo, exec_lo, s9
	s_and_saveexec_b32 s9, s5
	s_cbranch_execnz .LBB220_81
.LBB220_26:
	s_wait_alu 0xfffe
	s_or_b32 exec_lo, exec_lo, s9
	s_and_saveexec_b32 s9, s6
	s_cbranch_execz .LBB220_28
.LBB220_27:
	v_mul_lo_u32 v5, s28, v20
	v_mov_b32_e32 v6, 0
	s_delay_alu instid0(VALU_DEP_1) | instskip(NEXT) | instid1(VALU_DEP_1)
	v_lshlrev_b64_e32 v[5:6], 3, v[5:6]
	v_add_co_u32 v5, vcc_lo, s24, v5
	s_wait_alu 0xfffd
	s_delay_alu instid0(VALU_DEP_2)
	v_add_co_ci_u32_e64 v6, null, s25, v6, vcc_lo
	global_load_b64 v[5:6], v[5:6], off
.LBB220_28:
	s_wait_alu 0xfffe
	s_or_b32 exec_lo, exec_lo, s9
	v_lshrrev_b32_e32 v68, 5, v46
	v_lshrrev_b32_e32 v25, 5, v15
	;; [unrolled: 1-line block ×8, first 2 shown]
	v_lshlrev_b32_e32 v66, 3, v46
	v_lshrrev_b32_e32 v15, 2, v46
	s_xor_b32 s8, s8, -1
	s_and_saveexec_b32 s9, s7
	s_cbranch_execz .LBB220_30
; %bb.29:
	v_mul_lo_u32 v7, s28, v21
	v_mov_b32_e32 v8, 0
	s_delay_alu instid0(VALU_DEP_1) | instskip(NEXT) | instid1(VALU_DEP_1)
	v_lshlrev_b64_e32 v[7:8], 3, v[7:8]
	v_add_co_u32 v7, vcc_lo, s24, v7
	s_wait_alu 0xfffd
	s_delay_alu instid0(VALU_DEP_2)
	v_add_co_ci_u32_e64 v8, null, s25, v8, vcc_lo
	global_load_b64 v[7:8], v[7:8], off
.LBB220_30:
	s_wait_alu 0xfffe
	s_or_b32 exec_lo, exec_lo, s9
	v_lshl_add_u32 v59, v68, 3, v66
	v_lshl_add_u32 v60, v25, 3, v66
	;; [unrolled: 1-line block ×5, first 2 shown]
	s_wait_loadcnt 0x0
	ds_store_b64 v59, v[13:14]
	ds_store_b64 v60, v[42:43] offset:4096
	ds_store_b64 v61, v[9:10] offset:8192
	;; [unrolled: 1-line block ×3, first 2 shown]
	v_lshlrev_b32_e32 v9, 3, v66
	v_lshl_add_u32 v42, v22, 3, v66
	v_lshl_add_u32 v43, v18, 3, v66
	;; [unrolled: 1-line block ×3, first 2 shown]
	ds_store_b64 v42, v[1:2] offset:16384
	ds_store_b64 v43, v[3:4] offset:20480
	;; [unrolled: 1-line block ×4, first 2 shown]
	v_lshl_add_u32 v65, v15, 3, v9
	s_wait_dscnt 0x0
	s_barrier_signal -1
	s_barrier_wait -1
	global_inv scope:SCOPE_SE
	ds_load_2addr_b64 v[13:16], v65 offset1:1
	ds_load_2addr_b64 v[9:12], v65 offset0:2 offset1:3
	ds_load_2addr_b64 v[5:8], v65 offset0:4 offset1:5
	;; [unrolled: 1-line block ×3, first 2 shown]
	v_bfe_u32 v71, v0, 10, 10
	v_bfe_u32 v72, v0, 20, 10
	v_mbcnt_lo_u32_b32 v69, -1, 0
	v_and_b32_e32 v70, 0x3e0, v46
	v_lshlrev_b32_e32 v67, 2, v66
	s_and_b32 vcc_lo, exec_lo, s8
	s_wait_loadcnt_dscnt 0x0
	s_barrier_signal -1
	s_barrier_wait -1
	global_inv scope:SCOPE_SE
	s_wait_alu 0xfffe
	s_cbranch_vccz .LBB220_82
; %bb.31:
	v_pk_ashrrev_i16 v0, 15, v49 op_sel_hi:[0,1]
	v_pk_ashrrev_i16 v17, 15, v50 op_sel_hi:[0,1]
	;; [unrolled: 1-line block ×4, first 2 shown]
	v_or_b32_e32 v21, v69, v70
	v_or_b32_e32 v0, 0x80008000, v0
	;; [unrolled: 1-line block ×5, first 2 shown]
	v_and_or_b32 v84, 0x1f00, v66, v69
	s_mov_b32 s12, 0
	v_xor_b32_e32 v17, v0, v49
	v_xor_b32_e32 v18, v20, v50
	;; [unrolled: 1-line block ×4, first 2 shown]
	s_wait_alu 0xfffe
	s_mov_b32 s13, s12
	s_mov_b32 s14, s12
	;; [unrolled: 1-line block ×3, first 2 shown]
	v_lshlrev_b32_e32 v23, 4, v21
	v_lshlrev_b32_e32 v73, 1, v84
	s_getpc_b64 s[8:9]
	s_wait_alu 0xfffe
	s_sext_i32_i16 s9, s9
	s_add_co_u32 s8, s8, _ZN7rocprim17ROCPRIM_400000_NS16block_radix_sortI6__halfLj512ELj8ElLj1ELj1ELj0ELNS0_26block_radix_rank_algorithmE1ELNS0_18block_padding_hintE2ELNS0_4arch9wavefront6targetE0EE19radix_bits_per_passE@rel32@lo+12
	s_wait_alu 0xfffe
	s_add_co_ci_u32 s9, s9, _ZN7rocprim17ROCPRIM_400000_NS16block_radix_sortI6__halfLj512ELj8ElLj1ELj1ELj0ELNS0_26block_radix_rank_algorithmE1ELNS0_18block_padding_hintE2ELNS0_4arch9wavefront6targetE0EE19radix_bits_per_passE@rel32@hi+24
	s_load_b32 s17, s[8:9], 0x0
	ds_store_b128 v23, v[17:20]
	; wave barrier
	ds_load_u16 v74, v73
	v_mad_u32_u24 v0, v21, 48, v23
	ds_load_u16 v75, v73 offset:64
	ds_load_u16 v76, v73 offset:128
	;; [unrolled: 1-line block ×7, first 2 shown]
	s_wait_loadcnt_dscnt 0x0
	s_barrier_signal -1
	s_barrier_wait -1
	global_inv scope:SCOPE_SE
	ds_store_b128 v0, v[13:16]
	ds_store_b128 v0, v[9:12] offset:16
	ds_store_b128 v0, v[5:8] offset:32
	;; [unrolled: 1-line block ×3, first 2 shown]
	v_mad_u32_u24 v29, v84, 6, v73
	; wave barrier
	s_wait_kmcnt 0x0
	s_min_u32 s8, s17, 16
	s_wait_alu 0xfffe
	s_lshl_b32 s8, -1, s8
	v_cmp_ne_u16_e32 vcc_lo, 0x7fff, v74
	s_wait_alu 0xfffe
	s_not_b32 s9, s8
	s_wait_alu 0xfffd
	v_cndmask_b32_e32 v17, 0xffff8000, v74, vcc_lo
	s_delay_alu instid0(VALU_DEP_1) | instskip(SKIP_1) | instid1(VALU_DEP_1)
	v_and_b32_e32 v17, 0xffff, v17
	s_wait_alu 0xfffe
	v_and_b32_e32 v40, s9, v17
	ds_load_2addr_b64 v[17:20], v29 offset1:32
	ds_load_2addr_b64 v[25:28], v29 offset0:64 offset1:96
	ds_load_2addr_b64 v[21:24], v29 offset0:128 offset1:160
	;; [unrolled: 1-line block ×3, first 2 shown]
	s_wait_loadcnt_dscnt 0x0
	v_and_b32_e32 v0, 1, v40
	v_lshlrev_b32_e32 v33, 30, v40
	v_lshlrev_b32_e32 v36, 28, v40
	s_barrier_signal -1
	s_barrier_wait -1
	v_add_co_u32 v0, s8, v0, -1
	s_wait_alu 0xf1ff
	v_cndmask_b32_e64 v34, 0, 1, s8
	v_not_b32_e32 v35, v33
	v_cmp_gt_i32_e64 s8, 0, v33
	global_inv scope:SCOPE_SE
	v_cmp_ne_u32_e32 vcc_lo, 0, v34
	v_lshlrev_b32_e32 v34, 29, v40
	v_ashrrev_i32_e32 v33, 31, v35
	s_wait_alu 0xfffd
	v_xor_b32_e32 v0, vcc_lo, v0
	s_delay_alu instid0(VALU_DEP_3)
	v_not_b32_e32 v35, v34
	s_wait_alu 0xf1ff
	v_xor_b32_e32 v33, s8, v33
	v_cmp_gt_i32_e32 vcc_lo, 0, v34
	s_load_b32 s8, s[34:35], 0xc
	v_and_b32_e32 v0, exec_lo, v0
	v_ashrrev_i32_e32 v34, 31, v35
	v_not_b32_e32 v35, v36
	s_delay_alu instid0(VALU_DEP_3) | instskip(SKIP_1) | instid1(VALU_DEP_4)
	v_and_b32_e32 v0, v0, v33
	v_lshlrev_b32_e32 v33, 27, v40
	v_xor_b32_e32 v34, vcc_lo, v34
	v_cmp_gt_i32_e32 vcc_lo, 0, v36
	v_ashrrev_i32_e32 v35, 31, v35
	s_delay_alu instid0(VALU_DEP_4) | instskip(NEXT) | instid1(VALU_DEP_4)
	v_not_b32_e32 v36, v33
	v_and_b32_e32 v0, v0, v34
	v_lshlrev_b32_e32 v34, 26, v40
	s_wait_alu 0xfffd
	v_xor_b32_e32 v35, vcc_lo, v35
	v_cmp_gt_i32_e32 vcc_lo, 0, v33
	v_ashrrev_i32_e32 v33, 31, v36
	v_not_b32_e32 v36, v34
	s_delay_alu instid0(VALU_DEP_4)
	v_and_b32_e32 v0, v0, v35
	v_lshlrev_b32_e32 v35, 25, v40
	s_wait_alu 0xfffd
	v_xor_b32_e32 v33, vcc_lo, v33
	v_cmp_gt_i32_e32 vcc_lo, 0, v34
	v_ashrrev_i32_e32 v34, 31, v36
	s_wait_kmcnt 0x0
	s_lshr_b32 s10, s8, 16
	v_not_b32_e32 v36, v35
	v_and_b32_e32 v0, v0, v33
	v_lshlrev_b32_e32 v33, 24, v40
	s_wait_alu 0xfffd
	v_xor_b32_e32 v34, vcc_lo, v34
	v_cmp_gt_i32_e32 vcc_lo, 0, v35
	v_ashrrev_i32_e32 v35, 31, v36
	v_mad_u32_u24 v37, v72, s10, v71
	v_not_b32_e32 v36, v33
	v_and_b32_e32 v0, v0, v34
	s_and_b32 s8, s8, 0xffff
	s_wait_alu 0xfffd
	v_xor_b32_e32 v34, vcc_lo, v35
	v_cmp_gt_i32_e32 vcc_lo, 0, v33
	v_ashrrev_i32_e32 v33, 31, v36
	s_wait_alu 0xfffe
	v_mad_co_u64_u32 v[38:39], null, v37, s8, v[46:47]
	v_dual_mov_b32 v37, s15 :: v_dual_and_b32 v0, v0, v34
	s_wait_alu 0xfffd
	v_xor_b32_e32 v33, vcc_lo, v33
	v_dual_mov_b32 v36, s14 :: v_dual_mov_b32 v35, s13
	v_mov_b32_e32 v34, s12
	ds_store_b128 v67, v[34:37] offset:64
	ds_store_b128 v67, v[34:37] offset:80
	v_and_b32_e32 v33, v0, v33
	v_lshrrev_b32_e32 v0, 5, v38
	v_lshlrev_b32_e32 v34, 6, v40
	s_wait_loadcnt_dscnt 0x0
	s_barrier_signal -1
	v_mbcnt_lo_u32_b32 v86, v33, 0
	v_lshlrev_b32_e32 v0, 2, v0
	v_cmp_ne_u32_e64 s8, 0, v33
	s_barrier_wait -1
	global_inv scope:SCOPE_SE
	v_cmp_eq_u32_e32 vcc_lo, 0, v86
	v_add_nc_u32_e32 v87, v0, v34
	; wave barrier
	s_and_b32 s10, s8, vcc_lo
	s_wait_alu 0xfffe
	s_and_saveexec_b32 s8, s10
; %bb.32:
	v_bcnt_u32_b32 v33, v33, 0
	ds_store_b32 v87, v33 offset:64
; %bb.33:
	s_wait_alu 0xfffe
	s_or_b32 exec_lo, exec_lo, s8
	v_cmp_ne_u16_e32 vcc_lo, 0x7fff, v75
	; wave barrier
	s_wait_alu 0xfffd
	v_cndmask_b32_e32 v33, 0xffff8000, v75, vcc_lo
	s_delay_alu instid0(VALU_DEP_1) | instskip(NEXT) | instid1(VALU_DEP_1)
	v_and_b32_e32 v33, 0xffff, v33
	v_and_b32_e32 v33, s9, v33
	s_delay_alu instid0(VALU_DEP_1)
	v_and_b32_e32 v34, 1, v33
	v_lshlrev_b32_e32 v35, 30, v33
	v_lshlrev_b32_e32 v36, 29, v33
	;; [unrolled: 1-line block ×4, first 2 shown]
	v_add_co_u32 v34, s8, v34, -1
	s_wait_alu 0xf1ff
	v_cndmask_b32_e64 v38, 0, 1, s8
	v_not_b32_e32 v83, v35
	v_cmp_gt_i32_e64 s8, 0, v35
	v_not_b32_e32 v35, v36
	v_lshlrev_b32_e32 v40, 26, v33
	v_cmp_ne_u32_e32 vcc_lo, 0, v38
	v_ashrrev_i32_e32 v83, 31, v83
	v_lshlrev_b32_e32 v82, 25, v33
	v_ashrrev_i32_e32 v35, 31, v35
	v_lshlrev_b32_e32 v38, 24, v33
	s_wait_alu 0xfffd
	v_xor_b32_e32 v34, vcc_lo, v34
	v_cmp_gt_i32_e32 vcc_lo, 0, v36
	v_not_b32_e32 v36, v37
	s_wait_alu 0xf1ff
	v_xor_b32_e32 v83, s8, v83
	v_cmp_gt_i32_e64 s8, 0, v37
	v_and_b32_e32 v34, exec_lo, v34
	v_not_b32_e32 v37, v39
	v_ashrrev_i32_e32 v36, 31, v36
	s_wait_alu 0xfffd
	v_xor_b32_e32 v35, vcc_lo, v35
	v_cmp_gt_i32_e32 vcc_lo, 0, v39
	v_and_b32_e32 v34, v34, v83
	v_not_b32_e32 v39, v40
	v_ashrrev_i32_e32 v37, 31, v37
	s_wait_alu 0xf1ff
	v_xor_b32_e32 v36, s8, v36
	v_cmp_gt_i32_e64 s8, 0, v40
	v_and_b32_e32 v34, v34, v35
	v_not_b32_e32 v35, v82
	v_ashrrev_i32_e32 v39, 31, v39
	s_wait_alu 0xfffd
	v_xor_b32_e32 v37, vcc_lo, v37
	v_cmp_gt_i32_e32 vcc_lo, 0, v82
	v_and_b32_e32 v34, v34, v36
	v_not_b32_e32 v36, v38
	v_ashrrev_i32_e32 v35, 31, v35
	s_wait_alu 0xf1ff
	v_xor_b32_e32 v39, s8, v39
	v_lshlrev_b32_e32 v33, 6, v33
	v_and_b32_e32 v34, v34, v37
	v_cmp_gt_i32_e64 s8, 0, v38
	v_ashrrev_i32_e32 v36, 31, v36
	s_wait_alu 0xfffd
	v_xor_b32_e32 v35, vcc_lo, v35
	v_add_nc_u32_e32 v90, v0, v33
	v_and_b32_e32 v34, v34, v39
	s_wait_alu 0xf1ff
	v_xor_b32_e32 v33, s8, v36
	ds_load_b32 v88, v90 offset:64
	v_and_b32_e32 v34, v34, v35
	; wave barrier
	s_delay_alu instid0(VALU_DEP_1) | instskip(NEXT) | instid1(VALU_DEP_1)
	v_and_b32_e32 v33, v34, v33
	v_mbcnt_lo_u32_b32 v89, v33, 0
	v_cmp_ne_u32_e64 s8, 0, v33
	s_delay_alu instid0(VALU_DEP_2)
	v_cmp_eq_u32_e32 vcc_lo, 0, v89
	s_and_b32 s10, s8, vcc_lo
	s_wait_alu 0xfffe
	s_and_saveexec_b32 s8, s10
	s_cbranch_execz .LBB220_35
; %bb.34:
	s_wait_dscnt 0x0
	v_bcnt_u32_b32 v33, v33, v88
	ds_store_b32 v90, v33 offset:64
.LBB220_35:
	s_wait_alu 0xfffe
	s_or_b32 exec_lo, exec_lo, s8
	v_cmp_ne_u16_e32 vcc_lo, 0x7fff, v76
	; wave barrier
	s_wait_alu 0xfffd
	v_cndmask_b32_e32 v33, 0xffff8000, v76, vcc_lo
	s_delay_alu instid0(VALU_DEP_1) | instskip(NEXT) | instid1(VALU_DEP_1)
	v_and_b32_e32 v33, 0xffff, v33
	v_and_b32_e32 v33, s9, v33
	s_delay_alu instid0(VALU_DEP_1)
	v_and_b32_e32 v34, 1, v33
	v_lshlrev_b32_e32 v35, 30, v33
	v_lshlrev_b32_e32 v36, 29, v33
	;; [unrolled: 1-line block ×4, first 2 shown]
	v_add_co_u32 v34, s8, v34, -1
	s_wait_alu 0xf1ff
	v_cndmask_b32_e64 v38, 0, 1, s8
	v_not_b32_e32 v83, v35
	v_cmp_gt_i32_e64 s8, 0, v35
	v_not_b32_e32 v35, v36
	v_lshlrev_b32_e32 v40, 26, v33
	v_cmp_ne_u32_e32 vcc_lo, 0, v38
	v_ashrrev_i32_e32 v83, 31, v83
	v_lshlrev_b32_e32 v82, 25, v33
	v_ashrrev_i32_e32 v35, 31, v35
	v_lshlrev_b32_e32 v38, 24, v33
	s_wait_alu 0xfffd
	v_xor_b32_e32 v34, vcc_lo, v34
	v_cmp_gt_i32_e32 vcc_lo, 0, v36
	v_not_b32_e32 v36, v37
	s_wait_alu 0xf1ff
	v_xor_b32_e32 v83, s8, v83
	v_cmp_gt_i32_e64 s8, 0, v37
	v_and_b32_e32 v34, exec_lo, v34
	v_not_b32_e32 v37, v39
	v_ashrrev_i32_e32 v36, 31, v36
	s_wait_alu 0xfffd
	v_xor_b32_e32 v35, vcc_lo, v35
	v_cmp_gt_i32_e32 vcc_lo, 0, v39
	v_and_b32_e32 v34, v34, v83
	v_not_b32_e32 v39, v40
	v_ashrrev_i32_e32 v37, 31, v37
	s_wait_alu 0xf1ff
	v_xor_b32_e32 v36, s8, v36
	v_cmp_gt_i32_e64 s8, 0, v40
	v_and_b32_e32 v34, v34, v35
	v_not_b32_e32 v35, v82
	v_ashrrev_i32_e32 v39, 31, v39
	s_wait_alu 0xfffd
	v_xor_b32_e32 v37, vcc_lo, v37
	v_cmp_gt_i32_e32 vcc_lo, 0, v82
	v_and_b32_e32 v34, v34, v36
	v_not_b32_e32 v36, v38
	v_ashrrev_i32_e32 v35, 31, v35
	s_wait_alu 0xf1ff
	v_xor_b32_e32 v39, s8, v39
	v_lshlrev_b32_e32 v33, 6, v33
	v_and_b32_e32 v34, v34, v37
	v_cmp_gt_i32_e64 s8, 0, v38
	v_ashrrev_i32_e32 v36, 31, v36
	s_wait_alu 0xfffd
	v_xor_b32_e32 v35, vcc_lo, v35
	v_add_nc_u32_e32 v93, v0, v33
	v_and_b32_e32 v34, v34, v39
	s_wait_alu 0xf1ff
	v_xor_b32_e32 v33, s8, v36
	ds_load_b32 v91, v93 offset:64
	v_and_b32_e32 v34, v34, v35
	; wave barrier
	s_delay_alu instid0(VALU_DEP_1) | instskip(NEXT) | instid1(VALU_DEP_1)
	v_and_b32_e32 v33, v34, v33
	v_mbcnt_lo_u32_b32 v92, v33, 0
	v_cmp_ne_u32_e64 s8, 0, v33
	s_delay_alu instid0(VALU_DEP_2)
	v_cmp_eq_u32_e32 vcc_lo, 0, v92
	s_and_b32 s10, s8, vcc_lo
	s_wait_alu 0xfffe
	s_and_saveexec_b32 s8, s10
	s_cbranch_execz .LBB220_37
; %bb.36:
	s_wait_dscnt 0x0
	v_bcnt_u32_b32 v33, v33, v91
	ds_store_b32 v93, v33 offset:64
.LBB220_37:
	s_wait_alu 0xfffe
	s_or_b32 exec_lo, exec_lo, s8
	v_cmp_ne_u16_e32 vcc_lo, 0x7fff, v77
	; wave barrier
	s_wait_alu 0xfffd
	v_cndmask_b32_e32 v33, 0xffff8000, v77, vcc_lo
	s_delay_alu instid0(VALU_DEP_1) | instskip(NEXT) | instid1(VALU_DEP_1)
	v_and_b32_e32 v33, 0xffff, v33
	v_and_b32_e32 v33, s9, v33
	s_delay_alu instid0(VALU_DEP_1)
	v_and_b32_e32 v34, 1, v33
	v_lshlrev_b32_e32 v35, 30, v33
	v_lshlrev_b32_e32 v36, 29, v33
	;; [unrolled: 1-line block ×4, first 2 shown]
	v_add_co_u32 v34, s8, v34, -1
	s_wait_alu 0xf1ff
	v_cndmask_b32_e64 v38, 0, 1, s8
	v_not_b32_e32 v83, v35
	v_cmp_gt_i32_e64 s8, 0, v35
	v_not_b32_e32 v35, v36
	v_lshlrev_b32_e32 v40, 26, v33
	v_cmp_ne_u32_e32 vcc_lo, 0, v38
	v_ashrrev_i32_e32 v83, 31, v83
	v_lshlrev_b32_e32 v82, 25, v33
	v_ashrrev_i32_e32 v35, 31, v35
	v_lshlrev_b32_e32 v38, 24, v33
	s_wait_alu 0xfffd
	v_xor_b32_e32 v34, vcc_lo, v34
	v_cmp_gt_i32_e32 vcc_lo, 0, v36
	v_not_b32_e32 v36, v37
	s_wait_alu 0xf1ff
	v_xor_b32_e32 v83, s8, v83
	v_cmp_gt_i32_e64 s8, 0, v37
	v_and_b32_e32 v34, exec_lo, v34
	v_not_b32_e32 v37, v39
	v_ashrrev_i32_e32 v36, 31, v36
	s_wait_alu 0xfffd
	v_xor_b32_e32 v35, vcc_lo, v35
	v_cmp_gt_i32_e32 vcc_lo, 0, v39
	v_and_b32_e32 v34, v34, v83
	v_not_b32_e32 v39, v40
	v_ashrrev_i32_e32 v37, 31, v37
	s_wait_alu 0xf1ff
	v_xor_b32_e32 v36, s8, v36
	v_cmp_gt_i32_e64 s8, 0, v40
	v_and_b32_e32 v34, v34, v35
	v_not_b32_e32 v35, v82
	v_ashrrev_i32_e32 v39, 31, v39
	s_wait_alu 0xfffd
	v_xor_b32_e32 v37, vcc_lo, v37
	v_cmp_gt_i32_e32 vcc_lo, 0, v82
	v_and_b32_e32 v34, v34, v36
	v_not_b32_e32 v36, v38
	v_ashrrev_i32_e32 v35, 31, v35
	s_wait_alu 0xf1ff
	v_xor_b32_e32 v39, s8, v39
	v_lshlrev_b32_e32 v33, 6, v33
	v_and_b32_e32 v34, v34, v37
	v_cmp_gt_i32_e64 s8, 0, v38
	v_ashrrev_i32_e32 v36, 31, v36
	s_wait_alu 0xfffd
	v_xor_b32_e32 v35, vcc_lo, v35
	v_add_nc_u32_e32 v96, v0, v33
	v_and_b32_e32 v34, v34, v39
	s_wait_alu 0xf1ff
	v_xor_b32_e32 v33, s8, v36
	ds_load_b32 v94, v96 offset:64
	v_and_b32_e32 v34, v34, v35
	; wave barrier
	s_delay_alu instid0(VALU_DEP_1) | instskip(NEXT) | instid1(VALU_DEP_1)
	v_and_b32_e32 v33, v34, v33
	v_mbcnt_lo_u32_b32 v95, v33, 0
	v_cmp_ne_u32_e64 s8, 0, v33
	s_delay_alu instid0(VALU_DEP_2)
	v_cmp_eq_u32_e32 vcc_lo, 0, v95
	s_and_b32 s10, s8, vcc_lo
	s_wait_alu 0xfffe
	s_and_saveexec_b32 s8, s10
	s_cbranch_execz .LBB220_39
; %bb.38:
	s_wait_dscnt 0x0
	v_bcnt_u32_b32 v33, v33, v94
	ds_store_b32 v96, v33 offset:64
.LBB220_39:
	s_wait_alu 0xfffe
	s_or_b32 exec_lo, exec_lo, s8
	v_cmp_ne_u16_e32 vcc_lo, 0x7fff, v78
	; wave barrier
	s_wait_alu 0xfffd
	v_cndmask_b32_e32 v33, 0xffff8000, v78, vcc_lo
	s_delay_alu instid0(VALU_DEP_1) | instskip(NEXT) | instid1(VALU_DEP_1)
	v_and_b32_e32 v33, 0xffff, v33
	v_and_b32_e32 v33, s9, v33
	s_delay_alu instid0(VALU_DEP_1)
	v_and_b32_e32 v34, 1, v33
	v_lshlrev_b32_e32 v35, 30, v33
	v_lshlrev_b32_e32 v36, 29, v33
	v_lshlrev_b32_e32 v37, 28, v33
	v_lshlrev_b32_e32 v39, 27, v33
	v_add_co_u32 v34, s8, v34, -1
	s_wait_alu 0xf1ff
	v_cndmask_b32_e64 v38, 0, 1, s8
	v_not_b32_e32 v83, v35
	v_cmp_gt_i32_e64 s8, 0, v35
	v_not_b32_e32 v35, v36
	v_lshlrev_b32_e32 v40, 26, v33
	v_cmp_ne_u32_e32 vcc_lo, 0, v38
	v_ashrrev_i32_e32 v83, 31, v83
	v_lshlrev_b32_e32 v82, 25, v33
	v_ashrrev_i32_e32 v35, 31, v35
	v_lshlrev_b32_e32 v38, 24, v33
	s_wait_alu 0xfffd
	v_xor_b32_e32 v34, vcc_lo, v34
	v_cmp_gt_i32_e32 vcc_lo, 0, v36
	v_not_b32_e32 v36, v37
	s_wait_alu 0xf1ff
	v_xor_b32_e32 v83, s8, v83
	v_cmp_gt_i32_e64 s8, 0, v37
	v_and_b32_e32 v34, exec_lo, v34
	v_not_b32_e32 v37, v39
	v_ashrrev_i32_e32 v36, 31, v36
	s_wait_alu 0xfffd
	v_xor_b32_e32 v35, vcc_lo, v35
	v_cmp_gt_i32_e32 vcc_lo, 0, v39
	v_and_b32_e32 v34, v34, v83
	v_not_b32_e32 v39, v40
	v_ashrrev_i32_e32 v37, 31, v37
	s_wait_alu 0xf1ff
	v_xor_b32_e32 v36, s8, v36
	v_cmp_gt_i32_e64 s8, 0, v40
	v_and_b32_e32 v34, v34, v35
	v_not_b32_e32 v35, v82
	v_ashrrev_i32_e32 v39, 31, v39
	s_wait_alu 0xfffd
	v_xor_b32_e32 v37, vcc_lo, v37
	v_cmp_gt_i32_e32 vcc_lo, 0, v82
	v_and_b32_e32 v34, v34, v36
	v_not_b32_e32 v36, v38
	v_ashrrev_i32_e32 v35, 31, v35
	s_wait_alu 0xf1ff
	v_xor_b32_e32 v39, s8, v39
	v_lshlrev_b32_e32 v33, 6, v33
	v_and_b32_e32 v34, v34, v37
	v_cmp_gt_i32_e64 s8, 0, v38
	v_ashrrev_i32_e32 v36, 31, v36
	s_wait_alu 0xfffd
	v_xor_b32_e32 v35, vcc_lo, v35
	v_add_nc_u32_e32 v99, v0, v33
	v_and_b32_e32 v34, v34, v39
	s_wait_alu 0xf1ff
	v_xor_b32_e32 v33, s8, v36
	ds_load_b32 v97, v99 offset:64
	v_and_b32_e32 v34, v34, v35
	; wave barrier
	s_delay_alu instid0(VALU_DEP_1) | instskip(NEXT) | instid1(VALU_DEP_1)
	v_and_b32_e32 v33, v34, v33
	v_mbcnt_lo_u32_b32 v98, v33, 0
	v_cmp_ne_u32_e64 s8, 0, v33
	s_delay_alu instid0(VALU_DEP_2)
	v_cmp_eq_u32_e32 vcc_lo, 0, v98
	s_and_b32 s10, s8, vcc_lo
	s_wait_alu 0xfffe
	s_and_saveexec_b32 s8, s10
	s_cbranch_execz .LBB220_41
; %bb.40:
	s_wait_dscnt 0x0
	v_bcnt_u32_b32 v33, v33, v97
	ds_store_b32 v99, v33 offset:64
.LBB220_41:
	s_wait_alu 0xfffe
	s_or_b32 exec_lo, exec_lo, s8
	v_cmp_ne_u16_e32 vcc_lo, 0x7fff, v79
	; wave barrier
	s_wait_alu 0xfffd
	v_cndmask_b32_e32 v33, 0xffff8000, v79, vcc_lo
	s_delay_alu instid0(VALU_DEP_1) | instskip(NEXT) | instid1(VALU_DEP_1)
	v_and_b32_e32 v33, 0xffff, v33
	v_and_b32_e32 v33, s9, v33
	s_delay_alu instid0(VALU_DEP_1)
	v_and_b32_e32 v34, 1, v33
	v_lshlrev_b32_e32 v35, 30, v33
	v_lshlrev_b32_e32 v36, 29, v33
	;; [unrolled: 1-line block ×4, first 2 shown]
	v_add_co_u32 v34, s8, v34, -1
	s_wait_alu 0xf1ff
	v_cndmask_b32_e64 v38, 0, 1, s8
	v_not_b32_e32 v83, v35
	v_cmp_gt_i32_e64 s8, 0, v35
	v_not_b32_e32 v35, v36
	v_lshlrev_b32_e32 v40, 26, v33
	v_cmp_ne_u32_e32 vcc_lo, 0, v38
	v_ashrrev_i32_e32 v83, 31, v83
	v_lshlrev_b32_e32 v82, 25, v33
	v_ashrrev_i32_e32 v35, 31, v35
	v_lshlrev_b32_e32 v38, 24, v33
	s_wait_alu 0xfffd
	v_xor_b32_e32 v34, vcc_lo, v34
	v_cmp_gt_i32_e32 vcc_lo, 0, v36
	v_not_b32_e32 v36, v37
	s_wait_alu 0xf1ff
	v_xor_b32_e32 v83, s8, v83
	v_cmp_gt_i32_e64 s8, 0, v37
	v_and_b32_e32 v34, exec_lo, v34
	v_not_b32_e32 v37, v39
	v_ashrrev_i32_e32 v36, 31, v36
	s_wait_alu 0xfffd
	v_xor_b32_e32 v35, vcc_lo, v35
	v_cmp_gt_i32_e32 vcc_lo, 0, v39
	v_and_b32_e32 v34, v34, v83
	v_not_b32_e32 v39, v40
	v_ashrrev_i32_e32 v37, 31, v37
	s_wait_alu 0xf1ff
	v_xor_b32_e32 v36, s8, v36
	v_cmp_gt_i32_e64 s8, 0, v40
	v_and_b32_e32 v34, v34, v35
	v_not_b32_e32 v35, v82
	v_ashrrev_i32_e32 v39, 31, v39
	s_wait_alu 0xfffd
	v_xor_b32_e32 v37, vcc_lo, v37
	v_cmp_gt_i32_e32 vcc_lo, 0, v82
	v_and_b32_e32 v34, v34, v36
	v_not_b32_e32 v36, v38
	v_ashrrev_i32_e32 v35, 31, v35
	s_wait_alu 0xf1ff
	v_xor_b32_e32 v39, s8, v39
	v_lshlrev_b32_e32 v33, 6, v33
	v_and_b32_e32 v34, v34, v37
	v_cmp_gt_i32_e64 s8, 0, v38
	v_ashrrev_i32_e32 v36, 31, v36
	s_wait_alu 0xfffd
	v_xor_b32_e32 v35, vcc_lo, v35
	v_add_nc_u32_e32 v102, v0, v33
	v_and_b32_e32 v34, v34, v39
	s_wait_alu 0xf1ff
	v_xor_b32_e32 v33, s8, v36
	ds_load_b32 v100, v102 offset:64
	v_and_b32_e32 v34, v34, v35
	; wave barrier
	s_delay_alu instid0(VALU_DEP_1) | instskip(NEXT) | instid1(VALU_DEP_1)
	v_and_b32_e32 v33, v34, v33
	v_mbcnt_lo_u32_b32 v101, v33, 0
	v_cmp_ne_u32_e64 s8, 0, v33
	s_delay_alu instid0(VALU_DEP_2)
	v_cmp_eq_u32_e32 vcc_lo, 0, v101
	s_and_b32 s10, s8, vcc_lo
	s_wait_alu 0xfffe
	s_and_saveexec_b32 s8, s10
	s_cbranch_execz .LBB220_43
; %bb.42:
	s_wait_dscnt 0x0
	v_bcnt_u32_b32 v33, v33, v100
	ds_store_b32 v102, v33 offset:64
.LBB220_43:
	s_wait_alu 0xfffe
	s_or_b32 exec_lo, exec_lo, s8
	v_cmp_ne_u16_e32 vcc_lo, 0x7fff, v80
	; wave barrier
	s_wait_alu 0xfffd
	v_cndmask_b32_e32 v33, 0xffff8000, v80, vcc_lo
	s_delay_alu instid0(VALU_DEP_1) | instskip(NEXT) | instid1(VALU_DEP_1)
	v_and_b32_e32 v33, 0xffff, v33
	v_and_b32_e32 v33, s9, v33
	s_delay_alu instid0(VALU_DEP_1)
	v_and_b32_e32 v34, 1, v33
	v_lshlrev_b32_e32 v35, 30, v33
	v_lshlrev_b32_e32 v36, 29, v33
	v_lshlrev_b32_e32 v37, 28, v33
	v_lshlrev_b32_e32 v39, 27, v33
	v_add_co_u32 v34, s8, v34, -1
	s_wait_alu 0xf1ff
	v_cndmask_b32_e64 v38, 0, 1, s8
	v_not_b32_e32 v83, v35
	v_cmp_gt_i32_e64 s8, 0, v35
	v_not_b32_e32 v35, v36
	v_lshlrev_b32_e32 v40, 26, v33
	v_cmp_ne_u32_e32 vcc_lo, 0, v38
	v_ashrrev_i32_e32 v83, 31, v83
	v_lshlrev_b32_e32 v82, 25, v33
	v_ashrrev_i32_e32 v35, 31, v35
	v_lshlrev_b32_e32 v38, 24, v33
	s_wait_alu 0xfffd
	v_xor_b32_e32 v34, vcc_lo, v34
	v_cmp_gt_i32_e32 vcc_lo, 0, v36
	v_not_b32_e32 v36, v37
	s_wait_alu 0xf1ff
	v_xor_b32_e32 v83, s8, v83
	v_cmp_gt_i32_e64 s8, 0, v37
	v_and_b32_e32 v34, exec_lo, v34
	v_not_b32_e32 v37, v39
	v_ashrrev_i32_e32 v36, 31, v36
	s_wait_alu 0xfffd
	v_xor_b32_e32 v35, vcc_lo, v35
	v_cmp_gt_i32_e32 vcc_lo, 0, v39
	v_and_b32_e32 v34, v34, v83
	v_not_b32_e32 v39, v40
	v_ashrrev_i32_e32 v37, 31, v37
	s_wait_alu 0xf1ff
	v_xor_b32_e32 v36, s8, v36
	v_cmp_gt_i32_e64 s8, 0, v40
	v_and_b32_e32 v34, v34, v35
	v_not_b32_e32 v35, v82
	v_ashrrev_i32_e32 v39, 31, v39
	s_wait_alu 0xfffd
	v_xor_b32_e32 v37, vcc_lo, v37
	v_cmp_gt_i32_e32 vcc_lo, 0, v82
	v_and_b32_e32 v34, v34, v36
	v_not_b32_e32 v36, v38
	v_ashrrev_i32_e32 v35, 31, v35
	s_wait_alu 0xf1ff
	v_xor_b32_e32 v39, s8, v39
	v_lshlrev_b32_e32 v33, 6, v33
	v_and_b32_e32 v34, v34, v37
	v_cmp_gt_i32_e64 s8, 0, v38
	v_ashrrev_i32_e32 v36, 31, v36
	s_wait_alu 0xfffd
	v_xor_b32_e32 v35, vcc_lo, v35
	v_add_nc_u32_e32 v105, v0, v33
	v_and_b32_e32 v34, v34, v39
	s_wait_alu 0xf1ff
	v_xor_b32_e32 v33, s8, v36
	ds_load_b32 v103, v105 offset:64
	v_and_b32_e32 v34, v34, v35
	; wave barrier
	s_delay_alu instid0(VALU_DEP_1) | instskip(NEXT) | instid1(VALU_DEP_1)
	v_and_b32_e32 v33, v34, v33
	v_mbcnt_lo_u32_b32 v104, v33, 0
	v_cmp_ne_u32_e64 s8, 0, v33
	s_delay_alu instid0(VALU_DEP_2)
	v_cmp_eq_u32_e32 vcc_lo, 0, v104
	s_and_b32 s10, s8, vcc_lo
	s_wait_alu 0xfffe
	s_and_saveexec_b32 s8, s10
	s_cbranch_execz .LBB220_45
; %bb.44:
	s_wait_dscnt 0x0
	v_bcnt_u32_b32 v33, v33, v103
	ds_store_b32 v105, v33 offset:64
.LBB220_45:
	s_wait_alu 0xfffe
	s_or_b32 exec_lo, exec_lo, s8
	v_cmp_ne_u16_e32 vcc_lo, 0x7fff, v81
	; wave barrier
	s_wait_alu 0xfffd
	v_cndmask_b32_e32 v33, 0xffff8000, v81, vcc_lo
	s_delay_alu instid0(VALU_DEP_1) | instskip(NEXT) | instid1(VALU_DEP_1)
	v_and_b32_e32 v33, 0xffff, v33
	v_and_b32_e32 v33, s9, v33
	s_delay_alu instid0(VALU_DEP_1)
	v_and_b32_e32 v34, 1, v33
	v_lshlrev_b32_e32 v35, 30, v33
	v_lshlrev_b32_e32 v36, 29, v33
	;; [unrolled: 1-line block ×4, first 2 shown]
	v_add_co_u32 v34, s8, v34, -1
	s_wait_alu 0xf1ff
	v_cndmask_b32_e64 v38, 0, 1, s8
	v_not_b32_e32 v83, v35
	v_cmp_gt_i32_e64 s8, 0, v35
	v_not_b32_e32 v35, v36
	v_lshlrev_b32_e32 v40, 26, v33
	v_cmp_ne_u32_e32 vcc_lo, 0, v38
	v_ashrrev_i32_e32 v83, 31, v83
	v_lshlrev_b32_e32 v82, 25, v33
	v_ashrrev_i32_e32 v35, 31, v35
	v_lshlrev_b32_e32 v38, 24, v33
	s_wait_alu 0xfffd
	v_xor_b32_e32 v34, vcc_lo, v34
	v_cmp_gt_i32_e32 vcc_lo, 0, v36
	v_not_b32_e32 v36, v37
	s_wait_alu 0xf1ff
	v_xor_b32_e32 v83, s8, v83
	v_cmp_gt_i32_e64 s8, 0, v37
	v_and_b32_e32 v34, exec_lo, v34
	v_not_b32_e32 v37, v39
	v_ashrrev_i32_e32 v36, 31, v36
	s_wait_alu 0xfffd
	v_xor_b32_e32 v35, vcc_lo, v35
	v_cmp_gt_i32_e32 vcc_lo, 0, v39
	v_and_b32_e32 v34, v34, v83
	v_not_b32_e32 v39, v40
	v_ashrrev_i32_e32 v37, 31, v37
	s_wait_alu 0xf1ff
	v_xor_b32_e32 v36, s8, v36
	v_cmp_gt_i32_e64 s8, 0, v40
	v_and_b32_e32 v34, v34, v35
	v_not_b32_e32 v35, v82
	v_ashrrev_i32_e32 v39, 31, v39
	s_wait_alu 0xfffd
	v_xor_b32_e32 v37, vcc_lo, v37
	v_cmp_gt_i32_e32 vcc_lo, 0, v82
	v_and_b32_e32 v34, v34, v36
	v_not_b32_e32 v36, v38
	v_ashrrev_i32_e32 v35, 31, v35
	s_wait_alu 0xf1ff
	v_xor_b32_e32 v39, s8, v39
	v_lshlrev_b32_e32 v33, 6, v33
	v_and_b32_e32 v34, v34, v37
	v_cmp_gt_i32_e64 s8, 0, v38
	v_ashrrev_i32_e32 v36, 31, v36
	s_wait_alu 0xfffd
	v_xor_b32_e32 v35, vcc_lo, v35
	v_add_nc_u32_e32 v108, v0, v33
	v_and_b32_e32 v34, v34, v39
	v_min_u32_e32 v82, 0x1e0, v70
	s_wait_alu 0xf1ff
	v_xor_b32_e32 v33, s8, v36
	ds_load_b32 v106, v108 offset:64
	v_and_b32_e32 v34, v34, v35
	; wave barrier
	s_delay_alu instid0(VALU_DEP_1) | instskip(NEXT) | instid1(VALU_DEP_1)
	v_and_b32_e32 v33, v34, v33
	v_mbcnt_lo_u32_b32 v107, v33, 0
	v_cmp_ne_u32_e64 s8, 0, v33
	s_delay_alu instid0(VALU_DEP_2)
	v_cmp_eq_u32_e32 vcc_lo, 0, v107
	s_and_b32 s9, s8, vcc_lo
	s_wait_alu 0xfffe
	s_and_saveexec_b32 s8, s9
	s_cbranch_execz .LBB220_47
; %bb.46:
	s_wait_dscnt 0x0
	v_bcnt_u32_b32 v33, v33, v106
	ds_store_b32 v108, v33 offset:64
.LBB220_47:
	s_wait_alu 0xfffe
	s_or_b32 exec_lo, exec_lo, s8
	; wave barrier
	s_wait_loadcnt_dscnt 0x0
	s_barrier_signal -1
	s_barrier_wait -1
	global_inv scope:SCOPE_SE
	ds_load_b128 v[37:40], v67 offset:64
	ds_load_b128 v[33:36], v67 offset:80
	v_and_b32_e32 v109, 16, v69
	v_or_b32_e32 v82, 31, v82
	s_delay_alu instid0(VALU_DEP_2) | instskip(NEXT) | instid1(VALU_DEP_2)
	v_cmp_eq_u32_e64 s15, 0, v109
	v_cmp_eq_u32_e64 s13, v46, v82
	s_wait_dscnt 0x1
	v_add_nc_u32_e32 v83, v38, v37
	s_delay_alu instid0(VALU_DEP_1) | instskip(SKIP_1) | instid1(VALU_DEP_1)
	v_add3_u32 v83, v83, v39, v40
	s_wait_dscnt 0x0
	v_add3_u32 v83, v83, v33, v34
	s_delay_alu instid0(VALU_DEP_1) | instskip(SKIP_1) | instid1(VALU_DEP_2)
	v_add3_u32 v36, v83, v35, v36
	v_and_b32_e32 v83, 15, v69
	v_mov_b32_dpp v85, v36 row_shr:1 row_mask:0xf bank_mask:0xf
	s_delay_alu instid0(VALU_DEP_2)
	v_cmp_eq_u32_e32 vcc_lo, 0, v83
	v_cmp_lt_u32_e64 s8, 1, v83
	v_cmp_lt_u32_e64 s9, 3, v83
	;; [unrolled: 1-line block ×3, first 2 shown]
	s_wait_alu 0xfffd
	v_cndmask_b32_e64 v85, v85, 0, vcc_lo
	s_delay_alu instid0(VALU_DEP_1) | instskip(NEXT) | instid1(VALU_DEP_1)
	v_add_nc_u32_e32 v36, v85, v36
	v_mov_b32_dpp v85, v36 row_shr:2 row_mask:0xf bank_mask:0xf
	s_wait_alu 0xf1ff
	s_delay_alu instid0(VALU_DEP_1) | instskip(NEXT) | instid1(VALU_DEP_1)
	v_cndmask_b32_e64 v85, 0, v85, s8
	v_add_nc_u32_e32 v36, v36, v85
	s_delay_alu instid0(VALU_DEP_1) | instskip(NEXT) | instid1(VALU_DEP_1)
	v_mov_b32_dpp v85, v36 row_shr:4 row_mask:0xf bank_mask:0xf
	v_cndmask_b32_e64 v85, 0, v85, s9
	s_delay_alu instid0(VALU_DEP_1) | instskip(NEXT) | instid1(VALU_DEP_1)
	v_add_nc_u32_e32 v36, v36, v85
	v_mov_b32_dpp v85, v36 row_shr:8 row_mask:0xf bank_mask:0xf
	s_delay_alu instid0(VALU_DEP_1) | instskip(NEXT) | instid1(VALU_DEP_1)
	v_cndmask_b32_e64 v83, 0, v85, s10
	v_add_nc_u32_e32 v85, v36, v83
	v_bfe_i32 v83, v69, 4, 1
	ds_swizzle_b32 v36, v85 offset:swizzle(BROADCAST,32,15)
	s_wait_dscnt 0x0
	v_and_b32_e32 v110, v83, v36
	v_mul_i32_i24_e32 v36, 0xffffffe4, v46
	v_lshlrev_b32_e32 v83, 2, v68
	s_delay_alu instid0(VALU_DEP_3)
	v_add_nc_u32_e32 v85, v85, v110
	s_and_saveexec_b32 s11, s13
; %bb.48:
	ds_store_b32 v83, v85
; %bb.49:
	s_wait_alu 0xfffe
	s_or_b32 exec_lo, exec_lo, s11
	v_cmp_gt_u32_e64 s12, 16, v46
	v_add_nc_u32_e32 v82, v67, v36
	s_wait_loadcnt_dscnt 0x0
	s_barrier_signal -1
	s_barrier_wait -1
	global_inv scope:SCOPE_SE
	s_and_saveexec_b32 s11, s12
	s_cbranch_execz .LBB220_51
; %bb.50:
	ds_load_b32 v36, v82
	s_wait_dscnt 0x0
	v_mov_b32_dpp v109, v36 row_shr:1 row_mask:0xf bank_mask:0xf
	s_delay_alu instid0(VALU_DEP_1) | instskip(NEXT) | instid1(VALU_DEP_1)
	v_cndmask_b32_e64 v109, v109, 0, vcc_lo
	v_add_nc_u32_e32 v36, v109, v36
	s_delay_alu instid0(VALU_DEP_1) | instskip(NEXT) | instid1(VALU_DEP_1)
	v_mov_b32_dpp v109, v36 row_shr:2 row_mask:0xf bank_mask:0xf
	v_cndmask_b32_e64 v109, 0, v109, s8
	s_delay_alu instid0(VALU_DEP_1) | instskip(NEXT) | instid1(VALU_DEP_1)
	v_add_nc_u32_e32 v36, v36, v109
	v_mov_b32_dpp v109, v36 row_shr:4 row_mask:0xf bank_mask:0xf
	s_delay_alu instid0(VALU_DEP_1) | instskip(NEXT) | instid1(VALU_DEP_1)
	v_cndmask_b32_e64 v109, 0, v109, s9
	v_add_nc_u32_e32 v36, v36, v109
	s_delay_alu instid0(VALU_DEP_1) | instskip(NEXT) | instid1(VALU_DEP_1)
	v_mov_b32_dpp v109, v36 row_shr:8 row_mask:0xf bank_mask:0xf
	v_cndmask_b32_e64 v109, 0, v109, s10
	s_delay_alu instid0(VALU_DEP_1)
	v_add_nc_u32_e32 v36, v36, v109
	ds_store_b32 v82, v36
.LBB220_51:
	s_wait_alu 0xfffe
	s_or_b32 exec_lo, exec_lo, s11
	v_mul_u32_u24_e32 v36, 6, v84
	v_sub_co_u32 v109, s11, v69, 1
	v_cmp_lt_u32_e64 s14, 31, v46
	v_add_nc_u32_e32 v84, -4, v83
	v_mov_b32_e32 v110, 0
	s_wait_loadcnt_dscnt 0x0
	s_barrier_signal -1
	s_barrier_wait -1
	global_inv scope:SCOPE_SE
	s_and_saveexec_b32 s16, s14
; %bb.52:
	ds_load_b32 v110, v84
; %bb.53:
	s_or_b32 exec_lo, exec_lo, s16
	v_cmp_gt_i32_e64 s16, 0, v109
	s_mov_b32 s20, 0
	s_min_u32 s17, s17, 8
	s_mov_b32 s21, s20
	s_mov_b32 s22, s20
	v_cndmask_b32_e64 v109, v109, v69, s16
	s_mov_b32 s23, s20
	s_wait_dscnt 0x0
	v_add_nc_u32_e32 v111, v110, v85
	v_cmp_eq_u32_e64 s16, 0, v46
	s_lshl_b32 s17, -1, s17
	v_lshlrev_b32_e32 v85, 2, v109
	s_wait_alu 0xfffe
	s_not_b32 s19, s17
	ds_bpermute_b32 v109, v85, v111
	s_wait_dscnt 0x0
	v_cndmask_b32_e64 v109, v109, v110, s11
	s_delay_alu instid0(VALU_DEP_1) | instskip(NEXT) | instid1(VALU_DEP_1)
	v_cndmask_b32_e64 v109, v109, 0, s16
	v_add_nc_u32_e32 v110, v109, v37
	s_delay_alu instid0(VALU_DEP_1) | instskip(NEXT) | instid1(VALU_DEP_1)
	v_add_nc_u32_e32 v111, v110, v38
	v_add_nc_u32_e32 v112, v111, v39
	s_delay_alu instid0(VALU_DEP_1) | instskip(NEXT) | instid1(VALU_DEP_1)
	v_add_nc_u32_e32 v37, v112, v40
	;; [unrolled: 3-line block ×3, first 2 shown]
	v_add_nc_u32_e32 v40, v39, v35
	ds_store_b128 v67, v[109:112] offset:64
	ds_store_b128 v67, v[37:40] offset:80
	s_wait_loadcnt_dscnt 0x0
	s_barrier_signal -1
	s_barrier_wait -1
	global_inv scope:SCOPE_SE
	ds_load_b32 v33, v87 offset:64
	ds_load_b32 v34, v90 offset:64
	;; [unrolled: 1-line block ×8, first 2 shown]
	v_add_nc_u32_e32 v90, v73, v36
	s_wait_loadcnt_dscnt 0x0
	s_barrier_signal -1
	s_barrier_wait -1
	global_inv scope:SCOPE_SE
	v_add_nc_u32_e32 v86, v33, v86
	v_add3_u32 v88, v89, v88, v34
	v_add3_u32 v89, v92, v91, v35
	;; [unrolled: 1-line block ×7, first 2 shown]
	v_lshlrev_b32_e32 v33, 1, v86
	v_lshlrev_b32_e32 v34, 1, v88
	;; [unrolled: 1-line block ×8, first 2 shown]
	ds_store_b16 v33, v74
	ds_store_b16 v34, v75
	;; [unrolled: 1-line block ×8, first 2 shown]
	s_wait_loadcnt_dscnt 0x0
	s_barrier_signal -1
	s_barrier_wait -1
	global_inv scope:SCOPE_SE
	ds_load_u16 v74, v73
	ds_load_u16 v75, v73 offset:64
	ds_load_u16 v76, v73 offset:128
	;; [unrolled: 1-line block ×7, first 2 shown]
	v_mad_co_u64_u32 v[86:87], null, v86, 6, v[33:34]
	v_mad_co_u64_u32 v[33:34], null, v88, 6, v[34:35]
	;; [unrolled: 1-line block ×3, first 2 shown]
	s_wait_loadcnt_dscnt 0x0
	s_barrier_signal -1
	s_barrier_wait -1
	global_inv scope:SCOPE_SE
	v_mad_co_u64_u32 v[35:36], null, v91, 6, v[36:37]
	v_lshrrev_b16 v81, 8, v74
	v_cmp_ne_u16_e64 s17, 0x7fff, v74
	ds_store_b64 v86, v[17:18]
	v_mad_co_u64_u32 v[36:37], null, v92, 6, v[37:38]
	v_mad_co_u64_u32 v[37:38], null, v93, 6, v[38:39]
	s_wait_alu 0xf1ff
	v_cndmask_b32_e64 v81, 0x80, v81, s17
	v_mad_co_u64_u32 v[38:39], null, v94, 6, v[39:40]
	v_mad_co_u64_u32 v[39:40], null, v95, 6, v[40:41]
	s_delay_alu instid0(VALU_DEP_3)
	v_and_b32_e32 v17, 0xffff, v81
	ds_store_b64 v33, v[19:20]
	ds_store_b64 v34, v[25:26]
	;; [unrolled: 1-line block ×7, first 2 shown]
	v_and_b32_e32 v40, s19, v17
	s_wait_loadcnt_dscnt 0x0
	s_barrier_signal -1
	s_barrier_wait -1
	global_inv scope:SCOPE_SE
	v_and_b32_e32 v17, 1, v40
	v_lshlrev_b32_e32 v18, 30, v40
	v_lshlrev_b32_e32 v19, 29, v40
	v_lshlrev_b32_e32 v20, 28, v40
	v_lshlrev_b32_e32 v22, 27, v40
	v_add_co_u32 v17, s17, v17, -1
	s_wait_alu 0xf1ff
	v_cndmask_b32_e64 v21, 0, 1, s17
	v_not_b32_e32 v25, v18
	v_cmp_gt_i32_e64 s18, 0, v18
	v_not_b32_e32 v18, v19
	v_lshlrev_b32_e32 v23, 26, v40
	v_cmp_ne_u32_e64 s17, 0, v21
	v_ashrrev_i32_e32 v25, 31, v25
	v_lshlrev_b32_e32 v24, 25, v40
	v_ashrrev_i32_e32 v18, 31, v18
	v_lshlrev_b32_e32 v21, 24, v40
	s_wait_alu 0xf1ff
	v_xor_b32_e32 v17, s17, v17
	v_cmp_gt_i32_e64 s17, 0, v19
	v_not_b32_e32 v19, v20
	v_xor_b32_e32 v25, s18, v25
	v_cmp_gt_i32_e64 s18, 0, v20
	v_and_b32_e32 v17, exec_lo, v17
	v_not_b32_e32 v20, v22
	v_ashrrev_i32_e32 v19, 31, v19
	s_wait_alu 0xf1ff
	v_xor_b32_e32 v18, s17, v18
	v_cmp_gt_i32_e64 s17, 0, v22
	v_and_b32_e32 v17, v17, v25
	v_not_b32_e32 v22, v23
	v_ashrrev_i32_e32 v20, 31, v20
	v_xor_b32_e32 v19, s18, v19
	v_cmp_gt_i32_e64 s18, 0, v23
	v_and_b32_e32 v17, v17, v18
	v_not_b32_e32 v18, v24
	v_ashrrev_i32_e32 v22, 31, v22
	s_wait_alu 0xf1ff
	v_xor_b32_e32 v20, s17, v20
	v_cmp_gt_i32_e64 s17, 0, v24
	v_and_b32_e32 v17, v17, v19
	v_not_b32_e32 v19, v21
	v_ashrrev_i32_e32 v18, 31, v18
	v_xor_b32_e32 v22, s18, v22
	v_cmp_gt_i32_e64 s18, 0, v21
	v_and_b32_e32 v17, v17, v20
	v_ashrrev_i32_e32 v19, 31, v19
	s_wait_alu 0xf1ff
	v_xor_b32_e32 v18, s17, v18
	v_dual_mov_b32 v37, s23 :: v_dual_mov_b32 v36, s22
	v_and_b32_e32 v17, v17, v22
	v_xor_b32_e32 v33, s18, v19
	ds_load_2addr_b64 v[21:24], v90 offset1:32
	v_dual_mov_b32 v35, s21 :: v_dual_mov_b32 v34, s20
	v_and_b32_e32 v38, v17, v18
	ds_load_2addr_b64 v[29:32], v90 offset0:64 offset1:96
	ds_load_2addr_b64 v[25:28], v90 offset0:128 offset1:160
	ds_load_2addr_b64 v[17:20], v90 offset0:192 offset1:224
	v_lshl_add_u32 v86, v40, 6, v0
	s_wait_loadcnt_dscnt 0x0
	s_barrier_signal -1
	v_and_b32_e32 v33, v38, v33
	s_barrier_wait -1
	global_inv scope:SCOPE_SE
	ds_store_b128 v67, v[34:37] offset:64
	ds_store_b128 v67, v[34:37] offset:80
	s_wait_loadcnt_dscnt 0x0
	v_mbcnt_lo_u32_b32 v81, v33, 0
	v_cmp_ne_u32_e64 s18, 0, v33
	s_barrier_signal -1
	s_barrier_wait -1
	global_inv scope:SCOPE_SE
	v_cmp_eq_u32_e64 s17, 0, v81
	; wave barrier
	s_and_b32 s18, s18, s17
	s_wait_alu 0xfffe
	s_and_saveexec_b32 s17, s18
; %bb.54:
	v_bcnt_u32_b32 v33, v33, 0
	ds_store_b32 v86, v33 offset:64
; %bb.55:
	s_wait_alu 0xfffe
	s_or_b32 exec_lo, exec_lo, s17
	v_lshrrev_b16 v33, 8, v75
	v_cmp_ne_u16_e64 s17, 0x7fff, v75
	; wave barrier
	s_wait_alu 0xf1ff
	s_delay_alu instid0(VALU_DEP_1) | instskip(NEXT) | instid1(VALU_DEP_1)
	v_cndmask_b32_e64 v33, 0x80, v33, s17
	v_and_b32_e32 v33, s19, v33
	s_delay_alu instid0(VALU_DEP_1)
	v_and_b32_e32 v34, 1, v33
	v_lshlrev_b32_e32 v35, 30, v33
	v_lshlrev_b32_e32 v36, 29, v33
	;; [unrolled: 1-line block ×4, first 2 shown]
	v_add_co_u32 v34, s17, v34, -1
	s_wait_alu 0xf1ff
	v_cndmask_b32_e64 v38, 0, 1, s17
	v_not_b32_e32 v88, v35
	v_cmp_gt_i32_e64 s18, 0, v35
	v_not_b32_e32 v35, v36
	v_lshlrev_b32_e32 v40, 26, v33
	v_cmp_ne_u32_e64 s17, 0, v38
	v_ashrrev_i32_e32 v88, 31, v88
	v_lshlrev_b32_e32 v87, 25, v33
	v_ashrrev_i32_e32 v35, 31, v35
	v_lshlrev_b32_e32 v38, 24, v33
	s_wait_alu 0xf1ff
	v_xor_b32_e32 v34, s17, v34
	v_cmp_gt_i32_e64 s17, 0, v36
	v_not_b32_e32 v36, v37
	v_xor_b32_e32 v88, s18, v88
	v_cmp_gt_i32_e64 s18, 0, v37
	v_and_b32_e32 v34, exec_lo, v34
	v_not_b32_e32 v37, v39
	v_ashrrev_i32_e32 v36, 31, v36
	s_wait_alu 0xf1ff
	v_xor_b32_e32 v35, s17, v35
	v_cmp_gt_i32_e64 s17, 0, v39
	v_and_b32_e32 v34, v34, v88
	v_not_b32_e32 v39, v40
	v_ashrrev_i32_e32 v37, 31, v37
	v_xor_b32_e32 v36, s18, v36
	v_cmp_gt_i32_e64 s18, 0, v40
	v_and_b32_e32 v34, v34, v35
	v_not_b32_e32 v35, v87
	v_ashrrev_i32_e32 v39, 31, v39
	s_wait_alu 0xf1ff
	v_xor_b32_e32 v37, s17, v37
	v_cmp_gt_i32_e64 s17, 0, v87
	v_and_b32_e32 v34, v34, v36
	v_not_b32_e32 v36, v38
	v_ashrrev_i32_e32 v35, 31, v35
	v_xor_b32_e32 v39, s18, v39
	v_cmp_gt_i32_e64 s18, 0, v38
	v_and_b32_e32 v34, v34, v37
	v_ashrrev_i32_e32 v36, 31, v36
	s_wait_alu 0xf1ff
	v_xor_b32_e32 v35, s17, v35
	v_lshl_add_u32 v89, v33, 6, v0
	v_and_b32_e32 v34, v34, v39
	v_xor_b32_e32 v33, s18, v36
	ds_load_b32 v87, v89 offset:64
	v_and_b32_e32 v34, v34, v35
	; wave barrier
	s_delay_alu instid0(VALU_DEP_1) | instskip(NEXT) | instid1(VALU_DEP_1)
	v_and_b32_e32 v33, v34, v33
	v_mbcnt_lo_u32_b32 v88, v33, 0
	v_cmp_ne_u32_e64 s18, 0, v33
	s_delay_alu instid0(VALU_DEP_2)
	v_cmp_eq_u32_e64 s17, 0, v88
	s_and_b32 s18, s18, s17
	s_wait_alu 0xfffe
	s_and_saveexec_b32 s17, s18
	s_cbranch_execz .LBB220_57
; %bb.56:
	s_wait_dscnt 0x0
	v_bcnt_u32_b32 v33, v33, v87
	ds_store_b32 v89, v33 offset:64
.LBB220_57:
	s_wait_alu 0xfffe
	s_or_b32 exec_lo, exec_lo, s17
	v_lshrrev_b16 v33, 8, v76
	v_cmp_ne_u16_e64 s17, 0x7fff, v76
	; wave barrier
	s_wait_alu 0xf1ff
	s_delay_alu instid0(VALU_DEP_1) | instskip(NEXT) | instid1(VALU_DEP_1)
	v_cndmask_b32_e64 v33, 0x80, v33, s17
	v_and_b32_e32 v33, s19, v33
	s_delay_alu instid0(VALU_DEP_1)
	v_and_b32_e32 v34, 1, v33
	v_lshlrev_b32_e32 v35, 30, v33
	v_lshlrev_b32_e32 v36, 29, v33
	;; [unrolled: 1-line block ×4, first 2 shown]
	v_add_co_u32 v34, s17, v34, -1
	s_wait_alu 0xf1ff
	v_cndmask_b32_e64 v38, 0, 1, s17
	v_not_b32_e32 v91, v35
	v_cmp_gt_i32_e64 s18, 0, v35
	v_not_b32_e32 v35, v36
	v_lshlrev_b32_e32 v40, 26, v33
	v_cmp_ne_u32_e64 s17, 0, v38
	v_ashrrev_i32_e32 v91, 31, v91
	v_lshlrev_b32_e32 v90, 25, v33
	v_ashrrev_i32_e32 v35, 31, v35
	v_lshlrev_b32_e32 v38, 24, v33
	s_wait_alu 0xf1ff
	v_xor_b32_e32 v34, s17, v34
	v_cmp_gt_i32_e64 s17, 0, v36
	v_not_b32_e32 v36, v37
	v_xor_b32_e32 v91, s18, v91
	v_cmp_gt_i32_e64 s18, 0, v37
	v_and_b32_e32 v34, exec_lo, v34
	v_not_b32_e32 v37, v39
	v_ashrrev_i32_e32 v36, 31, v36
	s_wait_alu 0xf1ff
	v_xor_b32_e32 v35, s17, v35
	v_cmp_gt_i32_e64 s17, 0, v39
	v_and_b32_e32 v34, v34, v91
	v_not_b32_e32 v39, v40
	v_ashrrev_i32_e32 v37, 31, v37
	v_xor_b32_e32 v36, s18, v36
	v_cmp_gt_i32_e64 s18, 0, v40
	v_and_b32_e32 v34, v34, v35
	v_not_b32_e32 v35, v90
	v_ashrrev_i32_e32 v39, 31, v39
	s_wait_alu 0xf1ff
	v_xor_b32_e32 v37, s17, v37
	v_cmp_gt_i32_e64 s17, 0, v90
	v_and_b32_e32 v34, v34, v36
	v_not_b32_e32 v36, v38
	v_ashrrev_i32_e32 v35, 31, v35
	v_xor_b32_e32 v39, s18, v39
	v_cmp_gt_i32_e64 s18, 0, v38
	v_and_b32_e32 v34, v34, v37
	v_ashrrev_i32_e32 v36, 31, v36
	s_wait_alu 0xf1ff
	v_xor_b32_e32 v35, s17, v35
	v_lshl_add_u32 v92, v33, 6, v0
	v_and_b32_e32 v34, v34, v39
	v_xor_b32_e32 v33, s18, v36
	ds_load_b32 v90, v92 offset:64
	v_and_b32_e32 v34, v34, v35
	; wave barrier
	s_delay_alu instid0(VALU_DEP_1) | instskip(NEXT) | instid1(VALU_DEP_1)
	v_and_b32_e32 v33, v34, v33
	v_mbcnt_lo_u32_b32 v91, v33, 0
	v_cmp_ne_u32_e64 s18, 0, v33
	s_delay_alu instid0(VALU_DEP_2)
	v_cmp_eq_u32_e64 s17, 0, v91
	s_and_b32 s18, s18, s17
	s_wait_alu 0xfffe
	s_and_saveexec_b32 s17, s18
	s_cbranch_execz .LBB220_59
; %bb.58:
	s_wait_dscnt 0x0
	v_bcnt_u32_b32 v33, v33, v90
	ds_store_b32 v92, v33 offset:64
.LBB220_59:
	s_wait_alu 0xfffe
	s_or_b32 exec_lo, exec_lo, s17
	v_lshrrev_b16 v33, 8, v77
	v_cmp_ne_u16_e64 s17, 0x7fff, v77
	; wave barrier
	s_wait_alu 0xf1ff
	s_delay_alu instid0(VALU_DEP_1) | instskip(NEXT) | instid1(VALU_DEP_1)
	v_cndmask_b32_e64 v33, 0x80, v33, s17
	v_and_b32_e32 v33, s19, v33
	s_delay_alu instid0(VALU_DEP_1)
	v_and_b32_e32 v34, 1, v33
	v_lshlrev_b32_e32 v35, 30, v33
	v_lshlrev_b32_e32 v36, 29, v33
	;; [unrolled: 1-line block ×4, first 2 shown]
	v_add_co_u32 v34, s17, v34, -1
	s_wait_alu 0xf1ff
	v_cndmask_b32_e64 v38, 0, 1, s17
	v_not_b32_e32 v94, v35
	v_cmp_gt_i32_e64 s18, 0, v35
	v_not_b32_e32 v35, v36
	v_lshlrev_b32_e32 v40, 26, v33
	v_cmp_ne_u32_e64 s17, 0, v38
	v_ashrrev_i32_e32 v94, 31, v94
	v_lshlrev_b32_e32 v93, 25, v33
	v_ashrrev_i32_e32 v35, 31, v35
	v_lshlrev_b32_e32 v38, 24, v33
	s_wait_alu 0xf1ff
	v_xor_b32_e32 v34, s17, v34
	v_cmp_gt_i32_e64 s17, 0, v36
	v_not_b32_e32 v36, v37
	v_xor_b32_e32 v94, s18, v94
	v_cmp_gt_i32_e64 s18, 0, v37
	v_and_b32_e32 v34, exec_lo, v34
	v_not_b32_e32 v37, v39
	v_ashrrev_i32_e32 v36, 31, v36
	s_wait_alu 0xf1ff
	v_xor_b32_e32 v35, s17, v35
	v_cmp_gt_i32_e64 s17, 0, v39
	v_and_b32_e32 v34, v34, v94
	v_not_b32_e32 v39, v40
	v_ashrrev_i32_e32 v37, 31, v37
	v_xor_b32_e32 v36, s18, v36
	v_cmp_gt_i32_e64 s18, 0, v40
	v_and_b32_e32 v34, v34, v35
	v_not_b32_e32 v35, v93
	v_ashrrev_i32_e32 v39, 31, v39
	s_wait_alu 0xf1ff
	v_xor_b32_e32 v37, s17, v37
	v_cmp_gt_i32_e64 s17, 0, v93
	v_and_b32_e32 v34, v34, v36
	v_not_b32_e32 v36, v38
	v_ashrrev_i32_e32 v35, 31, v35
	v_xor_b32_e32 v39, s18, v39
	v_cmp_gt_i32_e64 s18, 0, v38
	v_and_b32_e32 v34, v34, v37
	v_ashrrev_i32_e32 v36, 31, v36
	s_wait_alu 0xf1ff
	v_xor_b32_e32 v35, s17, v35
	v_lshl_add_u32 v95, v33, 6, v0
	v_and_b32_e32 v34, v34, v39
	v_xor_b32_e32 v33, s18, v36
	ds_load_b32 v93, v95 offset:64
	v_and_b32_e32 v34, v34, v35
	; wave barrier
	s_delay_alu instid0(VALU_DEP_1) | instskip(NEXT) | instid1(VALU_DEP_1)
	v_and_b32_e32 v33, v34, v33
	v_mbcnt_lo_u32_b32 v94, v33, 0
	v_cmp_ne_u32_e64 s18, 0, v33
	s_delay_alu instid0(VALU_DEP_2)
	v_cmp_eq_u32_e64 s17, 0, v94
	s_and_b32 s18, s18, s17
	s_wait_alu 0xfffe
	s_and_saveexec_b32 s17, s18
	s_cbranch_execz .LBB220_61
; %bb.60:
	s_wait_dscnt 0x0
	v_bcnt_u32_b32 v33, v33, v93
	ds_store_b32 v95, v33 offset:64
.LBB220_61:
	s_wait_alu 0xfffe
	s_or_b32 exec_lo, exec_lo, s17
	v_lshrrev_b16 v33, 8, v78
	v_cmp_ne_u16_e64 s17, 0x7fff, v78
	; wave barrier
	s_wait_alu 0xf1ff
	s_delay_alu instid0(VALU_DEP_1) | instskip(NEXT) | instid1(VALU_DEP_1)
	v_cndmask_b32_e64 v33, 0x80, v33, s17
	v_and_b32_e32 v33, s19, v33
	s_delay_alu instid0(VALU_DEP_1)
	v_and_b32_e32 v34, 1, v33
	v_lshlrev_b32_e32 v35, 30, v33
	v_lshlrev_b32_e32 v36, 29, v33
	;; [unrolled: 1-line block ×4, first 2 shown]
	v_add_co_u32 v34, s17, v34, -1
	s_wait_alu 0xf1ff
	v_cndmask_b32_e64 v38, 0, 1, s17
	v_not_b32_e32 v97, v35
	v_cmp_gt_i32_e64 s18, 0, v35
	v_not_b32_e32 v35, v36
	v_lshlrev_b32_e32 v40, 26, v33
	v_cmp_ne_u32_e64 s17, 0, v38
	v_ashrrev_i32_e32 v97, 31, v97
	v_lshlrev_b32_e32 v96, 25, v33
	v_ashrrev_i32_e32 v35, 31, v35
	v_lshlrev_b32_e32 v38, 24, v33
	s_wait_alu 0xf1ff
	v_xor_b32_e32 v34, s17, v34
	v_cmp_gt_i32_e64 s17, 0, v36
	v_not_b32_e32 v36, v37
	v_xor_b32_e32 v97, s18, v97
	v_cmp_gt_i32_e64 s18, 0, v37
	v_and_b32_e32 v34, exec_lo, v34
	v_not_b32_e32 v37, v39
	v_ashrrev_i32_e32 v36, 31, v36
	s_wait_alu 0xf1ff
	v_xor_b32_e32 v35, s17, v35
	v_cmp_gt_i32_e64 s17, 0, v39
	v_and_b32_e32 v34, v34, v97
	v_not_b32_e32 v39, v40
	v_ashrrev_i32_e32 v37, 31, v37
	v_xor_b32_e32 v36, s18, v36
	v_cmp_gt_i32_e64 s18, 0, v40
	v_and_b32_e32 v34, v34, v35
	v_not_b32_e32 v35, v96
	v_ashrrev_i32_e32 v39, 31, v39
	s_wait_alu 0xf1ff
	v_xor_b32_e32 v37, s17, v37
	v_cmp_gt_i32_e64 s17, 0, v96
	v_and_b32_e32 v34, v34, v36
	v_not_b32_e32 v36, v38
	v_ashrrev_i32_e32 v35, 31, v35
	v_xor_b32_e32 v39, s18, v39
	v_cmp_gt_i32_e64 s18, 0, v38
	v_and_b32_e32 v34, v34, v37
	v_ashrrev_i32_e32 v36, 31, v36
	s_wait_alu 0xf1ff
	v_xor_b32_e32 v35, s17, v35
	v_lshl_add_u32 v98, v33, 6, v0
	v_and_b32_e32 v34, v34, v39
	v_xor_b32_e32 v33, s18, v36
	ds_load_b32 v96, v98 offset:64
	v_and_b32_e32 v34, v34, v35
	; wave barrier
	s_delay_alu instid0(VALU_DEP_1) | instskip(NEXT) | instid1(VALU_DEP_1)
	v_and_b32_e32 v33, v34, v33
	v_mbcnt_lo_u32_b32 v97, v33, 0
	v_cmp_ne_u32_e64 s18, 0, v33
	s_delay_alu instid0(VALU_DEP_2)
	v_cmp_eq_u32_e64 s17, 0, v97
	s_and_b32 s18, s18, s17
	s_wait_alu 0xfffe
	s_and_saveexec_b32 s17, s18
	s_cbranch_execz .LBB220_63
; %bb.62:
	s_wait_dscnt 0x0
	v_bcnt_u32_b32 v33, v33, v96
	ds_store_b32 v98, v33 offset:64
.LBB220_63:
	s_wait_alu 0xfffe
	s_or_b32 exec_lo, exec_lo, s17
	v_lshrrev_b16 v33, 8, v79
	v_cmp_ne_u16_e64 s17, 0x7fff, v79
	; wave barrier
	s_wait_alu 0xf1ff
	s_delay_alu instid0(VALU_DEP_1) | instskip(NEXT) | instid1(VALU_DEP_1)
	v_cndmask_b32_e64 v33, 0x80, v33, s17
	v_and_b32_e32 v33, s19, v33
	s_delay_alu instid0(VALU_DEP_1)
	v_and_b32_e32 v34, 1, v33
	v_lshlrev_b32_e32 v35, 30, v33
	v_lshlrev_b32_e32 v36, 29, v33
	;; [unrolled: 1-line block ×4, first 2 shown]
	v_add_co_u32 v34, s17, v34, -1
	s_wait_alu 0xf1ff
	v_cndmask_b32_e64 v38, 0, 1, s17
	v_not_b32_e32 v100, v35
	v_cmp_gt_i32_e64 s18, 0, v35
	v_not_b32_e32 v35, v36
	v_lshlrev_b32_e32 v40, 26, v33
	v_cmp_ne_u32_e64 s17, 0, v38
	v_ashrrev_i32_e32 v100, 31, v100
	v_lshlrev_b32_e32 v99, 25, v33
	v_ashrrev_i32_e32 v35, 31, v35
	v_lshlrev_b32_e32 v38, 24, v33
	s_wait_alu 0xf1ff
	v_xor_b32_e32 v34, s17, v34
	v_cmp_gt_i32_e64 s17, 0, v36
	v_not_b32_e32 v36, v37
	v_xor_b32_e32 v100, s18, v100
	v_cmp_gt_i32_e64 s18, 0, v37
	v_and_b32_e32 v34, exec_lo, v34
	v_not_b32_e32 v37, v39
	v_ashrrev_i32_e32 v36, 31, v36
	s_wait_alu 0xf1ff
	v_xor_b32_e32 v35, s17, v35
	v_cmp_gt_i32_e64 s17, 0, v39
	v_and_b32_e32 v34, v34, v100
	v_not_b32_e32 v39, v40
	v_ashrrev_i32_e32 v37, 31, v37
	v_xor_b32_e32 v36, s18, v36
	v_cmp_gt_i32_e64 s18, 0, v40
	v_and_b32_e32 v34, v34, v35
	v_not_b32_e32 v35, v99
	v_ashrrev_i32_e32 v39, 31, v39
	s_wait_alu 0xf1ff
	v_xor_b32_e32 v37, s17, v37
	v_cmp_gt_i32_e64 s17, 0, v99
	v_and_b32_e32 v34, v34, v36
	v_not_b32_e32 v36, v38
	v_ashrrev_i32_e32 v35, 31, v35
	v_xor_b32_e32 v39, s18, v39
	v_cmp_gt_i32_e64 s18, 0, v38
	v_and_b32_e32 v34, v34, v37
	v_ashrrev_i32_e32 v36, 31, v36
	s_wait_alu 0xf1ff
	v_xor_b32_e32 v35, s17, v35
	v_lshl_add_u32 v101, v33, 6, v0
	v_and_b32_e32 v34, v34, v39
	v_xor_b32_e32 v33, s18, v36
	ds_load_b32 v99, v101 offset:64
	v_and_b32_e32 v34, v34, v35
	; wave barrier
	s_delay_alu instid0(VALU_DEP_1) | instskip(NEXT) | instid1(VALU_DEP_1)
	v_and_b32_e32 v33, v34, v33
	v_mbcnt_lo_u32_b32 v100, v33, 0
	v_cmp_ne_u32_e64 s18, 0, v33
	s_delay_alu instid0(VALU_DEP_2)
	v_cmp_eq_u32_e64 s17, 0, v100
	s_and_b32 s18, s18, s17
	s_wait_alu 0xfffe
	s_and_saveexec_b32 s17, s18
	s_cbranch_execz .LBB220_65
; %bb.64:
	s_wait_dscnt 0x0
	v_bcnt_u32_b32 v33, v33, v99
	ds_store_b32 v101, v33 offset:64
.LBB220_65:
	s_wait_alu 0xfffe
	s_or_b32 exec_lo, exec_lo, s17
	v_lshrrev_b16 v33, 8, v80
	v_cmp_ne_u16_e64 s17, 0x7fff, v80
	; wave barrier
	s_wait_alu 0xf1ff
	s_delay_alu instid0(VALU_DEP_1) | instskip(NEXT) | instid1(VALU_DEP_1)
	v_cndmask_b32_e64 v33, 0x80, v33, s17
	v_and_b32_e32 v33, s19, v33
	s_delay_alu instid0(VALU_DEP_1)
	v_and_b32_e32 v34, 1, v33
	v_lshlrev_b32_e32 v35, 30, v33
	v_lshlrev_b32_e32 v36, 29, v33
	;; [unrolled: 1-line block ×4, first 2 shown]
	v_add_co_u32 v34, s17, v34, -1
	s_wait_alu 0xf1ff
	v_cndmask_b32_e64 v38, 0, 1, s17
	v_not_b32_e32 v103, v35
	v_cmp_gt_i32_e64 s18, 0, v35
	v_not_b32_e32 v35, v36
	v_lshlrev_b32_e32 v40, 26, v33
	v_cmp_ne_u32_e64 s17, 0, v38
	v_ashrrev_i32_e32 v103, 31, v103
	v_lshlrev_b32_e32 v102, 25, v33
	v_ashrrev_i32_e32 v35, 31, v35
	v_lshlrev_b32_e32 v38, 24, v33
	s_wait_alu 0xf1ff
	v_xor_b32_e32 v34, s17, v34
	v_cmp_gt_i32_e64 s17, 0, v36
	v_not_b32_e32 v36, v37
	v_xor_b32_e32 v103, s18, v103
	v_cmp_gt_i32_e64 s18, 0, v37
	v_and_b32_e32 v34, exec_lo, v34
	v_not_b32_e32 v37, v39
	v_ashrrev_i32_e32 v36, 31, v36
	s_wait_alu 0xf1ff
	v_xor_b32_e32 v35, s17, v35
	v_cmp_gt_i32_e64 s17, 0, v39
	v_and_b32_e32 v34, v34, v103
	v_not_b32_e32 v39, v40
	v_ashrrev_i32_e32 v37, 31, v37
	v_xor_b32_e32 v36, s18, v36
	v_cmp_gt_i32_e64 s18, 0, v40
	v_and_b32_e32 v34, v34, v35
	v_not_b32_e32 v35, v102
	v_ashrrev_i32_e32 v39, 31, v39
	s_wait_alu 0xf1ff
	v_xor_b32_e32 v37, s17, v37
	v_cmp_gt_i32_e64 s17, 0, v102
	v_and_b32_e32 v34, v34, v36
	v_not_b32_e32 v36, v38
	v_ashrrev_i32_e32 v35, 31, v35
	v_xor_b32_e32 v39, s18, v39
	v_cmp_gt_i32_e64 s18, 0, v38
	v_and_b32_e32 v34, v34, v37
	v_ashrrev_i32_e32 v36, 31, v36
	s_wait_alu 0xf1ff
	v_xor_b32_e32 v35, s17, v35
	v_lshl_add_u32 v104, v33, 6, v0
	v_and_b32_e32 v34, v34, v39
	v_xor_b32_e32 v33, s18, v36
	ds_load_b32 v102, v104 offset:64
	v_and_b32_e32 v34, v34, v35
	; wave barrier
	s_delay_alu instid0(VALU_DEP_1) | instskip(NEXT) | instid1(VALU_DEP_1)
	v_and_b32_e32 v33, v34, v33
	v_mbcnt_lo_u32_b32 v103, v33, 0
	v_cmp_ne_u32_e64 s18, 0, v33
	s_delay_alu instid0(VALU_DEP_2)
	v_cmp_eq_u32_e64 s17, 0, v103
	s_and_b32 s18, s18, s17
	s_wait_alu 0xfffe
	s_and_saveexec_b32 s17, s18
	s_cbranch_execz .LBB220_67
; %bb.66:
	s_wait_dscnt 0x0
	v_bcnt_u32_b32 v33, v33, v102
	ds_store_b32 v104, v33 offset:64
.LBB220_67:
	s_wait_alu 0xfffe
	s_or_b32 exec_lo, exec_lo, s17
	v_lshrrev_b16 v33, 8, v73
	v_cmp_ne_u16_e64 s17, 0x7fff, v73
	; wave barrier
	s_wait_alu 0xf1ff
	s_delay_alu instid0(VALU_DEP_1) | instskip(NEXT) | instid1(VALU_DEP_1)
	v_cndmask_b32_e64 v33, 0x80, v33, s17
	v_and_b32_e32 v33, s19, v33
	s_delay_alu instid0(VALU_DEP_1)
	v_and_b32_e32 v34, 1, v33
	v_lshlrev_b32_e32 v35, 30, v33
	v_lshlrev_b32_e32 v36, 29, v33
	;; [unrolled: 1-line block ×4, first 2 shown]
	v_add_co_u32 v34, s17, v34, -1
	s_wait_alu 0xf1ff
	v_cndmask_b32_e64 v38, 0, 1, s17
	v_not_b32_e32 v106, v35
	v_cmp_gt_i32_e64 s18, 0, v35
	v_not_b32_e32 v35, v36
	v_lshlrev_b32_e32 v40, 26, v33
	v_cmp_ne_u32_e64 s17, 0, v38
	v_ashrrev_i32_e32 v106, 31, v106
	v_lshlrev_b32_e32 v105, 25, v33
	v_ashrrev_i32_e32 v35, 31, v35
	v_lshlrev_b32_e32 v38, 24, v33
	s_wait_alu 0xf1ff
	v_xor_b32_e32 v34, s17, v34
	v_cmp_gt_i32_e64 s17, 0, v36
	v_not_b32_e32 v36, v37
	v_xor_b32_e32 v106, s18, v106
	v_cmp_gt_i32_e64 s18, 0, v37
	v_and_b32_e32 v34, exec_lo, v34
	v_not_b32_e32 v37, v39
	v_ashrrev_i32_e32 v36, 31, v36
	s_wait_alu 0xf1ff
	v_xor_b32_e32 v35, s17, v35
	v_cmp_gt_i32_e64 s17, 0, v39
	v_and_b32_e32 v34, v34, v106
	v_not_b32_e32 v39, v40
	v_ashrrev_i32_e32 v37, 31, v37
	v_xor_b32_e32 v36, s18, v36
	v_cmp_gt_i32_e64 s18, 0, v40
	v_and_b32_e32 v34, v34, v35
	v_not_b32_e32 v35, v105
	v_ashrrev_i32_e32 v39, 31, v39
	s_wait_alu 0xf1ff
	v_xor_b32_e32 v37, s17, v37
	v_cmp_gt_i32_e64 s17, 0, v105
	v_and_b32_e32 v34, v34, v36
	v_not_b32_e32 v36, v38
	v_ashrrev_i32_e32 v35, 31, v35
	v_xor_b32_e32 v39, s18, v39
	v_cmp_gt_i32_e64 s18, 0, v38
	v_and_b32_e32 v34, v34, v37
	v_ashrrev_i32_e32 v36, 31, v36
	s_wait_alu 0xf1ff
	v_xor_b32_e32 v35, s17, v35
	v_lshl_add_u32 v106, v33, 6, v0
	v_and_b32_e32 v34, v34, v39
	v_xor_b32_e32 v33, s18, v36
	ds_load_b32 v0, v106 offset:64
	v_and_b32_e32 v34, v34, v35
	; wave barrier
	s_delay_alu instid0(VALU_DEP_1) | instskip(NEXT) | instid1(VALU_DEP_1)
	v_and_b32_e32 v33, v34, v33
	v_mbcnt_lo_u32_b32 v105, v33, 0
	v_cmp_ne_u32_e64 s18, 0, v33
	s_delay_alu instid0(VALU_DEP_2)
	v_cmp_eq_u32_e64 s17, 0, v105
	s_and_b32 s18, s18, s17
	s_wait_alu 0xfffe
	s_and_saveexec_b32 s17, s18
	s_cbranch_execz .LBB220_69
; %bb.68:
	s_wait_dscnt 0x0
	v_bcnt_u32_b32 v33, v33, v0
	ds_store_b32 v106, v33 offset:64
.LBB220_69:
	s_wait_alu 0xfffe
	s_or_b32 exec_lo, exec_lo, s17
	; wave barrier
	s_wait_loadcnt_dscnt 0x0
	s_barrier_signal -1
	s_barrier_wait -1
	global_inv scope:SCOPE_SE
	ds_load_b128 v[37:40], v67 offset:64
	ds_load_b128 v[33:36], v67 offset:80
	s_wait_dscnt 0x1
	v_add_nc_u32_e32 v107, v38, v37
	s_delay_alu instid0(VALU_DEP_1) | instskip(SKIP_1) | instid1(VALU_DEP_1)
	v_add3_u32 v107, v107, v39, v40
	s_wait_dscnt 0x0
	v_add3_u32 v107, v107, v33, v34
	s_delay_alu instid0(VALU_DEP_1) | instskip(NEXT) | instid1(VALU_DEP_1)
	v_add3_u32 v36, v107, v35, v36
	v_mov_b32_dpp v107, v36 row_shr:1 row_mask:0xf bank_mask:0xf
	s_delay_alu instid0(VALU_DEP_1) | instskip(NEXT) | instid1(VALU_DEP_1)
	v_cndmask_b32_e64 v107, v107, 0, vcc_lo
	v_add_nc_u32_e32 v36, v107, v36
	s_delay_alu instid0(VALU_DEP_1) | instskip(NEXT) | instid1(VALU_DEP_1)
	v_mov_b32_dpp v107, v36 row_shr:2 row_mask:0xf bank_mask:0xf
	v_cndmask_b32_e64 v107, 0, v107, s8
	s_delay_alu instid0(VALU_DEP_1) | instskip(NEXT) | instid1(VALU_DEP_1)
	v_add_nc_u32_e32 v36, v36, v107
	v_mov_b32_dpp v107, v36 row_shr:4 row_mask:0xf bank_mask:0xf
	s_delay_alu instid0(VALU_DEP_1) | instskip(NEXT) | instid1(VALU_DEP_1)
	v_cndmask_b32_e64 v107, 0, v107, s9
	v_add_nc_u32_e32 v36, v36, v107
	s_delay_alu instid0(VALU_DEP_1) | instskip(NEXT) | instid1(VALU_DEP_1)
	v_mov_b32_dpp v107, v36 row_shr:8 row_mask:0xf bank_mask:0xf
	v_cndmask_b32_e64 v107, 0, v107, s10
	s_delay_alu instid0(VALU_DEP_1) | instskip(SKIP_3) | instid1(VALU_DEP_1)
	v_add_nc_u32_e32 v36, v36, v107
	ds_swizzle_b32 v107, v36 offset:swizzle(BROADCAST,32,15)
	s_wait_dscnt 0x0
	v_cndmask_b32_e64 v107, v107, 0, s15
	v_add_nc_u32_e32 v36, v36, v107
	s_and_saveexec_b32 s15, s13
; %bb.70:
	ds_store_b32 v83, v36
; %bb.71:
	s_wait_alu 0xfffe
	s_or_b32 exec_lo, exec_lo, s15
	s_wait_loadcnt_dscnt 0x0
	s_barrier_signal -1
	s_barrier_wait -1
	global_inv scope:SCOPE_SE
	s_and_saveexec_b32 s13, s12
	s_cbranch_execz .LBB220_73
; %bb.72:
	ds_load_b32 v83, v82
	s_wait_dscnt 0x0
	v_mov_b32_dpp v107, v83 row_shr:1 row_mask:0xf bank_mask:0xf
	s_delay_alu instid0(VALU_DEP_1) | instskip(NEXT) | instid1(VALU_DEP_1)
	v_cndmask_b32_e64 v107, v107, 0, vcc_lo
	v_add_nc_u32_e32 v83, v107, v83
	s_delay_alu instid0(VALU_DEP_1) | instskip(NEXT) | instid1(VALU_DEP_1)
	v_mov_b32_dpp v107, v83 row_shr:2 row_mask:0xf bank_mask:0xf
	v_cndmask_b32_e64 v107, 0, v107, s8
	s_delay_alu instid0(VALU_DEP_1) | instskip(NEXT) | instid1(VALU_DEP_1)
	v_add_nc_u32_e32 v83, v83, v107
	v_mov_b32_dpp v107, v83 row_shr:4 row_mask:0xf bank_mask:0xf
	s_delay_alu instid0(VALU_DEP_1) | instskip(NEXT) | instid1(VALU_DEP_1)
	v_cndmask_b32_e64 v107, 0, v107, s9
	v_add_nc_u32_e32 v83, v83, v107
	s_delay_alu instid0(VALU_DEP_1) | instskip(NEXT) | instid1(VALU_DEP_1)
	v_mov_b32_dpp v107, v83 row_shr:8 row_mask:0xf bank_mask:0xf
	v_cndmask_b32_e64 v107, 0, v107, s10
	s_delay_alu instid0(VALU_DEP_1)
	v_add_nc_u32_e32 v83, v83, v107
	ds_store_b32 v82, v83
.LBB220_73:
	s_wait_alu 0xfffe
	s_or_b32 exec_lo, exec_lo, s13
	v_mov_b32_e32 v82, 0
	s_wait_loadcnt_dscnt 0x0
	s_barrier_signal -1
	s_barrier_wait -1
	global_inv scope:SCOPE_SE
	s_and_saveexec_b32 s8, s14
; %bb.74:
	ds_load_b32 v82, v84
; %bb.75:
	s_wait_alu 0xfffe
	s_or_b32 exec_lo, exec_lo, s8
	s_wait_dscnt 0x0
	v_add_nc_u32_e32 v36, v82, v36
	ds_bpermute_b32 v36, v85, v36
	s_wait_dscnt 0x0
	v_cndmask_b32_e64 v36, v36, v82, s11
	s_delay_alu instid0(VALU_DEP_1) | instskip(NEXT) | instid1(VALU_DEP_1)
	v_cndmask_b32_e64 v36, v36, 0, s16
	v_add_nc_u32_e32 v37, v36, v37
	s_delay_alu instid0(VALU_DEP_1) | instskip(NEXT) | instid1(VALU_DEP_1)
	v_add_nc_u32_e32 v38, v37, v38
	v_add_nc_u32_e32 v39, v38, v39
	s_delay_alu instid0(VALU_DEP_1) | instskip(NEXT) | instid1(VALU_DEP_1)
	v_add_nc_u32_e32 v82, v39, v40
	;; [unrolled: 3-line block ×3, first 2 shown]
	v_add_nc_u32_e32 v85, v84, v35
	ds_store_b128 v67, v[36:39] offset:64
	ds_store_b128 v67, v[82:85] offset:80
	s_wait_loadcnt_dscnt 0x0
	s_barrier_signal -1
	s_barrier_wait -1
	global_inv scope:SCOPE_SE
	ds_load_b32 v33, v106 offset:64
	ds_load_b32 v34, v104 offset:64
	;; [unrolled: 1-line block ×8, first 2 shown]
	v_lshlrev_b32_e32 v82, 1, v66
	s_wait_loadcnt_dscnt 0x0
	s_barrier_signal -1
	s_barrier_wait -1
	global_inv scope:SCOPE_SE
	v_mad_u32_u24 v83, v46, 48, v82
	v_add3_u32 v84, v105, v0, v33
	v_add3_u32 v85, v103, v102, v34
	;; [unrolled: 1-line block ×3, first 2 shown]
	v_add_nc_u32_e32 v81, v36, v81
	v_add3_u32 v87, v88, v87, v37
	v_add3_u32 v88, v91, v90, v38
	;; [unrolled: 1-line block ×4, first 2 shown]
	v_lshlrev_b32_e32 v0, 1, v81
	v_lshlrev_b32_e32 v33, 1, v87
	;; [unrolled: 1-line block ×8, first 2 shown]
	ds_store_b16 v0, v74
	ds_store_b16 v33, v75
	;; [unrolled: 1-line block ×8, first 2 shown]
	v_mad_co_u64_u32 v[73:74], null, v81, 6, v[0:1]
	v_mad_co_u64_u32 v[74:75], null, v87, 6, v[33:34]
	;; [unrolled: 1-line block ×4, first 2 shown]
	s_wait_loadcnt_dscnt 0x0
	s_barrier_signal -1
	s_barrier_wait -1
	global_inv scope:SCOPE_SE
	v_mad_co_u64_u32 v[77:78], null, v40, 6, v[36:37]
	ds_load_b128 v[33:36], v82
	v_mad_co_u64_u32 v[78:79], null, v86, 6, v[37:38]
	v_mad_co_u64_u32 v[37:38], null, v85, 6, v[38:39]
	;; [unrolled: 1-line block ×3, first 2 shown]
	s_wait_loadcnt_dscnt 0x0
	s_barrier_signal -1
	s_barrier_wait -1
	global_inv scope:SCOPE_SE
	ds_store_b64 v73, v[21:22]
	ds_store_b64 v74, v[23:24]
	;; [unrolled: 1-line block ×8, first 2 shown]
	s_wait_loadcnt_dscnt 0x0
	s_barrier_signal -1
	s_barrier_wait -1
	global_inv scope:SCOPE_SE
	ds_load_b128 v[29:32], v83
	ds_load_b128 v[25:28], v83 offset:16
	ds_load_b128 v[21:24], v83 offset:32
	;; [unrolled: 1-line block ×3, first 2 shown]
	v_cmp_lt_i16_e32 vcc_lo, -1, v33
	v_lshrrev_b32_e32 v0, 16, v33
	v_lshrrev_b32_e32 v38, 16, v34
	;; [unrolled: 1-line block ×4, first 2 shown]
	s_wait_alu 0xfffd
	v_cndmask_b32_e64 v37, 0xffff8000, -1, vcc_lo
	v_cmp_lt_i16_e32 vcc_lo, -1, v34
	s_wait_alu 0xfffd
	v_cndmask_b32_e64 v39, 0xffff8000, -1, vcc_lo
	v_cmp_lt_i16_e32 vcc_lo, -1, v35
	;; [unrolled: 3-line block ×5, first 2 shown]
	s_delay_alu instid0(VALU_DEP_2) | instskip(SKIP_3) | instid1(VALU_DEP_3)
	v_perm_b32 v0, v0, v37, 0x5040100
	s_wait_alu 0xfffd
	v_cndmask_b32_e64 v38, 0xffff8000, -1, vcc_lo
	v_cmp_lt_i16_e32 vcc_lo, -1, v40
	v_xor_b32_e32 v0, v0, v33
	s_delay_alu instid0(VALU_DEP_3) | instskip(SKIP_3) | instid1(VALU_DEP_3)
	v_perm_b32 v37, v38, v39, 0x5040100
	s_wait_alu 0xfffd
	v_cndmask_b32_e64 v40, 0xffff8000, -1, vcc_lo
	v_cmp_lt_i16_e32 vcc_lo, -1, v74
	v_xor_b32_e32 v34, v37, v34
	s_delay_alu instid0(VALU_DEP_3) | instskip(SKIP_2) | instid1(VALU_DEP_2)
	v_perm_b32 v38, v40, v73, 0x5040100
	s_wait_alu 0xfffd
	v_cndmask_b32_e64 v74, 0xffff8000, -1, vcc_lo
	v_xor_b32_e32 v33, v38, v35
	s_delay_alu instid0(VALU_DEP_2) | instskip(NEXT) | instid1(VALU_DEP_1)
	v_perm_b32 v39, v74, v75, 0x5040100
	v_xor_b32_e32 v35, v39, v36
	s_branch .LBB220_128
.LBB220_76:
	v_lshlrev_b64_e32 v[1:2], 3, v[41:42]
	v_dual_mov_b32 v43, v42 :: v_dual_mov_b32 v10, v42
	v_dual_mov_b32 v9, v42 :: v_dual_mov_b32 v12, v42
	v_mov_b32_e32 v11, v42
	s_wait_alu 0xfffe
	s_delay_alu instid0(VALU_DEP_4)
	v_add_co_u32 v1, vcc_lo, s24, v1
	s_wait_alu 0xfffd
	v_add_co_ci_u32_e64 v2, null, s25, v2, vcc_lo
	v_dual_mov_b32 v3, v42 :: v_dual_mov_b32 v6, v42
	v_dual_mov_b32 v5, v42 :: v_dual_mov_b32 v8, v42
	global_load_b64 v[13:14], v[1:2], off
	v_dual_mov_b32 v1, v42 :: v_dual_mov_b32 v4, v42
	v_dual_mov_b32 v2, v42 :: v_dual_mov_b32 v7, v42
	s_or_b32 exec_lo, exec_lo, s9
	s_and_saveexec_b32 s9, s1
	s_cbranch_execz .LBB220_22
.LBB220_77:
	v_mul_lo_u32 v22, s28, v15
	v_mov_b32_e32 v23, 0
	s_delay_alu instid0(VALU_DEP_1) | instskip(NEXT) | instid1(VALU_DEP_1)
	v_lshlrev_b64_e32 v[22:23], 3, v[22:23]
	v_add_co_u32 v22, vcc_lo, s24, v22
	s_wait_alu 0xfffd
	s_delay_alu instid0(VALU_DEP_2)
	v_add_co_ci_u32_e64 v23, null, s25, v23, vcc_lo
	global_load_b64 v[42:43], v[22:23], off
	s_wait_alu 0xfffe
	s_or_b32 exec_lo, exec_lo, s9
	s_and_saveexec_b32 s9, s2
	s_cbranch_execz .LBB220_23
.LBB220_78:
	v_mul_lo_u32 v9, s28, v16
	v_mov_b32_e32 v10, 0
	s_delay_alu instid0(VALU_DEP_1) | instskip(NEXT) | instid1(VALU_DEP_1)
	v_lshlrev_b64_e32 v[9:10], 3, v[9:10]
	v_add_co_u32 v9, vcc_lo, s24, v9
	s_wait_alu 0xfffd
	s_delay_alu instid0(VALU_DEP_2)
	v_add_co_ci_u32_e64 v10, null, s25, v10, vcc_lo
	global_load_b64 v[9:10], v[9:10], off
	s_wait_alu 0xfffe
	s_or_b32 exec_lo, exec_lo, s9
	s_and_saveexec_b32 s9, s3
	s_cbranch_execz .LBB220_24
.LBB220_79:
	v_mul_lo_u32 v11, s28, v17
	v_mov_b32_e32 v12, 0
	s_delay_alu instid0(VALU_DEP_1) | instskip(NEXT) | instid1(VALU_DEP_1)
	v_lshlrev_b64_e32 v[11:12], 3, v[11:12]
	v_add_co_u32 v11, vcc_lo, s24, v11
	s_wait_alu 0xfffd
	s_delay_alu instid0(VALU_DEP_2)
	v_add_co_ci_u32_e64 v12, null, s25, v12, vcc_lo
	global_load_b64 v[11:12], v[11:12], off
	s_wait_alu 0xfffe
	s_or_b32 exec_lo, exec_lo, s9
	s_and_saveexec_b32 s9, s4
	s_cbranch_execz .LBB220_25
.LBB220_80:
	v_mul_lo_u32 v1, s28, v18
	v_mov_b32_e32 v2, 0
	s_delay_alu instid0(VALU_DEP_1) | instskip(NEXT) | instid1(VALU_DEP_1)
	v_lshlrev_b64_e32 v[1:2], 3, v[1:2]
	v_add_co_u32 v1, vcc_lo, s24, v1
	s_wait_alu 0xfffd
	s_delay_alu instid0(VALU_DEP_2)
	v_add_co_ci_u32_e64 v2, null, s25, v2, vcc_lo
	global_load_b64 v[1:2], v[1:2], off
	s_wait_alu 0xfffe
	s_or_b32 exec_lo, exec_lo, s9
	s_and_saveexec_b32 s9, s5
	s_cbranch_execz .LBB220_26
.LBB220_81:
	v_mul_lo_u32 v3, s28, v19
	v_mov_b32_e32 v4, 0
	s_delay_alu instid0(VALU_DEP_1) | instskip(NEXT) | instid1(VALU_DEP_1)
	v_lshlrev_b64_e32 v[3:4], 3, v[3:4]
	v_add_co_u32 v3, vcc_lo, s24, v3
	s_wait_alu 0xfffd
	s_delay_alu instid0(VALU_DEP_2)
	v_add_co_ci_u32_e64 v4, null, s25, v4, vcc_lo
	global_load_b64 v[3:4], v[3:4], off
	s_wait_alu 0xfffe
	s_or_b32 exec_lo, exec_lo, s9
	s_and_saveexec_b32 s9, s6
	s_cbranch_execnz .LBB220_27
	s_branch .LBB220_28
.LBB220_82:
                                        ; implicit-def: $vgpr19_vgpr20
                                        ; implicit-def: $vgpr23_vgpr24
                                        ; implicit-def: $vgpr27_vgpr28
                                        ; implicit-def: $vgpr31_vgpr32
                                        ; implicit-def: $vgpr35
                                        ; implicit-def: $vgpr33
                                        ; implicit-def: $vgpr34
                                        ; implicit-def: $vgpr0
	s_cbranch_execz .LBB220_128
; %bb.83:
	v_lshrrev_b32_e32 v0, 16, v49
	v_cmp_gt_i16_e32 vcc_lo, 0, v49
	s_wait_dscnt 0x0
	v_lshrrev_b32_e32 v17, 16, v50
	v_lshrrev_b32_e32 v18, 16, v47
	;; [unrolled: 1-line block ×3, first 2 shown]
	v_or_b32_e32 v21, v69, v70
	s_wait_alu 0xfffd
	v_cndmask_b32_e64 v20, 0x7fff, 0, vcc_lo
	v_cmp_gt_i16_e32 vcc_lo, 0, v0
	v_and_or_b32 v36, 0x1f00, v66, v69
	s_mov_b32 s12, 0
	s_getpc_b64 s[8:9]
	s_wait_alu 0xfffe
	s_sext_i32_i16 s9, s9
	s_add_co_u32 s8, s8, _ZN7rocprim17ROCPRIM_400000_NS16block_radix_sortI6__halfLj512ELj8ElLj1ELj1ELj0ELNS0_26block_radix_rank_algorithmE1ELNS0_18block_padding_hintE2ELNS0_4arch9wavefront6targetE0EE19radix_bits_per_passE@rel32@lo+12
	s_wait_alu 0xfffe
	s_add_co_ci_u32 s9, s9, _ZN7rocprim17ROCPRIM_400000_NS16block_radix_sortI6__halfLj512ELj8ElLj1ELj1ELj0ELNS0_26block_radix_rank_algorithmE1ELNS0_18block_padding_hintE2ELNS0_4arch9wavefront6targetE0EE19radix_bits_per_passE@rel32@hi+24
	s_mov_b32 s13, s12
	s_wait_alu 0xfffd
	v_cndmask_b32_e64 v0, 0x7fff, 0, vcc_lo
	v_cmp_gt_i16_e32 vcc_lo, 0, v50
	s_mov_b32 s14, s12
	s_mov_b32 s15, s12
	v_lshlrev_b32_e32 v25, 1, v36
	v_perm_b32 v0, v0, v20, 0x5040100
	s_wait_alu 0xfffd
	v_cndmask_b32_e64 v22, 0x7fff, 0, vcc_lo
	v_cmp_gt_i16_e32 vcc_lo, 0, v17
	s_load_b32 s17, s[8:9], 0x0
	v_cndmask_b32_e64 v17, 0x7fff, 0, vcc_lo
	v_cmp_gt_i16_e32 vcc_lo, 0, v47
	s_delay_alu instid0(VALU_DEP_2)
	v_perm_b32 v20, v17, v22, 0x5040100
	s_wait_alu 0xfffd
	v_cndmask_b32_e64 v23, 0x7fff, 0, vcc_lo
	v_cmp_gt_i16_e32 vcc_lo, 0, v18
	v_xor_b32_e32 v17, v0, v49
	s_wait_alu 0xfffd
	v_cndmask_b32_e64 v18, 0x7fff, 0, vcc_lo
	v_cmp_gt_i16_e32 vcc_lo, 0, v48
	s_wait_kmcnt 0x0
	s_min_u32 s8, s17, 16
	s_delay_alu instid0(VALU_DEP_2)
	v_perm_b32 v22, v18, v23, 0x5040100
	s_wait_alu 0xfffd
	v_cndmask_b32_e64 v24, 0x7fff, 0, vcc_lo
	v_cmp_gt_i16_e32 vcc_lo, 0, v19
	v_lshlrev_b32_e32 v23, 4, v21
	v_xor_b32_e32 v18, v20, v50
	s_wait_alu 0xfffe
	s_lshl_b32 s8, -1, s8
	s_wait_alu 0xfffd
	v_cndmask_b32_e64 v19, 0x7fff, 0, vcc_lo
	s_wait_alu 0xfffe
	s_not_b32 s9, s8
	s_delay_alu instid0(VALU_DEP_1) | instskip(SKIP_1) | instid1(VALU_DEP_2)
	v_perm_b32 v24, v19, v24, 0x5040100
	v_xor_b32_e32 v19, v22, v47
	v_xor_b32_e32 v20, v24, v48
	ds_store_b128 v23, v[17:20]
	; wave barrier
	ds_load_u16 v26, v25
	ds_load_u16 v27, v25 offset:64
	ds_load_u16 v28, v25 offset:128
	;; [unrolled: 1-line block ×7, first 2 shown]
	s_wait_loadcnt_dscnt 0x0
	s_barrier_signal -1
	s_barrier_wait -1
	global_inv scope:SCOPE_SE
	v_cmp_ne_u16_e32 vcc_lo, 0x8000, v26
	s_wait_alu 0xfffd
	v_cndmask_b32_e32 v0, 0x7fff, v26, vcc_lo
	v_mad_u32_u24 v17, v21, 48, v23
	ds_store_b128 v17, v[13:16]
	ds_store_b128 v17, v[9:12] offset:16
	v_and_b32_e32 v0, 0xffff, v0
	ds_store_b128 v17, v[5:8] offset:32
	ds_store_b128 v17, v[1:4] offset:48
	v_mad_u32_u24 v12, v36, 6, v25
	; wave barrier
	s_wait_alu 0xfffe
	v_and_b32_e32 v23, s9, v0
	ds_load_2addr_b64 v[8:11], v12 offset1:32
	ds_load_2addr_b64 v[0:3], v12 offset0:64 offset1:96
	v_and_b32_e32 v4, 1, v23
	v_lshlrev_b32_e32 v18, 30, v23
	v_lshlrev_b32_e32 v19, 29, v23
	v_lshlrev_b32_e32 v20, 28, v23
	s_delay_alu instid0(VALU_DEP_4)
	v_add_co_u32 v16, s8, v4, -1
	s_wait_alu 0xf1ff
	v_cndmask_b32_e64 v17, 0, 1, s8
	ds_load_2addr_b64 v[4:7], v12 offset0:128 offset1:160
	ds_load_2addr_b64 v[12:15], v12 offset0:192 offset1:224
	s_wait_loadcnt_dscnt 0x0
	s_barrier_signal -1
	v_cmp_ne_u32_e32 vcc_lo, 0, v17
	v_not_b32_e32 v17, v18
	s_barrier_wait -1
	global_inv scope:SCOPE_SE
	s_load_b32 s8, s[34:35], 0xc
	v_xor_b32_e32 v16, vcc_lo, v16
	v_cmp_gt_i32_e32 vcc_lo, 0, v18
	v_ashrrev_i32_e32 v17, 31, v17
	v_not_b32_e32 v18, v19
	s_delay_alu instid0(VALU_DEP_4) | instskip(SKIP_1) | instid1(VALU_DEP_3)
	v_and_b32_e32 v16, exec_lo, v16
	s_wait_alu 0xfffd
	v_xor_b32_e32 v17, vcc_lo, v17
	v_cmp_gt_i32_e32 vcc_lo, 0, v19
	v_ashrrev_i32_e32 v18, 31, v18
	v_not_b32_e32 v19, v20
	s_delay_alu instid0(VALU_DEP_4)
	v_and_b32_e32 v16, v16, v17
	v_lshlrev_b32_e32 v17, 27, v23
	s_wait_alu 0xfffd
	v_xor_b32_e32 v18, vcc_lo, v18
	v_cmp_gt_i32_e32 vcc_lo, 0, v20
	v_ashrrev_i32_e32 v19, 31, v19
	v_not_b32_e32 v20, v17
	s_delay_alu instid0(VALU_DEP_4)
	v_and_b32_e32 v16, v16, v18
	v_lshlrev_b32_e32 v18, 26, v23
	s_wait_alu 0xfffd
	v_xor_b32_e32 v19, vcc_lo, v19
	v_cmp_gt_i32_e32 vcc_lo, 0, v17
	v_ashrrev_i32_e32 v17, 31, v20
	s_wait_kmcnt 0x0
	s_lshr_b32 s10, s8, 16
	v_not_b32_e32 v20, v18
	v_and_b32_e32 v16, v16, v19
	v_lshlrev_b32_e32 v19, 25, v23
	s_wait_alu 0xfffd
	v_xor_b32_e32 v17, vcc_lo, v17
	v_cmp_gt_i32_e32 vcc_lo, 0, v18
	v_ashrrev_i32_e32 v18, 31, v20
	v_mad_u32_u24 v21, v72, s10, v71
	v_not_b32_e32 v20, v19
	v_and_b32_e32 v16, v16, v17
	v_lshlrev_b32_e32 v17, 24, v23
	s_wait_alu 0xfffd
	v_xor_b32_e32 v18, vcc_lo, v18
	v_cmp_gt_i32_e32 vcc_lo, 0, v19
	v_ashrrev_i32_e32 v19, 31, v20
	s_and_b32 s8, s8, 0xffff
	v_not_b32_e32 v20, v17
	v_and_b32_e32 v16, v16, v18
	s_wait_alu 0xfffe
	v_mad_co_u64_u32 v[21:22], null, v21, s8, v[46:47]
	s_wait_alu 0xfffd
	v_xor_b32_e32 v18, vcc_lo, v19
	v_cmp_gt_i32_e32 vcc_lo, 0, v17
	v_ashrrev_i32_e32 v17, 31, v20
	s_delay_alu instid0(VALU_DEP_3) | instskip(SKIP_2) | instid1(VALU_DEP_3)
	v_and_b32_e32 v16, v16, v18
	v_lshrrev_b32_e32 v21, 5, v21
	s_wait_alu 0xfffd
	v_xor_b32_e32 v22, vcc_lo, v17
	v_dual_mov_b32 v20, s15 :: v_dual_mov_b32 v19, s14
	v_dual_mov_b32 v18, s13 :: v_dual_mov_b32 v17, s12
	s_delay_alu instid0(VALU_DEP_3)
	v_and_b32_e32 v16, v16, v22
	ds_store_b128 v67, v[17:20] offset:64
	ds_store_b128 v67, v[17:20] offset:80
	v_mbcnt_lo_u32_b32 v38, v16, 0
	v_lshlrev_b32_e32 v24, 2, v21
	v_lshlrev_b32_e32 v17, 6, v23
	v_cmp_ne_u32_e64 s8, 0, v16
	s_wait_loadcnt_dscnt 0x0
	v_cmp_eq_u32_e32 vcc_lo, 0, v38
	s_barrier_signal -1
	v_add_nc_u32_e32 v39, v24, v17
	s_barrier_wait -1
	global_inv scope:SCOPE_SE
	s_and_b32 s10, s8, vcc_lo
	; wave barrier
	s_wait_alu 0xfffe
	s_and_saveexec_b32 s8, s10
; %bb.84:
	v_bcnt_u32_b32 v16, v16, 0
	ds_store_b32 v39, v16 offset:64
; %bb.85:
	s_wait_alu 0xfffe
	s_or_b32 exec_lo, exec_lo, s8
	v_cmp_ne_u16_e32 vcc_lo, 0x8000, v27
	; wave barrier
	s_wait_alu 0xfffd
	v_cndmask_b32_e32 v16, 0x7fff, v27, vcc_lo
	s_delay_alu instid0(VALU_DEP_1) | instskip(NEXT) | instid1(VALU_DEP_1)
	v_and_b32_e32 v16, 0xffff, v16
	v_and_b32_e32 v16, s9, v16
	s_delay_alu instid0(VALU_DEP_1)
	v_and_b32_e32 v17, 1, v16
	v_lshlrev_b32_e32 v18, 30, v16
	v_lshlrev_b32_e32 v19, 29, v16
	;; [unrolled: 1-line block ×4, first 2 shown]
	v_add_co_u32 v17, s8, v17, -1
	s_wait_alu 0xf1ff
	v_cndmask_b32_e64 v21, 0, 1, s8
	v_not_b32_e32 v35, v18
	v_cmp_gt_i32_e64 s8, 0, v18
	v_not_b32_e32 v18, v19
	v_lshlrev_b32_e32 v23, 26, v16
	v_cmp_ne_u32_e32 vcc_lo, 0, v21
	v_ashrrev_i32_e32 v35, 31, v35
	v_lshlrev_b32_e32 v34, 25, v16
	v_ashrrev_i32_e32 v18, 31, v18
	v_lshlrev_b32_e32 v21, 24, v16
	s_wait_alu 0xfffd
	v_xor_b32_e32 v17, vcc_lo, v17
	v_cmp_gt_i32_e32 vcc_lo, 0, v19
	v_not_b32_e32 v19, v20
	s_wait_alu 0xf1ff
	v_xor_b32_e32 v35, s8, v35
	v_cmp_gt_i32_e64 s8, 0, v20
	v_and_b32_e32 v17, exec_lo, v17
	v_not_b32_e32 v20, v22
	v_ashrrev_i32_e32 v19, 31, v19
	s_wait_alu 0xfffd
	v_xor_b32_e32 v18, vcc_lo, v18
	v_cmp_gt_i32_e32 vcc_lo, 0, v22
	v_and_b32_e32 v17, v17, v35
	v_not_b32_e32 v22, v23
	v_ashrrev_i32_e32 v20, 31, v20
	s_wait_alu 0xf1ff
	v_xor_b32_e32 v19, s8, v19
	v_cmp_gt_i32_e64 s8, 0, v23
	v_and_b32_e32 v17, v17, v18
	v_not_b32_e32 v18, v34
	v_ashrrev_i32_e32 v22, 31, v22
	s_wait_alu 0xfffd
	v_xor_b32_e32 v20, vcc_lo, v20
	v_cmp_gt_i32_e32 vcc_lo, 0, v34
	v_and_b32_e32 v17, v17, v19
	v_not_b32_e32 v19, v21
	v_ashrrev_i32_e32 v18, 31, v18
	s_wait_alu 0xf1ff
	v_xor_b32_e32 v22, s8, v22
	v_lshlrev_b32_e32 v16, 6, v16
	v_and_b32_e32 v17, v17, v20
	v_cmp_gt_i32_e64 s8, 0, v21
	v_ashrrev_i32_e32 v19, 31, v19
	s_wait_alu 0xfffd
	v_xor_b32_e32 v18, vcc_lo, v18
	v_add_nc_u32_e32 v48, v24, v16
	v_and_b32_e32 v17, v17, v22
	s_wait_alu 0xf1ff
	v_xor_b32_e32 v16, s8, v19
	ds_load_b32 v40, v48 offset:64
	v_and_b32_e32 v17, v17, v18
	; wave barrier
	s_delay_alu instid0(VALU_DEP_1) | instskip(NEXT) | instid1(VALU_DEP_1)
	v_and_b32_e32 v16, v17, v16
	v_mbcnt_lo_u32_b32 v47, v16, 0
	v_cmp_ne_u32_e64 s8, 0, v16
	s_delay_alu instid0(VALU_DEP_2)
	v_cmp_eq_u32_e32 vcc_lo, 0, v47
	s_and_b32 s10, s8, vcc_lo
	s_wait_alu 0xfffe
	s_and_saveexec_b32 s8, s10
	s_cbranch_execz .LBB220_87
; %bb.86:
	s_wait_dscnt 0x0
	v_bcnt_u32_b32 v16, v16, v40
	ds_store_b32 v48, v16 offset:64
.LBB220_87:
	s_wait_alu 0xfffe
	s_or_b32 exec_lo, exec_lo, s8
	v_cmp_ne_u16_e32 vcc_lo, 0x8000, v28
	; wave barrier
	s_wait_alu 0xfffd
	v_cndmask_b32_e32 v16, 0x7fff, v28, vcc_lo
	s_delay_alu instid0(VALU_DEP_1) | instskip(NEXT) | instid1(VALU_DEP_1)
	v_and_b32_e32 v16, 0xffff, v16
	v_and_b32_e32 v16, s9, v16
	s_delay_alu instid0(VALU_DEP_1)
	v_and_b32_e32 v17, 1, v16
	v_lshlrev_b32_e32 v18, 30, v16
	v_lshlrev_b32_e32 v19, 29, v16
	v_lshlrev_b32_e32 v20, 28, v16
	v_lshlrev_b32_e32 v22, 27, v16
	v_add_co_u32 v17, s8, v17, -1
	s_wait_alu 0xf1ff
	v_cndmask_b32_e64 v21, 0, 1, s8
	v_not_b32_e32 v35, v18
	v_cmp_gt_i32_e64 s8, 0, v18
	v_not_b32_e32 v18, v19
	v_lshlrev_b32_e32 v23, 26, v16
	v_cmp_ne_u32_e32 vcc_lo, 0, v21
	v_ashrrev_i32_e32 v35, 31, v35
	v_lshlrev_b32_e32 v34, 25, v16
	v_ashrrev_i32_e32 v18, 31, v18
	v_lshlrev_b32_e32 v21, 24, v16
	s_wait_alu 0xfffd
	v_xor_b32_e32 v17, vcc_lo, v17
	v_cmp_gt_i32_e32 vcc_lo, 0, v19
	v_not_b32_e32 v19, v20
	s_wait_alu 0xf1ff
	v_xor_b32_e32 v35, s8, v35
	v_cmp_gt_i32_e64 s8, 0, v20
	v_and_b32_e32 v17, exec_lo, v17
	v_not_b32_e32 v20, v22
	v_ashrrev_i32_e32 v19, 31, v19
	s_wait_alu 0xfffd
	v_xor_b32_e32 v18, vcc_lo, v18
	v_cmp_gt_i32_e32 vcc_lo, 0, v22
	v_and_b32_e32 v17, v17, v35
	v_not_b32_e32 v22, v23
	v_ashrrev_i32_e32 v20, 31, v20
	s_wait_alu 0xf1ff
	v_xor_b32_e32 v19, s8, v19
	v_cmp_gt_i32_e64 s8, 0, v23
	v_and_b32_e32 v17, v17, v18
	v_not_b32_e32 v18, v34
	v_ashrrev_i32_e32 v22, 31, v22
	s_wait_alu 0xfffd
	v_xor_b32_e32 v20, vcc_lo, v20
	v_cmp_gt_i32_e32 vcc_lo, 0, v34
	v_and_b32_e32 v17, v17, v19
	v_not_b32_e32 v19, v21
	v_ashrrev_i32_e32 v18, 31, v18
	s_wait_alu 0xf1ff
	v_xor_b32_e32 v22, s8, v22
	v_lshlrev_b32_e32 v16, 6, v16
	v_and_b32_e32 v17, v17, v20
	v_cmp_gt_i32_e64 s8, 0, v21
	v_ashrrev_i32_e32 v19, 31, v19
	s_wait_alu 0xfffd
	v_xor_b32_e32 v18, vcc_lo, v18
	v_add_nc_u32_e32 v71, v24, v16
	v_and_b32_e32 v17, v17, v22
	s_wait_alu 0xf1ff
	v_xor_b32_e32 v16, s8, v19
	ds_load_b32 v49, v71 offset:64
	v_and_b32_e32 v17, v17, v18
	; wave barrier
	s_delay_alu instid0(VALU_DEP_1) | instskip(NEXT) | instid1(VALU_DEP_1)
	v_and_b32_e32 v16, v17, v16
	v_mbcnt_lo_u32_b32 v50, v16, 0
	v_cmp_ne_u32_e64 s8, 0, v16
	s_delay_alu instid0(VALU_DEP_2)
	v_cmp_eq_u32_e32 vcc_lo, 0, v50
	s_and_b32 s10, s8, vcc_lo
	s_wait_alu 0xfffe
	s_and_saveexec_b32 s8, s10
	s_cbranch_execz .LBB220_89
; %bb.88:
	s_wait_dscnt 0x0
	v_bcnt_u32_b32 v16, v16, v49
	ds_store_b32 v71, v16 offset:64
.LBB220_89:
	s_wait_alu 0xfffe
	s_or_b32 exec_lo, exec_lo, s8
	v_cmp_ne_u16_e32 vcc_lo, 0x8000, v29
	; wave barrier
	s_wait_alu 0xfffd
	v_cndmask_b32_e32 v16, 0x7fff, v29, vcc_lo
	s_delay_alu instid0(VALU_DEP_1) | instskip(NEXT) | instid1(VALU_DEP_1)
	v_and_b32_e32 v16, 0xffff, v16
	v_and_b32_e32 v16, s9, v16
	s_delay_alu instid0(VALU_DEP_1)
	v_and_b32_e32 v17, 1, v16
	v_lshlrev_b32_e32 v18, 30, v16
	v_lshlrev_b32_e32 v19, 29, v16
	;; [unrolled: 1-line block ×4, first 2 shown]
	v_add_co_u32 v17, s8, v17, -1
	s_wait_alu 0xf1ff
	v_cndmask_b32_e64 v21, 0, 1, s8
	v_not_b32_e32 v35, v18
	v_cmp_gt_i32_e64 s8, 0, v18
	v_not_b32_e32 v18, v19
	v_lshlrev_b32_e32 v23, 26, v16
	v_cmp_ne_u32_e32 vcc_lo, 0, v21
	v_ashrrev_i32_e32 v35, 31, v35
	v_lshlrev_b32_e32 v34, 25, v16
	v_ashrrev_i32_e32 v18, 31, v18
	v_lshlrev_b32_e32 v21, 24, v16
	s_wait_alu 0xfffd
	v_xor_b32_e32 v17, vcc_lo, v17
	v_cmp_gt_i32_e32 vcc_lo, 0, v19
	v_not_b32_e32 v19, v20
	s_wait_alu 0xf1ff
	v_xor_b32_e32 v35, s8, v35
	v_cmp_gt_i32_e64 s8, 0, v20
	v_and_b32_e32 v17, exec_lo, v17
	v_not_b32_e32 v20, v22
	v_ashrrev_i32_e32 v19, 31, v19
	s_wait_alu 0xfffd
	v_xor_b32_e32 v18, vcc_lo, v18
	v_cmp_gt_i32_e32 vcc_lo, 0, v22
	v_and_b32_e32 v17, v17, v35
	v_not_b32_e32 v22, v23
	v_ashrrev_i32_e32 v20, 31, v20
	s_wait_alu 0xf1ff
	v_xor_b32_e32 v19, s8, v19
	v_cmp_gt_i32_e64 s8, 0, v23
	v_and_b32_e32 v17, v17, v18
	v_not_b32_e32 v18, v34
	v_ashrrev_i32_e32 v22, 31, v22
	s_wait_alu 0xfffd
	v_xor_b32_e32 v20, vcc_lo, v20
	v_cmp_gt_i32_e32 vcc_lo, 0, v34
	v_and_b32_e32 v17, v17, v19
	v_not_b32_e32 v19, v21
	v_ashrrev_i32_e32 v18, 31, v18
	s_wait_alu 0xf1ff
	v_xor_b32_e32 v22, s8, v22
	v_lshlrev_b32_e32 v16, 6, v16
	v_and_b32_e32 v17, v17, v20
	v_cmp_gt_i32_e64 s8, 0, v21
	v_ashrrev_i32_e32 v19, 31, v19
	s_wait_alu 0xfffd
	v_xor_b32_e32 v18, vcc_lo, v18
	v_add_nc_u32_e32 v74, v24, v16
	v_and_b32_e32 v17, v17, v22
	s_wait_alu 0xf1ff
	v_xor_b32_e32 v16, s8, v19
	ds_load_b32 v72, v74 offset:64
	v_and_b32_e32 v17, v17, v18
	; wave barrier
	s_delay_alu instid0(VALU_DEP_1) | instskip(NEXT) | instid1(VALU_DEP_1)
	v_and_b32_e32 v16, v17, v16
	v_mbcnt_lo_u32_b32 v73, v16, 0
	v_cmp_ne_u32_e64 s8, 0, v16
	s_delay_alu instid0(VALU_DEP_2)
	v_cmp_eq_u32_e32 vcc_lo, 0, v73
	s_and_b32 s10, s8, vcc_lo
	s_wait_alu 0xfffe
	s_and_saveexec_b32 s8, s10
	s_cbranch_execz .LBB220_91
; %bb.90:
	s_wait_dscnt 0x0
	v_bcnt_u32_b32 v16, v16, v72
	ds_store_b32 v74, v16 offset:64
.LBB220_91:
	s_wait_alu 0xfffe
	s_or_b32 exec_lo, exec_lo, s8
	v_cmp_ne_u16_e32 vcc_lo, 0x8000, v30
	; wave barrier
	s_wait_alu 0xfffd
	v_cndmask_b32_e32 v16, 0x7fff, v30, vcc_lo
	s_delay_alu instid0(VALU_DEP_1) | instskip(NEXT) | instid1(VALU_DEP_1)
	v_and_b32_e32 v16, 0xffff, v16
	v_and_b32_e32 v16, s9, v16
	s_delay_alu instid0(VALU_DEP_1)
	v_and_b32_e32 v17, 1, v16
	v_lshlrev_b32_e32 v18, 30, v16
	v_lshlrev_b32_e32 v19, 29, v16
	;; [unrolled: 1-line block ×4, first 2 shown]
	v_add_co_u32 v17, s8, v17, -1
	s_wait_alu 0xf1ff
	v_cndmask_b32_e64 v21, 0, 1, s8
	v_not_b32_e32 v35, v18
	v_cmp_gt_i32_e64 s8, 0, v18
	v_not_b32_e32 v18, v19
	v_lshlrev_b32_e32 v23, 26, v16
	v_cmp_ne_u32_e32 vcc_lo, 0, v21
	v_ashrrev_i32_e32 v35, 31, v35
	v_lshlrev_b32_e32 v34, 25, v16
	v_ashrrev_i32_e32 v18, 31, v18
	v_lshlrev_b32_e32 v21, 24, v16
	s_wait_alu 0xfffd
	v_xor_b32_e32 v17, vcc_lo, v17
	v_cmp_gt_i32_e32 vcc_lo, 0, v19
	v_not_b32_e32 v19, v20
	s_wait_alu 0xf1ff
	v_xor_b32_e32 v35, s8, v35
	v_cmp_gt_i32_e64 s8, 0, v20
	v_and_b32_e32 v17, exec_lo, v17
	v_not_b32_e32 v20, v22
	v_ashrrev_i32_e32 v19, 31, v19
	s_wait_alu 0xfffd
	v_xor_b32_e32 v18, vcc_lo, v18
	v_cmp_gt_i32_e32 vcc_lo, 0, v22
	v_and_b32_e32 v17, v17, v35
	v_not_b32_e32 v22, v23
	v_ashrrev_i32_e32 v20, 31, v20
	s_wait_alu 0xf1ff
	v_xor_b32_e32 v19, s8, v19
	v_cmp_gt_i32_e64 s8, 0, v23
	v_and_b32_e32 v17, v17, v18
	v_not_b32_e32 v18, v34
	v_ashrrev_i32_e32 v22, 31, v22
	s_wait_alu 0xfffd
	v_xor_b32_e32 v20, vcc_lo, v20
	v_cmp_gt_i32_e32 vcc_lo, 0, v34
	v_and_b32_e32 v17, v17, v19
	v_not_b32_e32 v19, v21
	v_ashrrev_i32_e32 v18, 31, v18
	s_wait_alu 0xf1ff
	v_xor_b32_e32 v22, s8, v22
	v_lshlrev_b32_e32 v16, 6, v16
	v_and_b32_e32 v17, v17, v20
	v_cmp_gt_i32_e64 s8, 0, v21
	v_ashrrev_i32_e32 v19, 31, v19
	s_wait_alu 0xfffd
	v_xor_b32_e32 v18, vcc_lo, v18
	v_add_nc_u32_e32 v77, v24, v16
	v_and_b32_e32 v17, v17, v22
	s_wait_alu 0xf1ff
	v_xor_b32_e32 v16, s8, v19
	ds_load_b32 v75, v77 offset:64
	v_and_b32_e32 v17, v17, v18
	; wave barrier
	s_delay_alu instid0(VALU_DEP_1) | instskip(NEXT) | instid1(VALU_DEP_1)
	v_and_b32_e32 v16, v17, v16
	v_mbcnt_lo_u32_b32 v76, v16, 0
	v_cmp_ne_u32_e64 s8, 0, v16
	s_delay_alu instid0(VALU_DEP_2)
	v_cmp_eq_u32_e32 vcc_lo, 0, v76
	s_and_b32 s10, s8, vcc_lo
	s_wait_alu 0xfffe
	s_and_saveexec_b32 s8, s10
	s_cbranch_execz .LBB220_93
; %bb.92:
	s_wait_dscnt 0x0
	v_bcnt_u32_b32 v16, v16, v75
	ds_store_b32 v77, v16 offset:64
.LBB220_93:
	s_wait_alu 0xfffe
	s_or_b32 exec_lo, exec_lo, s8
	v_cmp_ne_u16_e32 vcc_lo, 0x8000, v31
	; wave barrier
	s_wait_alu 0xfffd
	v_cndmask_b32_e32 v16, 0x7fff, v31, vcc_lo
	s_delay_alu instid0(VALU_DEP_1) | instskip(NEXT) | instid1(VALU_DEP_1)
	v_and_b32_e32 v16, 0xffff, v16
	v_and_b32_e32 v16, s9, v16
	s_delay_alu instid0(VALU_DEP_1)
	v_and_b32_e32 v17, 1, v16
	v_lshlrev_b32_e32 v18, 30, v16
	v_lshlrev_b32_e32 v19, 29, v16
	;; [unrolled: 1-line block ×4, first 2 shown]
	v_add_co_u32 v17, s8, v17, -1
	s_wait_alu 0xf1ff
	v_cndmask_b32_e64 v21, 0, 1, s8
	v_not_b32_e32 v35, v18
	v_cmp_gt_i32_e64 s8, 0, v18
	v_not_b32_e32 v18, v19
	v_lshlrev_b32_e32 v23, 26, v16
	v_cmp_ne_u32_e32 vcc_lo, 0, v21
	v_ashrrev_i32_e32 v35, 31, v35
	v_lshlrev_b32_e32 v34, 25, v16
	v_ashrrev_i32_e32 v18, 31, v18
	v_lshlrev_b32_e32 v21, 24, v16
	s_wait_alu 0xfffd
	v_xor_b32_e32 v17, vcc_lo, v17
	v_cmp_gt_i32_e32 vcc_lo, 0, v19
	v_not_b32_e32 v19, v20
	s_wait_alu 0xf1ff
	v_xor_b32_e32 v35, s8, v35
	v_cmp_gt_i32_e64 s8, 0, v20
	v_and_b32_e32 v17, exec_lo, v17
	v_not_b32_e32 v20, v22
	v_ashrrev_i32_e32 v19, 31, v19
	s_wait_alu 0xfffd
	v_xor_b32_e32 v18, vcc_lo, v18
	v_cmp_gt_i32_e32 vcc_lo, 0, v22
	v_and_b32_e32 v17, v17, v35
	v_not_b32_e32 v22, v23
	v_ashrrev_i32_e32 v20, 31, v20
	s_wait_alu 0xf1ff
	v_xor_b32_e32 v19, s8, v19
	v_cmp_gt_i32_e64 s8, 0, v23
	v_and_b32_e32 v17, v17, v18
	v_not_b32_e32 v18, v34
	v_ashrrev_i32_e32 v22, 31, v22
	s_wait_alu 0xfffd
	v_xor_b32_e32 v20, vcc_lo, v20
	v_cmp_gt_i32_e32 vcc_lo, 0, v34
	v_and_b32_e32 v17, v17, v19
	v_not_b32_e32 v19, v21
	v_ashrrev_i32_e32 v18, 31, v18
	s_wait_alu 0xf1ff
	v_xor_b32_e32 v22, s8, v22
	v_lshlrev_b32_e32 v16, 6, v16
	v_and_b32_e32 v17, v17, v20
	v_cmp_gt_i32_e64 s8, 0, v21
	v_ashrrev_i32_e32 v19, 31, v19
	s_wait_alu 0xfffd
	v_xor_b32_e32 v18, vcc_lo, v18
	v_add_nc_u32_e32 v80, v24, v16
	v_and_b32_e32 v17, v17, v22
	s_wait_alu 0xf1ff
	v_xor_b32_e32 v16, s8, v19
	ds_load_b32 v78, v80 offset:64
	v_and_b32_e32 v17, v17, v18
	; wave barrier
	s_delay_alu instid0(VALU_DEP_1) | instskip(NEXT) | instid1(VALU_DEP_1)
	v_and_b32_e32 v16, v17, v16
	v_mbcnt_lo_u32_b32 v79, v16, 0
	v_cmp_ne_u32_e64 s8, 0, v16
	s_delay_alu instid0(VALU_DEP_2)
	v_cmp_eq_u32_e32 vcc_lo, 0, v79
	s_and_b32 s10, s8, vcc_lo
	s_wait_alu 0xfffe
	s_and_saveexec_b32 s8, s10
	s_cbranch_execz .LBB220_95
; %bb.94:
	s_wait_dscnt 0x0
	v_bcnt_u32_b32 v16, v16, v78
	ds_store_b32 v80, v16 offset:64
.LBB220_95:
	s_wait_alu 0xfffe
	s_or_b32 exec_lo, exec_lo, s8
	v_cmp_ne_u16_e32 vcc_lo, 0x8000, v32
	; wave barrier
	s_wait_alu 0xfffd
	v_cndmask_b32_e32 v16, 0x7fff, v32, vcc_lo
	s_delay_alu instid0(VALU_DEP_1) | instskip(NEXT) | instid1(VALU_DEP_1)
	v_and_b32_e32 v16, 0xffff, v16
	v_and_b32_e32 v16, s9, v16
	s_delay_alu instid0(VALU_DEP_1)
	v_and_b32_e32 v17, 1, v16
	v_lshlrev_b32_e32 v18, 30, v16
	v_lshlrev_b32_e32 v19, 29, v16
	;; [unrolled: 1-line block ×4, first 2 shown]
	v_add_co_u32 v17, s8, v17, -1
	s_wait_alu 0xf1ff
	v_cndmask_b32_e64 v21, 0, 1, s8
	v_not_b32_e32 v35, v18
	v_cmp_gt_i32_e64 s8, 0, v18
	v_not_b32_e32 v18, v19
	v_lshlrev_b32_e32 v23, 26, v16
	v_cmp_ne_u32_e32 vcc_lo, 0, v21
	v_ashrrev_i32_e32 v35, 31, v35
	v_lshlrev_b32_e32 v34, 25, v16
	v_ashrrev_i32_e32 v18, 31, v18
	v_lshlrev_b32_e32 v21, 24, v16
	s_wait_alu 0xfffd
	v_xor_b32_e32 v17, vcc_lo, v17
	v_cmp_gt_i32_e32 vcc_lo, 0, v19
	v_not_b32_e32 v19, v20
	s_wait_alu 0xf1ff
	v_xor_b32_e32 v35, s8, v35
	v_cmp_gt_i32_e64 s8, 0, v20
	v_and_b32_e32 v17, exec_lo, v17
	v_not_b32_e32 v20, v22
	v_ashrrev_i32_e32 v19, 31, v19
	s_wait_alu 0xfffd
	v_xor_b32_e32 v18, vcc_lo, v18
	v_cmp_gt_i32_e32 vcc_lo, 0, v22
	v_and_b32_e32 v17, v17, v35
	v_not_b32_e32 v22, v23
	v_ashrrev_i32_e32 v20, 31, v20
	s_wait_alu 0xf1ff
	v_xor_b32_e32 v19, s8, v19
	v_cmp_gt_i32_e64 s8, 0, v23
	v_and_b32_e32 v17, v17, v18
	v_not_b32_e32 v18, v34
	v_ashrrev_i32_e32 v22, 31, v22
	s_wait_alu 0xfffd
	v_xor_b32_e32 v20, vcc_lo, v20
	v_cmp_gt_i32_e32 vcc_lo, 0, v34
	v_and_b32_e32 v17, v17, v19
	v_not_b32_e32 v19, v21
	v_ashrrev_i32_e32 v18, 31, v18
	s_wait_alu 0xf1ff
	v_xor_b32_e32 v22, s8, v22
	v_lshlrev_b32_e32 v16, 6, v16
	v_and_b32_e32 v17, v17, v20
	v_cmp_gt_i32_e64 s8, 0, v21
	v_ashrrev_i32_e32 v19, 31, v19
	s_wait_alu 0xfffd
	v_xor_b32_e32 v18, vcc_lo, v18
	v_add_nc_u32_e32 v83, v24, v16
	v_and_b32_e32 v17, v17, v22
	s_wait_alu 0xf1ff
	v_xor_b32_e32 v16, s8, v19
	ds_load_b32 v81, v83 offset:64
	v_and_b32_e32 v17, v17, v18
	; wave barrier
	s_delay_alu instid0(VALU_DEP_1) | instskip(NEXT) | instid1(VALU_DEP_1)
	v_and_b32_e32 v16, v17, v16
	v_mbcnt_lo_u32_b32 v82, v16, 0
	v_cmp_ne_u32_e64 s8, 0, v16
	s_delay_alu instid0(VALU_DEP_2)
	v_cmp_eq_u32_e32 vcc_lo, 0, v82
	s_and_b32 s10, s8, vcc_lo
	s_wait_alu 0xfffe
	s_and_saveexec_b32 s8, s10
	s_cbranch_execz .LBB220_97
; %bb.96:
	s_wait_dscnt 0x0
	v_bcnt_u32_b32 v16, v16, v81
	ds_store_b32 v83, v16 offset:64
.LBB220_97:
	s_wait_alu 0xfffe
	s_or_b32 exec_lo, exec_lo, s8
	v_cmp_ne_u16_e32 vcc_lo, 0x8000, v33
	; wave barrier
	s_wait_alu 0xfffd
	v_cndmask_b32_e32 v16, 0x7fff, v33, vcc_lo
	s_delay_alu instid0(VALU_DEP_1) | instskip(NEXT) | instid1(VALU_DEP_1)
	v_and_b32_e32 v16, 0xffff, v16
	v_and_b32_e32 v16, s9, v16
	s_delay_alu instid0(VALU_DEP_1)
	v_and_b32_e32 v17, 1, v16
	v_lshlrev_b32_e32 v18, 30, v16
	v_lshlrev_b32_e32 v19, 29, v16
	v_lshlrev_b32_e32 v20, 28, v16
	v_lshlrev_b32_e32 v22, 27, v16
	v_add_co_u32 v17, s8, v17, -1
	s_wait_alu 0xf1ff
	v_cndmask_b32_e64 v21, 0, 1, s8
	v_not_b32_e32 v35, v18
	v_cmp_gt_i32_e64 s8, 0, v18
	v_not_b32_e32 v18, v19
	v_lshlrev_b32_e32 v23, 26, v16
	v_cmp_ne_u32_e32 vcc_lo, 0, v21
	v_ashrrev_i32_e32 v35, 31, v35
	v_lshlrev_b32_e32 v34, 25, v16
	v_ashrrev_i32_e32 v18, 31, v18
	v_lshlrev_b32_e32 v21, 24, v16
	s_wait_alu 0xfffd
	v_xor_b32_e32 v17, vcc_lo, v17
	v_cmp_gt_i32_e32 vcc_lo, 0, v19
	v_not_b32_e32 v19, v20
	s_wait_alu 0xf1ff
	v_xor_b32_e32 v35, s8, v35
	v_cmp_gt_i32_e64 s8, 0, v20
	v_and_b32_e32 v17, exec_lo, v17
	v_not_b32_e32 v20, v22
	v_ashrrev_i32_e32 v19, 31, v19
	s_wait_alu 0xfffd
	v_xor_b32_e32 v18, vcc_lo, v18
	v_cmp_gt_i32_e32 vcc_lo, 0, v22
	v_and_b32_e32 v17, v17, v35
	v_not_b32_e32 v22, v23
	v_ashrrev_i32_e32 v20, 31, v20
	s_wait_alu 0xf1ff
	v_xor_b32_e32 v19, s8, v19
	v_cmp_gt_i32_e64 s8, 0, v23
	v_and_b32_e32 v17, v17, v18
	v_not_b32_e32 v18, v34
	v_ashrrev_i32_e32 v22, 31, v22
	s_wait_alu 0xfffd
	v_xor_b32_e32 v20, vcc_lo, v20
	v_cmp_gt_i32_e32 vcc_lo, 0, v34
	v_and_b32_e32 v17, v17, v19
	v_not_b32_e32 v19, v21
	v_ashrrev_i32_e32 v18, 31, v18
	s_wait_alu 0xf1ff
	v_xor_b32_e32 v22, s8, v22
	v_lshlrev_b32_e32 v16, 6, v16
	v_and_b32_e32 v17, v17, v20
	v_cmp_gt_i32_e64 s8, 0, v21
	v_ashrrev_i32_e32 v19, 31, v19
	s_wait_alu 0xfffd
	v_xor_b32_e32 v18, vcc_lo, v18
	v_add_nc_u32_e32 v86, v24, v16
	v_and_b32_e32 v17, v17, v22
	v_min_u32_e32 v34, 0x1e0, v70
	s_wait_alu 0xf1ff
	v_xor_b32_e32 v16, s8, v19
	ds_load_b32 v84, v86 offset:64
	v_and_b32_e32 v17, v17, v18
	; wave barrier
	s_delay_alu instid0(VALU_DEP_1) | instskip(NEXT) | instid1(VALU_DEP_1)
	v_and_b32_e32 v16, v17, v16
	v_mbcnt_lo_u32_b32 v85, v16, 0
	v_cmp_ne_u32_e64 s8, 0, v16
	s_delay_alu instid0(VALU_DEP_2)
	v_cmp_eq_u32_e32 vcc_lo, 0, v85
	s_and_b32 s9, s8, vcc_lo
	s_wait_alu 0xfffe
	s_and_saveexec_b32 s8, s9
	s_cbranch_execz .LBB220_99
; %bb.98:
	s_wait_dscnt 0x0
	v_bcnt_u32_b32 v16, v16, v84
	ds_store_b32 v86, v16 offset:64
.LBB220_99:
	s_wait_alu 0xfffe
	s_or_b32 exec_lo, exec_lo, s8
	; wave barrier
	s_wait_loadcnt_dscnt 0x0
	s_barrier_signal -1
	s_barrier_wait -1
	global_inv scope:SCOPE_SE
	ds_load_b128 v[20:23], v67 offset:64
	ds_load_b128 v[16:19], v67 offset:80
	v_and_b32_e32 v70, 16, v69
	v_or_b32_e32 v34, 31, v34
	s_delay_alu instid0(VALU_DEP_2) | instskip(NEXT) | instid1(VALU_DEP_2)
	v_cmp_eq_u32_e64 s15, 0, v70
	v_cmp_eq_u32_e64 s13, v46, v34
	s_wait_dscnt 0x1
	v_add_nc_u32_e32 v35, v21, v20
	s_delay_alu instid0(VALU_DEP_1) | instskip(SKIP_1) | instid1(VALU_DEP_1)
	v_add3_u32 v35, v35, v22, v23
	s_wait_dscnt 0x0
	v_add3_u32 v35, v35, v16, v17
	s_delay_alu instid0(VALU_DEP_1) | instskip(SKIP_1) | instid1(VALU_DEP_2)
	v_add3_u32 v19, v35, v18, v19
	v_and_b32_e32 v35, 15, v69
	v_mov_b32_dpp v37, v19 row_shr:1 row_mask:0xf bank_mask:0xf
	s_delay_alu instid0(VALU_DEP_2)
	v_cmp_eq_u32_e32 vcc_lo, 0, v35
	v_cmp_lt_u32_e64 s8, 1, v35
	v_cmp_lt_u32_e64 s9, 3, v35
	;; [unrolled: 1-line block ×3, first 2 shown]
	s_wait_alu 0xfffd
	v_cndmask_b32_e64 v37, v37, 0, vcc_lo
	s_delay_alu instid0(VALU_DEP_1) | instskip(NEXT) | instid1(VALU_DEP_1)
	v_add_nc_u32_e32 v19, v37, v19
	v_mov_b32_dpp v37, v19 row_shr:2 row_mask:0xf bank_mask:0xf
	s_wait_alu 0xf1ff
	s_delay_alu instid0(VALU_DEP_1) | instskip(NEXT) | instid1(VALU_DEP_1)
	v_cndmask_b32_e64 v37, 0, v37, s8
	v_add_nc_u32_e32 v19, v19, v37
	s_delay_alu instid0(VALU_DEP_1) | instskip(NEXT) | instid1(VALU_DEP_1)
	v_mov_b32_dpp v37, v19 row_shr:4 row_mask:0xf bank_mask:0xf
	v_cndmask_b32_e64 v37, 0, v37, s9
	s_delay_alu instid0(VALU_DEP_1) | instskip(NEXT) | instid1(VALU_DEP_1)
	v_add_nc_u32_e32 v19, v19, v37
	v_mov_b32_dpp v37, v19 row_shr:8 row_mask:0xf bank_mask:0xf
	s_delay_alu instid0(VALU_DEP_1) | instskip(NEXT) | instid1(VALU_DEP_1)
	v_cndmask_b32_e64 v35, 0, v37, s10
	v_add_nc_u32_e32 v37, v19, v35
	v_bfe_i32 v35, v69, 4, 1
	ds_swizzle_b32 v19, v37 offset:swizzle(BROADCAST,32,15)
	s_wait_dscnt 0x0
	v_and_b32_e32 v87, v35, v19
	v_mul_i32_i24_e32 v19, 0xffffffe4, v46
	v_lshlrev_b32_e32 v35, 2, v68
	s_delay_alu instid0(VALU_DEP_3)
	v_add_nc_u32_e32 v37, v37, v87
	s_and_saveexec_b32 s11, s13
; %bb.100:
	ds_store_b32 v35, v37
; %bb.101:
	s_wait_alu 0xfffe
	s_or_b32 exec_lo, exec_lo, s11
	v_cmp_gt_u32_e64 s12, 16, v46
	v_add_nc_u32_e32 v34, v67, v19
	s_wait_loadcnt_dscnt 0x0
	s_barrier_signal -1
	s_barrier_wait -1
	global_inv scope:SCOPE_SE
	s_and_saveexec_b32 s11, s12
	s_cbranch_execz .LBB220_103
; %bb.102:
	ds_load_b32 v19, v34
	s_wait_dscnt 0x0
	v_mov_b32_dpp v68, v19 row_shr:1 row_mask:0xf bank_mask:0xf
	s_delay_alu instid0(VALU_DEP_1) | instskip(NEXT) | instid1(VALU_DEP_1)
	v_cndmask_b32_e64 v68, v68, 0, vcc_lo
	v_add_nc_u32_e32 v19, v68, v19
	s_delay_alu instid0(VALU_DEP_1) | instskip(NEXT) | instid1(VALU_DEP_1)
	v_mov_b32_dpp v68, v19 row_shr:2 row_mask:0xf bank_mask:0xf
	v_cndmask_b32_e64 v68, 0, v68, s8
	s_delay_alu instid0(VALU_DEP_1) | instskip(NEXT) | instid1(VALU_DEP_1)
	v_add_nc_u32_e32 v19, v19, v68
	v_mov_b32_dpp v68, v19 row_shr:4 row_mask:0xf bank_mask:0xf
	s_delay_alu instid0(VALU_DEP_1) | instskip(NEXT) | instid1(VALU_DEP_1)
	v_cndmask_b32_e64 v68, 0, v68, s9
	v_add_nc_u32_e32 v19, v19, v68
	s_delay_alu instid0(VALU_DEP_1) | instskip(NEXT) | instid1(VALU_DEP_1)
	v_mov_b32_dpp v68, v19 row_shr:8 row_mask:0xf bank_mask:0xf
	v_cndmask_b32_e64 v68, 0, v68, s10
	s_delay_alu instid0(VALU_DEP_1)
	v_add_nc_u32_e32 v19, v19, v68
	ds_store_b32 v34, v19
.LBB220_103:
	s_wait_alu 0xfffe
	s_or_b32 exec_lo, exec_lo, s11
	v_mul_u32_u24_e32 v19, 6, v36
	v_sub_co_u32 v68, s11, v69, 1
	v_cmp_lt_u32_e64 s14, 31, v46
	v_add_nc_u32_e32 v36, -4, v35
	v_mov_b32_e32 v70, 0
	s_wait_loadcnt_dscnt 0x0
	s_barrier_signal -1
	s_barrier_wait -1
	global_inv scope:SCOPE_SE
	s_and_saveexec_b32 s16, s14
; %bb.104:
	ds_load_b32 v70, v36
; %bb.105:
	s_or_b32 exec_lo, exec_lo, s16
	v_cmp_gt_i32_e64 s16, 0, v68
	s_mov_b32 s20, 0
	s_min_u32 s17, s17, 8
	s_mov_b32 s21, s20
	s_mov_b32 s22, s20
	v_cndmask_b32_e64 v68, v68, v69, s16
	s_mov_b32 s23, s20
	s_wait_dscnt 0x0
	v_add_nc_u32_e32 v69, v70, v37
	v_cmp_eq_u32_e64 s16, 0, v46
	s_lshl_b32 s17, -1, s17
	v_lshlrev_b32_e32 v37, 2, v68
	s_wait_alu 0xfffe
	s_not_b32 s19, s17
	ds_bpermute_b32 v68, v37, v69
	s_wait_dscnt 0x0
	v_cndmask_b32_e64 v68, v68, v70, s11
	s_delay_alu instid0(VALU_DEP_1) | instskip(NEXT) | instid1(VALU_DEP_1)
	v_cndmask_b32_e64 v87, v68, 0, s16
	v_add_nc_u32_e32 v88, v87, v20
	s_delay_alu instid0(VALU_DEP_1) | instskip(NEXT) | instid1(VALU_DEP_1)
	v_add_nc_u32_e32 v89, v88, v21
	v_add_nc_u32_e32 v90, v89, v22
	s_delay_alu instid0(VALU_DEP_1) | instskip(NEXT) | instid1(VALU_DEP_1)
	v_add_nc_u32_e32 v20, v90, v23
	;; [unrolled: 3-line block ×3, first 2 shown]
	v_add_nc_u32_e32 v23, v22, v18
	ds_store_b128 v67, v[87:90] offset:64
	ds_store_b128 v67, v[20:23] offset:80
	s_wait_loadcnt_dscnt 0x0
	s_barrier_signal -1
	s_barrier_wait -1
	global_inv scope:SCOPE_SE
	ds_load_b32 v16, v39 offset:64
	ds_load_b32 v17, v48 offset:64
	;; [unrolled: 1-line block ×8, first 2 shown]
	v_add_nc_u32_e32 v48, v25, v19
	s_wait_loadcnt_dscnt 0x0
	s_barrier_signal -1
	s_barrier_wait -1
	global_inv scope:SCOPE_SE
	v_add_nc_u32_e32 v38, v16, v38
	v_add3_u32 v40, v47, v40, v17
	v_add3_u32 v47, v50, v49, v18
	;; [unrolled: 1-line block ×7, first 2 shown]
	v_lshlrev_b32_e32 v16, 1, v38
	v_lshlrev_b32_e32 v17, 1, v40
	;; [unrolled: 1-line block ×8, first 2 shown]
	ds_store_b16 v16, v26
	ds_store_b16 v17, v27
	;; [unrolled: 1-line block ×8, first 2 shown]
	s_wait_loadcnt_dscnt 0x0
	s_barrier_signal -1
	s_barrier_wait -1
	global_inv scope:SCOPE_SE
	ds_load_u16 v26, v25
	ds_load_u16 v27, v25 offset:64
	ds_load_u16 v28, v25 offset:128
	;; [unrolled: 1-line block ×7, first 2 shown]
	v_mad_co_u64_u32 v[38:39], null, v38, 6, v[16:17]
	v_mad_co_u64_u32 v[16:17], null, v40, 6, v[17:18]
	;; [unrolled: 1-line block ×3, first 2 shown]
	s_wait_loadcnt_dscnt 0x0
	s_barrier_signal -1
	s_barrier_wait -1
	global_inv scope:SCOPE_SE
	v_mad_co_u64_u32 v[18:19], null, v49, 6, v[19:20]
	v_lshrrev_b16 v33, 8, v26
	v_cmp_ne_u16_e64 s17, 0x8000, v26
	ds_store_b64 v38, v[8:9]
	v_mad_co_u64_u32 v[19:20], null, v50, 6, v[20:21]
	v_mad_co_u64_u32 v[20:21], null, v68, 6, v[21:22]
	s_wait_alu 0xf1ff
	v_cndmask_b32_e64 v33, 0x7f, v33, s17
	v_mad_co_u64_u32 v[21:22], null, v69, 6, v[22:23]
	v_mad_co_u64_u32 v[22:23], null, v70, 6, v[23:24]
	s_delay_alu instid0(VALU_DEP_3)
	v_and_b32_e32 v8, 0xffff, v33
	ds_store_b64 v16, v[10:11]
	ds_store_b64 v17, v[0:1]
	;; [unrolled: 1-line block ×7, first 2 shown]
	v_and_b32_e32 v23, s19, v8
	s_wait_loadcnt_dscnt 0x0
	s_barrier_signal -1
	s_barrier_wait -1
	global_inv scope:SCOPE_SE
	v_and_b32_e32 v0, 1, v23
	v_lshlrev_b32_e32 v1, 30, v23
	v_lshlrev_b32_e32 v2, 29, v23
	;; [unrolled: 1-line block ×4, first 2 shown]
	v_add_co_u32 v0, s17, v0, -1
	s_wait_alu 0xf1ff
	v_cndmask_b32_e64 v4, 0, 1, s17
	v_not_b32_e32 v8, v1
	v_cmp_gt_i32_e64 s18, 0, v1
	v_not_b32_e32 v1, v2
	v_lshlrev_b32_e32 v6, 26, v23
	v_cmp_ne_u32_e64 s17, 0, v4
	v_ashrrev_i32_e32 v8, 31, v8
	v_lshlrev_b32_e32 v7, 25, v23
	v_ashrrev_i32_e32 v1, 31, v1
	v_lshlrev_b32_e32 v4, 24, v23
	s_wait_alu 0xf1ff
	v_xor_b32_e32 v0, s17, v0
	v_cmp_gt_i32_e64 s17, 0, v2
	v_not_b32_e32 v2, v3
	v_xor_b32_e32 v8, s18, v8
	v_cmp_gt_i32_e64 s18, 0, v3
	v_and_b32_e32 v0, exec_lo, v0
	v_not_b32_e32 v3, v5
	v_ashrrev_i32_e32 v2, 31, v2
	s_wait_alu 0xf1ff
	v_xor_b32_e32 v1, s17, v1
	v_cmp_gt_i32_e64 s17, 0, v5
	v_and_b32_e32 v0, v0, v8
	v_not_b32_e32 v5, v6
	v_ashrrev_i32_e32 v3, 31, v3
	v_xor_b32_e32 v2, s18, v2
	v_cmp_gt_i32_e64 s18, 0, v6
	v_and_b32_e32 v0, v0, v1
	v_not_b32_e32 v1, v7
	v_ashrrev_i32_e32 v5, 31, v5
	s_wait_alu 0xf1ff
	v_xor_b32_e32 v3, s17, v3
	v_cmp_gt_i32_e64 s17, 0, v7
	v_and_b32_e32 v0, v0, v2
	v_not_b32_e32 v2, v4
	v_ashrrev_i32_e32 v1, 31, v1
	v_xor_b32_e32 v5, s18, v5
	v_cmp_gt_i32_e64 s18, 0, v4
	v_and_b32_e32 v0, v0, v3
	v_ashrrev_i32_e32 v2, 31, v2
	s_wait_alu 0xf1ff
	v_xor_b32_e32 v1, s17, v1
	v_dual_mov_b32 v17, s20 :: v_dual_mov_b32 v18, s21
	v_and_b32_e32 v0, v0, v5
	v_xor_b32_e32 v16, s18, v2
	ds_load_2addr_b64 v[4:7], v48 offset1:32
	v_dual_mov_b32 v19, s22 :: v_dual_mov_b32 v20, s23
	v_and_b32_e32 v21, v0, v1
	ds_load_2addr_b64 v[12:15], v48 offset0:64 offset1:96
	ds_load_2addr_b64 v[8:11], v48 offset0:128 offset1:160
	;; [unrolled: 1-line block ×3, first 2 shown]
	v_lshl_add_u32 v38, v23, 6, v24
	s_wait_loadcnt_dscnt 0x0
	s_barrier_signal -1
	v_and_b32_e32 v16, v21, v16
	s_barrier_wait -1
	global_inv scope:SCOPE_SE
	ds_store_b128 v67, v[17:20] offset:64
	ds_store_b128 v67, v[17:20] offset:80
	s_wait_loadcnt_dscnt 0x0
	v_mbcnt_lo_u32_b32 v33, v16, 0
	v_cmp_ne_u32_e64 s18, 0, v16
	s_barrier_signal -1
	s_barrier_wait -1
	global_inv scope:SCOPE_SE
	v_cmp_eq_u32_e64 s17, 0, v33
	; wave barrier
	s_and_b32 s18, s18, s17
	s_wait_alu 0xfffe
	s_and_saveexec_b32 s17, s18
; %bb.106:
	v_bcnt_u32_b32 v16, v16, 0
	ds_store_b32 v38, v16 offset:64
; %bb.107:
	s_wait_alu 0xfffe
	s_or_b32 exec_lo, exec_lo, s17
	v_lshrrev_b16 v16, 8, v27
	v_cmp_ne_u16_e64 s17, 0x8000, v27
	; wave barrier
	s_wait_alu 0xf1ff
	s_delay_alu instid0(VALU_DEP_1) | instskip(NEXT) | instid1(VALU_DEP_1)
	v_cndmask_b32_e64 v16, 0x7f, v16, s17
	v_and_b32_e32 v16, s19, v16
	s_delay_alu instid0(VALU_DEP_1)
	v_and_b32_e32 v17, 1, v16
	v_lshlrev_b32_e32 v18, 30, v16
	v_lshlrev_b32_e32 v19, 29, v16
	;; [unrolled: 1-line block ×4, first 2 shown]
	v_add_co_u32 v17, s17, v17, -1
	s_wait_alu 0xf1ff
	v_cndmask_b32_e64 v21, 0, 1, s17
	v_not_b32_e32 v40, v18
	v_cmp_gt_i32_e64 s18, 0, v18
	v_not_b32_e32 v18, v19
	v_lshlrev_b32_e32 v23, 26, v16
	v_cmp_ne_u32_e64 s17, 0, v21
	v_ashrrev_i32_e32 v40, 31, v40
	v_lshlrev_b32_e32 v39, 25, v16
	v_ashrrev_i32_e32 v18, 31, v18
	v_lshlrev_b32_e32 v21, 24, v16
	s_wait_alu 0xf1ff
	v_xor_b32_e32 v17, s17, v17
	v_cmp_gt_i32_e64 s17, 0, v19
	v_not_b32_e32 v19, v20
	v_xor_b32_e32 v40, s18, v40
	v_cmp_gt_i32_e64 s18, 0, v20
	v_and_b32_e32 v17, exec_lo, v17
	v_not_b32_e32 v20, v22
	v_ashrrev_i32_e32 v19, 31, v19
	s_wait_alu 0xf1ff
	v_xor_b32_e32 v18, s17, v18
	v_cmp_gt_i32_e64 s17, 0, v22
	v_and_b32_e32 v17, v17, v40
	v_not_b32_e32 v22, v23
	v_ashrrev_i32_e32 v20, 31, v20
	v_xor_b32_e32 v19, s18, v19
	v_cmp_gt_i32_e64 s18, 0, v23
	v_and_b32_e32 v17, v17, v18
	v_not_b32_e32 v18, v39
	v_ashrrev_i32_e32 v22, 31, v22
	s_wait_alu 0xf1ff
	v_xor_b32_e32 v20, s17, v20
	v_cmp_gt_i32_e64 s17, 0, v39
	v_and_b32_e32 v17, v17, v19
	v_not_b32_e32 v19, v21
	v_ashrrev_i32_e32 v18, 31, v18
	v_xor_b32_e32 v22, s18, v22
	v_cmp_gt_i32_e64 s18, 0, v21
	v_and_b32_e32 v17, v17, v20
	v_ashrrev_i32_e32 v19, 31, v19
	s_wait_alu 0xf1ff
	v_xor_b32_e32 v18, s17, v18
	v_lshl_add_u32 v47, v16, 6, v24
	v_and_b32_e32 v17, v17, v22
	v_xor_b32_e32 v16, s18, v19
	ds_load_b32 v39, v47 offset:64
	v_and_b32_e32 v17, v17, v18
	; wave barrier
	s_delay_alu instid0(VALU_DEP_1) | instskip(NEXT) | instid1(VALU_DEP_1)
	v_and_b32_e32 v16, v17, v16
	v_mbcnt_lo_u32_b32 v40, v16, 0
	v_cmp_ne_u32_e64 s18, 0, v16
	s_delay_alu instid0(VALU_DEP_2)
	v_cmp_eq_u32_e64 s17, 0, v40
	s_and_b32 s18, s18, s17
	s_wait_alu 0xfffe
	s_and_saveexec_b32 s17, s18
	s_cbranch_execz .LBB220_109
; %bb.108:
	s_wait_dscnt 0x0
	v_bcnt_u32_b32 v16, v16, v39
	ds_store_b32 v47, v16 offset:64
.LBB220_109:
	s_wait_alu 0xfffe
	s_or_b32 exec_lo, exec_lo, s17
	v_lshrrev_b16 v16, 8, v28
	v_cmp_ne_u16_e64 s17, 0x8000, v28
	; wave barrier
	s_wait_alu 0xf1ff
	s_delay_alu instid0(VALU_DEP_1) | instskip(NEXT) | instid1(VALU_DEP_1)
	v_cndmask_b32_e64 v16, 0x7f, v16, s17
	v_and_b32_e32 v16, s19, v16
	s_delay_alu instid0(VALU_DEP_1)
	v_and_b32_e32 v17, 1, v16
	v_lshlrev_b32_e32 v18, 30, v16
	v_lshlrev_b32_e32 v19, 29, v16
	v_lshlrev_b32_e32 v20, 28, v16
	v_lshlrev_b32_e32 v22, 27, v16
	v_add_co_u32 v17, s17, v17, -1
	s_wait_alu 0xf1ff
	v_cndmask_b32_e64 v21, 0, 1, s17
	v_not_b32_e32 v49, v18
	v_cmp_gt_i32_e64 s18, 0, v18
	v_not_b32_e32 v18, v19
	v_lshlrev_b32_e32 v23, 26, v16
	v_cmp_ne_u32_e64 s17, 0, v21
	v_ashrrev_i32_e32 v49, 31, v49
	v_lshlrev_b32_e32 v48, 25, v16
	v_ashrrev_i32_e32 v18, 31, v18
	v_lshlrev_b32_e32 v21, 24, v16
	s_wait_alu 0xf1ff
	v_xor_b32_e32 v17, s17, v17
	v_cmp_gt_i32_e64 s17, 0, v19
	v_not_b32_e32 v19, v20
	v_xor_b32_e32 v49, s18, v49
	v_cmp_gt_i32_e64 s18, 0, v20
	v_and_b32_e32 v17, exec_lo, v17
	v_not_b32_e32 v20, v22
	v_ashrrev_i32_e32 v19, 31, v19
	s_wait_alu 0xf1ff
	v_xor_b32_e32 v18, s17, v18
	v_cmp_gt_i32_e64 s17, 0, v22
	v_and_b32_e32 v17, v17, v49
	v_not_b32_e32 v22, v23
	v_ashrrev_i32_e32 v20, 31, v20
	v_xor_b32_e32 v19, s18, v19
	v_cmp_gt_i32_e64 s18, 0, v23
	v_and_b32_e32 v17, v17, v18
	v_not_b32_e32 v18, v48
	v_ashrrev_i32_e32 v22, 31, v22
	s_wait_alu 0xf1ff
	v_xor_b32_e32 v20, s17, v20
	v_cmp_gt_i32_e64 s17, 0, v48
	v_and_b32_e32 v17, v17, v19
	v_not_b32_e32 v19, v21
	v_ashrrev_i32_e32 v18, 31, v18
	v_xor_b32_e32 v22, s18, v22
	v_cmp_gt_i32_e64 s18, 0, v21
	v_and_b32_e32 v17, v17, v20
	v_ashrrev_i32_e32 v19, 31, v19
	s_wait_alu 0xf1ff
	v_xor_b32_e32 v18, s17, v18
	v_lshl_add_u32 v50, v16, 6, v24
	v_and_b32_e32 v17, v17, v22
	v_xor_b32_e32 v16, s18, v19
	ds_load_b32 v48, v50 offset:64
	v_and_b32_e32 v17, v17, v18
	; wave barrier
	s_delay_alu instid0(VALU_DEP_1) | instskip(NEXT) | instid1(VALU_DEP_1)
	v_and_b32_e32 v16, v17, v16
	v_mbcnt_lo_u32_b32 v49, v16, 0
	v_cmp_ne_u32_e64 s18, 0, v16
	s_delay_alu instid0(VALU_DEP_2)
	v_cmp_eq_u32_e64 s17, 0, v49
	s_and_b32 s18, s18, s17
	s_wait_alu 0xfffe
	s_and_saveexec_b32 s17, s18
	s_cbranch_execz .LBB220_111
; %bb.110:
	s_wait_dscnt 0x0
	v_bcnt_u32_b32 v16, v16, v48
	ds_store_b32 v50, v16 offset:64
.LBB220_111:
	s_wait_alu 0xfffe
	s_or_b32 exec_lo, exec_lo, s17
	v_lshrrev_b16 v16, 8, v29
	v_cmp_ne_u16_e64 s17, 0x8000, v29
	; wave barrier
	s_wait_alu 0xf1ff
	s_delay_alu instid0(VALU_DEP_1) | instskip(NEXT) | instid1(VALU_DEP_1)
	v_cndmask_b32_e64 v16, 0x7f, v16, s17
	v_and_b32_e32 v16, s19, v16
	s_delay_alu instid0(VALU_DEP_1)
	v_and_b32_e32 v17, 1, v16
	v_lshlrev_b32_e32 v18, 30, v16
	v_lshlrev_b32_e32 v19, 29, v16
	;; [unrolled: 1-line block ×4, first 2 shown]
	v_add_co_u32 v17, s17, v17, -1
	s_wait_alu 0xf1ff
	v_cndmask_b32_e64 v21, 0, 1, s17
	v_not_b32_e32 v69, v18
	v_cmp_gt_i32_e64 s18, 0, v18
	v_not_b32_e32 v18, v19
	v_lshlrev_b32_e32 v23, 26, v16
	v_cmp_ne_u32_e64 s17, 0, v21
	v_ashrrev_i32_e32 v69, 31, v69
	v_lshlrev_b32_e32 v68, 25, v16
	v_ashrrev_i32_e32 v18, 31, v18
	v_lshlrev_b32_e32 v21, 24, v16
	s_wait_alu 0xf1ff
	v_xor_b32_e32 v17, s17, v17
	v_cmp_gt_i32_e64 s17, 0, v19
	v_not_b32_e32 v19, v20
	v_xor_b32_e32 v69, s18, v69
	v_cmp_gt_i32_e64 s18, 0, v20
	v_and_b32_e32 v17, exec_lo, v17
	v_not_b32_e32 v20, v22
	v_ashrrev_i32_e32 v19, 31, v19
	s_wait_alu 0xf1ff
	v_xor_b32_e32 v18, s17, v18
	v_cmp_gt_i32_e64 s17, 0, v22
	v_and_b32_e32 v17, v17, v69
	v_not_b32_e32 v22, v23
	v_ashrrev_i32_e32 v20, 31, v20
	v_xor_b32_e32 v19, s18, v19
	v_cmp_gt_i32_e64 s18, 0, v23
	v_and_b32_e32 v17, v17, v18
	v_not_b32_e32 v18, v68
	v_ashrrev_i32_e32 v22, 31, v22
	s_wait_alu 0xf1ff
	v_xor_b32_e32 v20, s17, v20
	v_cmp_gt_i32_e64 s17, 0, v68
	v_and_b32_e32 v17, v17, v19
	v_not_b32_e32 v19, v21
	v_ashrrev_i32_e32 v18, 31, v18
	v_xor_b32_e32 v22, s18, v22
	v_cmp_gt_i32_e64 s18, 0, v21
	v_and_b32_e32 v17, v17, v20
	v_ashrrev_i32_e32 v19, 31, v19
	s_wait_alu 0xf1ff
	v_xor_b32_e32 v18, s17, v18
	v_lshl_add_u32 v70, v16, 6, v24
	v_and_b32_e32 v17, v17, v22
	v_xor_b32_e32 v16, s18, v19
	ds_load_b32 v68, v70 offset:64
	v_and_b32_e32 v17, v17, v18
	; wave barrier
	s_delay_alu instid0(VALU_DEP_1) | instskip(NEXT) | instid1(VALU_DEP_1)
	v_and_b32_e32 v16, v17, v16
	v_mbcnt_lo_u32_b32 v69, v16, 0
	v_cmp_ne_u32_e64 s18, 0, v16
	s_delay_alu instid0(VALU_DEP_2)
	v_cmp_eq_u32_e64 s17, 0, v69
	s_and_b32 s18, s18, s17
	s_wait_alu 0xfffe
	s_and_saveexec_b32 s17, s18
	s_cbranch_execz .LBB220_113
; %bb.112:
	s_wait_dscnt 0x0
	v_bcnt_u32_b32 v16, v16, v68
	ds_store_b32 v70, v16 offset:64
.LBB220_113:
	s_wait_alu 0xfffe
	s_or_b32 exec_lo, exec_lo, s17
	v_lshrrev_b16 v16, 8, v30
	v_cmp_ne_u16_e64 s17, 0x8000, v30
	; wave barrier
	s_wait_alu 0xf1ff
	s_delay_alu instid0(VALU_DEP_1) | instskip(NEXT) | instid1(VALU_DEP_1)
	v_cndmask_b32_e64 v16, 0x7f, v16, s17
	v_and_b32_e32 v16, s19, v16
	s_delay_alu instid0(VALU_DEP_1)
	v_and_b32_e32 v17, 1, v16
	v_lshlrev_b32_e32 v18, 30, v16
	v_lshlrev_b32_e32 v19, 29, v16
	;; [unrolled: 1-line block ×4, first 2 shown]
	v_add_co_u32 v17, s17, v17, -1
	s_wait_alu 0xf1ff
	v_cndmask_b32_e64 v21, 0, 1, s17
	v_not_b32_e32 v72, v18
	v_cmp_gt_i32_e64 s18, 0, v18
	v_not_b32_e32 v18, v19
	v_lshlrev_b32_e32 v23, 26, v16
	v_cmp_ne_u32_e64 s17, 0, v21
	v_ashrrev_i32_e32 v72, 31, v72
	v_lshlrev_b32_e32 v71, 25, v16
	v_ashrrev_i32_e32 v18, 31, v18
	v_lshlrev_b32_e32 v21, 24, v16
	s_wait_alu 0xf1ff
	v_xor_b32_e32 v17, s17, v17
	v_cmp_gt_i32_e64 s17, 0, v19
	v_not_b32_e32 v19, v20
	v_xor_b32_e32 v72, s18, v72
	v_cmp_gt_i32_e64 s18, 0, v20
	v_and_b32_e32 v17, exec_lo, v17
	v_not_b32_e32 v20, v22
	v_ashrrev_i32_e32 v19, 31, v19
	s_wait_alu 0xf1ff
	v_xor_b32_e32 v18, s17, v18
	v_cmp_gt_i32_e64 s17, 0, v22
	v_and_b32_e32 v17, v17, v72
	v_not_b32_e32 v22, v23
	v_ashrrev_i32_e32 v20, 31, v20
	v_xor_b32_e32 v19, s18, v19
	v_cmp_gt_i32_e64 s18, 0, v23
	v_and_b32_e32 v17, v17, v18
	v_not_b32_e32 v18, v71
	v_ashrrev_i32_e32 v22, 31, v22
	s_wait_alu 0xf1ff
	v_xor_b32_e32 v20, s17, v20
	v_cmp_gt_i32_e64 s17, 0, v71
	v_and_b32_e32 v17, v17, v19
	v_not_b32_e32 v19, v21
	v_ashrrev_i32_e32 v18, 31, v18
	v_xor_b32_e32 v22, s18, v22
	v_cmp_gt_i32_e64 s18, 0, v21
	v_and_b32_e32 v17, v17, v20
	v_ashrrev_i32_e32 v19, 31, v19
	s_wait_alu 0xf1ff
	v_xor_b32_e32 v18, s17, v18
	v_lshl_add_u32 v73, v16, 6, v24
	v_and_b32_e32 v17, v17, v22
	v_xor_b32_e32 v16, s18, v19
	ds_load_b32 v71, v73 offset:64
	v_and_b32_e32 v17, v17, v18
	; wave barrier
	s_delay_alu instid0(VALU_DEP_1) | instskip(NEXT) | instid1(VALU_DEP_1)
	v_and_b32_e32 v16, v17, v16
	v_mbcnt_lo_u32_b32 v72, v16, 0
	v_cmp_ne_u32_e64 s18, 0, v16
	s_delay_alu instid0(VALU_DEP_2)
	v_cmp_eq_u32_e64 s17, 0, v72
	s_and_b32 s18, s18, s17
	s_wait_alu 0xfffe
	s_and_saveexec_b32 s17, s18
	s_cbranch_execz .LBB220_115
; %bb.114:
	s_wait_dscnt 0x0
	v_bcnt_u32_b32 v16, v16, v71
	ds_store_b32 v73, v16 offset:64
.LBB220_115:
	s_wait_alu 0xfffe
	s_or_b32 exec_lo, exec_lo, s17
	v_lshrrev_b16 v16, 8, v31
	v_cmp_ne_u16_e64 s17, 0x8000, v31
	; wave barrier
	s_wait_alu 0xf1ff
	s_delay_alu instid0(VALU_DEP_1) | instskip(NEXT) | instid1(VALU_DEP_1)
	v_cndmask_b32_e64 v16, 0x7f, v16, s17
	v_and_b32_e32 v16, s19, v16
	s_delay_alu instid0(VALU_DEP_1)
	v_and_b32_e32 v17, 1, v16
	v_lshlrev_b32_e32 v18, 30, v16
	v_lshlrev_b32_e32 v19, 29, v16
	;; [unrolled: 1-line block ×4, first 2 shown]
	v_add_co_u32 v17, s17, v17, -1
	s_wait_alu 0xf1ff
	v_cndmask_b32_e64 v21, 0, 1, s17
	v_not_b32_e32 v75, v18
	v_cmp_gt_i32_e64 s18, 0, v18
	v_not_b32_e32 v18, v19
	v_lshlrev_b32_e32 v23, 26, v16
	v_cmp_ne_u32_e64 s17, 0, v21
	v_ashrrev_i32_e32 v75, 31, v75
	v_lshlrev_b32_e32 v74, 25, v16
	v_ashrrev_i32_e32 v18, 31, v18
	v_lshlrev_b32_e32 v21, 24, v16
	s_wait_alu 0xf1ff
	v_xor_b32_e32 v17, s17, v17
	v_cmp_gt_i32_e64 s17, 0, v19
	v_not_b32_e32 v19, v20
	v_xor_b32_e32 v75, s18, v75
	v_cmp_gt_i32_e64 s18, 0, v20
	v_and_b32_e32 v17, exec_lo, v17
	v_not_b32_e32 v20, v22
	v_ashrrev_i32_e32 v19, 31, v19
	s_wait_alu 0xf1ff
	v_xor_b32_e32 v18, s17, v18
	v_cmp_gt_i32_e64 s17, 0, v22
	v_and_b32_e32 v17, v17, v75
	v_not_b32_e32 v22, v23
	v_ashrrev_i32_e32 v20, 31, v20
	v_xor_b32_e32 v19, s18, v19
	v_cmp_gt_i32_e64 s18, 0, v23
	v_and_b32_e32 v17, v17, v18
	v_not_b32_e32 v18, v74
	v_ashrrev_i32_e32 v22, 31, v22
	s_wait_alu 0xf1ff
	v_xor_b32_e32 v20, s17, v20
	v_cmp_gt_i32_e64 s17, 0, v74
	v_and_b32_e32 v17, v17, v19
	v_not_b32_e32 v19, v21
	v_ashrrev_i32_e32 v18, 31, v18
	v_xor_b32_e32 v22, s18, v22
	v_cmp_gt_i32_e64 s18, 0, v21
	v_and_b32_e32 v17, v17, v20
	v_ashrrev_i32_e32 v19, 31, v19
	s_wait_alu 0xf1ff
	v_xor_b32_e32 v18, s17, v18
	v_lshl_add_u32 v76, v16, 6, v24
	v_and_b32_e32 v17, v17, v22
	v_xor_b32_e32 v16, s18, v19
	ds_load_b32 v74, v76 offset:64
	v_and_b32_e32 v17, v17, v18
	; wave barrier
	s_delay_alu instid0(VALU_DEP_1) | instskip(NEXT) | instid1(VALU_DEP_1)
	v_and_b32_e32 v16, v17, v16
	v_mbcnt_lo_u32_b32 v75, v16, 0
	v_cmp_ne_u32_e64 s18, 0, v16
	s_delay_alu instid0(VALU_DEP_2)
	v_cmp_eq_u32_e64 s17, 0, v75
	s_and_b32 s18, s18, s17
	s_wait_alu 0xfffe
	s_and_saveexec_b32 s17, s18
	s_cbranch_execz .LBB220_117
; %bb.116:
	s_wait_dscnt 0x0
	v_bcnt_u32_b32 v16, v16, v74
	ds_store_b32 v76, v16 offset:64
.LBB220_117:
	s_wait_alu 0xfffe
	s_or_b32 exec_lo, exec_lo, s17
	v_lshrrev_b16 v16, 8, v32
	v_cmp_ne_u16_e64 s17, 0x8000, v32
	; wave barrier
	s_wait_alu 0xf1ff
	s_delay_alu instid0(VALU_DEP_1) | instskip(NEXT) | instid1(VALU_DEP_1)
	v_cndmask_b32_e64 v16, 0x7f, v16, s17
	v_and_b32_e32 v16, s19, v16
	s_delay_alu instid0(VALU_DEP_1)
	v_and_b32_e32 v17, 1, v16
	v_lshlrev_b32_e32 v18, 30, v16
	v_lshlrev_b32_e32 v19, 29, v16
	;; [unrolled: 1-line block ×4, first 2 shown]
	v_add_co_u32 v17, s17, v17, -1
	s_wait_alu 0xf1ff
	v_cndmask_b32_e64 v21, 0, 1, s17
	v_not_b32_e32 v78, v18
	v_cmp_gt_i32_e64 s18, 0, v18
	v_not_b32_e32 v18, v19
	v_lshlrev_b32_e32 v23, 26, v16
	v_cmp_ne_u32_e64 s17, 0, v21
	v_ashrrev_i32_e32 v78, 31, v78
	v_lshlrev_b32_e32 v77, 25, v16
	v_ashrrev_i32_e32 v18, 31, v18
	v_lshlrev_b32_e32 v21, 24, v16
	s_wait_alu 0xf1ff
	v_xor_b32_e32 v17, s17, v17
	v_cmp_gt_i32_e64 s17, 0, v19
	v_not_b32_e32 v19, v20
	v_xor_b32_e32 v78, s18, v78
	v_cmp_gt_i32_e64 s18, 0, v20
	v_and_b32_e32 v17, exec_lo, v17
	v_not_b32_e32 v20, v22
	v_ashrrev_i32_e32 v19, 31, v19
	s_wait_alu 0xf1ff
	v_xor_b32_e32 v18, s17, v18
	v_cmp_gt_i32_e64 s17, 0, v22
	v_and_b32_e32 v17, v17, v78
	v_not_b32_e32 v22, v23
	v_ashrrev_i32_e32 v20, 31, v20
	v_xor_b32_e32 v19, s18, v19
	v_cmp_gt_i32_e64 s18, 0, v23
	v_and_b32_e32 v17, v17, v18
	v_not_b32_e32 v18, v77
	v_ashrrev_i32_e32 v22, 31, v22
	s_wait_alu 0xf1ff
	v_xor_b32_e32 v20, s17, v20
	v_cmp_gt_i32_e64 s17, 0, v77
	v_and_b32_e32 v17, v17, v19
	v_not_b32_e32 v19, v21
	v_ashrrev_i32_e32 v18, 31, v18
	v_xor_b32_e32 v22, s18, v22
	v_cmp_gt_i32_e64 s18, 0, v21
	v_and_b32_e32 v17, v17, v20
	v_ashrrev_i32_e32 v19, 31, v19
	s_wait_alu 0xf1ff
	v_xor_b32_e32 v18, s17, v18
	v_lshl_add_u32 v79, v16, 6, v24
	v_and_b32_e32 v17, v17, v22
	v_xor_b32_e32 v16, s18, v19
	ds_load_b32 v77, v79 offset:64
	v_and_b32_e32 v17, v17, v18
	; wave barrier
	s_delay_alu instid0(VALU_DEP_1) | instskip(NEXT) | instid1(VALU_DEP_1)
	v_and_b32_e32 v16, v17, v16
	v_mbcnt_lo_u32_b32 v78, v16, 0
	v_cmp_ne_u32_e64 s18, 0, v16
	s_delay_alu instid0(VALU_DEP_2)
	v_cmp_eq_u32_e64 s17, 0, v78
	s_and_b32 s18, s18, s17
	s_wait_alu 0xfffe
	s_and_saveexec_b32 s17, s18
	s_cbranch_execz .LBB220_119
; %bb.118:
	s_wait_dscnt 0x0
	v_bcnt_u32_b32 v16, v16, v77
	ds_store_b32 v79, v16 offset:64
.LBB220_119:
	s_wait_alu 0xfffe
	s_or_b32 exec_lo, exec_lo, s17
	v_lshrrev_b16 v16, 8, v25
	v_cmp_ne_u16_e64 s17, 0x8000, v25
	; wave barrier
	s_wait_alu 0xf1ff
	s_delay_alu instid0(VALU_DEP_1) | instskip(NEXT) | instid1(VALU_DEP_1)
	v_cndmask_b32_e64 v16, 0x7f, v16, s17
	v_and_b32_e32 v16, s19, v16
	s_delay_alu instid0(VALU_DEP_1)
	v_and_b32_e32 v17, 1, v16
	v_lshlrev_b32_e32 v18, 30, v16
	v_lshlrev_b32_e32 v19, 29, v16
	;; [unrolled: 1-line block ×4, first 2 shown]
	v_add_co_u32 v17, s17, v17, -1
	s_wait_alu 0xf1ff
	v_cndmask_b32_e64 v21, 0, 1, s17
	v_not_b32_e32 v81, v18
	v_cmp_gt_i32_e64 s18, 0, v18
	v_not_b32_e32 v18, v19
	v_lshlrev_b32_e32 v23, 26, v16
	v_cmp_ne_u32_e64 s17, 0, v21
	v_ashrrev_i32_e32 v81, 31, v81
	v_lshlrev_b32_e32 v80, 25, v16
	v_ashrrev_i32_e32 v18, 31, v18
	v_lshlrev_b32_e32 v21, 24, v16
	s_wait_alu 0xf1ff
	v_xor_b32_e32 v17, s17, v17
	v_cmp_gt_i32_e64 s17, 0, v19
	v_not_b32_e32 v19, v20
	v_xor_b32_e32 v81, s18, v81
	v_cmp_gt_i32_e64 s18, 0, v20
	v_and_b32_e32 v17, exec_lo, v17
	v_not_b32_e32 v20, v22
	v_ashrrev_i32_e32 v19, 31, v19
	s_wait_alu 0xf1ff
	v_xor_b32_e32 v18, s17, v18
	v_cmp_gt_i32_e64 s17, 0, v22
	v_and_b32_e32 v17, v17, v81
	v_not_b32_e32 v22, v23
	v_ashrrev_i32_e32 v20, 31, v20
	v_xor_b32_e32 v19, s18, v19
	v_cmp_gt_i32_e64 s18, 0, v23
	v_and_b32_e32 v17, v17, v18
	v_not_b32_e32 v18, v80
	v_ashrrev_i32_e32 v22, 31, v22
	s_wait_alu 0xf1ff
	v_xor_b32_e32 v20, s17, v20
	v_cmp_gt_i32_e64 s17, 0, v80
	v_and_b32_e32 v17, v17, v19
	v_not_b32_e32 v19, v21
	v_ashrrev_i32_e32 v18, 31, v18
	v_xor_b32_e32 v22, s18, v22
	v_cmp_gt_i32_e64 s18, 0, v21
	v_and_b32_e32 v17, v17, v20
	v_ashrrev_i32_e32 v19, 31, v19
	s_wait_alu 0xf1ff
	v_xor_b32_e32 v18, s17, v18
	v_lshl_add_u32 v81, v16, 6, v24
	v_and_b32_e32 v17, v17, v22
	v_xor_b32_e32 v16, s18, v19
	ds_load_b32 v24, v81 offset:64
	v_and_b32_e32 v17, v17, v18
	; wave barrier
	s_delay_alu instid0(VALU_DEP_1) | instskip(NEXT) | instid1(VALU_DEP_1)
	v_and_b32_e32 v16, v17, v16
	v_mbcnt_lo_u32_b32 v80, v16, 0
	v_cmp_ne_u32_e64 s18, 0, v16
	s_delay_alu instid0(VALU_DEP_2)
	v_cmp_eq_u32_e64 s17, 0, v80
	s_and_b32 s18, s18, s17
	s_wait_alu 0xfffe
	s_and_saveexec_b32 s17, s18
	s_cbranch_execz .LBB220_121
; %bb.120:
	s_wait_dscnt 0x0
	v_bcnt_u32_b32 v16, v16, v24
	ds_store_b32 v81, v16 offset:64
.LBB220_121:
	s_wait_alu 0xfffe
	s_or_b32 exec_lo, exec_lo, s17
	; wave barrier
	s_wait_loadcnt_dscnt 0x0
	s_barrier_signal -1
	s_barrier_wait -1
	global_inv scope:SCOPE_SE
	ds_load_b128 v[20:23], v67 offset:64
	ds_load_b128 v[16:19], v67 offset:80
	s_wait_dscnt 0x1
	v_add_nc_u32_e32 v82, v21, v20
	s_delay_alu instid0(VALU_DEP_1) | instskip(SKIP_1) | instid1(VALU_DEP_1)
	v_add3_u32 v82, v82, v22, v23
	s_wait_dscnt 0x0
	v_add3_u32 v82, v82, v16, v17
	s_delay_alu instid0(VALU_DEP_1) | instskip(NEXT) | instid1(VALU_DEP_1)
	v_add3_u32 v19, v82, v18, v19
	v_mov_b32_dpp v82, v19 row_shr:1 row_mask:0xf bank_mask:0xf
	s_delay_alu instid0(VALU_DEP_1) | instskip(NEXT) | instid1(VALU_DEP_1)
	v_cndmask_b32_e64 v82, v82, 0, vcc_lo
	v_add_nc_u32_e32 v19, v82, v19
	s_delay_alu instid0(VALU_DEP_1) | instskip(NEXT) | instid1(VALU_DEP_1)
	v_mov_b32_dpp v82, v19 row_shr:2 row_mask:0xf bank_mask:0xf
	v_cndmask_b32_e64 v82, 0, v82, s8
	s_delay_alu instid0(VALU_DEP_1) | instskip(NEXT) | instid1(VALU_DEP_1)
	v_add_nc_u32_e32 v19, v19, v82
	v_mov_b32_dpp v82, v19 row_shr:4 row_mask:0xf bank_mask:0xf
	s_delay_alu instid0(VALU_DEP_1) | instskip(NEXT) | instid1(VALU_DEP_1)
	v_cndmask_b32_e64 v82, 0, v82, s9
	v_add_nc_u32_e32 v19, v19, v82
	s_delay_alu instid0(VALU_DEP_1) | instskip(NEXT) | instid1(VALU_DEP_1)
	v_mov_b32_dpp v82, v19 row_shr:8 row_mask:0xf bank_mask:0xf
	v_cndmask_b32_e64 v82, 0, v82, s10
	s_delay_alu instid0(VALU_DEP_1) | instskip(SKIP_3) | instid1(VALU_DEP_1)
	v_add_nc_u32_e32 v19, v19, v82
	ds_swizzle_b32 v82, v19 offset:swizzle(BROADCAST,32,15)
	s_wait_dscnt 0x0
	v_cndmask_b32_e64 v82, v82, 0, s15
	v_add_nc_u32_e32 v19, v19, v82
	s_and_saveexec_b32 s15, s13
; %bb.122:
	ds_store_b32 v35, v19
; %bb.123:
	s_wait_alu 0xfffe
	s_or_b32 exec_lo, exec_lo, s15
	s_wait_loadcnt_dscnt 0x0
	s_barrier_signal -1
	s_barrier_wait -1
	global_inv scope:SCOPE_SE
	s_and_saveexec_b32 s13, s12
	s_cbranch_execz .LBB220_125
; %bb.124:
	ds_load_b32 v35, v34
	s_wait_dscnt 0x0
	v_mov_b32_dpp v82, v35 row_shr:1 row_mask:0xf bank_mask:0xf
	s_delay_alu instid0(VALU_DEP_1) | instskip(NEXT) | instid1(VALU_DEP_1)
	v_cndmask_b32_e64 v82, v82, 0, vcc_lo
	v_add_nc_u32_e32 v35, v82, v35
	s_delay_alu instid0(VALU_DEP_1) | instskip(NEXT) | instid1(VALU_DEP_1)
	v_mov_b32_dpp v82, v35 row_shr:2 row_mask:0xf bank_mask:0xf
	v_cndmask_b32_e64 v82, 0, v82, s8
	s_delay_alu instid0(VALU_DEP_1) | instskip(NEXT) | instid1(VALU_DEP_1)
	v_add_nc_u32_e32 v35, v35, v82
	v_mov_b32_dpp v82, v35 row_shr:4 row_mask:0xf bank_mask:0xf
	s_delay_alu instid0(VALU_DEP_1) | instskip(NEXT) | instid1(VALU_DEP_1)
	v_cndmask_b32_e64 v82, 0, v82, s9
	v_add_nc_u32_e32 v35, v35, v82
	s_delay_alu instid0(VALU_DEP_1) | instskip(NEXT) | instid1(VALU_DEP_1)
	v_mov_b32_dpp v82, v35 row_shr:8 row_mask:0xf bank_mask:0xf
	v_cndmask_b32_e64 v82, 0, v82, s10
	s_delay_alu instid0(VALU_DEP_1)
	v_add_nc_u32_e32 v35, v35, v82
	ds_store_b32 v34, v35
.LBB220_125:
	s_wait_alu 0xfffe
	s_or_b32 exec_lo, exec_lo, s13
	v_mov_b32_e32 v34, 0
	s_wait_loadcnt_dscnt 0x0
	s_barrier_signal -1
	s_barrier_wait -1
	global_inv scope:SCOPE_SE
	s_and_saveexec_b32 s8, s14
; %bb.126:
	ds_load_b32 v34, v36
; %bb.127:
	s_wait_alu 0xfffe
	s_or_b32 exec_lo, exec_lo, s8
	s_wait_dscnt 0x0
	v_add_nc_u32_e32 v19, v34, v19
	ds_bpermute_b32 v19, v37, v19
	s_wait_dscnt 0x0
	v_cndmask_b32_e64 v19, v19, v34, s11
	s_delay_alu instid0(VALU_DEP_1) | instskip(NEXT) | instid1(VALU_DEP_1)
	v_cndmask_b32_e64 v19, v19, 0, s16
	v_add_nc_u32_e32 v20, v19, v20
	s_delay_alu instid0(VALU_DEP_1) | instskip(NEXT) | instid1(VALU_DEP_1)
	v_add_nc_u32_e32 v21, v20, v21
	v_add_nc_u32_e32 v22, v21, v22
	s_delay_alu instid0(VALU_DEP_1) | instskip(NEXT) | instid1(VALU_DEP_1)
	v_add_nc_u32_e32 v34, v22, v23
	;; [unrolled: 3-line block ×3, first 2 shown]
	v_add_nc_u32_e32 v37, v36, v18
	ds_store_b128 v67, v[19:22] offset:64
	ds_store_b128 v67, v[34:37] offset:80
	s_wait_loadcnt_dscnt 0x0
	s_barrier_signal -1
	s_barrier_wait -1
	global_inv scope:SCOPE_SE
	ds_load_b32 v16, v81 offset:64
	ds_load_b32 v17, v79 offset:64
	;; [unrolled: 1-line block ×8, first 2 shown]
	v_lshlrev_b32_e32 v34, 1, v66
	s_wait_loadcnt_dscnt 0x0
	s_barrier_signal -1
	s_barrier_wait -1
	global_inv scope:SCOPE_SE
	v_mad_u32_u24 v37, v46, 48, v34
	v_add3_u32 v35, v80, v24, v16
	v_add3_u32 v36, v78, v77, v17
	;; [unrolled: 1-line block ×3, first 2 shown]
	v_add_nc_u32_e32 v24, v19, v33
	v_add3_u32 v33, v40, v39, v20
	v_add3_u32 v39, v49, v48, v21
	;; [unrolled: 1-line block ×4, first 2 shown]
	v_lshlrev_b32_e32 v16, 1, v24
	v_lshlrev_b32_e32 v17, 1, v33
	;; [unrolled: 1-line block ×8, first 2 shown]
	ds_store_b16 v16, v26
	ds_store_b16 v17, v27
	;; [unrolled: 1-line block ×8, first 2 shown]
	v_mad_co_u64_u32 v[24:25], null, v24, 6, v[16:17]
	v_mad_co_u64_u32 v[16:17], null, v33, 6, v[17:18]
	;; [unrolled: 1-line block ×7, first 2 shown]
	s_wait_loadcnt_dscnt 0x0
	s_barrier_signal -1
	s_barrier_wait -1
	global_inv scope:SCOPE_SE
	v_mad_co_u64_u32 v[22:23], null, v35, 6, v[23:24]
	ds_load_b128 v[33:36], v34
	s_wait_loadcnt_dscnt 0x0
	s_barrier_signal -1
	s_barrier_wait -1
	global_inv scope:SCOPE_SE
	ds_store_b64 v24, v[4:5]
	ds_store_b64 v16, v[6:7]
	;; [unrolled: 1-line block ×8, first 2 shown]
	s_wait_loadcnt_dscnt 0x0
	s_barrier_signal -1
	s_barrier_wait -1
	global_inv scope:SCOPE_SE
	ds_load_b128 v[29:32], v37
	ds_load_b128 v[25:28], v37 offset:16
	ds_load_b128 v[21:24], v37 offset:32
	;; [unrolled: 1-line block ×3, first 2 shown]
	v_cmp_gt_i16_e32 vcc_lo, 0, v33
	v_lshrrev_b32_e32 v0, 16, v33
	v_lshrrev_b32_e32 v2, 16, v34
	;; [unrolled: 1-line block ×4, first 2 shown]
	s_wait_alu 0xfffd
	v_cndmask_b32_e64 v1, 0x7fff, 0, vcc_lo
	v_cmp_gt_i16_e32 vcc_lo, 0, v34
	s_wait_alu 0xfffd
	v_cndmask_b32_e64 v3, 0x7fff, 0, vcc_lo
	v_cmp_gt_i16_e32 vcc_lo, 0, v35
	;; [unrolled: 3-line block ×5, first 2 shown]
	s_delay_alu instid0(VALU_DEP_2) | instskip(SKIP_3) | instid1(VALU_DEP_3)
	v_perm_b32 v0, v0, v1, 0x5040100
	s_wait_alu 0xfffd
	v_cndmask_b32_e64 v2, 0x7fff, 0, vcc_lo
	v_cmp_gt_i16_e32 vcc_lo, 0, v4
	v_xor_b32_e32 v0, v0, v33
	s_delay_alu instid0(VALU_DEP_3) | instskip(SKIP_3) | instid1(VALU_DEP_3)
	v_perm_b32 v1, v2, v3, 0x5040100
	s_wait_alu 0xfffd
	v_cndmask_b32_e64 v4, 0x7fff, 0, vcc_lo
	v_cmp_gt_i16_e32 vcc_lo, 0, v6
	v_xor_b32_e32 v34, v1, v34
	s_delay_alu instid0(VALU_DEP_3) | instskip(SKIP_2) | instid1(VALU_DEP_2)
	v_perm_b32 v2, v4, v5, 0x5040100
	s_wait_alu 0xfffd
	v_cndmask_b32_e64 v6, 0x7fff, 0, vcc_lo
	v_xor_b32_e32 v33, v2, v35
	s_delay_alu instid0(VALU_DEP_2) | instskip(NEXT) | instid1(VALU_DEP_1)
	v_perm_b32 v3, v6, v7, 0x5040100
	v_xor_b32_e32 v35, v3, v36
.LBB220_128:
	s_wait_loadcnt_dscnt 0x0
	s_barrier_signal -1
	s_barrier_wait -1
	global_inv scope:SCOPE_SE
	ds_store_2addr_b32 v58, v0, v34 offset1:1
	ds_store_2addr_b32 v58, v33, v35 offset0:2 offset1:3
	s_wait_loadcnt_dscnt 0x0
	s_barrier_signal -1
	s_barrier_wait -1
	global_inv scope:SCOPE_SE
	ds_load_u16 v8, v45 offset:1024
	ds_load_u16 v7, v52 offset:2048
	;; [unrolled: 1-line block ×7, first 2 shown]
	v_mov_b32_e32 v45, 0
	s_delay_alu instid0(VALU_DEP_1) | instskip(NEXT) | instid1(VALU_DEP_1)
	v_lshlrev_b64_e32 v[0:1], 1, v[44:45]
	v_add_co_u32 v0, vcc_lo, s30, v0
	s_wait_alu 0xfffd
	s_delay_alu instid0(VALU_DEP_2)
	v_add_co_ci_u32_e64 v1, null, s31, v1, vcc_lo
	s_and_saveexec_b32 s8, s0
	s_cbranch_execnz .LBB220_147
; %bb.129:
	s_wait_alu 0xfffe
	s_or_b32 exec_lo, exec_lo, s8
	s_and_saveexec_b32 s8, s1
	s_cbranch_execnz .LBB220_148
.LBB220_130:
	s_wait_alu 0xfffe
	s_or_b32 exec_lo, exec_lo, s8
	s_and_saveexec_b32 s8, s2
	s_cbranch_execnz .LBB220_149
.LBB220_131:
	s_wait_alu 0xfffe
	s_or_b32 exec_lo, exec_lo, s8
	s_and_saveexec_b32 s8, s3
	s_cbranch_execnz .LBB220_150
.LBB220_132:
	s_wait_alu 0xfffe
	s_or_b32 exec_lo, exec_lo, s8
	s_and_saveexec_b32 s8, s4
	s_cbranch_execnz .LBB220_151
.LBB220_133:
	s_wait_alu 0xfffe
	s_or_b32 exec_lo, exec_lo, s8
	s_and_saveexec_b32 s8, s5
	s_cbranch_execnz .LBB220_152
.LBB220_134:
	s_wait_alu 0xfffe
	s_or_b32 exec_lo, exec_lo, s8
	s_and_saveexec_b32 s8, s6
	s_cbranch_execnz .LBB220_153
.LBB220_135:
	s_wait_alu 0xfffe
	s_or_b32 exec_lo, exec_lo, s8
	s_and_saveexec_b32 s8, s7
	s_cbranch_execz .LBB220_137
.LBB220_136:
	s_mul_i32 s10, s26, 0xe00
	s_mov_b32 s11, 0
	s_wait_alu 0xfffe
	s_lshl_b64 s[10:11], s[10:11], 1
	s_wait_alu 0xfffe
	v_add_co_u32 v0, vcc_lo, v0, s10
	s_wait_alu 0xfffd
	v_add_co_ci_u32_e64 v1, null, s11, v1, vcc_lo
	s_wait_dscnt 0x0
	global_store_b16 v[0:1], v2, off
.LBB220_137:
	s_wait_alu 0xfffe
	s_or_b32 exec_lo, exec_lo, s8
	s_wait_storecnt 0x0
	s_wait_loadcnt_dscnt 0x0
	s_barrier_signal -1
	s_barrier_wait -1
	global_inv scope:SCOPE_SE
	ds_store_2addr_b64 v65, v[29:30], v[31:32] offset1:1
	ds_store_2addr_b64 v65, v[25:26], v[27:28] offset0:2 offset1:3
	ds_store_2addr_b64 v65, v[21:22], v[23:24] offset0:4 offset1:5
	;; [unrolled: 1-line block ×3, first 2 shown]
	s_wait_loadcnt_dscnt 0x0
	s_barrier_signal -1
	s_barrier_wait -1
	global_inv scope:SCOPE_SE
	ds_load_b64 v[14:15], v60 offset:4096
	ds_load_b64 v[12:13], v61 offset:8192
	;; [unrolled: 1-line block ×7, first 2 shown]
	v_mov_b32_e32 v42, 0
	s_delay_alu instid0(VALU_DEP_1) | instskip(NEXT) | instid1(VALU_DEP_1)
	v_lshlrev_b64_e32 v[2:3], 3, v[41:42]
	v_add_co_u32 v2, vcc_lo, s24, v2
	s_wait_alu 0xfffd
	s_delay_alu instid0(VALU_DEP_2)
	v_add_co_ci_u32_e64 v3, null, s25, v3, vcc_lo
	s_and_saveexec_b32 s8, s0
	s_cbranch_execnz .LBB220_154
; %bb.138:
	s_wait_alu 0xfffe
	s_or_b32 exec_lo, exec_lo, s8
	s_and_saveexec_b32 s0, s1
	s_cbranch_execnz .LBB220_155
.LBB220_139:
	s_or_b32 exec_lo, exec_lo, s0
	s_and_saveexec_b32 s0, s2
	s_cbranch_execnz .LBB220_156
.LBB220_140:
	s_or_b32 exec_lo, exec_lo, s0
	s_and_saveexec_b32 s0, s3
	s_cbranch_execnz .LBB220_157
.LBB220_141:
	s_or_b32 exec_lo, exec_lo, s0
	s_and_saveexec_b32 s0, s4
	s_cbranch_execnz .LBB220_158
.LBB220_142:
	s_or_b32 exec_lo, exec_lo, s0
	s_and_saveexec_b32 s0, s5
	s_cbranch_execnz .LBB220_159
.LBB220_143:
	s_or_b32 exec_lo, exec_lo, s0
	s_and_saveexec_b32 s0, s6
	s_cbranch_execnz .LBB220_160
.LBB220_144:
	s_or_b32 exec_lo, exec_lo, s0
	s_and_saveexec_b32 s0, s7
	s_cbranch_execz .LBB220_146
.LBB220_145:
	s_mul_i32 s0, s28, 0xe00
	s_mov_b32 s1, 0
	s_delay_alu instid0(SALU_CYCLE_1) | instskip(NEXT) | instid1(SALU_CYCLE_1)
	s_lshl_b64 s[0:1], s[0:1], 3
	v_add_co_u32 v2, vcc_lo, v2, s0
	s_wait_alu 0xfffd
	v_add_co_ci_u32_e64 v3, null, s1, v3, vcc_lo
	s_wait_dscnt 0x0
	global_store_b64 v[2:3], v[0:1], off
.LBB220_146:
	s_nop 0
	s_sendmsg sendmsg(MSG_DEALLOC_VGPRS)
	s_endpgm
.LBB220_147:
	ds_load_u16 v9, v51
	s_wait_dscnt 0x0
	global_store_b16 v[0:1], v9, off
	s_wait_alu 0xfffe
	s_or_b32 exec_lo, exec_lo, s8
	s_and_saveexec_b32 s8, s1
	s_cbranch_execz .LBB220_130
.LBB220_148:
	s_lshl_b32 s10, s26, 9
	s_mov_b32 s11, 0
	s_wait_alu 0xfffe
	s_lshl_b64 s[10:11], s[10:11], 1
	s_wait_alu 0xfffe
	v_add_co_u32 v9, vcc_lo, v0, s10
	s_wait_alu 0xfffd
	v_add_co_ci_u32_e64 v10, null, s11, v1, vcc_lo
	s_wait_dscnt 0x6
	global_store_b16 v[9:10], v8, off
	s_or_b32 exec_lo, exec_lo, s8
	s_and_saveexec_b32 s8, s2
	s_cbranch_execz .LBB220_131
.LBB220_149:
	s_lshl_b32 s10, s26, 10
	s_mov_b32 s11, 0
	s_wait_alu 0xfffe
	s_lshl_b64 s[10:11], s[10:11], 1
	s_wait_dscnt 0x6
	s_wait_alu 0xfffe
	v_add_co_u32 v8, vcc_lo, v0, s10
	s_wait_alu 0xfffd
	v_add_co_ci_u32_e64 v9, null, s11, v1, vcc_lo
	s_wait_dscnt 0x5
	global_store_b16 v[8:9], v7, off
	s_or_b32 exec_lo, exec_lo, s8
	s_and_saveexec_b32 s8, s3
	s_cbranch_execz .LBB220_132
.LBB220_150:
	s_mul_i32 s10, s26, 0x600
	s_mov_b32 s11, 0
	s_wait_alu 0xfffe
	s_lshl_b64 s[10:11], s[10:11], 1
	s_wait_dscnt 0x5
	s_wait_alu 0xfffe
	v_add_co_u32 v7, vcc_lo, v0, s10
	s_wait_alu 0xfffd
	v_add_co_ci_u32_e64 v8, null, s11, v1, vcc_lo
	s_wait_dscnt 0x4
	global_store_b16 v[7:8], v6, off
	s_or_b32 exec_lo, exec_lo, s8
	s_and_saveexec_b32 s8, s4
	s_cbranch_execz .LBB220_133
.LBB220_151:
	s_lshl_b32 s10, s26, 11
	s_mov_b32 s11, 0
	s_wait_alu 0xfffe
	s_lshl_b64 s[10:11], s[10:11], 1
	s_wait_dscnt 0x4
	s_wait_alu 0xfffe
	v_add_co_u32 v6, vcc_lo, v0, s10
	s_wait_alu 0xfffd
	v_add_co_ci_u32_e64 v7, null, s11, v1, vcc_lo
	s_wait_dscnt 0x3
	global_store_b16 v[6:7], v5, off
	s_or_b32 exec_lo, exec_lo, s8
	s_and_saveexec_b32 s8, s5
	s_cbranch_execz .LBB220_134
.LBB220_152:
	s_mul_i32 s10, s26, 0xa00
	s_mov_b32 s11, 0
	s_wait_alu 0xfffe
	s_lshl_b64 s[10:11], s[10:11], 1
	s_wait_dscnt 0x3
	s_wait_alu 0xfffe
	v_add_co_u32 v5, vcc_lo, v0, s10
	s_wait_alu 0xfffd
	v_add_co_ci_u32_e64 v6, null, s11, v1, vcc_lo
	s_wait_dscnt 0x2
	global_store_b16 v[5:6], v4, off
	s_or_b32 exec_lo, exec_lo, s8
	s_and_saveexec_b32 s8, s6
	s_cbranch_execz .LBB220_135
.LBB220_153:
	s_mul_i32 s10, s26, 0xc00
	s_mov_b32 s11, 0
	s_wait_alu 0xfffe
	s_lshl_b64 s[10:11], s[10:11], 1
	s_wait_dscnt 0x2
	s_wait_alu 0xfffe
	v_add_co_u32 v4, vcc_lo, v0, s10
	s_wait_alu 0xfffd
	v_add_co_ci_u32_e64 v5, null, s11, v1, vcc_lo
	s_wait_dscnt 0x1
	global_store_b16 v[4:5], v3, off
	s_or_b32 exec_lo, exec_lo, s8
	s_and_saveexec_b32 s8, s7
	s_cbranch_execnz .LBB220_136
	s_branch .LBB220_137
.LBB220_154:
	ds_load_b64 v[16:17], v59
	s_wait_dscnt 0x0
	global_store_b64 v[2:3], v[16:17], off
	s_wait_alu 0xfffe
	s_or_b32 exec_lo, exec_lo, s8
	s_and_saveexec_b32 s0, s1
	s_cbranch_execz .LBB220_139
.LBB220_155:
	s_lshl_b32 s8, s28, 9
	s_mov_b32 s9, 0
	s_wait_alu 0xfffe
	s_lshl_b64 s[8:9], s[8:9], 3
	s_wait_alu 0xfffe
	v_add_co_u32 v16, vcc_lo, v2, s8
	s_wait_alu 0xfffd
	v_add_co_ci_u32_e64 v17, null, s9, v3, vcc_lo
	s_wait_dscnt 0x6
	global_store_b64 v[16:17], v[14:15], off
	s_or_b32 exec_lo, exec_lo, s0
	s_and_saveexec_b32 s0, s2
	s_cbranch_execz .LBB220_140
.LBB220_156:
	s_lshl_b32 s8, s28, 10
	s_mov_b32 s9, 0
	s_wait_alu 0xfffe
	s_lshl_b64 s[8:9], s[8:9], 3
	s_wait_dscnt 0x6
	s_wait_alu 0xfffe
	v_add_co_u32 v14, vcc_lo, v2, s8
	s_wait_alu 0xfffd
	v_add_co_ci_u32_e64 v15, null, s9, v3, vcc_lo
	s_wait_dscnt 0x5
	global_store_b64 v[14:15], v[12:13], off
	s_or_b32 exec_lo, exec_lo, s0
	s_and_saveexec_b32 s0, s3
	s_cbranch_execz .LBB220_141
.LBB220_157:
	s_mul_i32 s2, s28, 0x600
	s_mov_b32 s3, 0
	s_delay_alu instid0(SALU_CYCLE_1)
	s_lshl_b64 s[2:3], s[2:3], 3
	s_wait_dscnt 0x5
	v_add_co_u32 v12, vcc_lo, v2, s2
	s_wait_alu 0xfffd
	v_add_co_ci_u32_e64 v13, null, s3, v3, vcc_lo
	s_wait_dscnt 0x4
	global_store_b64 v[12:13], v[10:11], off
	s_or_b32 exec_lo, exec_lo, s0
	s_and_saveexec_b32 s0, s4
	s_cbranch_execz .LBB220_142
.LBB220_158:
	s_lshl_b32 s2, s28, 11
	s_mov_b32 s3, 0
	s_wait_alu 0xfffe
	s_lshl_b64 s[2:3], s[2:3], 3
	s_wait_dscnt 0x4
	s_wait_alu 0xfffe
	v_add_co_u32 v10, vcc_lo, v2, s2
	s_wait_alu 0xfffd
	v_add_co_ci_u32_e64 v11, null, s3, v3, vcc_lo
	s_wait_dscnt 0x3
	global_store_b64 v[10:11], v[8:9], off
	s_or_b32 exec_lo, exec_lo, s0
	s_and_saveexec_b32 s0, s5
	s_cbranch_execz .LBB220_143
.LBB220_159:
	s_mul_i32 s2, s28, 0xa00
	s_mov_b32 s3, 0
	s_wait_alu 0xfffe
	s_lshl_b64 s[2:3], s[2:3], 3
	s_wait_dscnt 0x3
	s_wait_alu 0xfffe
	v_add_co_u32 v8, vcc_lo, v2, s2
	s_wait_alu 0xfffd
	v_add_co_ci_u32_e64 v9, null, s3, v3, vcc_lo
	s_wait_dscnt 0x2
	global_store_b64 v[8:9], v[6:7], off
	s_or_b32 exec_lo, exec_lo, s0
	s_and_saveexec_b32 s0, s6
	s_cbranch_execz .LBB220_144
.LBB220_160:
	s_mul_i32 s2, s28, 0xc00
	s_mov_b32 s3, 0
	s_wait_alu 0xfffe
	s_lshl_b64 s[2:3], s[2:3], 3
	s_wait_dscnt 0x2
	s_wait_alu 0xfffe
	v_add_co_u32 v6, vcc_lo, v2, s2
	s_wait_alu 0xfffd
	v_add_co_ci_u32_e64 v7, null, s3, v3, vcc_lo
	s_wait_dscnt 0x1
	global_store_b64 v[6:7], v[4:5], off
	s_or_b32 exec_lo, exec_lo, s0
	s_and_saveexec_b32 s0, s7
	s_cbranch_execnz .LBB220_145
	s_branch .LBB220_146
	.section	.rodata,"a",@progbits
	.p2align	6, 0x0
	.amdhsa_kernel _ZN2at6native18radixSortKVInPlaceILin2ELin1ELi512ELi8EN3c104HalfEljEEvNS_4cuda6detail10TensorInfoIT3_T5_EES8_S8_S8_NS6_IT4_S8_EES8_b
		.amdhsa_group_segment_fixed_size 33792
		.amdhsa_private_segment_fixed_size 0
		.amdhsa_kernarg_size 712
		.amdhsa_user_sgpr_count 2
		.amdhsa_user_sgpr_dispatch_ptr 0
		.amdhsa_user_sgpr_queue_ptr 0
		.amdhsa_user_sgpr_kernarg_segment_ptr 1
		.amdhsa_user_sgpr_dispatch_id 0
		.amdhsa_user_sgpr_private_segment_size 0
		.amdhsa_wavefront_size32 1
		.amdhsa_uses_dynamic_stack 0
		.amdhsa_enable_private_segment 0
		.amdhsa_system_sgpr_workgroup_id_x 1
		.amdhsa_system_sgpr_workgroup_id_y 1
		.amdhsa_system_sgpr_workgroup_id_z 1
		.amdhsa_system_sgpr_workgroup_info 0
		.amdhsa_system_vgpr_workitem_id 2
		.amdhsa_next_free_vgpr 113
		.amdhsa_next_free_sgpr 36
		.amdhsa_reserve_vcc 1
		.amdhsa_float_round_mode_32 0
		.amdhsa_float_round_mode_16_64 0
		.amdhsa_float_denorm_mode_32 3
		.amdhsa_float_denorm_mode_16_64 3
		.amdhsa_fp16_overflow 0
		.amdhsa_workgroup_processor_mode 1
		.amdhsa_memory_ordered 1
		.amdhsa_forward_progress 1
		.amdhsa_inst_pref_size 181
		.amdhsa_round_robin_scheduling 0
		.amdhsa_exception_fp_ieee_invalid_op 0
		.amdhsa_exception_fp_denorm_src 0
		.amdhsa_exception_fp_ieee_div_zero 0
		.amdhsa_exception_fp_ieee_overflow 0
		.amdhsa_exception_fp_ieee_underflow 0
		.amdhsa_exception_fp_ieee_inexact 0
		.amdhsa_exception_int_div_zero 0
	.end_amdhsa_kernel
	.section	.text._ZN2at6native18radixSortKVInPlaceILin2ELin1ELi512ELi8EN3c104HalfEljEEvNS_4cuda6detail10TensorInfoIT3_T5_EES8_S8_S8_NS6_IT4_S8_EES8_b,"axG",@progbits,_ZN2at6native18radixSortKVInPlaceILin2ELin1ELi512ELi8EN3c104HalfEljEEvNS_4cuda6detail10TensorInfoIT3_T5_EES8_S8_S8_NS6_IT4_S8_EES8_b,comdat
.Lfunc_end220:
	.size	_ZN2at6native18radixSortKVInPlaceILin2ELin1ELi512ELi8EN3c104HalfEljEEvNS_4cuda6detail10TensorInfoIT3_T5_EES8_S8_S8_NS6_IT4_S8_EES8_b, .Lfunc_end220-_ZN2at6native18radixSortKVInPlaceILin2ELin1ELi512ELi8EN3c104HalfEljEEvNS_4cuda6detail10TensorInfoIT3_T5_EES8_S8_S8_NS6_IT4_S8_EES8_b
                                        ; -- End function
	.set _ZN2at6native18radixSortKVInPlaceILin2ELin1ELi512ELi8EN3c104HalfEljEEvNS_4cuda6detail10TensorInfoIT3_T5_EES8_S8_S8_NS6_IT4_S8_EES8_b.num_vgpr, 113
	.set _ZN2at6native18radixSortKVInPlaceILin2ELin1ELi512ELi8EN3c104HalfEljEEvNS_4cuda6detail10TensorInfoIT3_T5_EES8_S8_S8_NS6_IT4_S8_EES8_b.num_agpr, 0
	.set _ZN2at6native18radixSortKVInPlaceILin2ELin1ELi512ELi8EN3c104HalfEljEEvNS_4cuda6detail10TensorInfoIT3_T5_EES8_S8_S8_NS6_IT4_S8_EES8_b.numbered_sgpr, 36
	.set _ZN2at6native18radixSortKVInPlaceILin2ELin1ELi512ELi8EN3c104HalfEljEEvNS_4cuda6detail10TensorInfoIT3_T5_EES8_S8_S8_NS6_IT4_S8_EES8_b.num_named_barrier, 0
	.set _ZN2at6native18radixSortKVInPlaceILin2ELin1ELi512ELi8EN3c104HalfEljEEvNS_4cuda6detail10TensorInfoIT3_T5_EES8_S8_S8_NS6_IT4_S8_EES8_b.private_seg_size, 0
	.set _ZN2at6native18radixSortKVInPlaceILin2ELin1ELi512ELi8EN3c104HalfEljEEvNS_4cuda6detail10TensorInfoIT3_T5_EES8_S8_S8_NS6_IT4_S8_EES8_b.uses_vcc, 1
	.set _ZN2at6native18radixSortKVInPlaceILin2ELin1ELi512ELi8EN3c104HalfEljEEvNS_4cuda6detail10TensorInfoIT3_T5_EES8_S8_S8_NS6_IT4_S8_EES8_b.uses_flat_scratch, 0
	.set _ZN2at6native18radixSortKVInPlaceILin2ELin1ELi512ELi8EN3c104HalfEljEEvNS_4cuda6detail10TensorInfoIT3_T5_EES8_S8_S8_NS6_IT4_S8_EES8_b.has_dyn_sized_stack, 0
	.set _ZN2at6native18radixSortKVInPlaceILin2ELin1ELi512ELi8EN3c104HalfEljEEvNS_4cuda6detail10TensorInfoIT3_T5_EES8_S8_S8_NS6_IT4_S8_EES8_b.has_recursion, 0
	.set _ZN2at6native18radixSortKVInPlaceILin2ELin1ELi512ELi8EN3c104HalfEljEEvNS_4cuda6detail10TensorInfoIT3_T5_EES8_S8_S8_NS6_IT4_S8_EES8_b.has_indirect_call, 0
	.section	.AMDGPU.csdata,"",@progbits
; Kernel info:
; codeLenInByte = 23056
; TotalNumSgprs: 38
; NumVgprs: 113
; ScratchSize: 0
; MemoryBound: 0
; FloatMode: 240
; IeeeMode: 1
; LDSByteSize: 33792 bytes/workgroup (compile time only)
; SGPRBlocks: 0
; VGPRBlocks: 14
; NumSGPRsForWavesPerEU: 38
; NumVGPRsForWavesPerEU: 113
; Occupancy: 12
; WaveLimiterHint : 1
; COMPUTE_PGM_RSRC2:SCRATCH_EN: 0
; COMPUTE_PGM_RSRC2:USER_SGPR: 2
; COMPUTE_PGM_RSRC2:TRAP_HANDLER: 0
; COMPUTE_PGM_RSRC2:TGID_X_EN: 1
; COMPUTE_PGM_RSRC2:TGID_Y_EN: 1
; COMPUTE_PGM_RSRC2:TGID_Z_EN: 1
; COMPUTE_PGM_RSRC2:TIDIG_COMP_CNT: 2
	.section	.text._ZN2at6native18radixSortKVInPlaceILin2ELin1ELi256ELi8EN3c104HalfEljEEvNS_4cuda6detail10TensorInfoIT3_T5_EES8_S8_S8_NS6_IT4_S8_EES8_b,"axG",@progbits,_ZN2at6native18radixSortKVInPlaceILin2ELin1ELi256ELi8EN3c104HalfEljEEvNS_4cuda6detail10TensorInfoIT3_T5_EES8_S8_S8_NS6_IT4_S8_EES8_b,comdat
	.protected	_ZN2at6native18radixSortKVInPlaceILin2ELin1ELi256ELi8EN3c104HalfEljEEvNS_4cuda6detail10TensorInfoIT3_T5_EES8_S8_S8_NS6_IT4_S8_EES8_b ; -- Begin function _ZN2at6native18radixSortKVInPlaceILin2ELin1ELi256ELi8EN3c104HalfEljEEvNS_4cuda6detail10TensorInfoIT3_T5_EES8_S8_S8_NS6_IT4_S8_EES8_b
	.globl	_ZN2at6native18radixSortKVInPlaceILin2ELin1ELi256ELi8EN3c104HalfEljEEvNS_4cuda6detail10TensorInfoIT3_T5_EES8_S8_S8_NS6_IT4_S8_EES8_b
	.p2align	8
	.type	_ZN2at6native18radixSortKVInPlaceILin2ELin1ELi256ELi8EN3c104HalfEljEEvNS_4cuda6detail10TensorInfoIT3_T5_EES8_S8_S8_NS6_IT4_S8_EES8_b,@function
_ZN2at6native18radixSortKVInPlaceILin2ELin1ELi256ELi8EN3c104HalfEljEEvNS_4cuda6detail10TensorInfoIT3_T5_EES8_S8_S8_NS6_IT4_S8_EES8_b: ; @_ZN2at6native18radixSortKVInPlaceILin2ELin1ELi256ELi8EN3c104HalfEljEEvNS_4cuda6detail10TensorInfoIT3_T5_EES8_S8_S8_NS6_IT4_S8_EES8_b
; %bb.0:
	s_clause 0x1
	s_load_b64 s[2:3], s[0:1], 0x1c8
	s_load_b96 s[20:22], s[0:1], 0xd8
	s_lshr_b32 s4, ttmp7, 16
	s_wait_kmcnt 0x0
	s_mul_i32 s3, s3, s4
	s_and_b32 s4, ttmp7, 0xffff
	s_delay_alu instid0(SALU_CYCLE_1) | instskip(NEXT) | instid1(SALU_CYCLE_1)
	s_add_co_i32 s3, s3, s4
	s_mul_i32 s4, s3, s2
	s_delay_alu instid0(SALU_CYCLE_1) | instskip(NEXT) | instid1(SALU_CYCLE_1)
	s_add_co_i32 s4, s4, ttmp9
	s_cmp_ge_u32 s4, s20
	s_cbranch_scc1 .LBB221_146
; %bb.1:
	s_load_b32 s2, s[0:1], 0x1b8
	s_add_nc_u64 s[10:11], s[0:1], 0xe8
	s_mov_b32 s9, 0
	s_mov_b32 s12, s4
	s_wait_kmcnt 0x0
	s_cmp_lt_i32 s2, 2
	s_cbranch_scc1 .LBB221_4
; %bb.2:
	s_add_co_i32 s8, s2, -1
	s_add_co_i32 s5, s2, 1
	s_lshl_b64 s[6:7], s[8:9], 2
	s_mov_b32 s12, s4
	s_add_nc_u64 s[6:7], s[10:11], s[6:7]
	s_delay_alu instid0(SALU_CYCLE_1)
	s_add_nc_u64 s[2:3], s[6:7], 8
.LBB221_3:                              ; =>This Inner Loop Header: Depth=1
	s_clause 0x1
	s_load_b32 s6, s[2:3], 0x0
	s_load_b32 s7, s[2:3], 0x64
	s_mov_b32 s14, s12
	s_add_nc_u64 s[2:3], s[2:3], -4
	s_wait_kmcnt 0x0
	s_cvt_f32_u32 s8, s6
	s_sub_co_i32 s13, 0, s6
	s_wait_alu 0xfffe
	s_delay_alu instid0(SALU_CYCLE_1) | instskip(NEXT) | instid1(TRANS32_DEP_1)
	v_rcp_iflag_f32_e32 v1, s8
	v_readfirstlane_b32 s8, v1
	s_mul_f32 s8, s8, 0x4f7ffffe
	s_wait_alu 0xfffe
	s_delay_alu instid0(SALU_CYCLE_2) | instskip(SKIP_1) | instid1(SALU_CYCLE_2)
	s_cvt_u32_f32 s8, s8
	s_wait_alu 0xfffe
	s_mul_i32 s13, s13, s8
	s_delay_alu instid0(SALU_CYCLE_1) | instskip(NEXT) | instid1(SALU_CYCLE_1)
	s_mul_hi_u32 s13, s8, s13
	s_add_co_i32 s8, s8, s13
	s_wait_alu 0xfffe
	s_mul_hi_u32 s8, s12, s8
	s_wait_alu 0xfffe
	s_mul_i32 s12, s8, s6
	s_add_co_i32 s13, s8, 1
	s_sub_co_i32 s12, s14, s12
	s_delay_alu instid0(SALU_CYCLE_1)
	s_sub_co_i32 s15, s12, s6
	s_cmp_ge_u32 s12, s6
	s_cselect_b32 s8, s13, s8
	s_cselect_b32 s12, s15, s12
	s_wait_alu 0xfffe
	s_add_co_i32 s13, s8, 1
	s_cmp_ge_u32 s12, s6
	s_cselect_b32 s12, s13, s8
	s_add_co_i32 s5, s5, -1
	s_mul_i32 s6, s12, s6
	s_delay_alu instid0(SALU_CYCLE_1) | instskip(NEXT) | instid1(SALU_CYCLE_1)
	s_sub_co_i32 s6, s14, s6
	s_mul_i32 s6, s7, s6
	s_delay_alu instid0(SALU_CYCLE_1)
	s_add_co_i32 s9, s6, s9
	s_cmp_gt_u32 s5, 2
	s_cbranch_scc1 .LBB221_3
.LBB221_4:
	s_clause 0x2
	s_load_b64 s[28:29], s[0:1], 0x1c0
	s_load_b64 s[2:3], s[0:1], 0x0
	s_load_b32 s5, s[0:1], 0x6c
	s_add_nc_u64 s[36:37], s[0:1], 0x1c8
	s_mov_b32 s0, 0xffff
	s_wait_kmcnt 0x0
	s_bitcmp1_b32 s29, 0
	s_mul_i32 s4, s5, s4
	s_cselect_b32 s8, -1, 0
	s_mov_b32 s5, 0
	s_wait_alu 0xfffe
	s_and_b32 s1, s8, exec_lo
	s_cselect_b32 s13, s0, 0x7fff
	s_delay_alu instid0(SALU_CYCLE_1) | instskip(SKIP_1) | instid1(SALU_CYCLE_1)
	v_dual_mov_b32 v1, s13 :: v_dual_and_b32 v46, 0x3ff, v0
	s_lshl_b64 s[4:5], s[4:5], 1
	s_add_nc_u64 s[30:31], s[2:3], s[4:5]
	s_delay_alu instid0(VALU_DEP_1)
	v_mul_lo_u32 v44, s22, v46
	v_cmp_gt_u32_e64 s0, s21, v46
	s_and_saveexec_b32 s1, s0
	s_cbranch_execz .LBB221_6
; %bb.5:
	v_mov_b32_e32 v45, 0
	s_delay_alu instid0(VALU_DEP_1) | instskip(NEXT) | instid1(VALU_DEP_1)
	v_lshlrev_b64_e32 v[1:2], 1, v[44:45]
	v_add_co_u32 v1, vcc_lo, s30, v1
	s_delay_alu instid0(VALU_DEP_1)
	v_add_co_ci_u32_e64 v2, null, s31, v2, vcc_lo
	global_load_u16 v1, v[1:2], off
.LBB221_6:
	s_or_b32 exec_lo, exec_lo, s1
	v_dual_mov_b32 v2, s13 :: v_dual_add_nc_u32 v15, 0x100, v46
	s_delay_alu instid0(VALU_DEP_1)
	v_cmp_gt_u32_e64 s1, s21, v15
	s_and_saveexec_b32 s2, s1
	s_cbranch_execz .LBB221_8
; %bb.7:
	v_mul_lo_u32 v2, s22, v15
	v_mov_b32_e32 v3, 0
	s_delay_alu instid0(VALU_DEP_1) | instskip(NEXT) | instid1(VALU_DEP_1)
	v_lshlrev_b64_e32 v[2:3], 1, v[2:3]
	v_add_co_u32 v2, vcc_lo, s30, v2
	s_wait_alu 0xfffd
	s_delay_alu instid0(VALU_DEP_2)
	v_add_co_ci_u32_e64 v3, null, s31, v3, vcc_lo
	global_load_u16 v2, v[2:3], off
.LBB221_8:
	s_or_b32 exec_lo, exec_lo, s2
	v_dual_mov_b32 v3, s13 :: v_dual_add_nc_u32 v16, 0x200, v46
	s_delay_alu instid0(VALU_DEP_1)
	v_cmp_gt_u32_e64 s2, s21, v16
	s_and_saveexec_b32 s3, s2
	s_cbranch_execz .LBB221_10
; %bb.9:
	v_mul_lo_u32 v3, s22, v16
	v_mov_b32_e32 v4, 0
	s_delay_alu instid0(VALU_DEP_1) | instskip(NEXT) | instid1(VALU_DEP_1)
	v_lshlrev_b64_e32 v[3:4], 1, v[3:4]
	v_add_co_u32 v3, vcc_lo, s30, v3
	s_wait_alu 0xfffd
	s_delay_alu instid0(VALU_DEP_2)
	v_add_co_ci_u32_e64 v4, null, s31, v4, vcc_lo
	global_load_u16 v3, v[3:4], off
.LBB221_10:
	;; [unrolled: 17-line block ×3, first 2 shown]
	s_or_b32 exec_lo, exec_lo, s4
	v_or_b32_e32 v18, 0x400, v46
	v_mov_b32_e32 v5, s13
	s_delay_alu instid0(VALU_DEP_2)
	v_cmp_gt_u32_e64 s4, s21, v18
	s_and_saveexec_b32 s5, s4
	s_cbranch_execz .LBB221_14
; %bb.13:
	v_mul_lo_u32 v5, s22, v18
	v_mov_b32_e32 v6, 0
	s_delay_alu instid0(VALU_DEP_1) | instskip(NEXT) | instid1(VALU_DEP_1)
	v_lshlrev_b64_e32 v[5:6], 1, v[5:6]
	v_add_co_u32 v5, vcc_lo, s30, v5
	s_wait_alu 0xfffd
	s_delay_alu instid0(VALU_DEP_2)
	v_add_co_ci_u32_e64 v6, null, s31, v6, vcc_lo
	global_load_u16 v5, v[5:6], off
.LBB221_14:
	s_or_b32 exec_lo, exec_lo, s5
	v_dual_mov_b32 v6, s13 :: v_dual_add_nc_u32 v19, 0x500, v46
	s_delay_alu instid0(VALU_DEP_1)
	v_cmp_gt_u32_e64 s5, s21, v19
	s_and_saveexec_b32 s6, s5
	s_cbranch_execz .LBB221_16
; %bb.15:
	v_mul_lo_u32 v6, s22, v19
	v_mov_b32_e32 v7, 0
	s_delay_alu instid0(VALU_DEP_1) | instskip(NEXT) | instid1(VALU_DEP_1)
	v_lshlrev_b64_e32 v[6:7], 1, v[6:7]
	v_add_co_u32 v6, vcc_lo, s30, v6
	s_wait_alu 0xfffd
	s_delay_alu instid0(VALU_DEP_2)
	v_add_co_ci_u32_e64 v7, null, s31, v7, vcc_lo
	global_load_u16 v6, v[6:7], off
.LBB221_16:
	s_or_b32 exec_lo, exec_lo, s6
	v_dual_mov_b32 v7, s13 :: v_dual_add_nc_u32 v20, 0x600, v46
	s_delay_alu instid0(VALU_DEP_1)
	v_cmp_gt_u32_e64 s6, s21, v20
	s_and_saveexec_b32 s7, s6
	s_cbranch_execz .LBB221_18
; %bb.17:
	v_mul_lo_u32 v7, s22, v20
	v_mov_b32_e32 v8, 0
	s_delay_alu instid0(VALU_DEP_1) | instskip(NEXT) | instid1(VALU_DEP_1)
	v_lshlrev_b64_e32 v[7:8], 1, v[7:8]
	v_add_co_u32 v7, vcc_lo, s30, v7
	s_wait_alu 0xfffd
	s_delay_alu instid0(VALU_DEP_2)
	v_add_co_ci_u32_e64 v8, null, s31, v8, vcc_lo
	global_load_u16 v7, v[7:8], off
.LBB221_18:
	s_or_b32 exec_lo, exec_lo, s7
	s_clause 0x1
	s_load_b32 s14, s[10:11], 0x6c
	s_load_b64 s[10:11], s[10:11], 0x0
	v_dual_mov_b32 v8, s13 :: v_dual_add_nc_u32 v21, 0x700, v46
	s_delay_alu instid0(VALU_DEP_1)
	v_cmp_gt_u32_e64 s7, s21, v21
	s_and_saveexec_b32 s13, s7
	s_cbranch_execz .LBB221_20
; %bb.19:
	v_mul_lo_u32 v8, s22, v21
	v_mov_b32_e32 v9, 0
	s_delay_alu instid0(VALU_DEP_1) | instskip(NEXT) | instid1(VALU_DEP_1)
	v_lshlrev_b64_e32 v[8:9], 1, v[8:9]
	v_add_co_u32 v8, vcc_lo, s30, v8
	s_wait_alu 0xfffd
	s_delay_alu instid0(VALU_DEP_2)
	v_add_co_ci_u32_e64 v9, null, s31, v9, vcc_lo
	global_load_u16 v8, v[8:9], off
.LBB221_20:
	s_wait_alu 0xfffe
	s_or_b32 exec_lo, exec_lo, s13
	v_lshrrev_b32_e32 v9, 4, v46
	v_lshrrev_b32_e32 v10, 4, v15
	;; [unrolled: 1-line block ×5, first 2 shown]
	v_dual_mov_b32 v42, 0 :: v_dual_and_b32 v9, 60, v9
	v_lshlrev_b32_e32 v12, 1, v46
	v_and_b32_e32 v10, 0x7c, v10
	v_and_b32_e32 v11, 0x7c, v11
	s_wait_kmcnt 0x0
	s_mul_i32 s12, s14, s12
	v_mov_b32_e32 v43, v42
	v_add_nc_u32_e32 v51, v9, v12
	v_add_nc_u32_e32 v45, v10, v12
	v_add_nc_u32_e32 v52, v11, v12
	v_and_b32_e32 v9, 0x7c, v13
	v_lshrrev_b32_e32 v10, 4, v18
	v_lshrrev_b32_e32 v11, 4, v19
	;; [unrolled: 1-line block ×3, first 2 shown]
	v_mul_lo_u32 v41, s28, v46
	v_add_nc_u32_e32 v53, v9, v12
	v_and_b32_e32 v9, 0x7c, v10
	v_and_b32_e32 v10, 0xfc, v11
	;; [unrolled: 1-line block ×4, first 2 shown]
	v_lshrrev_b32_e32 v14, 1, v46
	v_add_nc_u32_e32 v54, v9, v12
	v_add_nc_u32_e32 v55, v10, v12
	;; [unrolled: 1-line block ×4, first 2 shown]
	v_and_b32_e32 v9, 0x1fc, v14
	v_mov_b32_e32 v13, 0
	v_dual_mov_b32 v11, v42 :: v_dual_mov_b32 v12, v42
	v_mov_b32_e32 v14, 0
	s_delay_alu instid0(VALU_DEP_4)
	v_lshl_add_u32 v58, v46, 4, v9
	s_wait_loadcnt 0x0
	ds_store_b16 v51, v1
	ds_store_b16 v45, v2 offset:512
	ds_store_b16 v52, v3 offset:1024
	;; [unrolled: 1-line block ×7, first 2 shown]
	s_wait_dscnt 0x0
	s_barrier_signal -1
	s_barrier_wait -1
	global_inv scope:SCOPE_SE
	ds_load_2addr_b32 v[49:50], v58 offset1:1
	ds_load_2addr_b32 v[47:48], v58 offset0:2 offset1:3
	s_wait_alu 0xfffe
	s_add_co_i32 s12, s12, s9
	s_mov_b32 s13, 0
	v_dual_mov_b32 v9, v42 :: v_dual_mov_b32 v10, v42
	v_dual_mov_b32 v1, v42 :: v_dual_mov_b32 v2, v42
	;; [unrolled: 1-line block ×5, first 2 shown]
	s_wait_alu 0xfffe
	s_lshl_b64 s[12:13], s[12:13], 3
	s_wait_loadcnt_dscnt 0x0
	s_wait_alu 0xfffe
	s_add_nc_u64 s[34:35], s[10:11], s[12:13]
	s_barrier_signal -1
	s_barrier_wait -1
	global_inv scope:SCOPE_SE
	s_and_saveexec_b32 s9, s0
	s_cbranch_execnz .LBB221_76
; %bb.21:
	s_wait_alu 0xfffe
	s_or_b32 exec_lo, exec_lo, s9
	s_and_saveexec_b32 s9, s1
	s_cbranch_execnz .LBB221_77
.LBB221_22:
	s_wait_alu 0xfffe
	s_or_b32 exec_lo, exec_lo, s9
	s_and_saveexec_b32 s9, s2
	s_cbranch_execnz .LBB221_78
.LBB221_23:
	s_wait_alu 0xfffe
	s_or_b32 exec_lo, exec_lo, s9
	s_and_saveexec_b32 s9, s3
	s_cbranch_execnz .LBB221_79
.LBB221_24:
	s_wait_alu 0xfffe
	s_or_b32 exec_lo, exec_lo, s9
	s_and_saveexec_b32 s9, s4
	s_cbranch_execnz .LBB221_80
.LBB221_25:
	s_wait_alu 0xfffe
	s_or_b32 exec_lo, exec_lo, s9
	s_and_saveexec_b32 s9, s5
	s_cbranch_execnz .LBB221_81
.LBB221_26:
	s_wait_alu 0xfffe
	s_or_b32 exec_lo, exec_lo, s9
	s_and_saveexec_b32 s9, s6
	s_cbranch_execz .LBB221_28
.LBB221_27:
	v_mul_lo_u32 v5, s28, v20
	v_mov_b32_e32 v6, 0
	s_delay_alu instid0(VALU_DEP_1) | instskip(NEXT) | instid1(VALU_DEP_1)
	v_lshlrev_b64_e32 v[5:6], 3, v[5:6]
	v_add_co_u32 v5, vcc_lo, s34, v5
	s_wait_alu 0xfffd
	s_delay_alu instid0(VALU_DEP_2)
	v_add_co_ci_u32_e64 v6, null, s35, v6, vcc_lo
	global_load_b64 v[5:6], v[5:6], off
.LBB221_28:
	s_wait_alu 0xfffe
	s_or_b32 exec_lo, exec_lo, s9
	v_lshrrev_b32_e32 v68, 5, v46
	v_lshrrev_b32_e32 v25, 5, v15
	;; [unrolled: 1-line block ×8, first 2 shown]
	v_lshlrev_b32_e32 v66, 3, v46
	v_lshrrev_b32_e32 v15, 2, v46
	s_xor_b32 s8, s8, -1
	s_and_saveexec_b32 s9, s7
	s_cbranch_execz .LBB221_30
; %bb.29:
	v_mul_lo_u32 v7, s28, v21
	v_mov_b32_e32 v8, 0
	s_delay_alu instid0(VALU_DEP_1) | instskip(NEXT) | instid1(VALU_DEP_1)
	v_lshlrev_b64_e32 v[7:8], 3, v[7:8]
	v_add_co_u32 v7, vcc_lo, s34, v7
	s_wait_alu 0xfffd
	s_delay_alu instid0(VALU_DEP_2)
	v_add_co_ci_u32_e64 v8, null, s35, v8, vcc_lo
	global_load_b64 v[7:8], v[7:8], off
.LBB221_30:
	s_wait_alu 0xfffe
	s_or_b32 exec_lo, exec_lo, s9
	v_lshl_add_u32 v59, v68, 3, v66
	v_lshl_add_u32 v60, v25, 3, v66
	;; [unrolled: 1-line block ×5, first 2 shown]
	s_wait_loadcnt 0x0
	ds_store_b64 v59, v[13:14]
	ds_store_b64 v60, v[42:43] offset:2048
	ds_store_b64 v61, v[9:10] offset:4096
	;; [unrolled: 1-line block ×3, first 2 shown]
	v_lshlrev_b32_e32 v9, 3, v66
	v_lshl_add_u32 v42, v22, 3, v66
	v_lshl_add_u32 v43, v18, 3, v66
	;; [unrolled: 1-line block ×3, first 2 shown]
	ds_store_b64 v42, v[1:2] offset:8192
	ds_store_b64 v43, v[3:4] offset:10240
	;; [unrolled: 1-line block ×4, first 2 shown]
	v_lshl_add_u32 v65, v15, 3, v9
	s_wait_dscnt 0x0
	s_barrier_signal -1
	s_barrier_wait -1
	global_inv scope:SCOPE_SE
	ds_load_2addr_b64 v[13:16], v65 offset1:1
	ds_load_2addr_b64 v[9:12], v65 offset0:2 offset1:3
	ds_load_2addr_b64 v[5:8], v65 offset0:4 offset1:5
	;; [unrolled: 1-line block ×3, first 2 shown]
	v_bfe_u32 v71, v0, 10, 10
	v_bfe_u32 v72, v0, 20, 10
	v_mbcnt_lo_u32_b32 v69, -1, 0
	v_and_b32_e32 v70, 0x3e0, v46
	v_lshlrev_b32_e32 v67, 2, v66
	s_and_b32 vcc_lo, exec_lo, s8
	s_wait_loadcnt_dscnt 0x0
	s_barrier_signal -1
	s_barrier_wait -1
	global_inv scope:SCOPE_SE
	s_wait_alu 0xfffe
	s_cbranch_vccz .LBB221_82
; %bb.31:
	v_pk_ashrrev_i16 v0, 15, v49 op_sel_hi:[0,1]
	v_pk_ashrrev_i16 v17, 15, v50 op_sel_hi:[0,1]
	;; [unrolled: 1-line block ×4, first 2 shown]
	v_or_b32_e32 v21, v69, v70
	v_or_b32_e32 v0, 0x80008000, v0
	;; [unrolled: 1-line block ×5, first 2 shown]
	v_and_or_b32 v84, 0x1f00, v66, v69
	s_mov_b32 s12, 0
	v_xor_b32_e32 v17, v0, v49
	v_xor_b32_e32 v18, v20, v50
	v_xor_b32_e32 v19, v22, v47
	v_xor_b32_e32 v20, v24, v48
	s_wait_alu 0xfffe
	s_mov_b32 s13, s12
	s_mov_b32 s14, s12
	;; [unrolled: 1-line block ×3, first 2 shown]
	v_lshlrev_b32_e32 v23, 4, v21
	v_lshlrev_b32_e32 v73, 1, v84
	s_getpc_b64 s[8:9]
	s_wait_alu 0xfffe
	s_sext_i32_i16 s9, s9
	s_add_co_u32 s8, s8, _ZN7rocprim17ROCPRIM_400000_NS16block_radix_sortI6__halfLj256ELj8ElLj1ELj1ELj0ELNS0_26block_radix_rank_algorithmE1ELNS0_18block_padding_hintE2ELNS0_4arch9wavefront6targetE0EE19radix_bits_per_passE@rel32@lo+12
	s_wait_alu 0xfffe
	s_add_co_ci_u32 s9, s9, _ZN7rocprim17ROCPRIM_400000_NS16block_radix_sortI6__halfLj256ELj8ElLj1ELj1ELj0ELNS0_26block_radix_rank_algorithmE1ELNS0_18block_padding_hintE2ELNS0_4arch9wavefront6targetE0EE19radix_bits_per_passE@rel32@hi+24
	s_load_b32 s20, s[8:9], 0x0
	ds_store_b128 v23, v[17:20]
	; wave barrier
	ds_load_u16 v74, v73
	v_mad_u32_u24 v0, v21, 48, v23
	ds_load_u16 v75, v73 offset:64
	ds_load_u16 v76, v73 offset:128
	;; [unrolled: 1-line block ×7, first 2 shown]
	s_wait_loadcnt_dscnt 0x0
	s_barrier_signal -1
	s_barrier_wait -1
	global_inv scope:SCOPE_SE
	ds_store_b128 v0, v[13:16]
	ds_store_b128 v0, v[9:12] offset:16
	ds_store_b128 v0, v[5:8] offset:32
	;; [unrolled: 1-line block ×3, first 2 shown]
	v_mad_u32_u24 v29, v84, 6, v73
	; wave barrier
	s_wait_kmcnt 0x0
	s_min_u32 s8, s20, 16
	s_wait_alu 0xfffe
	s_lshl_b32 s8, -1, s8
	v_cmp_ne_u16_e32 vcc_lo, 0x7fff, v74
	s_wait_alu 0xfffe
	s_not_b32 s9, s8
	s_wait_alu 0xfffd
	v_cndmask_b32_e32 v17, 0xffff8000, v74, vcc_lo
	s_delay_alu instid0(VALU_DEP_1) | instskip(SKIP_1) | instid1(VALU_DEP_1)
	v_and_b32_e32 v17, 0xffff, v17
	s_wait_alu 0xfffe
	v_and_b32_e32 v40, s9, v17
	ds_load_2addr_b64 v[17:20], v29 offset1:32
	ds_load_2addr_b64 v[25:28], v29 offset0:64 offset1:96
	ds_load_2addr_b64 v[21:24], v29 offset0:128 offset1:160
	;; [unrolled: 1-line block ×3, first 2 shown]
	s_wait_loadcnt_dscnt 0x0
	v_and_b32_e32 v0, 1, v40
	v_lshlrev_b32_e32 v33, 30, v40
	v_lshlrev_b32_e32 v36, 28, v40
	s_barrier_signal -1
	s_barrier_wait -1
	v_add_co_u32 v0, s8, v0, -1
	s_wait_alu 0xf1ff
	v_cndmask_b32_e64 v34, 0, 1, s8
	v_not_b32_e32 v35, v33
	v_cmp_gt_i32_e64 s8, 0, v33
	global_inv scope:SCOPE_SE
	v_cmp_ne_u32_e32 vcc_lo, 0, v34
	v_lshlrev_b32_e32 v34, 29, v40
	v_ashrrev_i32_e32 v33, 31, v35
	s_wait_alu 0xfffd
	v_xor_b32_e32 v0, vcc_lo, v0
	s_delay_alu instid0(VALU_DEP_3)
	v_not_b32_e32 v35, v34
	s_wait_alu 0xf1ff
	v_xor_b32_e32 v33, s8, v33
	v_cmp_gt_i32_e32 vcc_lo, 0, v34
	s_load_b32 s8, s[36:37], 0xc
	v_and_b32_e32 v0, exec_lo, v0
	v_ashrrev_i32_e32 v34, 31, v35
	v_not_b32_e32 v35, v36
	s_delay_alu instid0(VALU_DEP_3) | instskip(SKIP_1) | instid1(VALU_DEP_4)
	v_and_b32_e32 v0, v0, v33
	v_lshlrev_b32_e32 v33, 27, v40
	v_xor_b32_e32 v34, vcc_lo, v34
	v_cmp_gt_i32_e32 vcc_lo, 0, v36
	v_ashrrev_i32_e32 v35, 31, v35
	s_delay_alu instid0(VALU_DEP_4) | instskip(NEXT) | instid1(VALU_DEP_4)
	v_not_b32_e32 v36, v33
	v_and_b32_e32 v0, v0, v34
	v_lshlrev_b32_e32 v34, 26, v40
	s_wait_alu 0xfffd
	v_xor_b32_e32 v35, vcc_lo, v35
	v_cmp_gt_i32_e32 vcc_lo, 0, v33
	v_ashrrev_i32_e32 v33, 31, v36
	v_not_b32_e32 v36, v34
	s_delay_alu instid0(VALU_DEP_4)
	v_and_b32_e32 v0, v0, v35
	v_lshlrev_b32_e32 v35, 25, v40
	s_wait_alu 0xfffd
	v_xor_b32_e32 v33, vcc_lo, v33
	v_cmp_gt_i32_e32 vcc_lo, 0, v34
	v_ashrrev_i32_e32 v34, 31, v36
	s_wait_kmcnt 0x0
	s_lshr_b32 s10, s8, 16
	v_not_b32_e32 v36, v35
	v_and_b32_e32 v0, v0, v33
	v_lshlrev_b32_e32 v33, 24, v40
	s_wait_alu 0xfffd
	v_xor_b32_e32 v34, vcc_lo, v34
	v_cmp_gt_i32_e32 vcc_lo, 0, v35
	v_ashrrev_i32_e32 v35, 31, v36
	v_mad_u32_u24 v37, v72, s10, v71
	v_not_b32_e32 v36, v33
	v_and_b32_e32 v0, v0, v34
	s_and_b32 s8, s8, 0xffff
	s_wait_alu 0xfffd
	v_xor_b32_e32 v34, vcc_lo, v35
	v_cmp_gt_i32_e32 vcc_lo, 0, v33
	v_ashrrev_i32_e32 v33, 31, v36
	s_wait_alu 0xfffe
	v_mad_co_u64_u32 v[38:39], null, v37, s8, v[46:47]
	v_dual_mov_b32 v37, s15 :: v_dual_and_b32 v0, v0, v34
	s_wait_alu 0xfffd
	v_xor_b32_e32 v33, vcc_lo, v33
	v_dual_mov_b32 v36, s14 :: v_dual_mov_b32 v35, s13
	v_mov_b32_e32 v34, s12
	ds_store_b128 v67, v[34:37] offset:32
	ds_store_b128 v67, v[34:37] offset:48
	v_and_b32_e32 v33, v0, v33
	v_lshrrev_b32_e32 v0, 5, v38
	v_lshlrev_b32_e32 v34, 5, v40
	s_wait_loadcnt_dscnt 0x0
	s_barrier_signal -1
	v_mbcnt_lo_u32_b32 v86, v33, 0
	v_lshlrev_b32_e32 v0, 2, v0
	v_cmp_ne_u32_e64 s8, 0, v33
	s_barrier_wait -1
	global_inv scope:SCOPE_SE
	v_cmp_eq_u32_e32 vcc_lo, 0, v86
	v_add_nc_u32_e32 v87, v0, v34
	; wave barrier
	s_and_b32 s10, s8, vcc_lo
	s_wait_alu 0xfffe
	s_and_saveexec_b32 s8, s10
; %bb.32:
	v_bcnt_u32_b32 v33, v33, 0
	ds_store_b32 v87, v33 offset:32
; %bb.33:
	s_wait_alu 0xfffe
	s_or_b32 exec_lo, exec_lo, s8
	v_cmp_ne_u16_e32 vcc_lo, 0x7fff, v75
	; wave barrier
	s_wait_alu 0xfffd
	v_cndmask_b32_e32 v33, 0xffff8000, v75, vcc_lo
	s_delay_alu instid0(VALU_DEP_1) | instskip(NEXT) | instid1(VALU_DEP_1)
	v_and_b32_e32 v33, 0xffff, v33
	v_and_b32_e32 v33, s9, v33
	s_delay_alu instid0(VALU_DEP_1)
	v_and_b32_e32 v34, 1, v33
	v_lshlrev_b32_e32 v35, 30, v33
	v_lshlrev_b32_e32 v36, 29, v33
	;; [unrolled: 1-line block ×4, first 2 shown]
	v_add_co_u32 v34, s8, v34, -1
	s_wait_alu 0xf1ff
	v_cndmask_b32_e64 v38, 0, 1, s8
	v_not_b32_e32 v83, v35
	v_cmp_gt_i32_e64 s8, 0, v35
	v_not_b32_e32 v35, v36
	v_lshlrev_b32_e32 v40, 26, v33
	v_cmp_ne_u32_e32 vcc_lo, 0, v38
	v_ashrrev_i32_e32 v83, 31, v83
	v_lshlrev_b32_e32 v82, 25, v33
	v_ashrrev_i32_e32 v35, 31, v35
	v_lshlrev_b32_e32 v38, 24, v33
	s_wait_alu 0xfffd
	v_xor_b32_e32 v34, vcc_lo, v34
	v_cmp_gt_i32_e32 vcc_lo, 0, v36
	v_not_b32_e32 v36, v37
	s_wait_alu 0xf1ff
	v_xor_b32_e32 v83, s8, v83
	v_cmp_gt_i32_e64 s8, 0, v37
	v_and_b32_e32 v34, exec_lo, v34
	v_not_b32_e32 v37, v39
	v_ashrrev_i32_e32 v36, 31, v36
	s_wait_alu 0xfffd
	v_xor_b32_e32 v35, vcc_lo, v35
	v_cmp_gt_i32_e32 vcc_lo, 0, v39
	v_and_b32_e32 v34, v34, v83
	v_not_b32_e32 v39, v40
	v_ashrrev_i32_e32 v37, 31, v37
	s_wait_alu 0xf1ff
	v_xor_b32_e32 v36, s8, v36
	v_cmp_gt_i32_e64 s8, 0, v40
	v_and_b32_e32 v34, v34, v35
	v_not_b32_e32 v35, v82
	v_ashrrev_i32_e32 v39, 31, v39
	s_wait_alu 0xfffd
	v_xor_b32_e32 v37, vcc_lo, v37
	v_cmp_gt_i32_e32 vcc_lo, 0, v82
	v_and_b32_e32 v34, v34, v36
	v_not_b32_e32 v36, v38
	v_ashrrev_i32_e32 v35, 31, v35
	s_wait_alu 0xf1ff
	v_xor_b32_e32 v39, s8, v39
	v_lshlrev_b32_e32 v33, 5, v33
	v_and_b32_e32 v34, v34, v37
	v_cmp_gt_i32_e64 s8, 0, v38
	v_ashrrev_i32_e32 v36, 31, v36
	s_wait_alu 0xfffd
	v_xor_b32_e32 v35, vcc_lo, v35
	v_add_nc_u32_e32 v90, v0, v33
	v_and_b32_e32 v34, v34, v39
	s_wait_alu 0xf1ff
	v_xor_b32_e32 v33, s8, v36
	ds_load_b32 v88, v90 offset:32
	v_and_b32_e32 v34, v34, v35
	; wave barrier
	s_delay_alu instid0(VALU_DEP_1) | instskip(NEXT) | instid1(VALU_DEP_1)
	v_and_b32_e32 v33, v34, v33
	v_mbcnt_lo_u32_b32 v89, v33, 0
	v_cmp_ne_u32_e64 s8, 0, v33
	s_delay_alu instid0(VALU_DEP_2)
	v_cmp_eq_u32_e32 vcc_lo, 0, v89
	s_and_b32 s10, s8, vcc_lo
	s_wait_alu 0xfffe
	s_and_saveexec_b32 s8, s10
	s_cbranch_execz .LBB221_35
; %bb.34:
	s_wait_dscnt 0x0
	v_bcnt_u32_b32 v33, v33, v88
	ds_store_b32 v90, v33 offset:32
.LBB221_35:
	s_wait_alu 0xfffe
	s_or_b32 exec_lo, exec_lo, s8
	v_cmp_ne_u16_e32 vcc_lo, 0x7fff, v76
	; wave barrier
	s_wait_alu 0xfffd
	v_cndmask_b32_e32 v33, 0xffff8000, v76, vcc_lo
	s_delay_alu instid0(VALU_DEP_1) | instskip(NEXT) | instid1(VALU_DEP_1)
	v_and_b32_e32 v33, 0xffff, v33
	v_and_b32_e32 v33, s9, v33
	s_delay_alu instid0(VALU_DEP_1)
	v_and_b32_e32 v34, 1, v33
	v_lshlrev_b32_e32 v35, 30, v33
	v_lshlrev_b32_e32 v36, 29, v33
	;; [unrolled: 1-line block ×4, first 2 shown]
	v_add_co_u32 v34, s8, v34, -1
	s_wait_alu 0xf1ff
	v_cndmask_b32_e64 v38, 0, 1, s8
	v_not_b32_e32 v83, v35
	v_cmp_gt_i32_e64 s8, 0, v35
	v_not_b32_e32 v35, v36
	v_lshlrev_b32_e32 v40, 26, v33
	v_cmp_ne_u32_e32 vcc_lo, 0, v38
	v_ashrrev_i32_e32 v83, 31, v83
	v_lshlrev_b32_e32 v82, 25, v33
	v_ashrrev_i32_e32 v35, 31, v35
	v_lshlrev_b32_e32 v38, 24, v33
	s_wait_alu 0xfffd
	v_xor_b32_e32 v34, vcc_lo, v34
	v_cmp_gt_i32_e32 vcc_lo, 0, v36
	v_not_b32_e32 v36, v37
	s_wait_alu 0xf1ff
	v_xor_b32_e32 v83, s8, v83
	v_cmp_gt_i32_e64 s8, 0, v37
	v_and_b32_e32 v34, exec_lo, v34
	v_not_b32_e32 v37, v39
	v_ashrrev_i32_e32 v36, 31, v36
	s_wait_alu 0xfffd
	v_xor_b32_e32 v35, vcc_lo, v35
	v_cmp_gt_i32_e32 vcc_lo, 0, v39
	v_and_b32_e32 v34, v34, v83
	v_not_b32_e32 v39, v40
	v_ashrrev_i32_e32 v37, 31, v37
	s_wait_alu 0xf1ff
	v_xor_b32_e32 v36, s8, v36
	v_cmp_gt_i32_e64 s8, 0, v40
	v_and_b32_e32 v34, v34, v35
	v_not_b32_e32 v35, v82
	v_ashrrev_i32_e32 v39, 31, v39
	s_wait_alu 0xfffd
	v_xor_b32_e32 v37, vcc_lo, v37
	v_cmp_gt_i32_e32 vcc_lo, 0, v82
	v_and_b32_e32 v34, v34, v36
	v_not_b32_e32 v36, v38
	v_ashrrev_i32_e32 v35, 31, v35
	s_wait_alu 0xf1ff
	v_xor_b32_e32 v39, s8, v39
	v_lshlrev_b32_e32 v33, 5, v33
	v_and_b32_e32 v34, v34, v37
	v_cmp_gt_i32_e64 s8, 0, v38
	v_ashrrev_i32_e32 v36, 31, v36
	s_wait_alu 0xfffd
	v_xor_b32_e32 v35, vcc_lo, v35
	v_add_nc_u32_e32 v93, v0, v33
	v_and_b32_e32 v34, v34, v39
	s_wait_alu 0xf1ff
	v_xor_b32_e32 v33, s8, v36
	ds_load_b32 v91, v93 offset:32
	v_and_b32_e32 v34, v34, v35
	; wave barrier
	s_delay_alu instid0(VALU_DEP_1) | instskip(NEXT) | instid1(VALU_DEP_1)
	v_and_b32_e32 v33, v34, v33
	v_mbcnt_lo_u32_b32 v92, v33, 0
	v_cmp_ne_u32_e64 s8, 0, v33
	s_delay_alu instid0(VALU_DEP_2)
	v_cmp_eq_u32_e32 vcc_lo, 0, v92
	s_and_b32 s10, s8, vcc_lo
	s_wait_alu 0xfffe
	s_and_saveexec_b32 s8, s10
	s_cbranch_execz .LBB221_37
; %bb.36:
	s_wait_dscnt 0x0
	v_bcnt_u32_b32 v33, v33, v91
	ds_store_b32 v93, v33 offset:32
.LBB221_37:
	s_wait_alu 0xfffe
	s_or_b32 exec_lo, exec_lo, s8
	v_cmp_ne_u16_e32 vcc_lo, 0x7fff, v77
	; wave barrier
	s_wait_alu 0xfffd
	v_cndmask_b32_e32 v33, 0xffff8000, v77, vcc_lo
	s_delay_alu instid0(VALU_DEP_1) | instskip(NEXT) | instid1(VALU_DEP_1)
	v_and_b32_e32 v33, 0xffff, v33
	v_and_b32_e32 v33, s9, v33
	s_delay_alu instid0(VALU_DEP_1)
	v_and_b32_e32 v34, 1, v33
	v_lshlrev_b32_e32 v35, 30, v33
	v_lshlrev_b32_e32 v36, 29, v33
	v_lshlrev_b32_e32 v37, 28, v33
	v_lshlrev_b32_e32 v39, 27, v33
	v_add_co_u32 v34, s8, v34, -1
	s_wait_alu 0xf1ff
	v_cndmask_b32_e64 v38, 0, 1, s8
	v_not_b32_e32 v83, v35
	v_cmp_gt_i32_e64 s8, 0, v35
	v_not_b32_e32 v35, v36
	v_lshlrev_b32_e32 v40, 26, v33
	v_cmp_ne_u32_e32 vcc_lo, 0, v38
	v_ashrrev_i32_e32 v83, 31, v83
	v_lshlrev_b32_e32 v82, 25, v33
	v_ashrrev_i32_e32 v35, 31, v35
	v_lshlrev_b32_e32 v38, 24, v33
	s_wait_alu 0xfffd
	v_xor_b32_e32 v34, vcc_lo, v34
	v_cmp_gt_i32_e32 vcc_lo, 0, v36
	v_not_b32_e32 v36, v37
	s_wait_alu 0xf1ff
	v_xor_b32_e32 v83, s8, v83
	v_cmp_gt_i32_e64 s8, 0, v37
	v_and_b32_e32 v34, exec_lo, v34
	v_not_b32_e32 v37, v39
	v_ashrrev_i32_e32 v36, 31, v36
	s_wait_alu 0xfffd
	v_xor_b32_e32 v35, vcc_lo, v35
	v_cmp_gt_i32_e32 vcc_lo, 0, v39
	v_and_b32_e32 v34, v34, v83
	v_not_b32_e32 v39, v40
	v_ashrrev_i32_e32 v37, 31, v37
	s_wait_alu 0xf1ff
	v_xor_b32_e32 v36, s8, v36
	v_cmp_gt_i32_e64 s8, 0, v40
	v_and_b32_e32 v34, v34, v35
	v_not_b32_e32 v35, v82
	v_ashrrev_i32_e32 v39, 31, v39
	s_wait_alu 0xfffd
	v_xor_b32_e32 v37, vcc_lo, v37
	v_cmp_gt_i32_e32 vcc_lo, 0, v82
	v_and_b32_e32 v34, v34, v36
	v_not_b32_e32 v36, v38
	v_ashrrev_i32_e32 v35, 31, v35
	s_wait_alu 0xf1ff
	v_xor_b32_e32 v39, s8, v39
	v_lshlrev_b32_e32 v33, 5, v33
	v_and_b32_e32 v34, v34, v37
	v_cmp_gt_i32_e64 s8, 0, v38
	v_ashrrev_i32_e32 v36, 31, v36
	s_wait_alu 0xfffd
	v_xor_b32_e32 v35, vcc_lo, v35
	v_add_nc_u32_e32 v96, v0, v33
	v_and_b32_e32 v34, v34, v39
	s_wait_alu 0xf1ff
	v_xor_b32_e32 v33, s8, v36
	ds_load_b32 v94, v96 offset:32
	v_and_b32_e32 v34, v34, v35
	; wave barrier
	s_delay_alu instid0(VALU_DEP_1) | instskip(NEXT) | instid1(VALU_DEP_1)
	v_and_b32_e32 v33, v34, v33
	v_mbcnt_lo_u32_b32 v95, v33, 0
	v_cmp_ne_u32_e64 s8, 0, v33
	s_delay_alu instid0(VALU_DEP_2)
	v_cmp_eq_u32_e32 vcc_lo, 0, v95
	s_and_b32 s10, s8, vcc_lo
	s_wait_alu 0xfffe
	s_and_saveexec_b32 s8, s10
	s_cbranch_execz .LBB221_39
; %bb.38:
	s_wait_dscnt 0x0
	v_bcnt_u32_b32 v33, v33, v94
	ds_store_b32 v96, v33 offset:32
.LBB221_39:
	s_wait_alu 0xfffe
	s_or_b32 exec_lo, exec_lo, s8
	v_cmp_ne_u16_e32 vcc_lo, 0x7fff, v78
	; wave barrier
	s_wait_alu 0xfffd
	v_cndmask_b32_e32 v33, 0xffff8000, v78, vcc_lo
	s_delay_alu instid0(VALU_DEP_1) | instskip(NEXT) | instid1(VALU_DEP_1)
	v_and_b32_e32 v33, 0xffff, v33
	v_and_b32_e32 v33, s9, v33
	s_delay_alu instid0(VALU_DEP_1)
	v_and_b32_e32 v34, 1, v33
	v_lshlrev_b32_e32 v35, 30, v33
	v_lshlrev_b32_e32 v36, 29, v33
	;; [unrolled: 1-line block ×4, first 2 shown]
	v_add_co_u32 v34, s8, v34, -1
	s_wait_alu 0xf1ff
	v_cndmask_b32_e64 v38, 0, 1, s8
	v_not_b32_e32 v83, v35
	v_cmp_gt_i32_e64 s8, 0, v35
	v_not_b32_e32 v35, v36
	v_lshlrev_b32_e32 v40, 26, v33
	v_cmp_ne_u32_e32 vcc_lo, 0, v38
	v_ashrrev_i32_e32 v83, 31, v83
	v_lshlrev_b32_e32 v82, 25, v33
	v_ashrrev_i32_e32 v35, 31, v35
	v_lshlrev_b32_e32 v38, 24, v33
	s_wait_alu 0xfffd
	v_xor_b32_e32 v34, vcc_lo, v34
	v_cmp_gt_i32_e32 vcc_lo, 0, v36
	v_not_b32_e32 v36, v37
	s_wait_alu 0xf1ff
	v_xor_b32_e32 v83, s8, v83
	v_cmp_gt_i32_e64 s8, 0, v37
	v_and_b32_e32 v34, exec_lo, v34
	v_not_b32_e32 v37, v39
	v_ashrrev_i32_e32 v36, 31, v36
	s_wait_alu 0xfffd
	v_xor_b32_e32 v35, vcc_lo, v35
	v_cmp_gt_i32_e32 vcc_lo, 0, v39
	v_and_b32_e32 v34, v34, v83
	v_not_b32_e32 v39, v40
	v_ashrrev_i32_e32 v37, 31, v37
	s_wait_alu 0xf1ff
	v_xor_b32_e32 v36, s8, v36
	v_cmp_gt_i32_e64 s8, 0, v40
	v_and_b32_e32 v34, v34, v35
	v_not_b32_e32 v35, v82
	v_ashrrev_i32_e32 v39, 31, v39
	s_wait_alu 0xfffd
	v_xor_b32_e32 v37, vcc_lo, v37
	v_cmp_gt_i32_e32 vcc_lo, 0, v82
	v_and_b32_e32 v34, v34, v36
	v_not_b32_e32 v36, v38
	v_ashrrev_i32_e32 v35, 31, v35
	s_wait_alu 0xf1ff
	v_xor_b32_e32 v39, s8, v39
	v_lshlrev_b32_e32 v33, 5, v33
	v_and_b32_e32 v34, v34, v37
	v_cmp_gt_i32_e64 s8, 0, v38
	v_ashrrev_i32_e32 v36, 31, v36
	s_wait_alu 0xfffd
	v_xor_b32_e32 v35, vcc_lo, v35
	v_add_nc_u32_e32 v99, v0, v33
	v_and_b32_e32 v34, v34, v39
	s_wait_alu 0xf1ff
	v_xor_b32_e32 v33, s8, v36
	ds_load_b32 v97, v99 offset:32
	v_and_b32_e32 v34, v34, v35
	; wave barrier
	s_delay_alu instid0(VALU_DEP_1) | instskip(NEXT) | instid1(VALU_DEP_1)
	v_and_b32_e32 v33, v34, v33
	v_mbcnt_lo_u32_b32 v98, v33, 0
	v_cmp_ne_u32_e64 s8, 0, v33
	s_delay_alu instid0(VALU_DEP_2)
	v_cmp_eq_u32_e32 vcc_lo, 0, v98
	s_and_b32 s10, s8, vcc_lo
	s_wait_alu 0xfffe
	s_and_saveexec_b32 s8, s10
	s_cbranch_execz .LBB221_41
; %bb.40:
	s_wait_dscnt 0x0
	v_bcnt_u32_b32 v33, v33, v97
	ds_store_b32 v99, v33 offset:32
.LBB221_41:
	s_wait_alu 0xfffe
	s_or_b32 exec_lo, exec_lo, s8
	v_cmp_ne_u16_e32 vcc_lo, 0x7fff, v79
	; wave barrier
	s_wait_alu 0xfffd
	v_cndmask_b32_e32 v33, 0xffff8000, v79, vcc_lo
	s_delay_alu instid0(VALU_DEP_1) | instskip(NEXT) | instid1(VALU_DEP_1)
	v_and_b32_e32 v33, 0xffff, v33
	v_and_b32_e32 v33, s9, v33
	s_delay_alu instid0(VALU_DEP_1)
	v_and_b32_e32 v34, 1, v33
	v_lshlrev_b32_e32 v35, 30, v33
	v_lshlrev_b32_e32 v36, 29, v33
	;; [unrolled: 1-line block ×4, first 2 shown]
	v_add_co_u32 v34, s8, v34, -1
	s_wait_alu 0xf1ff
	v_cndmask_b32_e64 v38, 0, 1, s8
	v_not_b32_e32 v83, v35
	v_cmp_gt_i32_e64 s8, 0, v35
	v_not_b32_e32 v35, v36
	v_lshlrev_b32_e32 v40, 26, v33
	v_cmp_ne_u32_e32 vcc_lo, 0, v38
	v_ashrrev_i32_e32 v83, 31, v83
	v_lshlrev_b32_e32 v82, 25, v33
	v_ashrrev_i32_e32 v35, 31, v35
	v_lshlrev_b32_e32 v38, 24, v33
	s_wait_alu 0xfffd
	v_xor_b32_e32 v34, vcc_lo, v34
	v_cmp_gt_i32_e32 vcc_lo, 0, v36
	v_not_b32_e32 v36, v37
	s_wait_alu 0xf1ff
	v_xor_b32_e32 v83, s8, v83
	v_cmp_gt_i32_e64 s8, 0, v37
	v_and_b32_e32 v34, exec_lo, v34
	v_not_b32_e32 v37, v39
	v_ashrrev_i32_e32 v36, 31, v36
	s_wait_alu 0xfffd
	v_xor_b32_e32 v35, vcc_lo, v35
	v_cmp_gt_i32_e32 vcc_lo, 0, v39
	v_and_b32_e32 v34, v34, v83
	v_not_b32_e32 v39, v40
	v_ashrrev_i32_e32 v37, 31, v37
	s_wait_alu 0xf1ff
	v_xor_b32_e32 v36, s8, v36
	v_cmp_gt_i32_e64 s8, 0, v40
	v_and_b32_e32 v34, v34, v35
	v_not_b32_e32 v35, v82
	v_ashrrev_i32_e32 v39, 31, v39
	s_wait_alu 0xfffd
	v_xor_b32_e32 v37, vcc_lo, v37
	v_cmp_gt_i32_e32 vcc_lo, 0, v82
	v_and_b32_e32 v34, v34, v36
	v_not_b32_e32 v36, v38
	v_ashrrev_i32_e32 v35, 31, v35
	s_wait_alu 0xf1ff
	v_xor_b32_e32 v39, s8, v39
	v_lshlrev_b32_e32 v33, 5, v33
	v_and_b32_e32 v34, v34, v37
	v_cmp_gt_i32_e64 s8, 0, v38
	v_ashrrev_i32_e32 v36, 31, v36
	s_wait_alu 0xfffd
	v_xor_b32_e32 v35, vcc_lo, v35
	v_add_nc_u32_e32 v102, v0, v33
	v_and_b32_e32 v34, v34, v39
	s_wait_alu 0xf1ff
	v_xor_b32_e32 v33, s8, v36
	ds_load_b32 v100, v102 offset:32
	v_and_b32_e32 v34, v34, v35
	; wave barrier
	s_delay_alu instid0(VALU_DEP_1) | instskip(NEXT) | instid1(VALU_DEP_1)
	v_and_b32_e32 v33, v34, v33
	v_mbcnt_lo_u32_b32 v101, v33, 0
	v_cmp_ne_u32_e64 s8, 0, v33
	s_delay_alu instid0(VALU_DEP_2)
	v_cmp_eq_u32_e32 vcc_lo, 0, v101
	s_and_b32 s10, s8, vcc_lo
	s_wait_alu 0xfffe
	s_and_saveexec_b32 s8, s10
	s_cbranch_execz .LBB221_43
; %bb.42:
	s_wait_dscnt 0x0
	v_bcnt_u32_b32 v33, v33, v100
	ds_store_b32 v102, v33 offset:32
.LBB221_43:
	s_wait_alu 0xfffe
	s_or_b32 exec_lo, exec_lo, s8
	v_cmp_ne_u16_e32 vcc_lo, 0x7fff, v80
	; wave barrier
	s_wait_alu 0xfffd
	v_cndmask_b32_e32 v33, 0xffff8000, v80, vcc_lo
	s_delay_alu instid0(VALU_DEP_1) | instskip(NEXT) | instid1(VALU_DEP_1)
	v_and_b32_e32 v33, 0xffff, v33
	v_and_b32_e32 v33, s9, v33
	s_delay_alu instid0(VALU_DEP_1)
	v_and_b32_e32 v34, 1, v33
	v_lshlrev_b32_e32 v35, 30, v33
	v_lshlrev_b32_e32 v36, 29, v33
	v_lshlrev_b32_e32 v37, 28, v33
	v_lshlrev_b32_e32 v39, 27, v33
	v_add_co_u32 v34, s8, v34, -1
	s_wait_alu 0xf1ff
	v_cndmask_b32_e64 v38, 0, 1, s8
	v_not_b32_e32 v83, v35
	v_cmp_gt_i32_e64 s8, 0, v35
	v_not_b32_e32 v35, v36
	v_lshlrev_b32_e32 v40, 26, v33
	v_cmp_ne_u32_e32 vcc_lo, 0, v38
	v_ashrrev_i32_e32 v83, 31, v83
	v_lshlrev_b32_e32 v82, 25, v33
	v_ashrrev_i32_e32 v35, 31, v35
	v_lshlrev_b32_e32 v38, 24, v33
	s_wait_alu 0xfffd
	v_xor_b32_e32 v34, vcc_lo, v34
	v_cmp_gt_i32_e32 vcc_lo, 0, v36
	v_not_b32_e32 v36, v37
	s_wait_alu 0xf1ff
	v_xor_b32_e32 v83, s8, v83
	v_cmp_gt_i32_e64 s8, 0, v37
	v_and_b32_e32 v34, exec_lo, v34
	v_not_b32_e32 v37, v39
	v_ashrrev_i32_e32 v36, 31, v36
	s_wait_alu 0xfffd
	v_xor_b32_e32 v35, vcc_lo, v35
	v_cmp_gt_i32_e32 vcc_lo, 0, v39
	v_and_b32_e32 v34, v34, v83
	v_not_b32_e32 v39, v40
	v_ashrrev_i32_e32 v37, 31, v37
	s_wait_alu 0xf1ff
	v_xor_b32_e32 v36, s8, v36
	v_cmp_gt_i32_e64 s8, 0, v40
	v_and_b32_e32 v34, v34, v35
	v_not_b32_e32 v35, v82
	v_ashrrev_i32_e32 v39, 31, v39
	s_wait_alu 0xfffd
	v_xor_b32_e32 v37, vcc_lo, v37
	v_cmp_gt_i32_e32 vcc_lo, 0, v82
	v_and_b32_e32 v34, v34, v36
	v_not_b32_e32 v36, v38
	v_ashrrev_i32_e32 v35, 31, v35
	s_wait_alu 0xf1ff
	v_xor_b32_e32 v39, s8, v39
	v_lshlrev_b32_e32 v33, 5, v33
	v_and_b32_e32 v34, v34, v37
	v_cmp_gt_i32_e64 s8, 0, v38
	v_ashrrev_i32_e32 v36, 31, v36
	s_wait_alu 0xfffd
	v_xor_b32_e32 v35, vcc_lo, v35
	v_add_nc_u32_e32 v105, v0, v33
	v_and_b32_e32 v34, v34, v39
	s_wait_alu 0xf1ff
	v_xor_b32_e32 v33, s8, v36
	ds_load_b32 v103, v105 offset:32
	v_and_b32_e32 v34, v34, v35
	; wave barrier
	s_delay_alu instid0(VALU_DEP_1) | instskip(NEXT) | instid1(VALU_DEP_1)
	v_and_b32_e32 v33, v34, v33
	v_mbcnt_lo_u32_b32 v104, v33, 0
	v_cmp_ne_u32_e64 s8, 0, v33
	s_delay_alu instid0(VALU_DEP_2)
	v_cmp_eq_u32_e32 vcc_lo, 0, v104
	s_and_b32 s10, s8, vcc_lo
	s_wait_alu 0xfffe
	s_and_saveexec_b32 s8, s10
	s_cbranch_execz .LBB221_45
; %bb.44:
	s_wait_dscnt 0x0
	v_bcnt_u32_b32 v33, v33, v103
	ds_store_b32 v105, v33 offset:32
.LBB221_45:
	s_wait_alu 0xfffe
	s_or_b32 exec_lo, exec_lo, s8
	v_cmp_ne_u16_e32 vcc_lo, 0x7fff, v81
	; wave barrier
	s_wait_alu 0xfffd
	v_cndmask_b32_e32 v33, 0xffff8000, v81, vcc_lo
	s_delay_alu instid0(VALU_DEP_1) | instskip(NEXT) | instid1(VALU_DEP_1)
	v_and_b32_e32 v33, 0xffff, v33
	v_and_b32_e32 v33, s9, v33
	s_delay_alu instid0(VALU_DEP_1)
	v_and_b32_e32 v34, 1, v33
	v_lshlrev_b32_e32 v35, 30, v33
	v_lshlrev_b32_e32 v36, 29, v33
	;; [unrolled: 1-line block ×4, first 2 shown]
	v_add_co_u32 v34, s8, v34, -1
	s_wait_alu 0xf1ff
	v_cndmask_b32_e64 v38, 0, 1, s8
	v_not_b32_e32 v83, v35
	v_cmp_gt_i32_e64 s8, 0, v35
	v_not_b32_e32 v35, v36
	v_lshlrev_b32_e32 v40, 26, v33
	v_cmp_ne_u32_e32 vcc_lo, 0, v38
	v_ashrrev_i32_e32 v83, 31, v83
	v_lshlrev_b32_e32 v82, 25, v33
	v_ashrrev_i32_e32 v35, 31, v35
	v_lshlrev_b32_e32 v38, 24, v33
	s_wait_alu 0xfffd
	v_xor_b32_e32 v34, vcc_lo, v34
	v_cmp_gt_i32_e32 vcc_lo, 0, v36
	v_not_b32_e32 v36, v37
	s_wait_alu 0xf1ff
	v_xor_b32_e32 v83, s8, v83
	v_cmp_gt_i32_e64 s8, 0, v37
	v_and_b32_e32 v34, exec_lo, v34
	v_not_b32_e32 v37, v39
	v_ashrrev_i32_e32 v36, 31, v36
	s_wait_alu 0xfffd
	v_xor_b32_e32 v35, vcc_lo, v35
	v_cmp_gt_i32_e32 vcc_lo, 0, v39
	v_and_b32_e32 v34, v34, v83
	v_not_b32_e32 v39, v40
	v_ashrrev_i32_e32 v37, 31, v37
	s_wait_alu 0xf1ff
	v_xor_b32_e32 v36, s8, v36
	v_cmp_gt_i32_e64 s8, 0, v40
	v_and_b32_e32 v34, v34, v35
	v_not_b32_e32 v35, v82
	v_ashrrev_i32_e32 v39, 31, v39
	s_wait_alu 0xfffd
	v_xor_b32_e32 v37, vcc_lo, v37
	v_cmp_gt_i32_e32 vcc_lo, 0, v82
	v_and_b32_e32 v34, v34, v36
	v_not_b32_e32 v36, v38
	v_ashrrev_i32_e32 v35, 31, v35
	s_wait_alu 0xf1ff
	v_xor_b32_e32 v39, s8, v39
	v_lshlrev_b32_e32 v33, 5, v33
	v_and_b32_e32 v34, v34, v37
	v_cmp_gt_i32_e64 s8, 0, v38
	v_ashrrev_i32_e32 v36, 31, v36
	s_wait_alu 0xfffd
	v_xor_b32_e32 v35, vcc_lo, v35
	v_add_nc_u32_e32 v108, v0, v33
	v_and_b32_e32 v34, v34, v39
	v_min_u32_e32 v82, 0xe0, v70
	s_wait_alu 0xf1ff
	v_xor_b32_e32 v33, s8, v36
	ds_load_b32 v106, v108 offset:32
	v_and_b32_e32 v34, v34, v35
	; wave barrier
	s_delay_alu instid0(VALU_DEP_1) | instskip(NEXT) | instid1(VALU_DEP_1)
	v_and_b32_e32 v33, v34, v33
	v_mbcnt_lo_u32_b32 v107, v33, 0
	v_cmp_ne_u32_e64 s8, 0, v33
	s_delay_alu instid0(VALU_DEP_2)
	v_cmp_eq_u32_e32 vcc_lo, 0, v107
	s_and_b32 s9, s8, vcc_lo
	s_wait_alu 0xfffe
	s_and_saveexec_b32 s8, s9
	s_cbranch_execz .LBB221_47
; %bb.46:
	s_wait_dscnt 0x0
	v_bcnt_u32_b32 v33, v33, v106
	ds_store_b32 v108, v33 offset:32
.LBB221_47:
	s_wait_alu 0xfffe
	s_or_b32 exec_lo, exec_lo, s8
	; wave barrier
	s_wait_loadcnt_dscnt 0x0
	s_barrier_signal -1
	s_barrier_wait -1
	global_inv scope:SCOPE_SE
	ds_load_b128 v[37:40], v67 offset:32
	ds_load_b128 v[33:36], v67 offset:48
	v_and_b32_e32 v109, 16, v69
	v_or_b32_e32 v82, 31, v82
	s_delay_alu instid0(VALU_DEP_2) | instskip(NEXT) | instid1(VALU_DEP_2)
	v_cmp_eq_u32_e64 s17, 0, v109
	v_cmp_eq_u32_e64 s15, v46, v82
	s_wait_dscnt 0x1
	v_add_nc_u32_e32 v83, v38, v37
	s_delay_alu instid0(VALU_DEP_1) | instskip(SKIP_1) | instid1(VALU_DEP_1)
	v_add3_u32 v83, v83, v39, v40
	s_wait_dscnt 0x0
	v_add3_u32 v83, v83, v33, v34
	s_delay_alu instid0(VALU_DEP_1) | instskip(SKIP_1) | instid1(VALU_DEP_2)
	v_add3_u32 v36, v83, v35, v36
	v_and_b32_e32 v83, 15, v69
	v_mov_b32_dpp v85, v36 row_shr:1 row_mask:0xf bank_mask:0xf
	s_delay_alu instid0(VALU_DEP_2)
	v_cmp_eq_u32_e64 s9, 0, v83
	v_cmp_lt_u32_e64 s11, 1, v83
	v_cmp_lt_u32_e64 s12, 3, v83
	;; [unrolled: 1-line block ×3, first 2 shown]
	s_wait_alu 0xf1ff
	v_cndmask_b32_e64 v85, v85, 0, s9
	s_delay_alu instid0(VALU_DEP_1) | instskip(NEXT) | instid1(VALU_DEP_1)
	v_add_nc_u32_e32 v36, v85, v36
	v_mov_b32_dpp v85, v36 row_shr:2 row_mask:0xf bank_mask:0xf
	s_delay_alu instid0(VALU_DEP_1) | instskip(NEXT) | instid1(VALU_DEP_1)
	v_cndmask_b32_e64 v85, 0, v85, s11
	v_add_nc_u32_e32 v36, v36, v85
	s_delay_alu instid0(VALU_DEP_1) | instskip(NEXT) | instid1(VALU_DEP_1)
	v_mov_b32_dpp v85, v36 row_shr:4 row_mask:0xf bank_mask:0xf
	v_cndmask_b32_e64 v85, 0, v85, s12
	s_delay_alu instid0(VALU_DEP_1) | instskip(NEXT) | instid1(VALU_DEP_1)
	v_add_nc_u32_e32 v36, v36, v85
	v_mov_b32_dpp v85, v36 row_shr:8 row_mask:0xf bank_mask:0xf
	s_delay_alu instid0(VALU_DEP_1) | instskip(NEXT) | instid1(VALU_DEP_1)
	v_cndmask_b32_e64 v83, 0, v85, s14
	v_add_nc_u32_e32 v85, v36, v83
	v_bfe_i32 v83, v69, 4, 1
	ds_swizzle_b32 v36, v85 offset:swizzle(BROADCAST,32,15)
	s_wait_dscnt 0x0
	v_and_b32_e32 v110, v83, v36
	v_mul_i32_i24_e32 v36, 0xffffffe4, v46
	v_lshlrev_b32_e32 v83, 2, v68
	s_delay_alu instid0(VALU_DEP_3)
	v_add_nc_u32_e32 v85, v85, v110
	s_and_saveexec_b32 s8, s15
; %bb.48:
	ds_store_b32 v83, v85
; %bb.49:
	s_wait_alu 0xfffe
	s_or_b32 exec_lo, exec_lo, s8
	v_and_b32_e32 v82, 7, v69
	v_cmp_gt_u32_e64 s16, 8, v46
	s_wait_loadcnt_dscnt 0x0
	s_barrier_signal -1
	s_barrier_wait -1
	v_cmp_eq_u32_e64 s13, 0, v82
	v_cmp_lt_u32_e64 s10, 1, v82
	v_cmp_lt_u32_e32 vcc_lo, 3, v82
	v_add_nc_u32_e32 v82, v67, v36
	global_inv scope:SCOPE_SE
	s_and_saveexec_b32 s8, s16
	s_cbranch_execz .LBB221_51
; %bb.50:
	ds_load_b32 v36, v82
	s_wait_dscnt 0x0
	v_mov_b32_dpp v109, v36 row_shr:1 row_mask:0xf bank_mask:0xf
	s_wait_alu 0xf1ff
	s_delay_alu instid0(VALU_DEP_1) | instskip(NEXT) | instid1(VALU_DEP_1)
	v_cndmask_b32_e64 v109, v109, 0, s13
	v_add_nc_u32_e32 v36, v109, v36
	s_delay_alu instid0(VALU_DEP_1) | instskip(NEXT) | instid1(VALU_DEP_1)
	v_mov_b32_dpp v109, v36 row_shr:2 row_mask:0xf bank_mask:0xf
	v_cndmask_b32_e64 v109, 0, v109, s10
	s_delay_alu instid0(VALU_DEP_1) | instskip(NEXT) | instid1(VALU_DEP_1)
	v_add_nc_u32_e32 v36, v36, v109
	v_mov_b32_dpp v109, v36 row_shr:4 row_mask:0xf bank_mask:0xf
	s_wait_alu 0xfffd
	s_delay_alu instid0(VALU_DEP_1) | instskip(NEXT) | instid1(VALU_DEP_1)
	v_cndmask_b32_e32 v109, 0, v109, vcc_lo
	v_add_nc_u32_e32 v36, v36, v109
	ds_store_b32 v82, v36
.LBB221_51:
	s_wait_alu 0xfffe
	s_or_b32 exec_lo, exec_lo, s8
	v_mul_u32_u24_e32 v36, 6, v84
	v_sub_co_u32 v109, s8, v69, 1
	v_cmp_lt_u32_e64 s18, 31, v46
	v_add_nc_u32_e32 v84, -4, v83
	v_mov_b32_e32 v110, 0
	s_wait_loadcnt_dscnt 0x0
	s_barrier_signal -1
	s_barrier_wait -1
	global_inv scope:SCOPE_SE
	s_and_saveexec_b32 s19, s18
; %bb.52:
	ds_load_b32 v110, v84
; %bb.53:
	s_or_b32 exec_lo, exec_lo, s19
	v_cmp_gt_i32_e64 s19, 0, v109
	s_mov_b32 s24, 0
	s_min_u32 s20, s20, 8
	s_mov_b32 s25, s24
	s_mov_b32 s26, s24
	v_cndmask_b32_e64 v109, v109, v69, s19
	s_mov_b32 s27, s24
	s_wait_dscnt 0x0
	v_add_nc_u32_e32 v111, v110, v85
	v_cmp_eq_u32_e64 s19, 0, v46
	s_wait_alu 0xfffe
	s_lshl_b32 s20, -1, s20
	v_lshlrev_b32_e32 v85, 2, v109
	s_wait_alu 0xfffe
	s_not_b32 s23, s20
	ds_bpermute_b32 v109, v85, v111
	s_wait_dscnt 0x0
	v_cndmask_b32_e64 v109, v109, v110, s8
	s_delay_alu instid0(VALU_DEP_1) | instskip(NEXT) | instid1(VALU_DEP_1)
	v_cndmask_b32_e64 v109, v109, 0, s19
	v_add_nc_u32_e32 v110, v109, v37
	s_delay_alu instid0(VALU_DEP_1) | instskip(NEXT) | instid1(VALU_DEP_1)
	v_add_nc_u32_e32 v111, v110, v38
	v_add_nc_u32_e32 v112, v111, v39
	s_delay_alu instid0(VALU_DEP_1) | instskip(NEXT) | instid1(VALU_DEP_1)
	v_add_nc_u32_e32 v37, v112, v40
	;; [unrolled: 3-line block ×3, first 2 shown]
	v_add_nc_u32_e32 v40, v39, v35
	ds_store_b128 v67, v[109:112] offset:32
	ds_store_b128 v67, v[37:40] offset:48
	s_wait_loadcnt_dscnt 0x0
	s_barrier_signal -1
	s_barrier_wait -1
	global_inv scope:SCOPE_SE
	ds_load_b32 v33, v87 offset:32
	ds_load_b32 v34, v90 offset:32
	;; [unrolled: 1-line block ×8, first 2 shown]
	v_add_nc_u32_e32 v90, v73, v36
	s_wait_loadcnt_dscnt 0x0
	s_barrier_signal -1
	s_barrier_wait -1
	global_inv scope:SCOPE_SE
	v_add_nc_u32_e32 v86, v33, v86
	v_add3_u32 v88, v89, v88, v34
	v_add3_u32 v89, v92, v91, v35
	v_add3_u32 v91, v95, v94, v37
	v_add3_u32 v92, v98, v97, v38
	v_add3_u32 v93, v101, v100, v39
	v_add3_u32 v94, v104, v103, v40
	v_add3_u32 v95, v107, v106, v87
	v_lshlrev_b32_e32 v33, 1, v86
	v_lshlrev_b32_e32 v34, 1, v88
	;; [unrolled: 1-line block ×8, first 2 shown]
	ds_store_b16 v33, v74
	ds_store_b16 v34, v75
	;; [unrolled: 1-line block ×8, first 2 shown]
	s_wait_loadcnt_dscnt 0x0
	s_barrier_signal -1
	s_barrier_wait -1
	global_inv scope:SCOPE_SE
	ds_load_u16 v74, v73
	ds_load_u16 v75, v73 offset:64
	ds_load_u16 v76, v73 offset:128
	;; [unrolled: 1-line block ×7, first 2 shown]
	v_mad_co_u64_u32 v[86:87], null, v86, 6, v[33:34]
	v_mad_co_u64_u32 v[33:34], null, v88, 6, v[34:35]
	;; [unrolled: 1-line block ×3, first 2 shown]
	s_wait_loadcnt_dscnt 0x0
	s_barrier_signal -1
	s_barrier_wait -1
	global_inv scope:SCOPE_SE
	v_mad_co_u64_u32 v[35:36], null, v91, 6, v[36:37]
	v_lshrrev_b16 v81, 8, v74
	v_cmp_ne_u16_e64 s20, 0x7fff, v74
	ds_store_b64 v86, v[17:18]
	v_mad_co_u64_u32 v[36:37], null, v92, 6, v[37:38]
	v_mad_co_u64_u32 v[37:38], null, v93, 6, v[38:39]
	s_wait_alu 0xf1ff
	v_cndmask_b32_e64 v81, 0x80, v81, s20
	v_mad_co_u64_u32 v[38:39], null, v94, 6, v[39:40]
	v_mad_co_u64_u32 v[39:40], null, v95, 6, v[40:41]
	s_delay_alu instid0(VALU_DEP_3)
	v_and_b32_e32 v17, 0xffff, v81
	ds_store_b64 v33, v[19:20]
	ds_store_b64 v34, v[25:26]
	ds_store_b64 v35, v[27:28]
	ds_store_b64 v36, v[21:22]
	ds_store_b64 v37, v[23:24]
	ds_store_b64 v38, v[29:30]
	ds_store_b64 v39, v[31:32]
	s_wait_alu 0xfffe
	v_and_b32_e32 v40, s23, v17
	s_wait_loadcnt_dscnt 0x0
	s_barrier_signal -1
	s_barrier_wait -1
	global_inv scope:SCOPE_SE
	v_and_b32_e32 v17, 1, v40
	v_lshlrev_b32_e32 v18, 30, v40
	v_lshlrev_b32_e32 v19, 29, v40
	v_lshlrev_b32_e32 v20, 28, v40
	v_lshlrev_b32_e32 v22, 27, v40
	v_add_co_u32 v17, s20, v17, -1
	s_wait_alu 0xf1ff
	v_cndmask_b32_e64 v21, 0, 1, s20
	v_not_b32_e32 v25, v18
	v_cmp_gt_i32_e64 s21, 0, v18
	v_not_b32_e32 v18, v19
	v_lshlrev_b32_e32 v23, 26, v40
	v_cmp_ne_u32_e64 s20, 0, v21
	v_ashrrev_i32_e32 v25, 31, v25
	v_lshlrev_b32_e32 v24, 25, v40
	v_ashrrev_i32_e32 v18, 31, v18
	v_lshlrev_b32_e32 v21, 24, v40
	s_wait_alu 0xf1ff
	v_xor_b32_e32 v17, s20, v17
	v_cmp_gt_i32_e64 s20, 0, v19
	v_not_b32_e32 v19, v20
	v_xor_b32_e32 v25, s21, v25
	v_cmp_gt_i32_e64 s21, 0, v20
	v_and_b32_e32 v17, exec_lo, v17
	v_not_b32_e32 v20, v22
	v_ashrrev_i32_e32 v19, 31, v19
	s_wait_alu 0xf1ff
	v_xor_b32_e32 v18, s20, v18
	v_cmp_gt_i32_e64 s20, 0, v22
	v_and_b32_e32 v17, v17, v25
	v_not_b32_e32 v22, v23
	v_ashrrev_i32_e32 v20, 31, v20
	v_xor_b32_e32 v19, s21, v19
	v_cmp_gt_i32_e64 s21, 0, v23
	v_and_b32_e32 v17, v17, v18
	v_not_b32_e32 v18, v24
	v_ashrrev_i32_e32 v22, 31, v22
	s_wait_alu 0xf1ff
	v_xor_b32_e32 v20, s20, v20
	v_cmp_gt_i32_e64 s20, 0, v24
	v_and_b32_e32 v17, v17, v19
	v_not_b32_e32 v19, v21
	v_ashrrev_i32_e32 v18, 31, v18
	v_xor_b32_e32 v22, s21, v22
	v_cmp_gt_i32_e64 s21, 0, v21
	v_and_b32_e32 v17, v17, v20
	v_ashrrev_i32_e32 v19, 31, v19
	s_wait_alu 0xf1ff
	v_xor_b32_e32 v18, s20, v18
	v_dual_mov_b32 v37, s27 :: v_dual_mov_b32 v36, s26
	v_and_b32_e32 v17, v17, v22
	v_xor_b32_e32 v33, s21, v19
	ds_load_2addr_b64 v[21:24], v90 offset1:32
	v_dual_mov_b32 v35, s25 :: v_dual_mov_b32 v34, s24
	v_and_b32_e32 v38, v17, v18
	ds_load_2addr_b64 v[29:32], v90 offset0:64 offset1:96
	ds_load_2addr_b64 v[25:28], v90 offset0:128 offset1:160
	ds_load_2addr_b64 v[17:20], v90 offset0:192 offset1:224
	v_lshl_add_u32 v86, v40, 5, v0
	s_wait_loadcnt_dscnt 0x0
	s_barrier_signal -1
	v_and_b32_e32 v33, v38, v33
	s_barrier_wait -1
	global_inv scope:SCOPE_SE
	ds_store_b128 v67, v[34:37] offset:32
	ds_store_b128 v67, v[34:37] offset:48
	s_wait_loadcnt_dscnt 0x0
	v_mbcnt_lo_u32_b32 v81, v33, 0
	v_cmp_ne_u32_e64 s21, 0, v33
	s_barrier_signal -1
	s_barrier_wait -1
	global_inv scope:SCOPE_SE
	v_cmp_eq_u32_e64 s20, 0, v81
	; wave barrier
	s_and_b32 s21, s21, s20
	s_wait_alu 0xfffe
	s_and_saveexec_b32 s20, s21
; %bb.54:
	v_bcnt_u32_b32 v33, v33, 0
	ds_store_b32 v86, v33 offset:32
; %bb.55:
	s_wait_alu 0xfffe
	s_or_b32 exec_lo, exec_lo, s20
	v_lshrrev_b16 v33, 8, v75
	v_cmp_ne_u16_e64 s20, 0x7fff, v75
	; wave barrier
	s_wait_alu 0xf1ff
	s_delay_alu instid0(VALU_DEP_1) | instskip(NEXT) | instid1(VALU_DEP_1)
	v_cndmask_b32_e64 v33, 0x80, v33, s20
	v_and_b32_e32 v33, s23, v33
	s_delay_alu instid0(VALU_DEP_1)
	v_and_b32_e32 v34, 1, v33
	v_lshlrev_b32_e32 v35, 30, v33
	v_lshlrev_b32_e32 v36, 29, v33
	;; [unrolled: 1-line block ×4, first 2 shown]
	v_add_co_u32 v34, s20, v34, -1
	s_wait_alu 0xf1ff
	v_cndmask_b32_e64 v38, 0, 1, s20
	v_not_b32_e32 v88, v35
	v_cmp_gt_i32_e64 s21, 0, v35
	v_not_b32_e32 v35, v36
	v_lshlrev_b32_e32 v40, 26, v33
	v_cmp_ne_u32_e64 s20, 0, v38
	v_ashrrev_i32_e32 v88, 31, v88
	v_lshlrev_b32_e32 v87, 25, v33
	v_ashrrev_i32_e32 v35, 31, v35
	v_lshlrev_b32_e32 v38, 24, v33
	s_wait_alu 0xf1ff
	v_xor_b32_e32 v34, s20, v34
	v_cmp_gt_i32_e64 s20, 0, v36
	v_not_b32_e32 v36, v37
	v_xor_b32_e32 v88, s21, v88
	v_cmp_gt_i32_e64 s21, 0, v37
	v_and_b32_e32 v34, exec_lo, v34
	v_not_b32_e32 v37, v39
	v_ashrrev_i32_e32 v36, 31, v36
	s_wait_alu 0xf1ff
	v_xor_b32_e32 v35, s20, v35
	v_cmp_gt_i32_e64 s20, 0, v39
	v_and_b32_e32 v34, v34, v88
	v_not_b32_e32 v39, v40
	v_ashrrev_i32_e32 v37, 31, v37
	v_xor_b32_e32 v36, s21, v36
	v_cmp_gt_i32_e64 s21, 0, v40
	v_and_b32_e32 v34, v34, v35
	v_not_b32_e32 v35, v87
	v_ashrrev_i32_e32 v39, 31, v39
	s_wait_alu 0xf1ff
	v_xor_b32_e32 v37, s20, v37
	v_cmp_gt_i32_e64 s20, 0, v87
	v_and_b32_e32 v34, v34, v36
	v_not_b32_e32 v36, v38
	v_ashrrev_i32_e32 v35, 31, v35
	v_xor_b32_e32 v39, s21, v39
	v_cmp_gt_i32_e64 s21, 0, v38
	v_and_b32_e32 v34, v34, v37
	v_ashrrev_i32_e32 v36, 31, v36
	s_wait_alu 0xf1ff
	v_xor_b32_e32 v35, s20, v35
	v_lshl_add_u32 v89, v33, 5, v0
	v_and_b32_e32 v34, v34, v39
	v_xor_b32_e32 v33, s21, v36
	ds_load_b32 v87, v89 offset:32
	v_and_b32_e32 v34, v34, v35
	; wave barrier
	s_delay_alu instid0(VALU_DEP_1) | instskip(NEXT) | instid1(VALU_DEP_1)
	v_and_b32_e32 v33, v34, v33
	v_mbcnt_lo_u32_b32 v88, v33, 0
	v_cmp_ne_u32_e64 s21, 0, v33
	s_delay_alu instid0(VALU_DEP_2)
	v_cmp_eq_u32_e64 s20, 0, v88
	s_and_b32 s21, s21, s20
	s_wait_alu 0xfffe
	s_and_saveexec_b32 s20, s21
	s_cbranch_execz .LBB221_57
; %bb.56:
	s_wait_dscnt 0x0
	v_bcnt_u32_b32 v33, v33, v87
	ds_store_b32 v89, v33 offset:32
.LBB221_57:
	s_wait_alu 0xfffe
	s_or_b32 exec_lo, exec_lo, s20
	v_lshrrev_b16 v33, 8, v76
	v_cmp_ne_u16_e64 s20, 0x7fff, v76
	; wave barrier
	s_wait_alu 0xf1ff
	s_delay_alu instid0(VALU_DEP_1) | instskip(NEXT) | instid1(VALU_DEP_1)
	v_cndmask_b32_e64 v33, 0x80, v33, s20
	v_and_b32_e32 v33, s23, v33
	s_delay_alu instid0(VALU_DEP_1)
	v_and_b32_e32 v34, 1, v33
	v_lshlrev_b32_e32 v35, 30, v33
	v_lshlrev_b32_e32 v36, 29, v33
	;; [unrolled: 1-line block ×4, first 2 shown]
	v_add_co_u32 v34, s20, v34, -1
	s_wait_alu 0xf1ff
	v_cndmask_b32_e64 v38, 0, 1, s20
	v_not_b32_e32 v91, v35
	v_cmp_gt_i32_e64 s21, 0, v35
	v_not_b32_e32 v35, v36
	v_lshlrev_b32_e32 v40, 26, v33
	v_cmp_ne_u32_e64 s20, 0, v38
	v_ashrrev_i32_e32 v91, 31, v91
	v_lshlrev_b32_e32 v90, 25, v33
	v_ashrrev_i32_e32 v35, 31, v35
	v_lshlrev_b32_e32 v38, 24, v33
	s_wait_alu 0xf1ff
	v_xor_b32_e32 v34, s20, v34
	v_cmp_gt_i32_e64 s20, 0, v36
	v_not_b32_e32 v36, v37
	v_xor_b32_e32 v91, s21, v91
	v_cmp_gt_i32_e64 s21, 0, v37
	v_and_b32_e32 v34, exec_lo, v34
	v_not_b32_e32 v37, v39
	v_ashrrev_i32_e32 v36, 31, v36
	s_wait_alu 0xf1ff
	v_xor_b32_e32 v35, s20, v35
	v_cmp_gt_i32_e64 s20, 0, v39
	v_and_b32_e32 v34, v34, v91
	v_not_b32_e32 v39, v40
	v_ashrrev_i32_e32 v37, 31, v37
	v_xor_b32_e32 v36, s21, v36
	v_cmp_gt_i32_e64 s21, 0, v40
	v_and_b32_e32 v34, v34, v35
	v_not_b32_e32 v35, v90
	v_ashrrev_i32_e32 v39, 31, v39
	s_wait_alu 0xf1ff
	v_xor_b32_e32 v37, s20, v37
	v_cmp_gt_i32_e64 s20, 0, v90
	v_and_b32_e32 v34, v34, v36
	v_not_b32_e32 v36, v38
	v_ashrrev_i32_e32 v35, 31, v35
	v_xor_b32_e32 v39, s21, v39
	v_cmp_gt_i32_e64 s21, 0, v38
	v_and_b32_e32 v34, v34, v37
	v_ashrrev_i32_e32 v36, 31, v36
	s_wait_alu 0xf1ff
	v_xor_b32_e32 v35, s20, v35
	v_lshl_add_u32 v92, v33, 5, v0
	v_and_b32_e32 v34, v34, v39
	v_xor_b32_e32 v33, s21, v36
	ds_load_b32 v90, v92 offset:32
	v_and_b32_e32 v34, v34, v35
	; wave barrier
	s_delay_alu instid0(VALU_DEP_1) | instskip(NEXT) | instid1(VALU_DEP_1)
	v_and_b32_e32 v33, v34, v33
	v_mbcnt_lo_u32_b32 v91, v33, 0
	v_cmp_ne_u32_e64 s21, 0, v33
	s_delay_alu instid0(VALU_DEP_2)
	v_cmp_eq_u32_e64 s20, 0, v91
	s_and_b32 s21, s21, s20
	s_wait_alu 0xfffe
	s_and_saveexec_b32 s20, s21
	s_cbranch_execz .LBB221_59
; %bb.58:
	s_wait_dscnt 0x0
	v_bcnt_u32_b32 v33, v33, v90
	ds_store_b32 v92, v33 offset:32
.LBB221_59:
	s_wait_alu 0xfffe
	s_or_b32 exec_lo, exec_lo, s20
	v_lshrrev_b16 v33, 8, v77
	v_cmp_ne_u16_e64 s20, 0x7fff, v77
	; wave barrier
	s_wait_alu 0xf1ff
	s_delay_alu instid0(VALU_DEP_1) | instskip(NEXT) | instid1(VALU_DEP_1)
	v_cndmask_b32_e64 v33, 0x80, v33, s20
	v_and_b32_e32 v33, s23, v33
	s_delay_alu instid0(VALU_DEP_1)
	v_and_b32_e32 v34, 1, v33
	v_lshlrev_b32_e32 v35, 30, v33
	v_lshlrev_b32_e32 v36, 29, v33
	;; [unrolled: 1-line block ×4, first 2 shown]
	v_add_co_u32 v34, s20, v34, -1
	s_wait_alu 0xf1ff
	v_cndmask_b32_e64 v38, 0, 1, s20
	v_not_b32_e32 v94, v35
	v_cmp_gt_i32_e64 s21, 0, v35
	v_not_b32_e32 v35, v36
	v_lshlrev_b32_e32 v40, 26, v33
	v_cmp_ne_u32_e64 s20, 0, v38
	v_ashrrev_i32_e32 v94, 31, v94
	v_lshlrev_b32_e32 v93, 25, v33
	v_ashrrev_i32_e32 v35, 31, v35
	v_lshlrev_b32_e32 v38, 24, v33
	s_wait_alu 0xf1ff
	v_xor_b32_e32 v34, s20, v34
	v_cmp_gt_i32_e64 s20, 0, v36
	v_not_b32_e32 v36, v37
	v_xor_b32_e32 v94, s21, v94
	v_cmp_gt_i32_e64 s21, 0, v37
	v_and_b32_e32 v34, exec_lo, v34
	v_not_b32_e32 v37, v39
	v_ashrrev_i32_e32 v36, 31, v36
	s_wait_alu 0xf1ff
	v_xor_b32_e32 v35, s20, v35
	v_cmp_gt_i32_e64 s20, 0, v39
	v_and_b32_e32 v34, v34, v94
	v_not_b32_e32 v39, v40
	v_ashrrev_i32_e32 v37, 31, v37
	v_xor_b32_e32 v36, s21, v36
	v_cmp_gt_i32_e64 s21, 0, v40
	v_and_b32_e32 v34, v34, v35
	v_not_b32_e32 v35, v93
	v_ashrrev_i32_e32 v39, 31, v39
	s_wait_alu 0xf1ff
	v_xor_b32_e32 v37, s20, v37
	v_cmp_gt_i32_e64 s20, 0, v93
	v_and_b32_e32 v34, v34, v36
	v_not_b32_e32 v36, v38
	v_ashrrev_i32_e32 v35, 31, v35
	v_xor_b32_e32 v39, s21, v39
	v_cmp_gt_i32_e64 s21, 0, v38
	v_and_b32_e32 v34, v34, v37
	v_ashrrev_i32_e32 v36, 31, v36
	s_wait_alu 0xf1ff
	v_xor_b32_e32 v35, s20, v35
	v_lshl_add_u32 v95, v33, 5, v0
	v_and_b32_e32 v34, v34, v39
	v_xor_b32_e32 v33, s21, v36
	ds_load_b32 v93, v95 offset:32
	v_and_b32_e32 v34, v34, v35
	; wave barrier
	s_delay_alu instid0(VALU_DEP_1) | instskip(NEXT) | instid1(VALU_DEP_1)
	v_and_b32_e32 v33, v34, v33
	v_mbcnt_lo_u32_b32 v94, v33, 0
	v_cmp_ne_u32_e64 s21, 0, v33
	s_delay_alu instid0(VALU_DEP_2)
	v_cmp_eq_u32_e64 s20, 0, v94
	s_and_b32 s21, s21, s20
	s_wait_alu 0xfffe
	s_and_saveexec_b32 s20, s21
	s_cbranch_execz .LBB221_61
; %bb.60:
	s_wait_dscnt 0x0
	v_bcnt_u32_b32 v33, v33, v93
	ds_store_b32 v95, v33 offset:32
.LBB221_61:
	s_wait_alu 0xfffe
	s_or_b32 exec_lo, exec_lo, s20
	v_lshrrev_b16 v33, 8, v78
	v_cmp_ne_u16_e64 s20, 0x7fff, v78
	; wave barrier
	s_wait_alu 0xf1ff
	s_delay_alu instid0(VALU_DEP_1) | instskip(NEXT) | instid1(VALU_DEP_1)
	v_cndmask_b32_e64 v33, 0x80, v33, s20
	v_and_b32_e32 v33, s23, v33
	s_delay_alu instid0(VALU_DEP_1)
	v_and_b32_e32 v34, 1, v33
	v_lshlrev_b32_e32 v35, 30, v33
	v_lshlrev_b32_e32 v36, 29, v33
	;; [unrolled: 1-line block ×4, first 2 shown]
	v_add_co_u32 v34, s20, v34, -1
	s_wait_alu 0xf1ff
	v_cndmask_b32_e64 v38, 0, 1, s20
	v_not_b32_e32 v97, v35
	v_cmp_gt_i32_e64 s21, 0, v35
	v_not_b32_e32 v35, v36
	v_lshlrev_b32_e32 v40, 26, v33
	v_cmp_ne_u32_e64 s20, 0, v38
	v_ashrrev_i32_e32 v97, 31, v97
	v_lshlrev_b32_e32 v96, 25, v33
	v_ashrrev_i32_e32 v35, 31, v35
	v_lshlrev_b32_e32 v38, 24, v33
	s_wait_alu 0xf1ff
	v_xor_b32_e32 v34, s20, v34
	v_cmp_gt_i32_e64 s20, 0, v36
	v_not_b32_e32 v36, v37
	v_xor_b32_e32 v97, s21, v97
	v_cmp_gt_i32_e64 s21, 0, v37
	v_and_b32_e32 v34, exec_lo, v34
	v_not_b32_e32 v37, v39
	v_ashrrev_i32_e32 v36, 31, v36
	s_wait_alu 0xf1ff
	v_xor_b32_e32 v35, s20, v35
	v_cmp_gt_i32_e64 s20, 0, v39
	v_and_b32_e32 v34, v34, v97
	v_not_b32_e32 v39, v40
	v_ashrrev_i32_e32 v37, 31, v37
	v_xor_b32_e32 v36, s21, v36
	v_cmp_gt_i32_e64 s21, 0, v40
	v_and_b32_e32 v34, v34, v35
	v_not_b32_e32 v35, v96
	v_ashrrev_i32_e32 v39, 31, v39
	s_wait_alu 0xf1ff
	v_xor_b32_e32 v37, s20, v37
	v_cmp_gt_i32_e64 s20, 0, v96
	v_and_b32_e32 v34, v34, v36
	v_not_b32_e32 v36, v38
	v_ashrrev_i32_e32 v35, 31, v35
	v_xor_b32_e32 v39, s21, v39
	v_cmp_gt_i32_e64 s21, 0, v38
	v_and_b32_e32 v34, v34, v37
	v_ashrrev_i32_e32 v36, 31, v36
	s_wait_alu 0xf1ff
	v_xor_b32_e32 v35, s20, v35
	v_lshl_add_u32 v98, v33, 5, v0
	v_and_b32_e32 v34, v34, v39
	v_xor_b32_e32 v33, s21, v36
	ds_load_b32 v96, v98 offset:32
	v_and_b32_e32 v34, v34, v35
	; wave barrier
	s_delay_alu instid0(VALU_DEP_1) | instskip(NEXT) | instid1(VALU_DEP_1)
	v_and_b32_e32 v33, v34, v33
	v_mbcnt_lo_u32_b32 v97, v33, 0
	v_cmp_ne_u32_e64 s21, 0, v33
	s_delay_alu instid0(VALU_DEP_2)
	v_cmp_eq_u32_e64 s20, 0, v97
	s_and_b32 s21, s21, s20
	s_wait_alu 0xfffe
	s_and_saveexec_b32 s20, s21
	s_cbranch_execz .LBB221_63
; %bb.62:
	s_wait_dscnt 0x0
	v_bcnt_u32_b32 v33, v33, v96
	ds_store_b32 v98, v33 offset:32
.LBB221_63:
	s_wait_alu 0xfffe
	s_or_b32 exec_lo, exec_lo, s20
	v_lshrrev_b16 v33, 8, v79
	v_cmp_ne_u16_e64 s20, 0x7fff, v79
	; wave barrier
	s_wait_alu 0xf1ff
	s_delay_alu instid0(VALU_DEP_1) | instskip(NEXT) | instid1(VALU_DEP_1)
	v_cndmask_b32_e64 v33, 0x80, v33, s20
	v_and_b32_e32 v33, s23, v33
	s_delay_alu instid0(VALU_DEP_1)
	v_and_b32_e32 v34, 1, v33
	v_lshlrev_b32_e32 v35, 30, v33
	v_lshlrev_b32_e32 v36, 29, v33
	;; [unrolled: 1-line block ×4, first 2 shown]
	v_add_co_u32 v34, s20, v34, -1
	s_wait_alu 0xf1ff
	v_cndmask_b32_e64 v38, 0, 1, s20
	v_not_b32_e32 v100, v35
	v_cmp_gt_i32_e64 s21, 0, v35
	v_not_b32_e32 v35, v36
	v_lshlrev_b32_e32 v40, 26, v33
	v_cmp_ne_u32_e64 s20, 0, v38
	v_ashrrev_i32_e32 v100, 31, v100
	v_lshlrev_b32_e32 v99, 25, v33
	v_ashrrev_i32_e32 v35, 31, v35
	v_lshlrev_b32_e32 v38, 24, v33
	s_wait_alu 0xf1ff
	v_xor_b32_e32 v34, s20, v34
	v_cmp_gt_i32_e64 s20, 0, v36
	v_not_b32_e32 v36, v37
	v_xor_b32_e32 v100, s21, v100
	v_cmp_gt_i32_e64 s21, 0, v37
	v_and_b32_e32 v34, exec_lo, v34
	v_not_b32_e32 v37, v39
	v_ashrrev_i32_e32 v36, 31, v36
	s_wait_alu 0xf1ff
	v_xor_b32_e32 v35, s20, v35
	v_cmp_gt_i32_e64 s20, 0, v39
	v_and_b32_e32 v34, v34, v100
	v_not_b32_e32 v39, v40
	v_ashrrev_i32_e32 v37, 31, v37
	v_xor_b32_e32 v36, s21, v36
	v_cmp_gt_i32_e64 s21, 0, v40
	v_and_b32_e32 v34, v34, v35
	v_not_b32_e32 v35, v99
	v_ashrrev_i32_e32 v39, 31, v39
	s_wait_alu 0xf1ff
	v_xor_b32_e32 v37, s20, v37
	v_cmp_gt_i32_e64 s20, 0, v99
	v_and_b32_e32 v34, v34, v36
	v_not_b32_e32 v36, v38
	v_ashrrev_i32_e32 v35, 31, v35
	v_xor_b32_e32 v39, s21, v39
	v_cmp_gt_i32_e64 s21, 0, v38
	v_and_b32_e32 v34, v34, v37
	v_ashrrev_i32_e32 v36, 31, v36
	s_wait_alu 0xf1ff
	v_xor_b32_e32 v35, s20, v35
	v_lshl_add_u32 v101, v33, 5, v0
	v_and_b32_e32 v34, v34, v39
	v_xor_b32_e32 v33, s21, v36
	ds_load_b32 v99, v101 offset:32
	v_and_b32_e32 v34, v34, v35
	; wave barrier
	s_delay_alu instid0(VALU_DEP_1) | instskip(NEXT) | instid1(VALU_DEP_1)
	v_and_b32_e32 v33, v34, v33
	v_mbcnt_lo_u32_b32 v100, v33, 0
	v_cmp_ne_u32_e64 s21, 0, v33
	s_delay_alu instid0(VALU_DEP_2)
	v_cmp_eq_u32_e64 s20, 0, v100
	s_and_b32 s21, s21, s20
	s_wait_alu 0xfffe
	s_and_saveexec_b32 s20, s21
	s_cbranch_execz .LBB221_65
; %bb.64:
	s_wait_dscnt 0x0
	v_bcnt_u32_b32 v33, v33, v99
	ds_store_b32 v101, v33 offset:32
.LBB221_65:
	s_wait_alu 0xfffe
	s_or_b32 exec_lo, exec_lo, s20
	v_lshrrev_b16 v33, 8, v80
	v_cmp_ne_u16_e64 s20, 0x7fff, v80
	; wave barrier
	s_wait_alu 0xf1ff
	s_delay_alu instid0(VALU_DEP_1) | instskip(NEXT) | instid1(VALU_DEP_1)
	v_cndmask_b32_e64 v33, 0x80, v33, s20
	v_and_b32_e32 v33, s23, v33
	s_delay_alu instid0(VALU_DEP_1)
	v_and_b32_e32 v34, 1, v33
	v_lshlrev_b32_e32 v35, 30, v33
	v_lshlrev_b32_e32 v36, 29, v33
	;; [unrolled: 1-line block ×4, first 2 shown]
	v_add_co_u32 v34, s20, v34, -1
	s_wait_alu 0xf1ff
	v_cndmask_b32_e64 v38, 0, 1, s20
	v_not_b32_e32 v103, v35
	v_cmp_gt_i32_e64 s21, 0, v35
	v_not_b32_e32 v35, v36
	v_lshlrev_b32_e32 v40, 26, v33
	v_cmp_ne_u32_e64 s20, 0, v38
	v_ashrrev_i32_e32 v103, 31, v103
	v_lshlrev_b32_e32 v102, 25, v33
	v_ashrrev_i32_e32 v35, 31, v35
	v_lshlrev_b32_e32 v38, 24, v33
	s_wait_alu 0xf1ff
	v_xor_b32_e32 v34, s20, v34
	v_cmp_gt_i32_e64 s20, 0, v36
	v_not_b32_e32 v36, v37
	v_xor_b32_e32 v103, s21, v103
	v_cmp_gt_i32_e64 s21, 0, v37
	v_and_b32_e32 v34, exec_lo, v34
	v_not_b32_e32 v37, v39
	v_ashrrev_i32_e32 v36, 31, v36
	s_wait_alu 0xf1ff
	v_xor_b32_e32 v35, s20, v35
	v_cmp_gt_i32_e64 s20, 0, v39
	v_and_b32_e32 v34, v34, v103
	v_not_b32_e32 v39, v40
	v_ashrrev_i32_e32 v37, 31, v37
	v_xor_b32_e32 v36, s21, v36
	v_cmp_gt_i32_e64 s21, 0, v40
	v_and_b32_e32 v34, v34, v35
	v_not_b32_e32 v35, v102
	v_ashrrev_i32_e32 v39, 31, v39
	s_wait_alu 0xf1ff
	v_xor_b32_e32 v37, s20, v37
	v_cmp_gt_i32_e64 s20, 0, v102
	v_and_b32_e32 v34, v34, v36
	v_not_b32_e32 v36, v38
	v_ashrrev_i32_e32 v35, 31, v35
	v_xor_b32_e32 v39, s21, v39
	v_cmp_gt_i32_e64 s21, 0, v38
	v_and_b32_e32 v34, v34, v37
	v_ashrrev_i32_e32 v36, 31, v36
	s_wait_alu 0xf1ff
	v_xor_b32_e32 v35, s20, v35
	v_lshl_add_u32 v104, v33, 5, v0
	v_and_b32_e32 v34, v34, v39
	v_xor_b32_e32 v33, s21, v36
	ds_load_b32 v102, v104 offset:32
	v_and_b32_e32 v34, v34, v35
	; wave barrier
	s_delay_alu instid0(VALU_DEP_1) | instskip(NEXT) | instid1(VALU_DEP_1)
	v_and_b32_e32 v33, v34, v33
	v_mbcnt_lo_u32_b32 v103, v33, 0
	v_cmp_ne_u32_e64 s21, 0, v33
	s_delay_alu instid0(VALU_DEP_2)
	v_cmp_eq_u32_e64 s20, 0, v103
	s_and_b32 s21, s21, s20
	s_wait_alu 0xfffe
	s_and_saveexec_b32 s20, s21
	s_cbranch_execz .LBB221_67
; %bb.66:
	s_wait_dscnt 0x0
	v_bcnt_u32_b32 v33, v33, v102
	ds_store_b32 v104, v33 offset:32
.LBB221_67:
	s_wait_alu 0xfffe
	s_or_b32 exec_lo, exec_lo, s20
	v_lshrrev_b16 v33, 8, v73
	v_cmp_ne_u16_e64 s20, 0x7fff, v73
	; wave barrier
	s_wait_alu 0xf1ff
	s_delay_alu instid0(VALU_DEP_1) | instskip(NEXT) | instid1(VALU_DEP_1)
	v_cndmask_b32_e64 v33, 0x80, v33, s20
	v_and_b32_e32 v33, s23, v33
	s_delay_alu instid0(VALU_DEP_1)
	v_and_b32_e32 v34, 1, v33
	v_lshlrev_b32_e32 v35, 30, v33
	v_lshlrev_b32_e32 v36, 29, v33
	;; [unrolled: 1-line block ×4, first 2 shown]
	v_add_co_u32 v34, s20, v34, -1
	s_wait_alu 0xf1ff
	v_cndmask_b32_e64 v38, 0, 1, s20
	v_not_b32_e32 v106, v35
	v_cmp_gt_i32_e64 s21, 0, v35
	v_not_b32_e32 v35, v36
	v_lshlrev_b32_e32 v40, 26, v33
	v_cmp_ne_u32_e64 s20, 0, v38
	v_ashrrev_i32_e32 v106, 31, v106
	v_lshlrev_b32_e32 v105, 25, v33
	v_ashrrev_i32_e32 v35, 31, v35
	v_lshlrev_b32_e32 v38, 24, v33
	s_wait_alu 0xf1ff
	v_xor_b32_e32 v34, s20, v34
	v_cmp_gt_i32_e64 s20, 0, v36
	v_not_b32_e32 v36, v37
	v_xor_b32_e32 v106, s21, v106
	v_cmp_gt_i32_e64 s21, 0, v37
	v_and_b32_e32 v34, exec_lo, v34
	v_not_b32_e32 v37, v39
	v_ashrrev_i32_e32 v36, 31, v36
	s_wait_alu 0xf1ff
	v_xor_b32_e32 v35, s20, v35
	v_cmp_gt_i32_e64 s20, 0, v39
	v_and_b32_e32 v34, v34, v106
	v_not_b32_e32 v39, v40
	v_ashrrev_i32_e32 v37, 31, v37
	v_xor_b32_e32 v36, s21, v36
	v_cmp_gt_i32_e64 s21, 0, v40
	v_and_b32_e32 v34, v34, v35
	v_not_b32_e32 v35, v105
	v_ashrrev_i32_e32 v39, 31, v39
	s_wait_alu 0xf1ff
	v_xor_b32_e32 v37, s20, v37
	v_cmp_gt_i32_e64 s20, 0, v105
	v_and_b32_e32 v34, v34, v36
	v_not_b32_e32 v36, v38
	v_ashrrev_i32_e32 v35, 31, v35
	v_xor_b32_e32 v39, s21, v39
	v_cmp_gt_i32_e64 s21, 0, v38
	v_and_b32_e32 v34, v34, v37
	v_ashrrev_i32_e32 v36, 31, v36
	s_wait_alu 0xf1ff
	v_xor_b32_e32 v35, s20, v35
	v_lshl_add_u32 v106, v33, 5, v0
	v_and_b32_e32 v34, v34, v39
	v_xor_b32_e32 v33, s21, v36
	ds_load_b32 v0, v106 offset:32
	v_and_b32_e32 v34, v34, v35
	; wave barrier
	s_delay_alu instid0(VALU_DEP_1) | instskip(NEXT) | instid1(VALU_DEP_1)
	v_and_b32_e32 v33, v34, v33
	v_mbcnt_lo_u32_b32 v105, v33, 0
	v_cmp_ne_u32_e64 s21, 0, v33
	s_delay_alu instid0(VALU_DEP_2)
	v_cmp_eq_u32_e64 s20, 0, v105
	s_and_b32 s21, s21, s20
	s_wait_alu 0xfffe
	s_and_saveexec_b32 s20, s21
	s_cbranch_execz .LBB221_69
; %bb.68:
	s_wait_dscnt 0x0
	v_bcnt_u32_b32 v33, v33, v0
	ds_store_b32 v106, v33 offset:32
.LBB221_69:
	s_wait_alu 0xfffe
	s_or_b32 exec_lo, exec_lo, s20
	; wave barrier
	s_wait_loadcnt_dscnt 0x0
	s_barrier_signal -1
	s_barrier_wait -1
	global_inv scope:SCOPE_SE
	ds_load_b128 v[37:40], v67 offset:32
	ds_load_b128 v[33:36], v67 offset:48
	s_wait_dscnt 0x1
	v_add_nc_u32_e32 v107, v38, v37
	s_delay_alu instid0(VALU_DEP_1) | instskip(SKIP_1) | instid1(VALU_DEP_1)
	v_add3_u32 v107, v107, v39, v40
	s_wait_dscnt 0x0
	v_add3_u32 v107, v107, v33, v34
	s_delay_alu instid0(VALU_DEP_1) | instskip(NEXT) | instid1(VALU_DEP_1)
	v_add3_u32 v36, v107, v35, v36
	v_mov_b32_dpp v107, v36 row_shr:1 row_mask:0xf bank_mask:0xf
	s_delay_alu instid0(VALU_DEP_1) | instskip(NEXT) | instid1(VALU_DEP_1)
	v_cndmask_b32_e64 v107, v107, 0, s9
	v_add_nc_u32_e32 v36, v107, v36
	s_delay_alu instid0(VALU_DEP_1) | instskip(NEXT) | instid1(VALU_DEP_1)
	v_mov_b32_dpp v107, v36 row_shr:2 row_mask:0xf bank_mask:0xf
	v_cndmask_b32_e64 v107, 0, v107, s11
	s_delay_alu instid0(VALU_DEP_1) | instskip(NEXT) | instid1(VALU_DEP_1)
	v_add_nc_u32_e32 v36, v36, v107
	v_mov_b32_dpp v107, v36 row_shr:4 row_mask:0xf bank_mask:0xf
	s_delay_alu instid0(VALU_DEP_1) | instskip(NEXT) | instid1(VALU_DEP_1)
	v_cndmask_b32_e64 v107, 0, v107, s12
	v_add_nc_u32_e32 v36, v36, v107
	s_delay_alu instid0(VALU_DEP_1) | instskip(NEXT) | instid1(VALU_DEP_1)
	v_mov_b32_dpp v107, v36 row_shr:8 row_mask:0xf bank_mask:0xf
	v_cndmask_b32_e64 v107, 0, v107, s14
	s_delay_alu instid0(VALU_DEP_1) | instskip(SKIP_3) | instid1(VALU_DEP_1)
	v_add_nc_u32_e32 v36, v36, v107
	ds_swizzle_b32 v107, v36 offset:swizzle(BROADCAST,32,15)
	s_wait_dscnt 0x0
	v_cndmask_b32_e64 v107, v107, 0, s17
	v_add_nc_u32_e32 v36, v36, v107
	s_and_saveexec_b32 s9, s15
; %bb.70:
	ds_store_b32 v83, v36
; %bb.71:
	s_wait_alu 0xfffe
	s_or_b32 exec_lo, exec_lo, s9
	s_wait_loadcnt_dscnt 0x0
	s_barrier_signal -1
	s_barrier_wait -1
	global_inv scope:SCOPE_SE
	s_and_saveexec_b32 s9, s16
	s_cbranch_execz .LBB221_73
; %bb.72:
	ds_load_b32 v83, v82
	s_wait_dscnt 0x0
	v_mov_b32_dpp v107, v83 row_shr:1 row_mask:0xf bank_mask:0xf
	s_delay_alu instid0(VALU_DEP_1) | instskip(NEXT) | instid1(VALU_DEP_1)
	v_cndmask_b32_e64 v107, v107, 0, s13
	v_add_nc_u32_e32 v83, v107, v83
	s_delay_alu instid0(VALU_DEP_1) | instskip(NEXT) | instid1(VALU_DEP_1)
	v_mov_b32_dpp v107, v83 row_shr:2 row_mask:0xf bank_mask:0xf
	v_cndmask_b32_e64 v107, 0, v107, s10
	s_delay_alu instid0(VALU_DEP_1) | instskip(NEXT) | instid1(VALU_DEP_1)
	v_add_nc_u32_e32 v83, v83, v107
	v_mov_b32_dpp v107, v83 row_shr:4 row_mask:0xf bank_mask:0xf
	s_wait_alu 0xfffd
	s_delay_alu instid0(VALU_DEP_1) | instskip(NEXT) | instid1(VALU_DEP_1)
	v_cndmask_b32_e32 v107, 0, v107, vcc_lo
	v_add_nc_u32_e32 v83, v83, v107
	ds_store_b32 v82, v83
.LBB221_73:
	s_wait_alu 0xfffe
	s_or_b32 exec_lo, exec_lo, s9
	v_mov_b32_e32 v82, 0
	s_wait_loadcnt_dscnt 0x0
	s_barrier_signal -1
	s_barrier_wait -1
	global_inv scope:SCOPE_SE
	s_and_saveexec_b32 s9, s18
; %bb.74:
	ds_load_b32 v82, v84
; %bb.75:
	s_wait_alu 0xfffe
	s_or_b32 exec_lo, exec_lo, s9
	s_wait_dscnt 0x0
	v_add_nc_u32_e32 v36, v82, v36
	ds_bpermute_b32 v36, v85, v36
	s_wait_dscnt 0x0
	v_cndmask_b32_e64 v36, v36, v82, s8
	s_delay_alu instid0(VALU_DEP_1) | instskip(NEXT) | instid1(VALU_DEP_1)
	v_cndmask_b32_e64 v36, v36, 0, s19
	v_add_nc_u32_e32 v37, v36, v37
	s_delay_alu instid0(VALU_DEP_1) | instskip(NEXT) | instid1(VALU_DEP_1)
	v_add_nc_u32_e32 v38, v37, v38
	v_add_nc_u32_e32 v39, v38, v39
	s_delay_alu instid0(VALU_DEP_1) | instskip(NEXT) | instid1(VALU_DEP_1)
	v_add_nc_u32_e32 v82, v39, v40
	;; [unrolled: 3-line block ×3, first 2 shown]
	v_add_nc_u32_e32 v85, v84, v35
	ds_store_b128 v67, v[36:39] offset:32
	ds_store_b128 v67, v[82:85] offset:48
	s_wait_loadcnt_dscnt 0x0
	s_barrier_signal -1
	s_barrier_wait -1
	global_inv scope:SCOPE_SE
	ds_load_b32 v33, v106 offset:32
	ds_load_b32 v34, v104 offset:32
	;; [unrolled: 1-line block ×8, first 2 shown]
	v_lshlrev_b32_e32 v82, 1, v66
	s_wait_loadcnt_dscnt 0x0
	s_barrier_signal -1
	s_barrier_wait -1
	global_inv scope:SCOPE_SE
	v_mad_u32_u24 v83, v46, 48, v82
	v_add3_u32 v84, v105, v0, v33
	v_add3_u32 v85, v103, v102, v34
	;; [unrolled: 1-line block ×3, first 2 shown]
	v_add_nc_u32_e32 v81, v36, v81
	v_add3_u32 v87, v88, v87, v37
	v_add3_u32 v88, v91, v90, v38
	;; [unrolled: 1-line block ×4, first 2 shown]
	v_lshlrev_b32_e32 v0, 1, v81
	v_lshlrev_b32_e32 v33, 1, v87
	;; [unrolled: 1-line block ×8, first 2 shown]
	ds_store_b16 v0, v74
	ds_store_b16 v33, v75
	;; [unrolled: 1-line block ×8, first 2 shown]
	v_mad_co_u64_u32 v[73:74], null, v81, 6, v[0:1]
	v_mad_co_u64_u32 v[74:75], null, v87, 6, v[33:34]
	v_mad_co_u64_u32 v[75:76], null, v88, 6, v[34:35]
	v_mad_co_u64_u32 v[76:77], null, v89, 6, v[35:36]
	s_wait_loadcnt_dscnt 0x0
	s_barrier_signal -1
	s_barrier_wait -1
	global_inv scope:SCOPE_SE
	v_mad_co_u64_u32 v[77:78], null, v40, 6, v[36:37]
	ds_load_b128 v[33:36], v82
	v_mad_co_u64_u32 v[78:79], null, v86, 6, v[37:38]
	v_mad_co_u64_u32 v[37:38], null, v85, 6, v[38:39]
	;; [unrolled: 1-line block ×3, first 2 shown]
	s_wait_loadcnt_dscnt 0x0
	s_barrier_signal -1
	s_barrier_wait -1
	global_inv scope:SCOPE_SE
	ds_store_b64 v73, v[21:22]
	ds_store_b64 v74, v[23:24]
	;; [unrolled: 1-line block ×8, first 2 shown]
	s_wait_loadcnt_dscnt 0x0
	s_barrier_signal -1
	s_barrier_wait -1
	global_inv scope:SCOPE_SE
	ds_load_b128 v[29:32], v83
	ds_load_b128 v[25:28], v83 offset:16
	ds_load_b128 v[21:24], v83 offset:32
	;; [unrolled: 1-line block ×3, first 2 shown]
	v_cmp_lt_i16_e32 vcc_lo, -1, v33
	v_lshrrev_b32_e32 v0, 16, v33
	v_lshrrev_b32_e32 v38, 16, v34
	;; [unrolled: 1-line block ×4, first 2 shown]
	s_wait_alu 0xfffd
	v_cndmask_b32_e64 v37, 0xffff8000, -1, vcc_lo
	v_cmp_lt_i16_e32 vcc_lo, -1, v34
	s_wait_alu 0xfffd
	v_cndmask_b32_e64 v39, 0xffff8000, -1, vcc_lo
	v_cmp_lt_i16_e32 vcc_lo, -1, v35
	;; [unrolled: 3-line block ×5, first 2 shown]
	s_delay_alu instid0(VALU_DEP_2) | instskip(SKIP_3) | instid1(VALU_DEP_3)
	v_perm_b32 v0, v0, v37, 0x5040100
	s_wait_alu 0xfffd
	v_cndmask_b32_e64 v38, 0xffff8000, -1, vcc_lo
	v_cmp_lt_i16_e32 vcc_lo, -1, v40
	v_xor_b32_e32 v0, v0, v33
	s_delay_alu instid0(VALU_DEP_3) | instskip(SKIP_3) | instid1(VALU_DEP_3)
	v_perm_b32 v37, v38, v39, 0x5040100
	s_wait_alu 0xfffd
	v_cndmask_b32_e64 v40, 0xffff8000, -1, vcc_lo
	v_cmp_lt_i16_e32 vcc_lo, -1, v74
	v_xor_b32_e32 v34, v37, v34
	s_delay_alu instid0(VALU_DEP_3) | instskip(SKIP_2) | instid1(VALU_DEP_2)
	v_perm_b32 v38, v40, v73, 0x5040100
	s_wait_alu 0xfffd
	v_cndmask_b32_e64 v74, 0xffff8000, -1, vcc_lo
	v_xor_b32_e32 v33, v38, v35
	s_delay_alu instid0(VALU_DEP_2) | instskip(NEXT) | instid1(VALU_DEP_1)
	v_perm_b32 v39, v74, v75, 0x5040100
	v_xor_b32_e32 v35, v39, v36
	s_branch .LBB221_128
.LBB221_76:
	v_lshlrev_b64_e32 v[1:2], 3, v[41:42]
	v_dual_mov_b32 v43, v42 :: v_dual_mov_b32 v10, v42
	v_dual_mov_b32 v9, v42 :: v_dual_mov_b32 v12, v42
	v_mov_b32_e32 v11, v42
	s_delay_alu instid0(VALU_DEP_4)
	v_add_co_u32 v1, vcc_lo, s34, v1
	s_wait_alu 0xfffd
	v_add_co_ci_u32_e64 v2, null, s35, v2, vcc_lo
	v_dual_mov_b32 v3, v42 :: v_dual_mov_b32 v6, v42
	v_dual_mov_b32 v5, v42 :: v_dual_mov_b32 v8, v42
	global_load_b64 v[13:14], v[1:2], off
	v_dual_mov_b32 v1, v42 :: v_dual_mov_b32 v4, v42
	v_dual_mov_b32 v2, v42 :: v_dual_mov_b32 v7, v42
	s_wait_alu 0xfffe
	s_or_b32 exec_lo, exec_lo, s9
	s_and_saveexec_b32 s9, s1
	s_cbranch_execz .LBB221_22
.LBB221_77:
	v_mul_lo_u32 v22, s28, v15
	v_mov_b32_e32 v23, 0
	s_delay_alu instid0(VALU_DEP_1) | instskip(NEXT) | instid1(VALU_DEP_1)
	v_lshlrev_b64_e32 v[22:23], 3, v[22:23]
	v_add_co_u32 v22, vcc_lo, s34, v22
	s_wait_alu 0xfffd
	s_delay_alu instid0(VALU_DEP_2)
	v_add_co_ci_u32_e64 v23, null, s35, v23, vcc_lo
	global_load_b64 v[42:43], v[22:23], off
	s_wait_alu 0xfffe
	s_or_b32 exec_lo, exec_lo, s9
	s_and_saveexec_b32 s9, s2
	s_cbranch_execz .LBB221_23
.LBB221_78:
	v_mul_lo_u32 v9, s28, v16
	v_mov_b32_e32 v10, 0
	s_delay_alu instid0(VALU_DEP_1) | instskip(NEXT) | instid1(VALU_DEP_1)
	v_lshlrev_b64_e32 v[9:10], 3, v[9:10]
	v_add_co_u32 v9, vcc_lo, s34, v9
	s_wait_alu 0xfffd
	s_delay_alu instid0(VALU_DEP_2)
	v_add_co_ci_u32_e64 v10, null, s35, v10, vcc_lo
	global_load_b64 v[9:10], v[9:10], off
	s_wait_alu 0xfffe
	s_or_b32 exec_lo, exec_lo, s9
	s_and_saveexec_b32 s9, s3
	s_cbranch_execz .LBB221_24
.LBB221_79:
	v_mul_lo_u32 v11, s28, v17
	v_mov_b32_e32 v12, 0
	s_delay_alu instid0(VALU_DEP_1) | instskip(NEXT) | instid1(VALU_DEP_1)
	v_lshlrev_b64_e32 v[11:12], 3, v[11:12]
	v_add_co_u32 v11, vcc_lo, s34, v11
	s_wait_alu 0xfffd
	s_delay_alu instid0(VALU_DEP_2)
	v_add_co_ci_u32_e64 v12, null, s35, v12, vcc_lo
	global_load_b64 v[11:12], v[11:12], off
	s_wait_alu 0xfffe
	s_or_b32 exec_lo, exec_lo, s9
	s_and_saveexec_b32 s9, s4
	s_cbranch_execz .LBB221_25
.LBB221_80:
	v_mul_lo_u32 v1, s28, v18
	v_mov_b32_e32 v2, 0
	s_delay_alu instid0(VALU_DEP_1) | instskip(NEXT) | instid1(VALU_DEP_1)
	v_lshlrev_b64_e32 v[1:2], 3, v[1:2]
	v_add_co_u32 v1, vcc_lo, s34, v1
	s_wait_alu 0xfffd
	s_delay_alu instid0(VALU_DEP_2)
	v_add_co_ci_u32_e64 v2, null, s35, v2, vcc_lo
	global_load_b64 v[1:2], v[1:2], off
	s_wait_alu 0xfffe
	s_or_b32 exec_lo, exec_lo, s9
	s_and_saveexec_b32 s9, s5
	s_cbranch_execz .LBB221_26
.LBB221_81:
	v_mul_lo_u32 v3, s28, v19
	v_mov_b32_e32 v4, 0
	s_delay_alu instid0(VALU_DEP_1) | instskip(NEXT) | instid1(VALU_DEP_1)
	v_lshlrev_b64_e32 v[3:4], 3, v[3:4]
	v_add_co_u32 v3, vcc_lo, s34, v3
	s_wait_alu 0xfffd
	s_delay_alu instid0(VALU_DEP_2)
	v_add_co_ci_u32_e64 v4, null, s35, v4, vcc_lo
	global_load_b64 v[3:4], v[3:4], off
	s_wait_alu 0xfffe
	s_or_b32 exec_lo, exec_lo, s9
	s_and_saveexec_b32 s9, s6
	s_cbranch_execnz .LBB221_27
	s_branch .LBB221_28
.LBB221_82:
                                        ; implicit-def: $vgpr19_vgpr20
                                        ; implicit-def: $vgpr23_vgpr24
                                        ; implicit-def: $vgpr27_vgpr28
                                        ; implicit-def: $vgpr31_vgpr32
                                        ; implicit-def: $vgpr35
                                        ; implicit-def: $vgpr33
                                        ; implicit-def: $vgpr34
                                        ; implicit-def: $vgpr0
	s_cbranch_execz .LBB221_128
; %bb.83:
	v_lshrrev_b32_e32 v0, 16, v49
	v_cmp_gt_i16_e32 vcc_lo, 0, v49
	s_wait_dscnt 0x0
	v_lshrrev_b32_e32 v17, 16, v50
	v_lshrrev_b32_e32 v18, 16, v47
	;; [unrolled: 1-line block ×3, first 2 shown]
	v_or_b32_e32 v21, v69, v70
	s_wait_alu 0xfffd
	v_cndmask_b32_e64 v20, 0x7fff, 0, vcc_lo
	v_cmp_gt_i16_e32 vcc_lo, 0, v0
	v_and_or_b32 v36, 0x1f00, v66, v69
	s_mov_b32 s12, 0
	s_getpc_b64 s[8:9]
	s_wait_alu 0xfffe
	s_sext_i32_i16 s9, s9
	s_add_co_u32 s8, s8, _ZN7rocprim17ROCPRIM_400000_NS16block_radix_sortI6__halfLj256ELj8ElLj1ELj1ELj0ELNS0_26block_radix_rank_algorithmE1ELNS0_18block_padding_hintE2ELNS0_4arch9wavefront6targetE0EE19radix_bits_per_passE@rel32@lo+12
	s_wait_alu 0xfffe
	s_add_co_ci_u32 s9, s9, _ZN7rocprim17ROCPRIM_400000_NS16block_radix_sortI6__halfLj256ELj8ElLj1ELj1ELj0ELNS0_26block_radix_rank_algorithmE1ELNS0_18block_padding_hintE2ELNS0_4arch9wavefront6targetE0EE19radix_bits_per_passE@rel32@hi+24
	s_mov_b32 s13, s12
	s_wait_alu 0xfffd
	v_cndmask_b32_e64 v0, 0x7fff, 0, vcc_lo
	v_cmp_gt_i16_e32 vcc_lo, 0, v50
	s_mov_b32 s14, s12
	s_mov_b32 s15, s12
	v_lshlrev_b32_e32 v25, 1, v36
	v_perm_b32 v0, v0, v20, 0x5040100
	s_wait_alu 0xfffd
	v_cndmask_b32_e64 v22, 0x7fff, 0, vcc_lo
	v_cmp_gt_i16_e32 vcc_lo, 0, v17
	s_load_b32 s20, s[8:9], 0x0
	v_cndmask_b32_e64 v17, 0x7fff, 0, vcc_lo
	v_cmp_gt_i16_e32 vcc_lo, 0, v47
	s_delay_alu instid0(VALU_DEP_2)
	v_perm_b32 v20, v17, v22, 0x5040100
	s_wait_alu 0xfffd
	v_cndmask_b32_e64 v23, 0x7fff, 0, vcc_lo
	v_cmp_gt_i16_e32 vcc_lo, 0, v18
	v_xor_b32_e32 v17, v0, v49
	s_wait_alu 0xfffd
	v_cndmask_b32_e64 v18, 0x7fff, 0, vcc_lo
	v_cmp_gt_i16_e32 vcc_lo, 0, v48
	s_wait_kmcnt 0x0
	s_min_u32 s8, s20, 16
	s_delay_alu instid0(VALU_DEP_2)
	v_perm_b32 v22, v18, v23, 0x5040100
	s_wait_alu 0xfffd
	v_cndmask_b32_e64 v24, 0x7fff, 0, vcc_lo
	v_cmp_gt_i16_e32 vcc_lo, 0, v19
	v_lshlrev_b32_e32 v23, 4, v21
	v_xor_b32_e32 v18, v20, v50
	s_wait_alu 0xfffe
	s_lshl_b32 s8, -1, s8
	s_wait_alu 0xfffd
	v_cndmask_b32_e64 v19, 0x7fff, 0, vcc_lo
	s_wait_alu 0xfffe
	s_not_b32 s9, s8
	s_delay_alu instid0(VALU_DEP_1) | instskip(SKIP_1) | instid1(VALU_DEP_2)
	v_perm_b32 v24, v19, v24, 0x5040100
	v_xor_b32_e32 v19, v22, v47
	v_xor_b32_e32 v20, v24, v48
	ds_store_b128 v23, v[17:20]
	; wave barrier
	ds_load_u16 v26, v25
	ds_load_u16 v27, v25 offset:64
	ds_load_u16 v28, v25 offset:128
	;; [unrolled: 1-line block ×7, first 2 shown]
	s_wait_loadcnt_dscnt 0x0
	s_barrier_signal -1
	s_barrier_wait -1
	global_inv scope:SCOPE_SE
	v_cmp_ne_u16_e32 vcc_lo, 0x8000, v26
	s_wait_alu 0xfffd
	v_cndmask_b32_e32 v0, 0x7fff, v26, vcc_lo
	v_mad_u32_u24 v17, v21, 48, v23
	ds_store_b128 v17, v[13:16]
	ds_store_b128 v17, v[9:12] offset:16
	v_and_b32_e32 v0, 0xffff, v0
	ds_store_b128 v17, v[5:8] offset:32
	ds_store_b128 v17, v[1:4] offset:48
	v_mad_u32_u24 v12, v36, 6, v25
	; wave barrier
	s_wait_alu 0xfffe
	v_and_b32_e32 v23, s9, v0
	ds_load_2addr_b64 v[8:11], v12 offset1:32
	ds_load_2addr_b64 v[0:3], v12 offset0:64 offset1:96
	v_and_b32_e32 v4, 1, v23
	v_lshlrev_b32_e32 v18, 30, v23
	v_lshlrev_b32_e32 v19, 29, v23
	;; [unrolled: 1-line block ×3, first 2 shown]
	s_delay_alu instid0(VALU_DEP_4)
	v_add_co_u32 v16, s8, v4, -1
	s_wait_alu 0xf1ff
	v_cndmask_b32_e64 v17, 0, 1, s8
	ds_load_2addr_b64 v[4:7], v12 offset0:128 offset1:160
	ds_load_2addr_b64 v[12:15], v12 offset0:192 offset1:224
	s_wait_loadcnt_dscnt 0x0
	s_barrier_signal -1
	v_cmp_ne_u32_e32 vcc_lo, 0, v17
	v_not_b32_e32 v17, v18
	s_barrier_wait -1
	global_inv scope:SCOPE_SE
	s_load_b32 s8, s[36:37], 0xc
	v_xor_b32_e32 v16, vcc_lo, v16
	v_cmp_gt_i32_e32 vcc_lo, 0, v18
	v_ashrrev_i32_e32 v17, 31, v17
	v_not_b32_e32 v18, v19
	s_delay_alu instid0(VALU_DEP_4) | instskip(SKIP_1) | instid1(VALU_DEP_3)
	v_and_b32_e32 v16, exec_lo, v16
	s_wait_alu 0xfffd
	v_xor_b32_e32 v17, vcc_lo, v17
	v_cmp_gt_i32_e32 vcc_lo, 0, v19
	v_ashrrev_i32_e32 v18, 31, v18
	v_not_b32_e32 v19, v20
	s_delay_alu instid0(VALU_DEP_4)
	v_and_b32_e32 v16, v16, v17
	v_lshlrev_b32_e32 v17, 27, v23
	s_wait_alu 0xfffd
	v_xor_b32_e32 v18, vcc_lo, v18
	v_cmp_gt_i32_e32 vcc_lo, 0, v20
	v_ashrrev_i32_e32 v19, 31, v19
	v_not_b32_e32 v20, v17
	s_delay_alu instid0(VALU_DEP_4)
	v_and_b32_e32 v16, v16, v18
	v_lshlrev_b32_e32 v18, 26, v23
	s_wait_alu 0xfffd
	v_xor_b32_e32 v19, vcc_lo, v19
	v_cmp_gt_i32_e32 vcc_lo, 0, v17
	v_ashrrev_i32_e32 v17, 31, v20
	s_wait_kmcnt 0x0
	s_lshr_b32 s10, s8, 16
	v_not_b32_e32 v20, v18
	v_and_b32_e32 v16, v16, v19
	v_lshlrev_b32_e32 v19, 25, v23
	s_wait_alu 0xfffd
	v_xor_b32_e32 v17, vcc_lo, v17
	v_cmp_gt_i32_e32 vcc_lo, 0, v18
	v_ashrrev_i32_e32 v18, 31, v20
	v_mad_u32_u24 v21, v72, s10, v71
	v_not_b32_e32 v20, v19
	v_and_b32_e32 v16, v16, v17
	v_lshlrev_b32_e32 v17, 24, v23
	s_wait_alu 0xfffd
	v_xor_b32_e32 v18, vcc_lo, v18
	v_cmp_gt_i32_e32 vcc_lo, 0, v19
	v_ashrrev_i32_e32 v19, 31, v20
	s_and_b32 s8, s8, 0xffff
	v_not_b32_e32 v20, v17
	v_and_b32_e32 v16, v16, v18
	s_wait_alu 0xfffe
	v_mad_co_u64_u32 v[21:22], null, v21, s8, v[46:47]
	s_wait_alu 0xfffd
	v_xor_b32_e32 v18, vcc_lo, v19
	v_cmp_gt_i32_e32 vcc_lo, 0, v17
	v_ashrrev_i32_e32 v17, 31, v20
	s_delay_alu instid0(VALU_DEP_3) | instskip(SKIP_2) | instid1(VALU_DEP_3)
	v_and_b32_e32 v16, v16, v18
	v_lshrrev_b32_e32 v21, 5, v21
	s_wait_alu 0xfffd
	v_xor_b32_e32 v22, vcc_lo, v17
	v_dual_mov_b32 v20, s15 :: v_dual_mov_b32 v19, s14
	v_dual_mov_b32 v18, s13 :: v_dual_mov_b32 v17, s12
	s_delay_alu instid0(VALU_DEP_3)
	v_and_b32_e32 v16, v16, v22
	ds_store_b128 v67, v[17:20] offset:32
	ds_store_b128 v67, v[17:20] offset:48
	v_mbcnt_lo_u32_b32 v38, v16, 0
	v_lshlrev_b32_e32 v24, 2, v21
	v_lshlrev_b32_e32 v17, 5, v23
	v_cmp_ne_u32_e64 s8, 0, v16
	s_wait_loadcnt_dscnt 0x0
	v_cmp_eq_u32_e32 vcc_lo, 0, v38
	s_barrier_signal -1
	v_add_nc_u32_e32 v39, v24, v17
	s_barrier_wait -1
	global_inv scope:SCOPE_SE
	s_and_b32 s10, s8, vcc_lo
	; wave barrier
	s_wait_alu 0xfffe
	s_and_saveexec_b32 s8, s10
; %bb.84:
	v_bcnt_u32_b32 v16, v16, 0
	ds_store_b32 v39, v16 offset:32
; %bb.85:
	s_wait_alu 0xfffe
	s_or_b32 exec_lo, exec_lo, s8
	v_cmp_ne_u16_e32 vcc_lo, 0x8000, v27
	; wave barrier
	s_wait_alu 0xfffd
	v_cndmask_b32_e32 v16, 0x7fff, v27, vcc_lo
	s_delay_alu instid0(VALU_DEP_1) | instskip(NEXT) | instid1(VALU_DEP_1)
	v_and_b32_e32 v16, 0xffff, v16
	v_and_b32_e32 v16, s9, v16
	s_delay_alu instid0(VALU_DEP_1)
	v_and_b32_e32 v17, 1, v16
	v_lshlrev_b32_e32 v18, 30, v16
	v_lshlrev_b32_e32 v19, 29, v16
	;; [unrolled: 1-line block ×4, first 2 shown]
	v_add_co_u32 v17, s8, v17, -1
	s_wait_alu 0xf1ff
	v_cndmask_b32_e64 v21, 0, 1, s8
	v_not_b32_e32 v35, v18
	v_cmp_gt_i32_e64 s8, 0, v18
	v_not_b32_e32 v18, v19
	v_lshlrev_b32_e32 v23, 26, v16
	v_cmp_ne_u32_e32 vcc_lo, 0, v21
	v_ashrrev_i32_e32 v35, 31, v35
	v_lshlrev_b32_e32 v34, 25, v16
	v_ashrrev_i32_e32 v18, 31, v18
	v_lshlrev_b32_e32 v21, 24, v16
	s_wait_alu 0xfffd
	v_xor_b32_e32 v17, vcc_lo, v17
	v_cmp_gt_i32_e32 vcc_lo, 0, v19
	v_not_b32_e32 v19, v20
	s_wait_alu 0xf1ff
	v_xor_b32_e32 v35, s8, v35
	v_cmp_gt_i32_e64 s8, 0, v20
	v_and_b32_e32 v17, exec_lo, v17
	v_not_b32_e32 v20, v22
	v_ashrrev_i32_e32 v19, 31, v19
	s_wait_alu 0xfffd
	v_xor_b32_e32 v18, vcc_lo, v18
	v_cmp_gt_i32_e32 vcc_lo, 0, v22
	v_and_b32_e32 v17, v17, v35
	v_not_b32_e32 v22, v23
	v_ashrrev_i32_e32 v20, 31, v20
	s_wait_alu 0xf1ff
	v_xor_b32_e32 v19, s8, v19
	v_cmp_gt_i32_e64 s8, 0, v23
	v_and_b32_e32 v17, v17, v18
	v_not_b32_e32 v18, v34
	v_ashrrev_i32_e32 v22, 31, v22
	s_wait_alu 0xfffd
	v_xor_b32_e32 v20, vcc_lo, v20
	v_cmp_gt_i32_e32 vcc_lo, 0, v34
	v_and_b32_e32 v17, v17, v19
	v_not_b32_e32 v19, v21
	v_ashrrev_i32_e32 v18, 31, v18
	s_wait_alu 0xf1ff
	v_xor_b32_e32 v22, s8, v22
	v_lshlrev_b32_e32 v16, 5, v16
	v_and_b32_e32 v17, v17, v20
	v_cmp_gt_i32_e64 s8, 0, v21
	v_ashrrev_i32_e32 v19, 31, v19
	s_wait_alu 0xfffd
	v_xor_b32_e32 v18, vcc_lo, v18
	v_add_nc_u32_e32 v48, v24, v16
	v_and_b32_e32 v17, v17, v22
	s_wait_alu 0xf1ff
	v_xor_b32_e32 v16, s8, v19
	ds_load_b32 v40, v48 offset:32
	v_and_b32_e32 v17, v17, v18
	; wave barrier
	s_delay_alu instid0(VALU_DEP_1) | instskip(NEXT) | instid1(VALU_DEP_1)
	v_and_b32_e32 v16, v17, v16
	v_mbcnt_lo_u32_b32 v47, v16, 0
	v_cmp_ne_u32_e64 s8, 0, v16
	s_delay_alu instid0(VALU_DEP_2)
	v_cmp_eq_u32_e32 vcc_lo, 0, v47
	s_and_b32 s10, s8, vcc_lo
	s_wait_alu 0xfffe
	s_and_saveexec_b32 s8, s10
	s_cbranch_execz .LBB221_87
; %bb.86:
	s_wait_dscnt 0x0
	v_bcnt_u32_b32 v16, v16, v40
	ds_store_b32 v48, v16 offset:32
.LBB221_87:
	s_wait_alu 0xfffe
	s_or_b32 exec_lo, exec_lo, s8
	v_cmp_ne_u16_e32 vcc_lo, 0x8000, v28
	; wave barrier
	s_wait_alu 0xfffd
	v_cndmask_b32_e32 v16, 0x7fff, v28, vcc_lo
	s_delay_alu instid0(VALU_DEP_1) | instskip(NEXT) | instid1(VALU_DEP_1)
	v_and_b32_e32 v16, 0xffff, v16
	v_and_b32_e32 v16, s9, v16
	s_delay_alu instid0(VALU_DEP_1)
	v_and_b32_e32 v17, 1, v16
	v_lshlrev_b32_e32 v18, 30, v16
	v_lshlrev_b32_e32 v19, 29, v16
	v_lshlrev_b32_e32 v20, 28, v16
	v_lshlrev_b32_e32 v22, 27, v16
	v_add_co_u32 v17, s8, v17, -1
	s_wait_alu 0xf1ff
	v_cndmask_b32_e64 v21, 0, 1, s8
	v_not_b32_e32 v35, v18
	v_cmp_gt_i32_e64 s8, 0, v18
	v_not_b32_e32 v18, v19
	v_lshlrev_b32_e32 v23, 26, v16
	v_cmp_ne_u32_e32 vcc_lo, 0, v21
	v_ashrrev_i32_e32 v35, 31, v35
	v_lshlrev_b32_e32 v34, 25, v16
	v_ashrrev_i32_e32 v18, 31, v18
	v_lshlrev_b32_e32 v21, 24, v16
	s_wait_alu 0xfffd
	v_xor_b32_e32 v17, vcc_lo, v17
	v_cmp_gt_i32_e32 vcc_lo, 0, v19
	v_not_b32_e32 v19, v20
	s_wait_alu 0xf1ff
	v_xor_b32_e32 v35, s8, v35
	v_cmp_gt_i32_e64 s8, 0, v20
	v_and_b32_e32 v17, exec_lo, v17
	v_not_b32_e32 v20, v22
	v_ashrrev_i32_e32 v19, 31, v19
	s_wait_alu 0xfffd
	v_xor_b32_e32 v18, vcc_lo, v18
	v_cmp_gt_i32_e32 vcc_lo, 0, v22
	v_and_b32_e32 v17, v17, v35
	v_not_b32_e32 v22, v23
	v_ashrrev_i32_e32 v20, 31, v20
	s_wait_alu 0xf1ff
	v_xor_b32_e32 v19, s8, v19
	v_cmp_gt_i32_e64 s8, 0, v23
	v_and_b32_e32 v17, v17, v18
	v_not_b32_e32 v18, v34
	v_ashrrev_i32_e32 v22, 31, v22
	s_wait_alu 0xfffd
	v_xor_b32_e32 v20, vcc_lo, v20
	v_cmp_gt_i32_e32 vcc_lo, 0, v34
	v_and_b32_e32 v17, v17, v19
	v_not_b32_e32 v19, v21
	v_ashrrev_i32_e32 v18, 31, v18
	s_wait_alu 0xf1ff
	v_xor_b32_e32 v22, s8, v22
	v_lshlrev_b32_e32 v16, 5, v16
	v_and_b32_e32 v17, v17, v20
	v_cmp_gt_i32_e64 s8, 0, v21
	v_ashrrev_i32_e32 v19, 31, v19
	s_wait_alu 0xfffd
	v_xor_b32_e32 v18, vcc_lo, v18
	v_add_nc_u32_e32 v71, v24, v16
	v_and_b32_e32 v17, v17, v22
	s_wait_alu 0xf1ff
	v_xor_b32_e32 v16, s8, v19
	ds_load_b32 v49, v71 offset:32
	v_and_b32_e32 v17, v17, v18
	; wave barrier
	s_delay_alu instid0(VALU_DEP_1) | instskip(NEXT) | instid1(VALU_DEP_1)
	v_and_b32_e32 v16, v17, v16
	v_mbcnt_lo_u32_b32 v50, v16, 0
	v_cmp_ne_u32_e64 s8, 0, v16
	s_delay_alu instid0(VALU_DEP_2)
	v_cmp_eq_u32_e32 vcc_lo, 0, v50
	s_and_b32 s10, s8, vcc_lo
	s_wait_alu 0xfffe
	s_and_saveexec_b32 s8, s10
	s_cbranch_execz .LBB221_89
; %bb.88:
	s_wait_dscnt 0x0
	v_bcnt_u32_b32 v16, v16, v49
	ds_store_b32 v71, v16 offset:32
.LBB221_89:
	s_wait_alu 0xfffe
	s_or_b32 exec_lo, exec_lo, s8
	v_cmp_ne_u16_e32 vcc_lo, 0x8000, v29
	; wave barrier
	s_wait_alu 0xfffd
	v_cndmask_b32_e32 v16, 0x7fff, v29, vcc_lo
	s_delay_alu instid0(VALU_DEP_1) | instskip(NEXT) | instid1(VALU_DEP_1)
	v_and_b32_e32 v16, 0xffff, v16
	v_and_b32_e32 v16, s9, v16
	s_delay_alu instid0(VALU_DEP_1)
	v_and_b32_e32 v17, 1, v16
	v_lshlrev_b32_e32 v18, 30, v16
	v_lshlrev_b32_e32 v19, 29, v16
	;; [unrolled: 1-line block ×4, first 2 shown]
	v_add_co_u32 v17, s8, v17, -1
	s_wait_alu 0xf1ff
	v_cndmask_b32_e64 v21, 0, 1, s8
	v_not_b32_e32 v35, v18
	v_cmp_gt_i32_e64 s8, 0, v18
	v_not_b32_e32 v18, v19
	v_lshlrev_b32_e32 v23, 26, v16
	v_cmp_ne_u32_e32 vcc_lo, 0, v21
	v_ashrrev_i32_e32 v35, 31, v35
	v_lshlrev_b32_e32 v34, 25, v16
	v_ashrrev_i32_e32 v18, 31, v18
	v_lshlrev_b32_e32 v21, 24, v16
	s_wait_alu 0xfffd
	v_xor_b32_e32 v17, vcc_lo, v17
	v_cmp_gt_i32_e32 vcc_lo, 0, v19
	v_not_b32_e32 v19, v20
	s_wait_alu 0xf1ff
	v_xor_b32_e32 v35, s8, v35
	v_cmp_gt_i32_e64 s8, 0, v20
	v_and_b32_e32 v17, exec_lo, v17
	v_not_b32_e32 v20, v22
	v_ashrrev_i32_e32 v19, 31, v19
	s_wait_alu 0xfffd
	v_xor_b32_e32 v18, vcc_lo, v18
	v_cmp_gt_i32_e32 vcc_lo, 0, v22
	v_and_b32_e32 v17, v17, v35
	v_not_b32_e32 v22, v23
	v_ashrrev_i32_e32 v20, 31, v20
	s_wait_alu 0xf1ff
	v_xor_b32_e32 v19, s8, v19
	v_cmp_gt_i32_e64 s8, 0, v23
	v_and_b32_e32 v17, v17, v18
	v_not_b32_e32 v18, v34
	v_ashrrev_i32_e32 v22, 31, v22
	s_wait_alu 0xfffd
	v_xor_b32_e32 v20, vcc_lo, v20
	v_cmp_gt_i32_e32 vcc_lo, 0, v34
	v_and_b32_e32 v17, v17, v19
	v_not_b32_e32 v19, v21
	v_ashrrev_i32_e32 v18, 31, v18
	s_wait_alu 0xf1ff
	v_xor_b32_e32 v22, s8, v22
	v_lshlrev_b32_e32 v16, 5, v16
	v_and_b32_e32 v17, v17, v20
	v_cmp_gt_i32_e64 s8, 0, v21
	v_ashrrev_i32_e32 v19, 31, v19
	s_wait_alu 0xfffd
	v_xor_b32_e32 v18, vcc_lo, v18
	v_add_nc_u32_e32 v74, v24, v16
	v_and_b32_e32 v17, v17, v22
	s_wait_alu 0xf1ff
	v_xor_b32_e32 v16, s8, v19
	ds_load_b32 v72, v74 offset:32
	v_and_b32_e32 v17, v17, v18
	; wave barrier
	s_delay_alu instid0(VALU_DEP_1) | instskip(NEXT) | instid1(VALU_DEP_1)
	v_and_b32_e32 v16, v17, v16
	v_mbcnt_lo_u32_b32 v73, v16, 0
	v_cmp_ne_u32_e64 s8, 0, v16
	s_delay_alu instid0(VALU_DEP_2)
	v_cmp_eq_u32_e32 vcc_lo, 0, v73
	s_and_b32 s10, s8, vcc_lo
	s_wait_alu 0xfffe
	s_and_saveexec_b32 s8, s10
	s_cbranch_execz .LBB221_91
; %bb.90:
	s_wait_dscnt 0x0
	v_bcnt_u32_b32 v16, v16, v72
	ds_store_b32 v74, v16 offset:32
.LBB221_91:
	s_wait_alu 0xfffe
	s_or_b32 exec_lo, exec_lo, s8
	v_cmp_ne_u16_e32 vcc_lo, 0x8000, v30
	; wave barrier
	s_wait_alu 0xfffd
	v_cndmask_b32_e32 v16, 0x7fff, v30, vcc_lo
	s_delay_alu instid0(VALU_DEP_1) | instskip(NEXT) | instid1(VALU_DEP_1)
	v_and_b32_e32 v16, 0xffff, v16
	v_and_b32_e32 v16, s9, v16
	s_delay_alu instid0(VALU_DEP_1)
	v_and_b32_e32 v17, 1, v16
	v_lshlrev_b32_e32 v18, 30, v16
	v_lshlrev_b32_e32 v19, 29, v16
	;; [unrolled: 1-line block ×4, first 2 shown]
	v_add_co_u32 v17, s8, v17, -1
	s_wait_alu 0xf1ff
	v_cndmask_b32_e64 v21, 0, 1, s8
	v_not_b32_e32 v35, v18
	v_cmp_gt_i32_e64 s8, 0, v18
	v_not_b32_e32 v18, v19
	v_lshlrev_b32_e32 v23, 26, v16
	v_cmp_ne_u32_e32 vcc_lo, 0, v21
	v_ashrrev_i32_e32 v35, 31, v35
	v_lshlrev_b32_e32 v34, 25, v16
	v_ashrrev_i32_e32 v18, 31, v18
	v_lshlrev_b32_e32 v21, 24, v16
	s_wait_alu 0xfffd
	v_xor_b32_e32 v17, vcc_lo, v17
	v_cmp_gt_i32_e32 vcc_lo, 0, v19
	v_not_b32_e32 v19, v20
	s_wait_alu 0xf1ff
	v_xor_b32_e32 v35, s8, v35
	v_cmp_gt_i32_e64 s8, 0, v20
	v_and_b32_e32 v17, exec_lo, v17
	v_not_b32_e32 v20, v22
	v_ashrrev_i32_e32 v19, 31, v19
	s_wait_alu 0xfffd
	v_xor_b32_e32 v18, vcc_lo, v18
	v_cmp_gt_i32_e32 vcc_lo, 0, v22
	v_and_b32_e32 v17, v17, v35
	v_not_b32_e32 v22, v23
	v_ashrrev_i32_e32 v20, 31, v20
	s_wait_alu 0xf1ff
	v_xor_b32_e32 v19, s8, v19
	v_cmp_gt_i32_e64 s8, 0, v23
	v_and_b32_e32 v17, v17, v18
	v_not_b32_e32 v18, v34
	v_ashrrev_i32_e32 v22, 31, v22
	s_wait_alu 0xfffd
	v_xor_b32_e32 v20, vcc_lo, v20
	v_cmp_gt_i32_e32 vcc_lo, 0, v34
	v_and_b32_e32 v17, v17, v19
	v_not_b32_e32 v19, v21
	v_ashrrev_i32_e32 v18, 31, v18
	s_wait_alu 0xf1ff
	v_xor_b32_e32 v22, s8, v22
	v_lshlrev_b32_e32 v16, 5, v16
	v_and_b32_e32 v17, v17, v20
	v_cmp_gt_i32_e64 s8, 0, v21
	v_ashrrev_i32_e32 v19, 31, v19
	s_wait_alu 0xfffd
	v_xor_b32_e32 v18, vcc_lo, v18
	v_add_nc_u32_e32 v77, v24, v16
	v_and_b32_e32 v17, v17, v22
	s_wait_alu 0xf1ff
	v_xor_b32_e32 v16, s8, v19
	ds_load_b32 v75, v77 offset:32
	v_and_b32_e32 v17, v17, v18
	; wave barrier
	s_delay_alu instid0(VALU_DEP_1) | instskip(NEXT) | instid1(VALU_DEP_1)
	v_and_b32_e32 v16, v17, v16
	v_mbcnt_lo_u32_b32 v76, v16, 0
	v_cmp_ne_u32_e64 s8, 0, v16
	s_delay_alu instid0(VALU_DEP_2)
	v_cmp_eq_u32_e32 vcc_lo, 0, v76
	s_and_b32 s10, s8, vcc_lo
	s_wait_alu 0xfffe
	s_and_saveexec_b32 s8, s10
	s_cbranch_execz .LBB221_93
; %bb.92:
	s_wait_dscnt 0x0
	v_bcnt_u32_b32 v16, v16, v75
	ds_store_b32 v77, v16 offset:32
.LBB221_93:
	s_wait_alu 0xfffe
	s_or_b32 exec_lo, exec_lo, s8
	v_cmp_ne_u16_e32 vcc_lo, 0x8000, v31
	; wave barrier
	s_wait_alu 0xfffd
	v_cndmask_b32_e32 v16, 0x7fff, v31, vcc_lo
	s_delay_alu instid0(VALU_DEP_1) | instskip(NEXT) | instid1(VALU_DEP_1)
	v_and_b32_e32 v16, 0xffff, v16
	v_and_b32_e32 v16, s9, v16
	s_delay_alu instid0(VALU_DEP_1)
	v_and_b32_e32 v17, 1, v16
	v_lshlrev_b32_e32 v18, 30, v16
	v_lshlrev_b32_e32 v19, 29, v16
	;; [unrolled: 1-line block ×4, first 2 shown]
	v_add_co_u32 v17, s8, v17, -1
	s_wait_alu 0xf1ff
	v_cndmask_b32_e64 v21, 0, 1, s8
	v_not_b32_e32 v35, v18
	v_cmp_gt_i32_e64 s8, 0, v18
	v_not_b32_e32 v18, v19
	v_lshlrev_b32_e32 v23, 26, v16
	v_cmp_ne_u32_e32 vcc_lo, 0, v21
	v_ashrrev_i32_e32 v35, 31, v35
	v_lshlrev_b32_e32 v34, 25, v16
	v_ashrrev_i32_e32 v18, 31, v18
	v_lshlrev_b32_e32 v21, 24, v16
	s_wait_alu 0xfffd
	v_xor_b32_e32 v17, vcc_lo, v17
	v_cmp_gt_i32_e32 vcc_lo, 0, v19
	v_not_b32_e32 v19, v20
	s_wait_alu 0xf1ff
	v_xor_b32_e32 v35, s8, v35
	v_cmp_gt_i32_e64 s8, 0, v20
	v_and_b32_e32 v17, exec_lo, v17
	v_not_b32_e32 v20, v22
	v_ashrrev_i32_e32 v19, 31, v19
	s_wait_alu 0xfffd
	v_xor_b32_e32 v18, vcc_lo, v18
	v_cmp_gt_i32_e32 vcc_lo, 0, v22
	v_and_b32_e32 v17, v17, v35
	v_not_b32_e32 v22, v23
	v_ashrrev_i32_e32 v20, 31, v20
	s_wait_alu 0xf1ff
	v_xor_b32_e32 v19, s8, v19
	v_cmp_gt_i32_e64 s8, 0, v23
	v_and_b32_e32 v17, v17, v18
	v_not_b32_e32 v18, v34
	v_ashrrev_i32_e32 v22, 31, v22
	s_wait_alu 0xfffd
	v_xor_b32_e32 v20, vcc_lo, v20
	v_cmp_gt_i32_e32 vcc_lo, 0, v34
	v_and_b32_e32 v17, v17, v19
	v_not_b32_e32 v19, v21
	v_ashrrev_i32_e32 v18, 31, v18
	s_wait_alu 0xf1ff
	v_xor_b32_e32 v22, s8, v22
	v_lshlrev_b32_e32 v16, 5, v16
	v_and_b32_e32 v17, v17, v20
	v_cmp_gt_i32_e64 s8, 0, v21
	v_ashrrev_i32_e32 v19, 31, v19
	s_wait_alu 0xfffd
	v_xor_b32_e32 v18, vcc_lo, v18
	v_add_nc_u32_e32 v80, v24, v16
	v_and_b32_e32 v17, v17, v22
	s_wait_alu 0xf1ff
	v_xor_b32_e32 v16, s8, v19
	ds_load_b32 v78, v80 offset:32
	v_and_b32_e32 v17, v17, v18
	; wave barrier
	s_delay_alu instid0(VALU_DEP_1) | instskip(NEXT) | instid1(VALU_DEP_1)
	v_and_b32_e32 v16, v17, v16
	v_mbcnt_lo_u32_b32 v79, v16, 0
	v_cmp_ne_u32_e64 s8, 0, v16
	s_delay_alu instid0(VALU_DEP_2)
	v_cmp_eq_u32_e32 vcc_lo, 0, v79
	s_and_b32 s10, s8, vcc_lo
	s_wait_alu 0xfffe
	s_and_saveexec_b32 s8, s10
	s_cbranch_execz .LBB221_95
; %bb.94:
	s_wait_dscnt 0x0
	v_bcnt_u32_b32 v16, v16, v78
	ds_store_b32 v80, v16 offset:32
.LBB221_95:
	s_wait_alu 0xfffe
	s_or_b32 exec_lo, exec_lo, s8
	v_cmp_ne_u16_e32 vcc_lo, 0x8000, v32
	; wave barrier
	s_wait_alu 0xfffd
	v_cndmask_b32_e32 v16, 0x7fff, v32, vcc_lo
	s_delay_alu instid0(VALU_DEP_1) | instskip(NEXT) | instid1(VALU_DEP_1)
	v_and_b32_e32 v16, 0xffff, v16
	v_and_b32_e32 v16, s9, v16
	s_delay_alu instid0(VALU_DEP_1)
	v_and_b32_e32 v17, 1, v16
	v_lshlrev_b32_e32 v18, 30, v16
	v_lshlrev_b32_e32 v19, 29, v16
	v_lshlrev_b32_e32 v20, 28, v16
	v_lshlrev_b32_e32 v22, 27, v16
	v_add_co_u32 v17, s8, v17, -1
	s_wait_alu 0xf1ff
	v_cndmask_b32_e64 v21, 0, 1, s8
	v_not_b32_e32 v35, v18
	v_cmp_gt_i32_e64 s8, 0, v18
	v_not_b32_e32 v18, v19
	v_lshlrev_b32_e32 v23, 26, v16
	v_cmp_ne_u32_e32 vcc_lo, 0, v21
	v_ashrrev_i32_e32 v35, 31, v35
	v_lshlrev_b32_e32 v34, 25, v16
	v_ashrrev_i32_e32 v18, 31, v18
	v_lshlrev_b32_e32 v21, 24, v16
	s_wait_alu 0xfffd
	v_xor_b32_e32 v17, vcc_lo, v17
	v_cmp_gt_i32_e32 vcc_lo, 0, v19
	v_not_b32_e32 v19, v20
	s_wait_alu 0xf1ff
	v_xor_b32_e32 v35, s8, v35
	v_cmp_gt_i32_e64 s8, 0, v20
	v_and_b32_e32 v17, exec_lo, v17
	v_not_b32_e32 v20, v22
	v_ashrrev_i32_e32 v19, 31, v19
	s_wait_alu 0xfffd
	v_xor_b32_e32 v18, vcc_lo, v18
	v_cmp_gt_i32_e32 vcc_lo, 0, v22
	v_and_b32_e32 v17, v17, v35
	v_not_b32_e32 v22, v23
	v_ashrrev_i32_e32 v20, 31, v20
	s_wait_alu 0xf1ff
	v_xor_b32_e32 v19, s8, v19
	v_cmp_gt_i32_e64 s8, 0, v23
	v_and_b32_e32 v17, v17, v18
	v_not_b32_e32 v18, v34
	v_ashrrev_i32_e32 v22, 31, v22
	s_wait_alu 0xfffd
	v_xor_b32_e32 v20, vcc_lo, v20
	v_cmp_gt_i32_e32 vcc_lo, 0, v34
	v_and_b32_e32 v17, v17, v19
	v_not_b32_e32 v19, v21
	v_ashrrev_i32_e32 v18, 31, v18
	s_wait_alu 0xf1ff
	v_xor_b32_e32 v22, s8, v22
	v_lshlrev_b32_e32 v16, 5, v16
	v_and_b32_e32 v17, v17, v20
	v_cmp_gt_i32_e64 s8, 0, v21
	v_ashrrev_i32_e32 v19, 31, v19
	s_wait_alu 0xfffd
	v_xor_b32_e32 v18, vcc_lo, v18
	v_add_nc_u32_e32 v83, v24, v16
	v_and_b32_e32 v17, v17, v22
	s_wait_alu 0xf1ff
	v_xor_b32_e32 v16, s8, v19
	ds_load_b32 v81, v83 offset:32
	v_and_b32_e32 v17, v17, v18
	; wave barrier
	s_delay_alu instid0(VALU_DEP_1) | instskip(NEXT) | instid1(VALU_DEP_1)
	v_and_b32_e32 v16, v17, v16
	v_mbcnt_lo_u32_b32 v82, v16, 0
	v_cmp_ne_u32_e64 s8, 0, v16
	s_delay_alu instid0(VALU_DEP_2)
	v_cmp_eq_u32_e32 vcc_lo, 0, v82
	s_and_b32 s10, s8, vcc_lo
	s_wait_alu 0xfffe
	s_and_saveexec_b32 s8, s10
	s_cbranch_execz .LBB221_97
; %bb.96:
	s_wait_dscnt 0x0
	v_bcnt_u32_b32 v16, v16, v81
	ds_store_b32 v83, v16 offset:32
.LBB221_97:
	s_wait_alu 0xfffe
	s_or_b32 exec_lo, exec_lo, s8
	v_cmp_ne_u16_e32 vcc_lo, 0x8000, v33
	; wave barrier
	s_wait_alu 0xfffd
	v_cndmask_b32_e32 v16, 0x7fff, v33, vcc_lo
	s_delay_alu instid0(VALU_DEP_1) | instskip(NEXT) | instid1(VALU_DEP_1)
	v_and_b32_e32 v16, 0xffff, v16
	v_and_b32_e32 v16, s9, v16
	s_delay_alu instid0(VALU_DEP_1)
	v_and_b32_e32 v17, 1, v16
	v_lshlrev_b32_e32 v18, 30, v16
	v_lshlrev_b32_e32 v19, 29, v16
	v_lshlrev_b32_e32 v20, 28, v16
	v_lshlrev_b32_e32 v22, 27, v16
	v_add_co_u32 v17, s8, v17, -1
	s_wait_alu 0xf1ff
	v_cndmask_b32_e64 v21, 0, 1, s8
	v_not_b32_e32 v35, v18
	v_cmp_gt_i32_e64 s8, 0, v18
	v_not_b32_e32 v18, v19
	v_lshlrev_b32_e32 v23, 26, v16
	v_cmp_ne_u32_e32 vcc_lo, 0, v21
	v_ashrrev_i32_e32 v35, 31, v35
	v_lshlrev_b32_e32 v34, 25, v16
	v_ashrrev_i32_e32 v18, 31, v18
	v_lshlrev_b32_e32 v21, 24, v16
	s_wait_alu 0xfffd
	v_xor_b32_e32 v17, vcc_lo, v17
	v_cmp_gt_i32_e32 vcc_lo, 0, v19
	v_not_b32_e32 v19, v20
	s_wait_alu 0xf1ff
	v_xor_b32_e32 v35, s8, v35
	v_cmp_gt_i32_e64 s8, 0, v20
	v_and_b32_e32 v17, exec_lo, v17
	v_not_b32_e32 v20, v22
	v_ashrrev_i32_e32 v19, 31, v19
	s_wait_alu 0xfffd
	v_xor_b32_e32 v18, vcc_lo, v18
	v_cmp_gt_i32_e32 vcc_lo, 0, v22
	v_and_b32_e32 v17, v17, v35
	v_not_b32_e32 v22, v23
	v_ashrrev_i32_e32 v20, 31, v20
	s_wait_alu 0xf1ff
	v_xor_b32_e32 v19, s8, v19
	v_cmp_gt_i32_e64 s8, 0, v23
	v_and_b32_e32 v17, v17, v18
	v_not_b32_e32 v18, v34
	v_ashrrev_i32_e32 v22, 31, v22
	s_wait_alu 0xfffd
	v_xor_b32_e32 v20, vcc_lo, v20
	v_cmp_gt_i32_e32 vcc_lo, 0, v34
	v_and_b32_e32 v17, v17, v19
	v_not_b32_e32 v19, v21
	v_ashrrev_i32_e32 v18, 31, v18
	s_wait_alu 0xf1ff
	v_xor_b32_e32 v22, s8, v22
	v_lshlrev_b32_e32 v16, 5, v16
	v_and_b32_e32 v17, v17, v20
	v_cmp_gt_i32_e64 s8, 0, v21
	v_ashrrev_i32_e32 v19, 31, v19
	s_wait_alu 0xfffd
	v_xor_b32_e32 v18, vcc_lo, v18
	v_add_nc_u32_e32 v86, v24, v16
	v_and_b32_e32 v17, v17, v22
	v_min_u32_e32 v34, 0xe0, v70
	s_wait_alu 0xf1ff
	v_xor_b32_e32 v16, s8, v19
	ds_load_b32 v84, v86 offset:32
	v_and_b32_e32 v17, v17, v18
	; wave barrier
	s_delay_alu instid0(VALU_DEP_1) | instskip(NEXT) | instid1(VALU_DEP_1)
	v_and_b32_e32 v16, v17, v16
	v_mbcnt_lo_u32_b32 v85, v16, 0
	v_cmp_ne_u32_e64 s8, 0, v16
	s_delay_alu instid0(VALU_DEP_2)
	v_cmp_eq_u32_e32 vcc_lo, 0, v85
	s_and_b32 s9, s8, vcc_lo
	s_wait_alu 0xfffe
	s_and_saveexec_b32 s8, s9
	s_cbranch_execz .LBB221_99
; %bb.98:
	s_wait_dscnt 0x0
	v_bcnt_u32_b32 v16, v16, v84
	ds_store_b32 v86, v16 offset:32
.LBB221_99:
	s_wait_alu 0xfffe
	s_or_b32 exec_lo, exec_lo, s8
	; wave barrier
	s_wait_loadcnt_dscnt 0x0
	s_barrier_signal -1
	s_barrier_wait -1
	global_inv scope:SCOPE_SE
	ds_load_b128 v[20:23], v67 offset:32
	ds_load_b128 v[16:19], v67 offset:48
	v_and_b32_e32 v70, 16, v69
	v_or_b32_e32 v34, 31, v34
	s_delay_alu instid0(VALU_DEP_2) | instskip(NEXT) | instid1(VALU_DEP_2)
	v_cmp_eq_u32_e64 s17, 0, v70
	v_cmp_eq_u32_e64 s15, v46, v34
	s_wait_dscnt 0x1
	v_add_nc_u32_e32 v35, v21, v20
	s_delay_alu instid0(VALU_DEP_1) | instskip(SKIP_1) | instid1(VALU_DEP_1)
	v_add3_u32 v35, v35, v22, v23
	s_wait_dscnt 0x0
	v_add3_u32 v35, v35, v16, v17
	s_delay_alu instid0(VALU_DEP_1) | instskip(SKIP_1) | instid1(VALU_DEP_2)
	v_add3_u32 v19, v35, v18, v19
	v_and_b32_e32 v35, 15, v69
	v_mov_b32_dpp v37, v19 row_shr:1 row_mask:0xf bank_mask:0xf
	s_delay_alu instid0(VALU_DEP_2)
	v_cmp_eq_u32_e64 s9, 0, v35
	v_cmp_lt_u32_e64 s11, 1, v35
	v_cmp_lt_u32_e64 s12, 3, v35
	;; [unrolled: 1-line block ×3, first 2 shown]
	s_wait_alu 0xf1ff
	v_cndmask_b32_e64 v37, v37, 0, s9
	s_delay_alu instid0(VALU_DEP_1) | instskip(NEXT) | instid1(VALU_DEP_1)
	v_add_nc_u32_e32 v19, v37, v19
	v_mov_b32_dpp v37, v19 row_shr:2 row_mask:0xf bank_mask:0xf
	s_delay_alu instid0(VALU_DEP_1) | instskip(NEXT) | instid1(VALU_DEP_1)
	v_cndmask_b32_e64 v37, 0, v37, s11
	v_add_nc_u32_e32 v19, v19, v37
	s_delay_alu instid0(VALU_DEP_1) | instskip(NEXT) | instid1(VALU_DEP_1)
	v_mov_b32_dpp v37, v19 row_shr:4 row_mask:0xf bank_mask:0xf
	v_cndmask_b32_e64 v37, 0, v37, s12
	s_delay_alu instid0(VALU_DEP_1) | instskip(NEXT) | instid1(VALU_DEP_1)
	v_add_nc_u32_e32 v19, v19, v37
	v_mov_b32_dpp v37, v19 row_shr:8 row_mask:0xf bank_mask:0xf
	s_delay_alu instid0(VALU_DEP_1) | instskip(NEXT) | instid1(VALU_DEP_1)
	v_cndmask_b32_e64 v35, 0, v37, s14
	v_add_nc_u32_e32 v37, v19, v35
	v_bfe_i32 v35, v69, 4, 1
	ds_swizzle_b32 v19, v37 offset:swizzle(BROADCAST,32,15)
	s_wait_dscnt 0x0
	v_and_b32_e32 v87, v35, v19
	v_mul_i32_i24_e32 v19, 0xffffffe4, v46
	v_lshlrev_b32_e32 v35, 2, v68
	s_delay_alu instid0(VALU_DEP_3)
	v_add_nc_u32_e32 v37, v37, v87
	s_and_saveexec_b32 s8, s15
; %bb.100:
	ds_store_b32 v35, v37
; %bb.101:
	s_wait_alu 0xfffe
	s_or_b32 exec_lo, exec_lo, s8
	v_and_b32_e32 v34, 7, v69
	v_cmp_gt_u32_e64 s16, 8, v46
	s_wait_loadcnt_dscnt 0x0
	s_barrier_signal -1
	s_barrier_wait -1
	v_cmp_eq_u32_e64 s13, 0, v34
	v_cmp_lt_u32_e64 s10, 1, v34
	v_cmp_lt_u32_e32 vcc_lo, 3, v34
	v_add_nc_u32_e32 v34, v67, v19
	global_inv scope:SCOPE_SE
	s_and_saveexec_b32 s8, s16
	s_cbranch_execz .LBB221_103
; %bb.102:
	ds_load_b32 v19, v34
	s_wait_dscnt 0x0
	v_mov_b32_dpp v68, v19 row_shr:1 row_mask:0xf bank_mask:0xf
	s_wait_alu 0xf1ff
	s_delay_alu instid0(VALU_DEP_1) | instskip(NEXT) | instid1(VALU_DEP_1)
	v_cndmask_b32_e64 v68, v68, 0, s13
	v_add_nc_u32_e32 v19, v68, v19
	s_delay_alu instid0(VALU_DEP_1) | instskip(NEXT) | instid1(VALU_DEP_1)
	v_mov_b32_dpp v68, v19 row_shr:2 row_mask:0xf bank_mask:0xf
	v_cndmask_b32_e64 v68, 0, v68, s10
	s_delay_alu instid0(VALU_DEP_1) | instskip(NEXT) | instid1(VALU_DEP_1)
	v_add_nc_u32_e32 v19, v19, v68
	v_mov_b32_dpp v68, v19 row_shr:4 row_mask:0xf bank_mask:0xf
	s_wait_alu 0xfffd
	s_delay_alu instid0(VALU_DEP_1) | instskip(NEXT) | instid1(VALU_DEP_1)
	v_cndmask_b32_e32 v68, 0, v68, vcc_lo
	v_add_nc_u32_e32 v19, v19, v68
	ds_store_b32 v34, v19
.LBB221_103:
	s_wait_alu 0xfffe
	s_or_b32 exec_lo, exec_lo, s8
	v_mul_u32_u24_e32 v19, 6, v36
	v_sub_co_u32 v68, s8, v69, 1
	v_cmp_lt_u32_e64 s18, 31, v46
	v_add_nc_u32_e32 v36, -4, v35
	v_mov_b32_e32 v70, 0
	s_wait_loadcnt_dscnt 0x0
	s_barrier_signal -1
	s_barrier_wait -1
	global_inv scope:SCOPE_SE
	s_and_saveexec_b32 s19, s18
; %bb.104:
	ds_load_b32 v70, v36
; %bb.105:
	s_or_b32 exec_lo, exec_lo, s19
	v_cmp_gt_i32_e64 s19, 0, v68
	s_mov_b32 s24, 0
	s_min_u32 s20, s20, 8
	s_mov_b32 s25, s24
	s_mov_b32 s26, s24
	v_cndmask_b32_e64 v68, v68, v69, s19
	s_mov_b32 s27, s24
	s_wait_dscnt 0x0
	v_add_nc_u32_e32 v69, v70, v37
	v_cmp_eq_u32_e64 s19, 0, v46
	s_wait_alu 0xfffe
	s_lshl_b32 s20, -1, s20
	v_lshlrev_b32_e32 v37, 2, v68
	s_wait_alu 0xfffe
	s_not_b32 s23, s20
	ds_bpermute_b32 v68, v37, v69
	s_wait_dscnt 0x0
	v_cndmask_b32_e64 v68, v68, v70, s8
	s_delay_alu instid0(VALU_DEP_1) | instskip(NEXT) | instid1(VALU_DEP_1)
	v_cndmask_b32_e64 v87, v68, 0, s19
	v_add_nc_u32_e32 v88, v87, v20
	s_delay_alu instid0(VALU_DEP_1) | instskip(NEXT) | instid1(VALU_DEP_1)
	v_add_nc_u32_e32 v89, v88, v21
	v_add_nc_u32_e32 v90, v89, v22
	s_delay_alu instid0(VALU_DEP_1) | instskip(NEXT) | instid1(VALU_DEP_1)
	v_add_nc_u32_e32 v20, v90, v23
	;; [unrolled: 3-line block ×3, first 2 shown]
	v_add_nc_u32_e32 v23, v22, v18
	ds_store_b128 v67, v[87:90] offset:32
	ds_store_b128 v67, v[20:23] offset:48
	s_wait_loadcnt_dscnt 0x0
	s_barrier_signal -1
	s_barrier_wait -1
	global_inv scope:SCOPE_SE
	ds_load_b32 v16, v39 offset:32
	ds_load_b32 v17, v48 offset:32
	;; [unrolled: 1-line block ×8, first 2 shown]
	v_add_nc_u32_e32 v48, v25, v19
	s_wait_loadcnt_dscnt 0x0
	s_barrier_signal -1
	s_barrier_wait -1
	global_inv scope:SCOPE_SE
	v_add_nc_u32_e32 v38, v16, v38
	v_add3_u32 v40, v47, v40, v17
	v_add3_u32 v47, v50, v49, v18
	;; [unrolled: 1-line block ×7, first 2 shown]
	v_lshlrev_b32_e32 v16, 1, v38
	v_lshlrev_b32_e32 v17, 1, v40
	;; [unrolled: 1-line block ×8, first 2 shown]
	ds_store_b16 v16, v26
	ds_store_b16 v17, v27
	;; [unrolled: 1-line block ×8, first 2 shown]
	s_wait_loadcnt_dscnt 0x0
	s_barrier_signal -1
	s_barrier_wait -1
	global_inv scope:SCOPE_SE
	ds_load_u16 v26, v25
	ds_load_u16 v27, v25 offset:64
	ds_load_u16 v28, v25 offset:128
	ds_load_u16 v29, v25 offset:192
	ds_load_u16 v30, v25 offset:256
	ds_load_u16 v31, v25 offset:320
	ds_load_u16 v32, v25 offset:384
	ds_load_u16 v25, v25 offset:448
	v_mad_co_u64_u32 v[38:39], null, v38, 6, v[16:17]
	v_mad_co_u64_u32 v[16:17], null, v40, 6, v[17:18]
	;; [unrolled: 1-line block ×3, first 2 shown]
	s_wait_loadcnt_dscnt 0x0
	s_barrier_signal -1
	s_barrier_wait -1
	global_inv scope:SCOPE_SE
	v_mad_co_u64_u32 v[18:19], null, v49, 6, v[19:20]
	v_lshrrev_b16 v33, 8, v26
	v_cmp_ne_u16_e64 s20, 0x8000, v26
	ds_store_b64 v38, v[8:9]
	v_mad_co_u64_u32 v[19:20], null, v50, 6, v[20:21]
	v_mad_co_u64_u32 v[20:21], null, v68, 6, v[21:22]
	s_wait_alu 0xf1ff
	v_cndmask_b32_e64 v33, 0x7f, v33, s20
	v_mad_co_u64_u32 v[21:22], null, v69, 6, v[22:23]
	v_mad_co_u64_u32 v[22:23], null, v70, 6, v[23:24]
	s_delay_alu instid0(VALU_DEP_3)
	v_and_b32_e32 v8, 0xffff, v33
	ds_store_b64 v16, v[10:11]
	ds_store_b64 v17, v[0:1]
	;; [unrolled: 1-line block ×7, first 2 shown]
	s_wait_alu 0xfffe
	v_and_b32_e32 v23, s23, v8
	s_wait_loadcnt_dscnt 0x0
	s_barrier_signal -1
	s_barrier_wait -1
	global_inv scope:SCOPE_SE
	v_and_b32_e32 v0, 1, v23
	v_lshlrev_b32_e32 v1, 30, v23
	v_lshlrev_b32_e32 v2, 29, v23
	;; [unrolled: 1-line block ×4, first 2 shown]
	v_add_co_u32 v0, s20, v0, -1
	s_wait_alu 0xf1ff
	v_cndmask_b32_e64 v4, 0, 1, s20
	v_not_b32_e32 v8, v1
	v_cmp_gt_i32_e64 s21, 0, v1
	v_not_b32_e32 v1, v2
	v_lshlrev_b32_e32 v6, 26, v23
	v_cmp_ne_u32_e64 s20, 0, v4
	v_ashrrev_i32_e32 v8, 31, v8
	v_lshlrev_b32_e32 v7, 25, v23
	v_ashrrev_i32_e32 v1, 31, v1
	v_lshlrev_b32_e32 v4, 24, v23
	s_wait_alu 0xf1ff
	v_xor_b32_e32 v0, s20, v0
	v_cmp_gt_i32_e64 s20, 0, v2
	v_not_b32_e32 v2, v3
	v_xor_b32_e32 v8, s21, v8
	v_cmp_gt_i32_e64 s21, 0, v3
	v_and_b32_e32 v0, exec_lo, v0
	v_not_b32_e32 v3, v5
	v_ashrrev_i32_e32 v2, 31, v2
	s_wait_alu 0xf1ff
	v_xor_b32_e32 v1, s20, v1
	v_cmp_gt_i32_e64 s20, 0, v5
	v_and_b32_e32 v0, v0, v8
	v_not_b32_e32 v5, v6
	v_ashrrev_i32_e32 v3, 31, v3
	v_xor_b32_e32 v2, s21, v2
	v_cmp_gt_i32_e64 s21, 0, v6
	v_and_b32_e32 v0, v0, v1
	v_not_b32_e32 v1, v7
	v_ashrrev_i32_e32 v5, 31, v5
	s_wait_alu 0xf1ff
	v_xor_b32_e32 v3, s20, v3
	v_cmp_gt_i32_e64 s20, 0, v7
	v_and_b32_e32 v0, v0, v2
	v_not_b32_e32 v2, v4
	v_ashrrev_i32_e32 v1, 31, v1
	v_xor_b32_e32 v5, s21, v5
	v_cmp_gt_i32_e64 s21, 0, v4
	v_and_b32_e32 v0, v0, v3
	v_ashrrev_i32_e32 v2, 31, v2
	s_wait_alu 0xf1ff
	v_xor_b32_e32 v1, s20, v1
	v_dual_mov_b32 v17, s24 :: v_dual_mov_b32 v18, s25
	v_and_b32_e32 v0, v0, v5
	v_xor_b32_e32 v16, s21, v2
	ds_load_2addr_b64 v[4:7], v48 offset1:32
	v_dual_mov_b32 v19, s26 :: v_dual_mov_b32 v20, s27
	v_and_b32_e32 v21, v0, v1
	ds_load_2addr_b64 v[12:15], v48 offset0:64 offset1:96
	ds_load_2addr_b64 v[8:11], v48 offset0:128 offset1:160
	;; [unrolled: 1-line block ×3, first 2 shown]
	v_lshl_add_u32 v38, v23, 5, v24
	s_wait_loadcnt_dscnt 0x0
	s_barrier_signal -1
	v_and_b32_e32 v16, v21, v16
	s_barrier_wait -1
	global_inv scope:SCOPE_SE
	ds_store_b128 v67, v[17:20] offset:32
	ds_store_b128 v67, v[17:20] offset:48
	s_wait_loadcnt_dscnt 0x0
	v_mbcnt_lo_u32_b32 v33, v16, 0
	v_cmp_ne_u32_e64 s21, 0, v16
	s_barrier_signal -1
	s_barrier_wait -1
	global_inv scope:SCOPE_SE
	v_cmp_eq_u32_e64 s20, 0, v33
	; wave barrier
	s_and_b32 s21, s21, s20
	s_wait_alu 0xfffe
	s_and_saveexec_b32 s20, s21
; %bb.106:
	v_bcnt_u32_b32 v16, v16, 0
	ds_store_b32 v38, v16 offset:32
; %bb.107:
	s_wait_alu 0xfffe
	s_or_b32 exec_lo, exec_lo, s20
	v_lshrrev_b16 v16, 8, v27
	v_cmp_ne_u16_e64 s20, 0x8000, v27
	; wave barrier
	s_wait_alu 0xf1ff
	s_delay_alu instid0(VALU_DEP_1) | instskip(NEXT) | instid1(VALU_DEP_1)
	v_cndmask_b32_e64 v16, 0x7f, v16, s20
	v_and_b32_e32 v16, s23, v16
	s_delay_alu instid0(VALU_DEP_1)
	v_and_b32_e32 v17, 1, v16
	v_lshlrev_b32_e32 v18, 30, v16
	v_lshlrev_b32_e32 v19, 29, v16
	;; [unrolled: 1-line block ×4, first 2 shown]
	v_add_co_u32 v17, s20, v17, -1
	s_wait_alu 0xf1ff
	v_cndmask_b32_e64 v21, 0, 1, s20
	v_not_b32_e32 v40, v18
	v_cmp_gt_i32_e64 s21, 0, v18
	v_not_b32_e32 v18, v19
	v_lshlrev_b32_e32 v23, 26, v16
	v_cmp_ne_u32_e64 s20, 0, v21
	v_ashrrev_i32_e32 v40, 31, v40
	v_lshlrev_b32_e32 v39, 25, v16
	v_ashrrev_i32_e32 v18, 31, v18
	v_lshlrev_b32_e32 v21, 24, v16
	s_wait_alu 0xf1ff
	v_xor_b32_e32 v17, s20, v17
	v_cmp_gt_i32_e64 s20, 0, v19
	v_not_b32_e32 v19, v20
	v_xor_b32_e32 v40, s21, v40
	v_cmp_gt_i32_e64 s21, 0, v20
	v_and_b32_e32 v17, exec_lo, v17
	v_not_b32_e32 v20, v22
	v_ashrrev_i32_e32 v19, 31, v19
	s_wait_alu 0xf1ff
	v_xor_b32_e32 v18, s20, v18
	v_cmp_gt_i32_e64 s20, 0, v22
	v_and_b32_e32 v17, v17, v40
	v_not_b32_e32 v22, v23
	v_ashrrev_i32_e32 v20, 31, v20
	v_xor_b32_e32 v19, s21, v19
	v_cmp_gt_i32_e64 s21, 0, v23
	v_and_b32_e32 v17, v17, v18
	v_not_b32_e32 v18, v39
	v_ashrrev_i32_e32 v22, 31, v22
	s_wait_alu 0xf1ff
	v_xor_b32_e32 v20, s20, v20
	v_cmp_gt_i32_e64 s20, 0, v39
	v_and_b32_e32 v17, v17, v19
	v_not_b32_e32 v19, v21
	v_ashrrev_i32_e32 v18, 31, v18
	v_xor_b32_e32 v22, s21, v22
	v_cmp_gt_i32_e64 s21, 0, v21
	v_and_b32_e32 v17, v17, v20
	v_ashrrev_i32_e32 v19, 31, v19
	s_wait_alu 0xf1ff
	v_xor_b32_e32 v18, s20, v18
	v_lshl_add_u32 v47, v16, 5, v24
	v_and_b32_e32 v17, v17, v22
	v_xor_b32_e32 v16, s21, v19
	ds_load_b32 v39, v47 offset:32
	v_and_b32_e32 v17, v17, v18
	; wave barrier
	s_delay_alu instid0(VALU_DEP_1) | instskip(NEXT) | instid1(VALU_DEP_1)
	v_and_b32_e32 v16, v17, v16
	v_mbcnt_lo_u32_b32 v40, v16, 0
	v_cmp_ne_u32_e64 s21, 0, v16
	s_delay_alu instid0(VALU_DEP_2)
	v_cmp_eq_u32_e64 s20, 0, v40
	s_and_b32 s21, s21, s20
	s_wait_alu 0xfffe
	s_and_saveexec_b32 s20, s21
	s_cbranch_execz .LBB221_109
; %bb.108:
	s_wait_dscnt 0x0
	v_bcnt_u32_b32 v16, v16, v39
	ds_store_b32 v47, v16 offset:32
.LBB221_109:
	s_wait_alu 0xfffe
	s_or_b32 exec_lo, exec_lo, s20
	v_lshrrev_b16 v16, 8, v28
	v_cmp_ne_u16_e64 s20, 0x8000, v28
	; wave barrier
	s_wait_alu 0xf1ff
	s_delay_alu instid0(VALU_DEP_1) | instskip(NEXT) | instid1(VALU_DEP_1)
	v_cndmask_b32_e64 v16, 0x7f, v16, s20
	v_and_b32_e32 v16, s23, v16
	s_delay_alu instid0(VALU_DEP_1)
	v_and_b32_e32 v17, 1, v16
	v_lshlrev_b32_e32 v18, 30, v16
	v_lshlrev_b32_e32 v19, 29, v16
	;; [unrolled: 1-line block ×4, first 2 shown]
	v_add_co_u32 v17, s20, v17, -1
	s_wait_alu 0xf1ff
	v_cndmask_b32_e64 v21, 0, 1, s20
	v_not_b32_e32 v49, v18
	v_cmp_gt_i32_e64 s21, 0, v18
	v_not_b32_e32 v18, v19
	v_lshlrev_b32_e32 v23, 26, v16
	v_cmp_ne_u32_e64 s20, 0, v21
	v_ashrrev_i32_e32 v49, 31, v49
	v_lshlrev_b32_e32 v48, 25, v16
	v_ashrrev_i32_e32 v18, 31, v18
	v_lshlrev_b32_e32 v21, 24, v16
	s_wait_alu 0xf1ff
	v_xor_b32_e32 v17, s20, v17
	v_cmp_gt_i32_e64 s20, 0, v19
	v_not_b32_e32 v19, v20
	v_xor_b32_e32 v49, s21, v49
	v_cmp_gt_i32_e64 s21, 0, v20
	v_and_b32_e32 v17, exec_lo, v17
	v_not_b32_e32 v20, v22
	v_ashrrev_i32_e32 v19, 31, v19
	s_wait_alu 0xf1ff
	v_xor_b32_e32 v18, s20, v18
	v_cmp_gt_i32_e64 s20, 0, v22
	v_and_b32_e32 v17, v17, v49
	v_not_b32_e32 v22, v23
	v_ashrrev_i32_e32 v20, 31, v20
	v_xor_b32_e32 v19, s21, v19
	v_cmp_gt_i32_e64 s21, 0, v23
	v_and_b32_e32 v17, v17, v18
	v_not_b32_e32 v18, v48
	v_ashrrev_i32_e32 v22, 31, v22
	s_wait_alu 0xf1ff
	v_xor_b32_e32 v20, s20, v20
	v_cmp_gt_i32_e64 s20, 0, v48
	v_and_b32_e32 v17, v17, v19
	v_not_b32_e32 v19, v21
	v_ashrrev_i32_e32 v18, 31, v18
	v_xor_b32_e32 v22, s21, v22
	v_cmp_gt_i32_e64 s21, 0, v21
	v_and_b32_e32 v17, v17, v20
	v_ashrrev_i32_e32 v19, 31, v19
	s_wait_alu 0xf1ff
	v_xor_b32_e32 v18, s20, v18
	v_lshl_add_u32 v50, v16, 5, v24
	v_and_b32_e32 v17, v17, v22
	v_xor_b32_e32 v16, s21, v19
	ds_load_b32 v48, v50 offset:32
	v_and_b32_e32 v17, v17, v18
	; wave barrier
	s_delay_alu instid0(VALU_DEP_1) | instskip(NEXT) | instid1(VALU_DEP_1)
	v_and_b32_e32 v16, v17, v16
	v_mbcnt_lo_u32_b32 v49, v16, 0
	v_cmp_ne_u32_e64 s21, 0, v16
	s_delay_alu instid0(VALU_DEP_2)
	v_cmp_eq_u32_e64 s20, 0, v49
	s_and_b32 s21, s21, s20
	s_wait_alu 0xfffe
	s_and_saveexec_b32 s20, s21
	s_cbranch_execz .LBB221_111
; %bb.110:
	s_wait_dscnt 0x0
	v_bcnt_u32_b32 v16, v16, v48
	ds_store_b32 v50, v16 offset:32
.LBB221_111:
	s_wait_alu 0xfffe
	s_or_b32 exec_lo, exec_lo, s20
	v_lshrrev_b16 v16, 8, v29
	v_cmp_ne_u16_e64 s20, 0x8000, v29
	; wave barrier
	s_wait_alu 0xf1ff
	s_delay_alu instid0(VALU_DEP_1) | instskip(NEXT) | instid1(VALU_DEP_1)
	v_cndmask_b32_e64 v16, 0x7f, v16, s20
	v_and_b32_e32 v16, s23, v16
	s_delay_alu instid0(VALU_DEP_1)
	v_and_b32_e32 v17, 1, v16
	v_lshlrev_b32_e32 v18, 30, v16
	v_lshlrev_b32_e32 v19, 29, v16
	;; [unrolled: 1-line block ×4, first 2 shown]
	v_add_co_u32 v17, s20, v17, -1
	s_wait_alu 0xf1ff
	v_cndmask_b32_e64 v21, 0, 1, s20
	v_not_b32_e32 v69, v18
	v_cmp_gt_i32_e64 s21, 0, v18
	v_not_b32_e32 v18, v19
	v_lshlrev_b32_e32 v23, 26, v16
	v_cmp_ne_u32_e64 s20, 0, v21
	v_ashrrev_i32_e32 v69, 31, v69
	v_lshlrev_b32_e32 v68, 25, v16
	v_ashrrev_i32_e32 v18, 31, v18
	v_lshlrev_b32_e32 v21, 24, v16
	s_wait_alu 0xf1ff
	v_xor_b32_e32 v17, s20, v17
	v_cmp_gt_i32_e64 s20, 0, v19
	v_not_b32_e32 v19, v20
	v_xor_b32_e32 v69, s21, v69
	v_cmp_gt_i32_e64 s21, 0, v20
	v_and_b32_e32 v17, exec_lo, v17
	v_not_b32_e32 v20, v22
	v_ashrrev_i32_e32 v19, 31, v19
	s_wait_alu 0xf1ff
	v_xor_b32_e32 v18, s20, v18
	v_cmp_gt_i32_e64 s20, 0, v22
	v_and_b32_e32 v17, v17, v69
	v_not_b32_e32 v22, v23
	v_ashrrev_i32_e32 v20, 31, v20
	v_xor_b32_e32 v19, s21, v19
	v_cmp_gt_i32_e64 s21, 0, v23
	v_and_b32_e32 v17, v17, v18
	v_not_b32_e32 v18, v68
	v_ashrrev_i32_e32 v22, 31, v22
	s_wait_alu 0xf1ff
	v_xor_b32_e32 v20, s20, v20
	v_cmp_gt_i32_e64 s20, 0, v68
	v_and_b32_e32 v17, v17, v19
	v_not_b32_e32 v19, v21
	v_ashrrev_i32_e32 v18, 31, v18
	v_xor_b32_e32 v22, s21, v22
	v_cmp_gt_i32_e64 s21, 0, v21
	v_and_b32_e32 v17, v17, v20
	v_ashrrev_i32_e32 v19, 31, v19
	s_wait_alu 0xf1ff
	v_xor_b32_e32 v18, s20, v18
	v_lshl_add_u32 v70, v16, 5, v24
	v_and_b32_e32 v17, v17, v22
	v_xor_b32_e32 v16, s21, v19
	ds_load_b32 v68, v70 offset:32
	v_and_b32_e32 v17, v17, v18
	; wave barrier
	s_delay_alu instid0(VALU_DEP_1) | instskip(NEXT) | instid1(VALU_DEP_1)
	v_and_b32_e32 v16, v17, v16
	v_mbcnt_lo_u32_b32 v69, v16, 0
	v_cmp_ne_u32_e64 s21, 0, v16
	s_delay_alu instid0(VALU_DEP_2)
	v_cmp_eq_u32_e64 s20, 0, v69
	s_and_b32 s21, s21, s20
	s_wait_alu 0xfffe
	s_and_saveexec_b32 s20, s21
	s_cbranch_execz .LBB221_113
; %bb.112:
	s_wait_dscnt 0x0
	v_bcnt_u32_b32 v16, v16, v68
	ds_store_b32 v70, v16 offset:32
.LBB221_113:
	s_wait_alu 0xfffe
	s_or_b32 exec_lo, exec_lo, s20
	v_lshrrev_b16 v16, 8, v30
	v_cmp_ne_u16_e64 s20, 0x8000, v30
	; wave barrier
	s_wait_alu 0xf1ff
	s_delay_alu instid0(VALU_DEP_1) | instskip(NEXT) | instid1(VALU_DEP_1)
	v_cndmask_b32_e64 v16, 0x7f, v16, s20
	v_and_b32_e32 v16, s23, v16
	s_delay_alu instid0(VALU_DEP_1)
	v_and_b32_e32 v17, 1, v16
	v_lshlrev_b32_e32 v18, 30, v16
	v_lshlrev_b32_e32 v19, 29, v16
	;; [unrolled: 1-line block ×4, first 2 shown]
	v_add_co_u32 v17, s20, v17, -1
	s_wait_alu 0xf1ff
	v_cndmask_b32_e64 v21, 0, 1, s20
	v_not_b32_e32 v72, v18
	v_cmp_gt_i32_e64 s21, 0, v18
	v_not_b32_e32 v18, v19
	v_lshlrev_b32_e32 v23, 26, v16
	v_cmp_ne_u32_e64 s20, 0, v21
	v_ashrrev_i32_e32 v72, 31, v72
	v_lshlrev_b32_e32 v71, 25, v16
	v_ashrrev_i32_e32 v18, 31, v18
	v_lshlrev_b32_e32 v21, 24, v16
	s_wait_alu 0xf1ff
	v_xor_b32_e32 v17, s20, v17
	v_cmp_gt_i32_e64 s20, 0, v19
	v_not_b32_e32 v19, v20
	v_xor_b32_e32 v72, s21, v72
	v_cmp_gt_i32_e64 s21, 0, v20
	v_and_b32_e32 v17, exec_lo, v17
	v_not_b32_e32 v20, v22
	v_ashrrev_i32_e32 v19, 31, v19
	s_wait_alu 0xf1ff
	v_xor_b32_e32 v18, s20, v18
	v_cmp_gt_i32_e64 s20, 0, v22
	v_and_b32_e32 v17, v17, v72
	v_not_b32_e32 v22, v23
	v_ashrrev_i32_e32 v20, 31, v20
	v_xor_b32_e32 v19, s21, v19
	v_cmp_gt_i32_e64 s21, 0, v23
	v_and_b32_e32 v17, v17, v18
	v_not_b32_e32 v18, v71
	v_ashrrev_i32_e32 v22, 31, v22
	s_wait_alu 0xf1ff
	v_xor_b32_e32 v20, s20, v20
	v_cmp_gt_i32_e64 s20, 0, v71
	v_and_b32_e32 v17, v17, v19
	v_not_b32_e32 v19, v21
	v_ashrrev_i32_e32 v18, 31, v18
	v_xor_b32_e32 v22, s21, v22
	v_cmp_gt_i32_e64 s21, 0, v21
	v_and_b32_e32 v17, v17, v20
	v_ashrrev_i32_e32 v19, 31, v19
	s_wait_alu 0xf1ff
	v_xor_b32_e32 v18, s20, v18
	v_lshl_add_u32 v73, v16, 5, v24
	v_and_b32_e32 v17, v17, v22
	v_xor_b32_e32 v16, s21, v19
	ds_load_b32 v71, v73 offset:32
	v_and_b32_e32 v17, v17, v18
	; wave barrier
	s_delay_alu instid0(VALU_DEP_1) | instskip(NEXT) | instid1(VALU_DEP_1)
	v_and_b32_e32 v16, v17, v16
	v_mbcnt_lo_u32_b32 v72, v16, 0
	v_cmp_ne_u32_e64 s21, 0, v16
	s_delay_alu instid0(VALU_DEP_2)
	v_cmp_eq_u32_e64 s20, 0, v72
	s_and_b32 s21, s21, s20
	s_wait_alu 0xfffe
	s_and_saveexec_b32 s20, s21
	s_cbranch_execz .LBB221_115
; %bb.114:
	s_wait_dscnt 0x0
	v_bcnt_u32_b32 v16, v16, v71
	ds_store_b32 v73, v16 offset:32
.LBB221_115:
	s_wait_alu 0xfffe
	s_or_b32 exec_lo, exec_lo, s20
	v_lshrrev_b16 v16, 8, v31
	v_cmp_ne_u16_e64 s20, 0x8000, v31
	; wave barrier
	s_wait_alu 0xf1ff
	s_delay_alu instid0(VALU_DEP_1) | instskip(NEXT) | instid1(VALU_DEP_1)
	v_cndmask_b32_e64 v16, 0x7f, v16, s20
	v_and_b32_e32 v16, s23, v16
	s_delay_alu instid0(VALU_DEP_1)
	v_and_b32_e32 v17, 1, v16
	v_lshlrev_b32_e32 v18, 30, v16
	v_lshlrev_b32_e32 v19, 29, v16
	;; [unrolled: 1-line block ×4, first 2 shown]
	v_add_co_u32 v17, s20, v17, -1
	s_wait_alu 0xf1ff
	v_cndmask_b32_e64 v21, 0, 1, s20
	v_not_b32_e32 v75, v18
	v_cmp_gt_i32_e64 s21, 0, v18
	v_not_b32_e32 v18, v19
	v_lshlrev_b32_e32 v23, 26, v16
	v_cmp_ne_u32_e64 s20, 0, v21
	v_ashrrev_i32_e32 v75, 31, v75
	v_lshlrev_b32_e32 v74, 25, v16
	v_ashrrev_i32_e32 v18, 31, v18
	v_lshlrev_b32_e32 v21, 24, v16
	s_wait_alu 0xf1ff
	v_xor_b32_e32 v17, s20, v17
	v_cmp_gt_i32_e64 s20, 0, v19
	v_not_b32_e32 v19, v20
	v_xor_b32_e32 v75, s21, v75
	v_cmp_gt_i32_e64 s21, 0, v20
	v_and_b32_e32 v17, exec_lo, v17
	v_not_b32_e32 v20, v22
	v_ashrrev_i32_e32 v19, 31, v19
	s_wait_alu 0xf1ff
	v_xor_b32_e32 v18, s20, v18
	v_cmp_gt_i32_e64 s20, 0, v22
	v_and_b32_e32 v17, v17, v75
	v_not_b32_e32 v22, v23
	v_ashrrev_i32_e32 v20, 31, v20
	v_xor_b32_e32 v19, s21, v19
	v_cmp_gt_i32_e64 s21, 0, v23
	v_and_b32_e32 v17, v17, v18
	v_not_b32_e32 v18, v74
	v_ashrrev_i32_e32 v22, 31, v22
	s_wait_alu 0xf1ff
	v_xor_b32_e32 v20, s20, v20
	v_cmp_gt_i32_e64 s20, 0, v74
	v_and_b32_e32 v17, v17, v19
	v_not_b32_e32 v19, v21
	v_ashrrev_i32_e32 v18, 31, v18
	v_xor_b32_e32 v22, s21, v22
	v_cmp_gt_i32_e64 s21, 0, v21
	v_and_b32_e32 v17, v17, v20
	v_ashrrev_i32_e32 v19, 31, v19
	s_wait_alu 0xf1ff
	v_xor_b32_e32 v18, s20, v18
	v_lshl_add_u32 v76, v16, 5, v24
	v_and_b32_e32 v17, v17, v22
	v_xor_b32_e32 v16, s21, v19
	ds_load_b32 v74, v76 offset:32
	v_and_b32_e32 v17, v17, v18
	; wave barrier
	s_delay_alu instid0(VALU_DEP_1) | instskip(NEXT) | instid1(VALU_DEP_1)
	v_and_b32_e32 v16, v17, v16
	v_mbcnt_lo_u32_b32 v75, v16, 0
	v_cmp_ne_u32_e64 s21, 0, v16
	s_delay_alu instid0(VALU_DEP_2)
	v_cmp_eq_u32_e64 s20, 0, v75
	s_and_b32 s21, s21, s20
	s_wait_alu 0xfffe
	s_and_saveexec_b32 s20, s21
	s_cbranch_execz .LBB221_117
; %bb.116:
	s_wait_dscnt 0x0
	v_bcnt_u32_b32 v16, v16, v74
	ds_store_b32 v76, v16 offset:32
.LBB221_117:
	s_wait_alu 0xfffe
	s_or_b32 exec_lo, exec_lo, s20
	v_lshrrev_b16 v16, 8, v32
	v_cmp_ne_u16_e64 s20, 0x8000, v32
	; wave barrier
	s_wait_alu 0xf1ff
	s_delay_alu instid0(VALU_DEP_1) | instskip(NEXT) | instid1(VALU_DEP_1)
	v_cndmask_b32_e64 v16, 0x7f, v16, s20
	v_and_b32_e32 v16, s23, v16
	s_delay_alu instid0(VALU_DEP_1)
	v_and_b32_e32 v17, 1, v16
	v_lshlrev_b32_e32 v18, 30, v16
	v_lshlrev_b32_e32 v19, 29, v16
	;; [unrolled: 1-line block ×4, first 2 shown]
	v_add_co_u32 v17, s20, v17, -1
	s_wait_alu 0xf1ff
	v_cndmask_b32_e64 v21, 0, 1, s20
	v_not_b32_e32 v78, v18
	v_cmp_gt_i32_e64 s21, 0, v18
	v_not_b32_e32 v18, v19
	v_lshlrev_b32_e32 v23, 26, v16
	v_cmp_ne_u32_e64 s20, 0, v21
	v_ashrrev_i32_e32 v78, 31, v78
	v_lshlrev_b32_e32 v77, 25, v16
	v_ashrrev_i32_e32 v18, 31, v18
	v_lshlrev_b32_e32 v21, 24, v16
	s_wait_alu 0xf1ff
	v_xor_b32_e32 v17, s20, v17
	v_cmp_gt_i32_e64 s20, 0, v19
	v_not_b32_e32 v19, v20
	v_xor_b32_e32 v78, s21, v78
	v_cmp_gt_i32_e64 s21, 0, v20
	v_and_b32_e32 v17, exec_lo, v17
	v_not_b32_e32 v20, v22
	v_ashrrev_i32_e32 v19, 31, v19
	s_wait_alu 0xf1ff
	v_xor_b32_e32 v18, s20, v18
	v_cmp_gt_i32_e64 s20, 0, v22
	v_and_b32_e32 v17, v17, v78
	v_not_b32_e32 v22, v23
	v_ashrrev_i32_e32 v20, 31, v20
	v_xor_b32_e32 v19, s21, v19
	v_cmp_gt_i32_e64 s21, 0, v23
	v_and_b32_e32 v17, v17, v18
	v_not_b32_e32 v18, v77
	v_ashrrev_i32_e32 v22, 31, v22
	s_wait_alu 0xf1ff
	v_xor_b32_e32 v20, s20, v20
	v_cmp_gt_i32_e64 s20, 0, v77
	v_and_b32_e32 v17, v17, v19
	v_not_b32_e32 v19, v21
	v_ashrrev_i32_e32 v18, 31, v18
	v_xor_b32_e32 v22, s21, v22
	v_cmp_gt_i32_e64 s21, 0, v21
	v_and_b32_e32 v17, v17, v20
	v_ashrrev_i32_e32 v19, 31, v19
	s_wait_alu 0xf1ff
	v_xor_b32_e32 v18, s20, v18
	v_lshl_add_u32 v79, v16, 5, v24
	v_and_b32_e32 v17, v17, v22
	v_xor_b32_e32 v16, s21, v19
	ds_load_b32 v77, v79 offset:32
	v_and_b32_e32 v17, v17, v18
	; wave barrier
	s_delay_alu instid0(VALU_DEP_1) | instskip(NEXT) | instid1(VALU_DEP_1)
	v_and_b32_e32 v16, v17, v16
	v_mbcnt_lo_u32_b32 v78, v16, 0
	v_cmp_ne_u32_e64 s21, 0, v16
	s_delay_alu instid0(VALU_DEP_2)
	v_cmp_eq_u32_e64 s20, 0, v78
	s_and_b32 s21, s21, s20
	s_wait_alu 0xfffe
	s_and_saveexec_b32 s20, s21
	s_cbranch_execz .LBB221_119
; %bb.118:
	s_wait_dscnt 0x0
	v_bcnt_u32_b32 v16, v16, v77
	ds_store_b32 v79, v16 offset:32
.LBB221_119:
	s_wait_alu 0xfffe
	s_or_b32 exec_lo, exec_lo, s20
	v_lshrrev_b16 v16, 8, v25
	v_cmp_ne_u16_e64 s20, 0x8000, v25
	; wave barrier
	s_wait_alu 0xf1ff
	s_delay_alu instid0(VALU_DEP_1) | instskip(NEXT) | instid1(VALU_DEP_1)
	v_cndmask_b32_e64 v16, 0x7f, v16, s20
	v_and_b32_e32 v16, s23, v16
	s_delay_alu instid0(VALU_DEP_1)
	v_and_b32_e32 v17, 1, v16
	v_lshlrev_b32_e32 v18, 30, v16
	v_lshlrev_b32_e32 v19, 29, v16
	;; [unrolled: 1-line block ×4, first 2 shown]
	v_add_co_u32 v17, s20, v17, -1
	s_wait_alu 0xf1ff
	v_cndmask_b32_e64 v21, 0, 1, s20
	v_not_b32_e32 v81, v18
	v_cmp_gt_i32_e64 s21, 0, v18
	v_not_b32_e32 v18, v19
	v_lshlrev_b32_e32 v23, 26, v16
	v_cmp_ne_u32_e64 s20, 0, v21
	v_ashrrev_i32_e32 v81, 31, v81
	v_lshlrev_b32_e32 v80, 25, v16
	v_ashrrev_i32_e32 v18, 31, v18
	v_lshlrev_b32_e32 v21, 24, v16
	s_wait_alu 0xf1ff
	v_xor_b32_e32 v17, s20, v17
	v_cmp_gt_i32_e64 s20, 0, v19
	v_not_b32_e32 v19, v20
	v_xor_b32_e32 v81, s21, v81
	v_cmp_gt_i32_e64 s21, 0, v20
	v_and_b32_e32 v17, exec_lo, v17
	v_not_b32_e32 v20, v22
	v_ashrrev_i32_e32 v19, 31, v19
	s_wait_alu 0xf1ff
	v_xor_b32_e32 v18, s20, v18
	v_cmp_gt_i32_e64 s20, 0, v22
	v_and_b32_e32 v17, v17, v81
	v_not_b32_e32 v22, v23
	v_ashrrev_i32_e32 v20, 31, v20
	v_xor_b32_e32 v19, s21, v19
	v_cmp_gt_i32_e64 s21, 0, v23
	v_and_b32_e32 v17, v17, v18
	v_not_b32_e32 v18, v80
	v_ashrrev_i32_e32 v22, 31, v22
	s_wait_alu 0xf1ff
	v_xor_b32_e32 v20, s20, v20
	v_cmp_gt_i32_e64 s20, 0, v80
	v_and_b32_e32 v17, v17, v19
	v_not_b32_e32 v19, v21
	v_ashrrev_i32_e32 v18, 31, v18
	v_xor_b32_e32 v22, s21, v22
	v_cmp_gt_i32_e64 s21, 0, v21
	v_and_b32_e32 v17, v17, v20
	v_ashrrev_i32_e32 v19, 31, v19
	s_wait_alu 0xf1ff
	v_xor_b32_e32 v18, s20, v18
	v_lshl_add_u32 v81, v16, 5, v24
	v_and_b32_e32 v17, v17, v22
	v_xor_b32_e32 v16, s21, v19
	ds_load_b32 v24, v81 offset:32
	v_and_b32_e32 v17, v17, v18
	; wave barrier
	s_delay_alu instid0(VALU_DEP_1) | instskip(NEXT) | instid1(VALU_DEP_1)
	v_and_b32_e32 v16, v17, v16
	v_mbcnt_lo_u32_b32 v80, v16, 0
	v_cmp_ne_u32_e64 s21, 0, v16
	s_delay_alu instid0(VALU_DEP_2)
	v_cmp_eq_u32_e64 s20, 0, v80
	s_and_b32 s21, s21, s20
	s_wait_alu 0xfffe
	s_and_saveexec_b32 s20, s21
	s_cbranch_execz .LBB221_121
; %bb.120:
	s_wait_dscnt 0x0
	v_bcnt_u32_b32 v16, v16, v24
	ds_store_b32 v81, v16 offset:32
.LBB221_121:
	s_wait_alu 0xfffe
	s_or_b32 exec_lo, exec_lo, s20
	; wave barrier
	s_wait_loadcnt_dscnt 0x0
	s_barrier_signal -1
	s_barrier_wait -1
	global_inv scope:SCOPE_SE
	ds_load_b128 v[20:23], v67 offset:32
	ds_load_b128 v[16:19], v67 offset:48
	s_wait_dscnt 0x1
	v_add_nc_u32_e32 v82, v21, v20
	s_delay_alu instid0(VALU_DEP_1) | instskip(SKIP_1) | instid1(VALU_DEP_1)
	v_add3_u32 v82, v82, v22, v23
	s_wait_dscnt 0x0
	v_add3_u32 v82, v82, v16, v17
	s_delay_alu instid0(VALU_DEP_1) | instskip(NEXT) | instid1(VALU_DEP_1)
	v_add3_u32 v19, v82, v18, v19
	v_mov_b32_dpp v82, v19 row_shr:1 row_mask:0xf bank_mask:0xf
	s_delay_alu instid0(VALU_DEP_1) | instskip(NEXT) | instid1(VALU_DEP_1)
	v_cndmask_b32_e64 v82, v82, 0, s9
	v_add_nc_u32_e32 v19, v82, v19
	s_delay_alu instid0(VALU_DEP_1) | instskip(NEXT) | instid1(VALU_DEP_1)
	v_mov_b32_dpp v82, v19 row_shr:2 row_mask:0xf bank_mask:0xf
	v_cndmask_b32_e64 v82, 0, v82, s11
	s_delay_alu instid0(VALU_DEP_1) | instskip(NEXT) | instid1(VALU_DEP_1)
	v_add_nc_u32_e32 v19, v19, v82
	v_mov_b32_dpp v82, v19 row_shr:4 row_mask:0xf bank_mask:0xf
	s_delay_alu instid0(VALU_DEP_1) | instskip(NEXT) | instid1(VALU_DEP_1)
	v_cndmask_b32_e64 v82, 0, v82, s12
	v_add_nc_u32_e32 v19, v19, v82
	s_delay_alu instid0(VALU_DEP_1) | instskip(NEXT) | instid1(VALU_DEP_1)
	v_mov_b32_dpp v82, v19 row_shr:8 row_mask:0xf bank_mask:0xf
	v_cndmask_b32_e64 v82, 0, v82, s14
	s_delay_alu instid0(VALU_DEP_1) | instskip(SKIP_3) | instid1(VALU_DEP_1)
	v_add_nc_u32_e32 v19, v19, v82
	ds_swizzle_b32 v82, v19 offset:swizzle(BROADCAST,32,15)
	s_wait_dscnt 0x0
	v_cndmask_b32_e64 v82, v82, 0, s17
	v_add_nc_u32_e32 v19, v19, v82
	s_and_saveexec_b32 s9, s15
; %bb.122:
	ds_store_b32 v35, v19
; %bb.123:
	s_wait_alu 0xfffe
	s_or_b32 exec_lo, exec_lo, s9
	s_wait_loadcnt_dscnt 0x0
	s_barrier_signal -1
	s_barrier_wait -1
	global_inv scope:SCOPE_SE
	s_and_saveexec_b32 s9, s16
	s_cbranch_execz .LBB221_125
; %bb.124:
	ds_load_b32 v35, v34
	s_wait_dscnt 0x0
	v_mov_b32_dpp v82, v35 row_shr:1 row_mask:0xf bank_mask:0xf
	s_delay_alu instid0(VALU_DEP_1) | instskip(NEXT) | instid1(VALU_DEP_1)
	v_cndmask_b32_e64 v82, v82, 0, s13
	v_add_nc_u32_e32 v35, v82, v35
	s_delay_alu instid0(VALU_DEP_1) | instskip(NEXT) | instid1(VALU_DEP_1)
	v_mov_b32_dpp v82, v35 row_shr:2 row_mask:0xf bank_mask:0xf
	v_cndmask_b32_e64 v82, 0, v82, s10
	s_delay_alu instid0(VALU_DEP_1) | instskip(NEXT) | instid1(VALU_DEP_1)
	v_add_nc_u32_e32 v35, v35, v82
	v_mov_b32_dpp v82, v35 row_shr:4 row_mask:0xf bank_mask:0xf
	s_wait_alu 0xfffd
	s_delay_alu instid0(VALU_DEP_1) | instskip(NEXT) | instid1(VALU_DEP_1)
	v_cndmask_b32_e32 v82, 0, v82, vcc_lo
	v_add_nc_u32_e32 v35, v35, v82
	ds_store_b32 v34, v35
.LBB221_125:
	s_wait_alu 0xfffe
	s_or_b32 exec_lo, exec_lo, s9
	v_mov_b32_e32 v34, 0
	s_wait_loadcnt_dscnt 0x0
	s_barrier_signal -1
	s_barrier_wait -1
	global_inv scope:SCOPE_SE
	s_and_saveexec_b32 s9, s18
; %bb.126:
	ds_load_b32 v34, v36
; %bb.127:
	s_wait_alu 0xfffe
	s_or_b32 exec_lo, exec_lo, s9
	s_wait_dscnt 0x0
	v_add_nc_u32_e32 v19, v34, v19
	ds_bpermute_b32 v19, v37, v19
	s_wait_dscnt 0x0
	v_cndmask_b32_e64 v19, v19, v34, s8
	s_delay_alu instid0(VALU_DEP_1) | instskip(NEXT) | instid1(VALU_DEP_1)
	v_cndmask_b32_e64 v19, v19, 0, s19
	v_add_nc_u32_e32 v20, v19, v20
	s_delay_alu instid0(VALU_DEP_1) | instskip(NEXT) | instid1(VALU_DEP_1)
	v_add_nc_u32_e32 v21, v20, v21
	v_add_nc_u32_e32 v22, v21, v22
	s_delay_alu instid0(VALU_DEP_1) | instskip(NEXT) | instid1(VALU_DEP_1)
	v_add_nc_u32_e32 v34, v22, v23
	;; [unrolled: 3-line block ×3, first 2 shown]
	v_add_nc_u32_e32 v37, v36, v18
	ds_store_b128 v67, v[19:22] offset:32
	ds_store_b128 v67, v[34:37] offset:48
	s_wait_loadcnt_dscnt 0x0
	s_barrier_signal -1
	s_barrier_wait -1
	global_inv scope:SCOPE_SE
	ds_load_b32 v16, v81 offset:32
	ds_load_b32 v17, v79 offset:32
	;; [unrolled: 1-line block ×8, first 2 shown]
	v_lshlrev_b32_e32 v34, 1, v66
	s_wait_loadcnt_dscnt 0x0
	s_barrier_signal -1
	s_barrier_wait -1
	global_inv scope:SCOPE_SE
	v_mad_u32_u24 v37, v46, 48, v34
	v_add3_u32 v35, v80, v24, v16
	v_add3_u32 v36, v78, v77, v17
	;; [unrolled: 1-line block ×3, first 2 shown]
	v_add_nc_u32_e32 v24, v19, v33
	v_add3_u32 v33, v40, v39, v20
	v_add3_u32 v39, v49, v48, v21
	;; [unrolled: 1-line block ×4, first 2 shown]
	v_lshlrev_b32_e32 v16, 1, v24
	v_lshlrev_b32_e32 v17, 1, v33
	;; [unrolled: 1-line block ×8, first 2 shown]
	ds_store_b16 v16, v26
	ds_store_b16 v17, v27
	;; [unrolled: 1-line block ×8, first 2 shown]
	v_mad_co_u64_u32 v[24:25], null, v24, 6, v[16:17]
	v_mad_co_u64_u32 v[16:17], null, v33, 6, v[17:18]
	;; [unrolled: 1-line block ×7, first 2 shown]
	s_wait_loadcnt_dscnt 0x0
	s_barrier_signal -1
	s_barrier_wait -1
	global_inv scope:SCOPE_SE
	v_mad_co_u64_u32 v[22:23], null, v35, 6, v[23:24]
	ds_load_b128 v[33:36], v34
	s_wait_loadcnt_dscnt 0x0
	s_barrier_signal -1
	s_barrier_wait -1
	global_inv scope:SCOPE_SE
	ds_store_b64 v24, v[4:5]
	ds_store_b64 v16, v[6:7]
	ds_store_b64 v17, v[12:13]
	ds_store_b64 v18, v[14:15]
	ds_store_b64 v19, v[8:9]
	ds_store_b64 v20, v[10:11]
	ds_store_b64 v21, v[0:1]
	ds_store_b64 v22, v[2:3]
	s_wait_loadcnt_dscnt 0x0
	s_barrier_signal -1
	s_barrier_wait -1
	global_inv scope:SCOPE_SE
	ds_load_b128 v[29:32], v37
	ds_load_b128 v[25:28], v37 offset:16
	ds_load_b128 v[21:24], v37 offset:32
	;; [unrolled: 1-line block ×3, first 2 shown]
	v_cmp_gt_i16_e32 vcc_lo, 0, v33
	v_lshrrev_b32_e32 v0, 16, v33
	v_lshrrev_b32_e32 v2, 16, v34
	;; [unrolled: 1-line block ×4, first 2 shown]
	s_wait_alu 0xfffd
	v_cndmask_b32_e64 v1, 0x7fff, 0, vcc_lo
	v_cmp_gt_i16_e32 vcc_lo, 0, v34
	s_wait_alu 0xfffd
	v_cndmask_b32_e64 v3, 0x7fff, 0, vcc_lo
	v_cmp_gt_i16_e32 vcc_lo, 0, v35
	;; [unrolled: 3-line block ×5, first 2 shown]
	s_delay_alu instid0(VALU_DEP_2) | instskip(SKIP_3) | instid1(VALU_DEP_3)
	v_perm_b32 v0, v0, v1, 0x5040100
	s_wait_alu 0xfffd
	v_cndmask_b32_e64 v2, 0x7fff, 0, vcc_lo
	v_cmp_gt_i16_e32 vcc_lo, 0, v4
	v_xor_b32_e32 v0, v0, v33
	s_delay_alu instid0(VALU_DEP_3) | instskip(SKIP_3) | instid1(VALU_DEP_3)
	v_perm_b32 v1, v2, v3, 0x5040100
	s_wait_alu 0xfffd
	v_cndmask_b32_e64 v4, 0x7fff, 0, vcc_lo
	v_cmp_gt_i16_e32 vcc_lo, 0, v6
	v_xor_b32_e32 v34, v1, v34
	s_delay_alu instid0(VALU_DEP_3) | instskip(SKIP_2) | instid1(VALU_DEP_2)
	v_perm_b32 v2, v4, v5, 0x5040100
	s_wait_alu 0xfffd
	v_cndmask_b32_e64 v6, 0x7fff, 0, vcc_lo
	v_xor_b32_e32 v33, v2, v35
	s_delay_alu instid0(VALU_DEP_2) | instskip(NEXT) | instid1(VALU_DEP_1)
	v_perm_b32 v3, v6, v7, 0x5040100
	v_xor_b32_e32 v35, v3, v36
.LBB221_128:
	s_wait_loadcnt_dscnt 0x0
	s_barrier_signal -1
	s_barrier_wait -1
	global_inv scope:SCOPE_SE
	ds_store_2addr_b32 v58, v0, v34 offset1:1
	ds_store_2addr_b32 v58, v33, v35 offset0:2 offset1:3
	s_wait_loadcnt_dscnt 0x0
	s_barrier_signal -1
	s_barrier_wait -1
	global_inv scope:SCOPE_SE
	ds_load_u16 v8, v45 offset:512
	ds_load_u16 v7, v52 offset:1024
	;; [unrolled: 1-line block ×7, first 2 shown]
	v_mov_b32_e32 v45, 0
	s_delay_alu instid0(VALU_DEP_1) | instskip(NEXT) | instid1(VALU_DEP_1)
	v_lshlrev_b64_e32 v[0:1], 1, v[44:45]
	v_add_co_u32 v0, vcc_lo, s30, v0
	s_wait_alu 0xfffd
	s_delay_alu instid0(VALU_DEP_2)
	v_add_co_ci_u32_e64 v1, null, s31, v1, vcc_lo
	s_and_saveexec_b32 s8, s0
	s_cbranch_execnz .LBB221_147
; %bb.129:
	s_wait_alu 0xfffe
	s_or_b32 exec_lo, exec_lo, s8
	s_and_saveexec_b32 s8, s1
	s_cbranch_execnz .LBB221_148
.LBB221_130:
	s_wait_alu 0xfffe
	s_or_b32 exec_lo, exec_lo, s8
	s_and_saveexec_b32 s8, s2
	s_cbranch_execnz .LBB221_149
.LBB221_131:
	s_wait_alu 0xfffe
	s_or_b32 exec_lo, exec_lo, s8
	s_and_saveexec_b32 s8, s3
	s_cbranch_execnz .LBB221_150
.LBB221_132:
	s_wait_alu 0xfffe
	s_or_b32 exec_lo, exec_lo, s8
	s_and_saveexec_b32 s8, s4
	s_cbranch_execnz .LBB221_151
.LBB221_133:
	s_wait_alu 0xfffe
	s_or_b32 exec_lo, exec_lo, s8
	s_and_saveexec_b32 s8, s5
	s_cbranch_execnz .LBB221_152
.LBB221_134:
	s_wait_alu 0xfffe
	s_or_b32 exec_lo, exec_lo, s8
	s_and_saveexec_b32 s8, s6
	s_cbranch_execnz .LBB221_153
.LBB221_135:
	s_wait_alu 0xfffe
	s_or_b32 exec_lo, exec_lo, s8
	s_and_saveexec_b32 s8, s7
	s_cbranch_execz .LBB221_137
.LBB221_136:
	s_mul_i32 s10, s22, 0x700
	s_mov_b32 s11, 0
	s_wait_alu 0xfffe
	s_lshl_b64 s[10:11], s[10:11], 1
	s_wait_alu 0xfffe
	v_add_co_u32 v0, vcc_lo, v0, s10
	s_wait_alu 0xfffd
	v_add_co_ci_u32_e64 v1, null, s11, v1, vcc_lo
	s_wait_dscnt 0x0
	global_store_b16 v[0:1], v2, off
.LBB221_137:
	s_wait_alu 0xfffe
	s_or_b32 exec_lo, exec_lo, s8
	s_wait_storecnt 0x0
	s_wait_loadcnt_dscnt 0x0
	s_barrier_signal -1
	s_barrier_wait -1
	global_inv scope:SCOPE_SE
	ds_store_2addr_b64 v65, v[29:30], v[31:32] offset1:1
	ds_store_2addr_b64 v65, v[25:26], v[27:28] offset0:2 offset1:3
	ds_store_2addr_b64 v65, v[21:22], v[23:24] offset0:4 offset1:5
	;; [unrolled: 1-line block ×3, first 2 shown]
	s_wait_loadcnt_dscnt 0x0
	s_barrier_signal -1
	s_barrier_wait -1
	global_inv scope:SCOPE_SE
	ds_load_b64 v[14:15], v60 offset:2048
	ds_load_b64 v[12:13], v61 offset:4096
	;; [unrolled: 1-line block ×7, first 2 shown]
	v_mov_b32_e32 v42, 0
	s_delay_alu instid0(VALU_DEP_1) | instskip(NEXT) | instid1(VALU_DEP_1)
	v_lshlrev_b64_e32 v[2:3], 3, v[41:42]
	v_add_co_u32 v2, vcc_lo, s34, v2
	s_wait_alu 0xfffd
	s_delay_alu instid0(VALU_DEP_2)
	v_add_co_ci_u32_e64 v3, null, s35, v3, vcc_lo
	s_and_saveexec_b32 s8, s0
	s_cbranch_execnz .LBB221_154
; %bb.138:
	s_wait_alu 0xfffe
	s_or_b32 exec_lo, exec_lo, s8
	s_and_saveexec_b32 s0, s1
	s_cbranch_execnz .LBB221_155
.LBB221_139:
	s_or_b32 exec_lo, exec_lo, s0
	s_and_saveexec_b32 s0, s2
	s_cbranch_execnz .LBB221_156
.LBB221_140:
	s_or_b32 exec_lo, exec_lo, s0
	s_and_saveexec_b32 s0, s3
	s_cbranch_execnz .LBB221_157
.LBB221_141:
	s_or_b32 exec_lo, exec_lo, s0
	s_and_saveexec_b32 s0, s4
	s_cbranch_execnz .LBB221_158
.LBB221_142:
	s_or_b32 exec_lo, exec_lo, s0
	s_and_saveexec_b32 s0, s5
	s_cbranch_execnz .LBB221_159
.LBB221_143:
	s_or_b32 exec_lo, exec_lo, s0
	s_and_saveexec_b32 s0, s6
	s_cbranch_execnz .LBB221_160
.LBB221_144:
	s_or_b32 exec_lo, exec_lo, s0
	s_and_saveexec_b32 s0, s7
	s_cbranch_execz .LBB221_146
.LBB221_145:
	s_mul_i32 s0, s28, 0x700
	s_mov_b32 s1, 0
	s_delay_alu instid0(SALU_CYCLE_1) | instskip(NEXT) | instid1(SALU_CYCLE_1)
	s_lshl_b64 s[0:1], s[0:1], 3
	v_add_co_u32 v2, vcc_lo, v2, s0
	s_wait_alu 0xfffd
	v_add_co_ci_u32_e64 v3, null, s1, v3, vcc_lo
	s_wait_dscnt 0x0
	global_store_b64 v[2:3], v[0:1], off
.LBB221_146:
	s_nop 0
	s_sendmsg sendmsg(MSG_DEALLOC_VGPRS)
	s_endpgm
.LBB221_147:
	ds_load_u16 v9, v51
	s_wait_dscnt 0x0
	global_store_b16 v[0:1], v9, off
	s_wait_alu 0xfffe
	s_or_b32 exec_lo, exec_lo, s8
	s_and_saveexec_b32 s8, s1
	s_cbranch_execz .LBB221_130
.LBB221_148:
	s_lshl_b32 s10, s22, 8
	s_mov_b32 s11, 0
	s_wait_alu 0xfffe
	s_lshl_b64 s[10:11], s[10:11], 1
	s_wait_alu 0xfffe
	v_add_co_u32 v9, vcc_lo, v0, s10
	s_wait_alu 0xfffd
	v_add_co_ci_u32_e64 v10, null, s11, v1, vcc_lo
	s_wait_dscnt 0x6
	global_store_b16 v[9:10], v8, off
	s_or_b32 exec_lo, exec_lo, s8
	s_and_saveexec_b32 s8, s2
	s_cbranch_execz .LBB221_131
.LBB221_149:
	s_lshl_b32 s10, s22, 9
	s_mov_b32 s11, 0
	s_wait_alu 0xfffe
	s_lshl_b64 s[10:11], s[10:11], 1
	s_wait_dscnt 0x6
	s_wait_alu 0xfffe
	v_add_co_u32 v8, vcc_lo, v0, s10
	s_wait_alu 0xfffd
	v_add_co_ci_u32_e64 v9, null, s11, v1, vcc_lo
	s_wait_dscnt 0x5
	global_store_b16 v[8:9], v7, off
	s_or_b32 exec_lo, exec_lo, s8
	s_and_saveexec_b32 s8, s3
	s_cbranch_execz .LBB221_132
.LBB221_150:
	s_mul_i32 s10, s22, 0x300
	s_mov_b32 s11, 0
	s_wait_alu 0xfffe
	s_lshl_b64 s[10:11], s[10:11], 1
	s_wait_dscnt 0x5
	s_wait_alu 0xfffe
	v_add_co_u32 v7, vcc_lo, v0, s10
	s_wait_alu 0xfffd
	v_add_co_ci_u32_e64 v8, null, s11, v1, vcc_lo
	s_wait_dscnt 0x4
	global_store_b16 v[7:8], v6, off
	s_or_b32 exec_lo, exec_lo, s8
	s_and_saveexec_b32 s8, s4
	s_cbranch_execz .LBB221_133
.LBB221_151:
	s_lshl_b32 s10, s22, 10
	s_mov_b32 s11, 0
	s_wait_alu 0xfffe
	s_lshl_b64 s[10:11], s[10:11], 1
	s_wait_dscnt 0x4
	s_wait_alu 0xfffe
	v_add_co_u32 v6, vcc_lo, v0, s10
	s_wait_alu 0xfffd
	v_add_co_ci_u32_e64 v7, null, s11, v1, vcc_lo
	s_wait_dscnt 0x3
	global_store_b16 v[6:7], v5, off
	s_or_b32 exec_lo, exec_lo, s8
	s_and_saveexec_b32 s8, s5
	s_cbranch_execz .LBB221_134
.LBB221_152:
	s_mul_i32 s10, s22, 0x500
	s_mov_b32 s11, 0
	s_wait_alu 0xfffe
	s_lshl_b64 s[10:11], s[10:11], 1
	s_wait_dscnt 0x3
	s_wait_alu 0xfffe
	v_add_co_u32 v5, vcc_lo, v0, s10
	s_wait_alu 0xfffd
	v_add_co_ci_u32_e64 v6, null, s11, v1, vcc_lo
	s_wait_dscnt 0x2
	global_store_b16 v[5:6], v4, off
	s_or_b32 exec_lo, exec_lo, s8
	s_and_saveexec_b32 s8, s6
	s_cbranch_execz .LBB221_135
.LBB221_153:
	s_mul_i32 s10, s22, 0x600
	s_mov_b32 s11, 0
	s_wait_alu 0xfffe
	s_lshl_b64 s[10:11], s[10:11], 1
	s_wait_dscnt 0x2
	s_wait_alu 0xfffe
	v_add_co_u32 v4, vcc_lo, v0, s10
	s_wait_alu 0xfffd
	v_add_co_ci_u32_e64 v5, null, s11, v1, vcc_lo
	s_wait_dscnt 0x1
	global_store_b16 v[4:5], v3, off
	s_or_b32 exec_lo, exec_lo, s8
	s_and_saveexec_b32 s8, s7
	s_cbranch_execnz .LBB221_136
	s_branch .LBB221_137
.LBB221_154:
	ds_load_b64 v[16:17], v59
	s_wait_dscnt 0x0
	global_store_b64 v[2:3], v[16:17], off
	s_wait_alu 0xfffe
	s_or_b32 exec_lo, exec_lo, s8
	s_and_saveexec_b32 s0, s1
	s_cbranch_execz .LBB221_139
.LBB221_155:
	s_lshl_b32 s8, s28, 8
	s_mov_b32 s9, 0
	s_wait_alu 0xfffe
	s_lshl_b64 s[8:9], s[8:9], 3
	s_wait_alu 0xfffe
	v_add_co_u32 v16, vcc_lo, v2, s8
	s_wait_alu 0xfffd
	v_add_co_ci_u32_e64 v17, null, s9, v3, vcc_lo
	s_wait_dscnt 0x6
	global_store_b64 v[16:17], v[14:15], off
	s_or_b32 exec_lo, exec_lo, s0
	s_and_saveexec_b32 s0, s2
	s_cbranch_execz .LBB221_140
.LBB221_156:
	s_lshl_b32 s8, s28, 9
	s_mov_b32 s9, 0
	s_wait_alu 0xfffe
	s_lshl_b64 s[8:9], s[8:9], 3
	s_wait_dscnt 0x6
	s_wait_alu 0xfffe
	v_add_co_u32 v14, vcc_lo, v2, s8
	s_wait_alu 0xfffd
	v_add_co_ci_u32_e64 v15, null, s9, v3, vcc_lo
	s_wait_dscnt 0x5
	global_store_b64 v[14:15], v[12:13], off
	s_or_b32 exec_lo, exec_lo, s0
	s_and_saveexec_b32 s0, s3
	s_cbranch_execz .LBB221_141
.LBB221_157:
	s_mul_i32 s2, s28, 0x300
	s_mov_b32 s3, 0
	s_delay_alu instid0(SALU_CYCLE_1)
	s_lshl_b64 s[2:3], s[2:3], 3
	s_wait_dscnt 0x5
	v_add_co_u32 v12, vcc_lo, v2, s2
	s_wait_alu 0xfffd
	v_add_co_ci_u32_e64 v13, null, s3, v3, vcc_lo
	s_wait_dscnt 0x4
	global_store_b64 v[12:13], v[10:11], off
	s_or_b32 exec_lo, exec_lo, s0
	s_and_saveexec_b32 s0, s4
	s_cbranch_execz .LBB221_142
.LBB221_158:
	s_lshl_b32 s2, s28, 10
	s_mov_b32 s3, 0
	s_wait_alu 0xfffe
	s_lshl_b64 s[2:3], s[2:3], 3
	s_wait_dscnt 0x4
	s_wait_alu 0xfffe
	v_add_co_u32 v10, vcc_lo, v2, s2
	s_wait_alu 0xfffd
	v_add_co_ci_u32_e64 v11, null, s3, v3, vcc_lo
	s_wait_dscnt 0x3
	global_store_b64 v[10:11], v[8:9], off
	s_or_b32 exec_lo, exec_lo, s0
	s_and_saveexec_b32 s0, s5
	s_cbranch_execz .LBB221_143
.LBB221_159:
	s_mul_i32 s2, s28, 0x500
	s_mov_b32 s3, 0
	s_wait_alu 0xfffe
	s_lshl_b64 s[2:3], s[2:3], 3
	s_wait_dscnt 0x3
	s_wait_alu 0xfffe
	v_add_co_u32 v8, vcc_lo, v2, s2
	s_wait_alu 0xfffd
	v_add_co_ci_u32_e64 v9, null, s3, v3, vcc_lo
	s_wait_dscnt 0x2
	global_store_b64 v[8:9], v[6:7], off
	s_or_b32 exec_lo, exec_lo, s0
	s_and_saveexec_b32 s0, s6
	s_cbranch_execz .LBB221_144
.LBB221_160:
	s_mul_i32 s2, s28, 0x600
	s_mov_b32 s3, 0
	s_wait_alu 0xfffe
	s_lshl_b64 s[2:3], s[2:3], 3
	s_wait_dscnt 0x2
	s_wait_alu 0xfffe
	v_add_co_u32 v6, vcc_lo, v2, s2
	s_wait_alu 0xfffd
	v_add_co_ci_u32_e64 v7, null, s3, v3, vcc_lo
	s_wait_dscnt 0x1
	global_store_b64 v[6:7], v[4:5], off
	s_or_b32 exec_lo, exec_lo, s0
	s_and_saveexec_b32 s0, s7
	s_cbranch_execnz .LBB221_145
	s_branch .LBB221_146
	.section	.rodata,"a",@progbits
	.p2align	6, 0x0
	.amdhsa_kernel _ZN2at6native18radixSortKVInPlaceILin2ELin1ELi256ELi8EN3c104HalfEljEEvNS_4cuda6detail10TensorInfoIT3_T5_EES8_S8_S8_NS6_IT4_S8_EES8_b
		.amdhsa_group_segment_fixed_size 16896
		.amdhsa_private_segment_fixed_size 0
		.amdhsa_kernarg_size 712
		.amdhsa_user_sgpr_count 2
		.amdhsa_user_sgpr_dispatch_ptr 0
		.amdhsa_user_sgpr_queue_ptr 0
		.amdhsa_user_sgpr_kernarg_segment_ptr 1
		.amdhsa_user_sgpr_dispatch_id 0
		.amdhsa_user_sgpr_private_segment_size 0
		.amdhsa_wavefront_size32 1
		.amdhsa_uses_dynamic_stack 0
		.amdhsa_enable_private_segment 0
		.amdhsa_system_sgpr_workgroup_id_x 1
		.amdhsa_system_sgpr_workgroup_id_y 1
		.amdhsa_system_sgpr_workgroup_id_z 1
		.amdhsa_system_sgpr_workgroup_info 0
		.amdhsa_system_vgpr_workitem_id 2
		.amdhsa_next_free_vgpr 113
		.amdhsa_next_free_sgpr 38
		.amdhsa_reserve_vcc 1
		.amdhsa_float_round_mode_32 0
		.amdhsa_float_round_mode_16_64 0
		.amdhsa_float_denorm_mode_32 3
		.amdhsa_float_denorm_mode_16_64 3
		.amdhsa_fp16_overflow 0
		.amdhsa_workgroup_processor_mode 1
		.amdhsa_memory_ordered 1
		.amdhsa_forward_progress 1
		.amdhsa_inst_pref_size 180
		.amdhsa_round_robin_scheduling 0
		.amdhsa_exception_fp_ieee_invalid_op 0
		.amdhsa_exception_fp_denorm_src 0
		.amdhsa_exception_fp_ieee_div_zero 0
		.amdhsa_exception_fp_ieee_overflow 0
		.amdhsa_exception_fp_ieee_underflow 0
		.amdhsa_exception_fp_ieee_inexact 0
		.amdhsa_exception_int_div_zero 0
	.end_amdhsa_kernel
	.section	.text._ZN2at6native18radixSortKVInPlaceILin2ELin1ELi256ELi8EN3c104HalfEljEEvNS_4cuda6detail10TensorInfoIT3_T5_EES8_S8_S8_NS6_IT4_S8_EES8_b,"axG",@progbits,_ZN2at6native18radixSortKVInPlaceILin2ELin1ELi256ELi8EN3c104HalfEljEEvNS_4cuda6detail10TensorInfoIT3_T5_EES8_S8_S8_NS6_IT4_S8_EES8_b,comdat
.Lfunc_end221:
	.size	_ZN2at6native18radixSortKVInPlaceILin2ELin1ELi256ELi8EN3c104HalfEljEEvNS_4cuda6detail10TensorInfoIT3_T5_EES8_S8_S8_NS6_IT4_S8_EES8_b, .Lfunc_end221-_ZN2at6native18radixSortKVInPlaceILin2ELin1ELi256ELi8EN3c104HalfEljEEvNS_4cuda6detail10TensorInfoIT3_T5_EES8_S8_S8_NS6_IT4_S8_EES8_b
                                        ; -- End function
	.set _ZN2at6native18radixSortKVInPlaceILin2ELin1ELi256ELi8EN3c104HalfEljEEvNS_4cuda6detail10TensorInfoIT3_T5_EES8_S8_S8_NS6_IT4_S8_EES8_b.num_vgpr, 113
	.set _ZN2at6native18radixSortKVInPlaceILin2ELin1ELi256ELi8EN3c104HalfEljEEvNS_4cuda6detail10TensorInfoIT3_T5_EES8_S8_S8_NS6_IT4_S8_EES8_b.num_agpr, 0
	.set _ZN2at6native18radixSortKVInPlaceILin2ELin1ELi256ELi8EN3c104HalfEljEEvNS_4cuda6detail10TensorInfoIT3_T5_EES8_S8_S8_NS6_IT4_S8_EES8_b.numbered_sgpr, 38
	.set _ZN2at6native18radixSortKVInPlaceILin2ELin1ELi256ELi8EN3c104HalfEljEEvNS_4cuda6detail10TensorInfoIT3_T5_EES8_S8_S8_NS6_IT4_S8_EES8_b.num_named_barrier, 0
	.set _ZN2at6native18radixSortKVInPlaceILin2ELin1ELi256ELi8EN3c104HalfEljEEvNS_4cuda6detail10TensorInfoIT3_T5_EES8_S8_S8_NS6_IT4_S8_EES8_b.private_seg_size, 0
	.set _ZN2at6native18radixSortKVInPlaceILin2ELin1ELi256ELi8EN3c104HalfEljEEvNS_4cuda6detail10TensorInfoIT3_T5_EES8_S8_S8_NS6_IT4_S8_EES8_b.uses_vcc, 1
	.set _ZN2at6native18radixSortKVInPlaceILin2ELin1ELi256ELi8EN3c104HalfEljEEvNS_4cuda6detail10TensorInfoIT3_T5_EES8_S8_S8_NS6_IT4_S8_EES8_b.uses_flat_scratch, 0
	.set _ZN2at6native18radixSortKVInPlaceILin2ELin1ELi256ELi8EN3c104HalfEljEEvNS_4cuda6detail10TensorInfoIT3_T5_EES8_S8_S8_NS6_IT4_S8_EES8_b.has_dyn_sized_stack, 0
	.set _ZN2at6native18radixSortKVInPlaceILin2ELin1ELi256ELi8EN3c104HalfEljEEvNS_4cuda6detail10TensorInfoIT3_T5_EES8_S8_S8_NS6_IT4_S8_EES8_b.has_recursion, 0
	.set _ZN2at6native18radixSortKVInPlaceILin2ELin1ELi256ELi8EN3c104HalfEljEEvNS_4cuda6detail10TensorInfoIT3_T5_EES8_S8_S8_NS6_IT4_S8_EES8_b.has_indirect_call, 0
	.section	.AMDGPU.csdata,"",@progbits
; Kernel info:
; codeLenInByte = 23016
; TotalNumSgprs: 40
; NumVgprs: 113
; ScratchSize: 0
; MemoryBound: 0
; FloatMode: 240
; IeeeMode: 1
; LDSByteSize: 16896 bytes/workgroup (compile time only)
; SGPRBlocks: 0
; VGPRBlocks: 14
; NumSGPRsForWavesPerEU: 40
; NumVGPRsForWavesPerEU: 113
; Occupancy: 12
; WaveLimiterHint : 1
; COMPUTE_PGM_RSRC2:SCRATCH_EN: 0
; COMPUTE_PGM_RSRC2:USER_SGPR: 2
; COMPUTE_PGM_RSRC2:TRAP_HANDLER: 0
; COMPUTE_PGM_RSRC2:TGID_X_EN: 1
; COMPUTE_PGM_RSRC2:TGID_Y_EN: 1
; COMPUTE_PGM_RSRC2:TGID_Z_EN: 1
; COMPUTE_PGM_RSRC2:TIDIG_COMP_CNT: 2
	.section	.text._ZN2at6native18radixSortKVInPlaceILin2ELin1ELi128ELi8EN3c104HalfEljEEvNS_4cuda6detail10TensorInfoIT3_T5_EES8_S8_S8_NS6_IT4_S8_EES8_b,"axG",@progbits,_ZN2at6native18radixSortKVInPlaceILin2ELin1ELi128ELi8EN3c104HalfEljEEvNS_4cuda6detail10TensorInfoIT3_T5_EES8_S8_S8_NS6_IT4_S8_EES8_b,comdat
	.protected	_ZN2at6native18radixSortKVInPlaceILin2ELin1ELi128ELi8EN3c104HalfEljEEvNS_4cuda6detail10TensorInfoIT3_T5_EES8_S8_S8_NS6_IT4_S8_EES8_b ; -- Begin function _ZN2at6native18radixSortKVInPlaceILin2ELin1ELi128ELi8EN3c104HalfEljEEvNS_4cuda6detail10TensorInfoIT3_T5_EES8_S8_S8_NS6_IT4_S8_EES8_b
	.globl	_ZN2at6native18radixSortKVInPlaceILin2ELin1ELi128ELi8EN3c104HalfEljEEvNS_4cuda6detail10TensorInfoIT3_T5_EES8_S8_S8_NS6_IT4_S8_EES8_b
	.p2align	8
	.type	_ZN2at6native18radixSortKVInPlaceILin2ELin1ELi128ELi8EN3c104HalfEljEEvNS_4cuda6detail10TensorInfoIT3_T5_EES8_S8_S8_NS6_IT4_S8_EES8_b,@function
_ZN2at6native18radixSortKVInPlaceILin2ELin1ELi128ELi8EN3c104HalfEljEEvNS_4cuda6detail10TensorInfoIT3_T5_EES8_S8_S8_NS6_IT4_S8_EES8_b: ; @_ZN2at6native18radixSortKVInPlaceILin2ELin1ELi128ELi8EN3c104HalfEljEEvNS_4cuda6detail10TensorInfoIT3_T5_EES8_S8_S8_NS6_IT4_S8_EES8_b
; %bb.0:
	s_clause 0x1
	s_load_b64 s[2:3], s[0:1], 0x1c8
	s_load_b96 s[20:22], s[0:1], 0xd8
	s_lshr_b32 s4, ttmp7, 16
	s_wait_kmcnt 0x0
	s_mul_i32 s3, s3, s4
	s_and_b32 s4, ttmp7, 0xffff
	s_delay_alu instid0(SALU_CYCLE_1) | instskip(NEXT) | instid1(SALU_CYCLE_1)
	s_add_co_i32 s3, s3, s4
	s_mul_i32 s4, s3, s2
	s_delay_alu instid0(SALU_CYCLE_1) | instskip(NEXT) | instid1(SALU_CYCLE_1)
	s_add_co_i32 s4, s4, ttmp9
	s_cmp_ge_u32 s4, s20
	s_cbranch_scc1 .LBB222_146
; %bb.1:
	s_load_b32 s2, s[0:1], 0x1b8
	s_add_nc_u64 s[10:11], s[0:1], 0xe8
	s_mov_b32 s9, 0
	s_mov_b32 s12, s4
	s_wait_kmcnt 0x0
	s_cmp_lt_i32 s2, 2
	s_cbranch_scc1 .LBB222_4
; %bb.2:
	s_add_co_i32 s8, s2, -1
	s_add_co_i32 s5, s2, 1
	s_lshl_b64 s[6:7], s[8:9], 2
	s_mov_b32 s12, s4
	s_add_nc_u64 s[6:7], s[10:11], s[6:7]
	s_delay_alu instid0(SALU_CYCLE_1)
	s_add_nc_u64 s[2:3], s[6:7], 8
.LBB222_3:                              ; =>This Inner Loop Header: Depth=1
	s_clause 0x1
	s_load_b32 s6, s[2:3], 0x0
	s_load_b32 s7, s[2:3], 0x64
	s_mov_b32 s14, s12
	s_add_nc_u64 s[2:3], s[2:3], -4
	s_wait_kmcnt 0x0
	s_cvt_f32_u32 s8, s6
	s_sub_co_i32 s13, 0, s6
	s_wait_alu 0xfffe
	s_delay_alu instid0(SALU_CYCLE_1) | instskip(NEXT) | instid1(TRANS32_DEP_1)
	v_rcp_iflag_f32_e32 v1, s8
	v_readfirstlane_b32 s8, v1
	s_mul_f32 s8, s8, 0x4f7ffffe
	s_wait_alu 0xfffe
	s_delay_alu instid0(SALU_CYCLE_2) | instskip(SKIP_1) | instid1(SALU_CYCLE_2)
	s_cvt_u32_f32 s8, s8
	s_wait_alu 0xfffe
	s_mul_i32 s13, s13, s8
	s_delay_alu instid0(SALU_CYCLE_1) | instskip(NEXT) | instid1(SALU_CYCLE_1)
	s_mul_hi_u32 s13, s8, s13
	s_add_co_i32 s8, s8, s13
	s_wait_alu 0xfffe
	s_mul_hi_u32 s8, s12, s8
	s_wait_alu 0xfffe
	s_mul_i32 s12, s8, s6
	s_add_co_i32 s13, s8, 1
	s_sub_co_i32 s12, s14, s12
	s_delay_alu instid0(SALU_CYCLE_1)
	s_sub_co_i32 s15, s12, s6
	s_cmp_ge_u32 s12, s6
	s_cselect_b32 s8, s13, s8
	s_cselect_b32 s12, s15, s12
	s_wait_alu 0xfffe
	s_add_co_i32 s13, s8, 1
	s_cmp_ge_u32 s12, s6
	s_cselect_b32 s12, s13, s8
	s_add_co_i32 s5, s5, -1
	s_mul_i32 s6, s12, s6
	s_delay_alu instid0(SALU_CYCLE_1) | instskip(NEXT) | instid1(SALU_CYCLE_1)
	s_sub_co_i32 s6, s14, s6
	s_mul_i32 s6, s7, s6
	s_delay_alu instid0(SALU_CYCLE_1)
	s_add_co_i32 s9, s6, s9
	s_cmp_gt_u32 s5, 2
	s_cbranch_scc1 .LBB222_3
.LBB222_4:
	s_clause 0x2
	s_load_b64 s[28:29], s[0:1], 0x1c0
	s_load_b64 s[2:3], s[0:1], 0x0
	s_load_b32 s5, s[0:1], 0x6c
	s_add_nc_u64 s[36:37], s[0:1], 0x1c8
	s_mov_b32 s0, 0xffff
	s_wait_kmcnt 0x0
	s_bitcmp1_b32 s29, 0
	s_mul_i32 s4, s5, s4
	s_cselect_b32 s8, -1, 0
	s_mov_b32 s5, 0
	s_wait_alu 0xfffe
	s_and_b32 s1, s8, exec_lo
	s_cselect_b32 s13, s0, 0x7fff
	s_delay_alu instid0(SALU_CYCLE_1) | instskip(SKIP_1) | instid1(SALU_CYCLE_1)
	v_dual_mov_b32 v1, s13 :: v_dual_and_b32 v46, 0x3ff, v0
	s_lshl_b64 s[4:5], s[4:5], 1
	s_add_nc_u64 s[30:31], s[2:3], s[4:5]
	s_delay_alu instid0(VALU_DEP_1)
	v_mul_lo_u32 v44, s22, v46
	v_cmp_gt_u32_e64 s0, s21, v46
	s_and_saveexec_b32 s1, s0
	s_cbranch_execz .LBB222_6
; %bb.5:
	v_mov_b32_e32 v45, 0
	s_delay_alu instid0(VALU_DEP_1) | instskip(NEXT) | instid1(VALU_DEP_1)
	v_lshlrev_b64_e32 v[1:2], 1, v[44:45]
	v_add_co_u32 v1, vcc_lo, s30, v1
	s_delay_alu instid0(VALU_DEP_1)
	v_add_co_ci_u32_e64 v2, null, s31, v2, vcc_lo
	global_load_u16 v1, v[1:2], off
.LBB222_6:
	s_or_b32 exec_lo, exec_lo, s1
	v_dual_mov_b32 v2, s13 :: v_dual_add_nc_u32 v15, 0x80, v46
	s_delay_alu instid0(VALU_DEP_1)
	v_cmp_gt_u32_e64 s1, s21, v15
	s_and_saveexec_b32 s2, s1
	s_cbranch_execz .LBB222_8
; %bb.7:
	v_mul_lo_u32 v2, s22, v15
	v_mov_b32_e32 v3, 0
	s_delay_alu instid0(VALU_DEP_1) | instskip(NEXT) | instid1(VALU_DEP_1)
	v_lshlrev_b64_e32 v[2:3], 1, v[2:3]
	v_add_co_u32 v2, vcc_lo, s30, v2
	s_wait_alu 0xfffd
	s_delay_alu instid0(VALU_DEP_2)
	v_add_co_ci_u32_e64 v3, null, s31, v3, vcc_lo
	global_load_u16 v2, v[2:3], off
.LBB222_8:
	s_or_b32 exec_lo, exec_lo, s2
	v_dual_mov_b32 v3, s13 :: v_dual_add_nc_u32 v16, 0x100, v46
	s_delay_alu instid0(VALU_DEP_1)
	v_cmp_gt_u32_e64 s2, s21, v16
	s_and_saveexec_b32 s3, s2
	s_cbranch_execz .LBB222_10
; %bb.9:
	v_mul_lo_u32 v3, s22, v16
	v_mov_b32_e32 v4, 0
	s_delay_alu instid0(VALU_DEP_1) | instskip(NEXT) | instid1(VALU_DEP_1)
	v_lshlrev_b64_e32 v[3:4], 1, v[3:4]
	v_add_co_u32 v3, vcc_lo, s30, v3
	s_wait_alu 0xfffd
	s_delay_alu instid0(VALU_DEP_2)
	v_add_co_ci_u32_e64 v4, null, s31, v4, vcc_lo
	global_load_u16 v3, v[3:4], off
.LBB222_10:
	;; [unrolled: 17-line block ×6, first 2 shown]
	s_or_b32 exec_lo, exec_lo, s7
	s_clause 0x1
	s_load_b32 s14, s[10:11], 0x6c
	s_load_b64 s[10:11], s[10:11], 0x0
	v_dual_mov_b32 v8, s13 :: v_dual_add_nc_u32 v21, 0x380, v46
	s_delay_alu instid0(VALU_DEP_1)
	v_cmp_gt_u32_e64 s7, s21, v21
	s_and_saveexec_b32 s13, s7
	s_cbranch_execz .LBB222_20
; %bb.19:
	v_mul_lo_u32 v8, s22, v21
	v_mov_b32_e32 v9, 0
	s_delay_alu instid0(VALU_DEP_1) | instskip(NEXT) | instid1(VALU_DEP_1)
	v_lshlrev_b64_e32 v[8:9], 1, v[8:9]
	v_add_co_u32 v8, vcc_lo, s30, v8
	s_wait_alu 0xfffd
	s_delay_alu instid0(VALU_DEP_2)
	v_add_co_ci_u32_e64 v9, null, s31, v9, vcc_lo
	global_load_u16 v8, v[8:9], off
.LBB222_20:
	s_wait_alu 0xfffe
	s_or_b32 exec_lo, exec_lo, s13
	v_lshrrev_b32_e32 v9, 4, v46
	v_lshrrev_b32_e32 v10, 4, v15
	;; [unrolled: 1-line block ×5, first 2 shown]
	v_dual_mov_b32 v42, 0 :: v_dual_and_b32 v9, 60, v9
	v_lshlrev_b32_e32 v12, 1, v46
	v_and_b32_e32 v10, 0x7c, v10
	v_and_b32_e32 v11, 0x7c, v11
	s_wait_kmcnt 0x0
	s_mul_i32 s12, s14, s12
	v_mov_b32_e32 v43, v42
	v_add_nc_u32_e32 v51, v9, v12
	v_add_nc_u32_e32 v45, v10, v12
	;; [unrolled: 1-line block ×3, first 2 shown]
	v_and_b32_e32 v9, 0x7c, v13
	v_lshrrev_b32_e32 v10, 4, v18
	v_lshrrev_b32_e32 v11, 4, v19
	;; [unrolled: 1-line block ×3, first 2 shown]
	v_mul_lo_u32 v41, s28, v46
	v_add_nc_u32_e32 v53, v9, v12
	v_and_b32_e32 v9, 0x7c, v10
	v_and_b32_e32 v10, 0x7c, v11
	;; [unrolled: 1-line block ×4, first 2 shown]
	v_lshrrev_b32_e32 v14, 1, v46
	v_add_nc_u32_e32 v54, v9, v12
	v_add_nc_u32_e32 v55, v10, v12
	;; [unrolled: 1-line block ×4, first 2 shown]
	v_and_b32_e32 v9, 0x1fc, v14
	v_mov_b32_e32 v13, 0
	v_dual_mov_b32 v11, v42 :: v_dual_mov_b32 v12, v42
	v_mov_b32_e32 v14, 0
	s_delay_alu instid0(VALU_DEP_4)
	v_lshl_add_u32 v58, v46, 4, v9
	s_wait_loadcnt 0x0
	ds_store_b16 v51, v1
	ds_store_b16 v45, v2 offset:256
	ds_store_b16 v52, v3 offset:512
	;; [unrolled: 1-line block ×7, first 2 shown]
	s_wait_dscnt 0x0
	s_barrier_signal -1
	s_barrier_wait -1
	global_inv scope:SCOPE_SE
	ds_load_2addr_b32 v[49:50], v58 offset1:1
	ds_load_2addr_b32 v[47:48], v58 offset0:2 offset1:3
	s_wait_alu 0xfffe
	s_add_co_i32 s12, s12, s9
	s_mov_b32 s13, 0
	v_dual_mov_b32 v9, v42 :: v_dual_mov_b32 v10, v42
	v_dual_mov_b32 v1, v42 :: v_dual_mov_b32 v2, v42
	;; [unrolled: 1-line block ×5, first 2 shown]
	s_wait_alu 0xfffe
	s_lshl_b64 s[12:13], s[12:13], 3
	s_wait_loadcnt_dscnt 0x0
	s_wait_alu 0xfffe
	s_add_nc_u64 s[34:35], s[10:11], s[12:13]
	s_barrier_signal -1
	s_barrier_wait -1
	global_inv scope:SCOPE_SE
	s_and_saveexec_b32 s9, s0
	s_cbranch_execnz .LBB222_76
; %bb.21:
	s_wait_alu 0xfffe
	s_or_b32 exec_lo, exec_lo, s9
	s_and_saveexec_b32 s9, s1
	s_cbranch_execnz .LBB222_77
.LBB222_22:
	s_wait_alu 0xfffe
	s_or_b32 exec_lo, exec_lo, s9
	s_and_saveexec_b32 s9, s2
	s_cbranch_execnz .LBB222_78
.LBB222_23:
	s_wait_alu 0xfffe
	s_or_b32 exec_lo, exec_lo, s9
	s_and_saveexec_b32 s9, s3
	s_cbranch_execnz .LBB222_79
.LBB222_24:
	s_wait_alu 0xfffe
	s_or_b32 exec_lo, exec_lo, s9
	s_and_saveexec_b32 s9, s4
	s_cbranch_execnz .LBB222_80
.LBB222_25:
	s_wait_alu 0xfffe
	s_or_b32 exec_lo, exec_lo, s9
	s_and_saveexec_b32 s9, s5
	s_cbranch_execnz .LBB222_81
.LBB222_26:
	s_wait_alu 0xfffe
	s_or_b32 exec_lo, exec_lo, s9
	s_and_saveexec_b32 s9, s6
	s_cbranch_execz .LBB222_28
.LBB222_27:
	v_mul_lo_u32 v5, s28, v20
	v_mov_b32_e32 v6, 0
	s_delay_alu instid0(VALU_DEP_1) | instskip(NEXT) | instid1(VALU_DEP_1)
	v_lshlrev_b64_e32 v[5:6], 3, v[5:6]
	v_add_co_u32 v5, vcc_lo, s34, v5
	s_wait_alu 0xfffd
	s_delay_alu instid0(VALU_DEP_2)
	v_add_co_ci_u32_e64 v6, null, s35, v6, vcc_lo
	global_load_b64 v[5:6], v[5:6], off
.LBB222_28:
	s_wait_alu 0xfffe
	s_or_b32 exec_lo, exec_lo, s9
	v_lshrrev_b32_e32 v68, 5, v46
	v_lshrrev_b32_e32 v25, 5, v15
	;; [unrolled: 1-line block ×8, first 2 shown]
	v_lshlrev_b32_e32 v66, 3, v46
	v_lshrrev_b32_e32 v15, 2, v46
	s_xor_b32 s8, s8, -1
	s_and_saveexec_b32 s9, s7
	s_cbranch_execz .LBB222_30
; %bb.29:
	v_mul_lo_u32 v7, s28, v21
	v_mov_b32_e32 v8, 0
	s_delay_alu instid0(VALU_DEP_1) | instskip(NEXT) | instid1(VALU_DEP_1)
	v_lshlrev_b64_e32 v[7:8], 3, v[7:8]
	v_add_co_u32 v7, vcc_lo, s34, v7
	s_wait_alu 0xfffd
	s_delay_alu instid0(VALU_DEP_2)
	v_add_co_ci_u32_e64 v8, null, s35, v8, vcc_lo
	global_load_b64 v[7:8], v[7:8], off
.LBB222_30:
	s_wait_alu 0xfffe
	s_or_b32 exec_lo, exec_lo, s9
	v_lshl_add_u32 v59, v68, 3, v66
	v_lshl_add_u32 v60, v25, 3, v66
	;; [unrolled: 1-line block ×5, first 2 shown]
	s_wait_loadcnt 0x0
	ds_store_b64 v59, v[13:14]
	ds_store_b64 v60, v[42:43] offset:1024
	ds_store_b64 v61, v[9:10] offset:2048
	;; [unrolled: 1-line block ×3, first 2 shown]
	v_lshlrev_b32_e32 v9, 3, v66
	v_lshl_add_u32 v42, v22, 3, v66
	v_lshl_add_u32 v43, v18, 3, v66
	;; [unrolled: 1-line block ×3, first 2 shown]
	ds_store_b64 v42, v[1:2] offset:4096
	ds_store_b64 v43, v[3:4] offset:5120
	;; [unrolled: 1-line block ×4, first 2 shown]
	v_lshl_add_u32 v65, v15, 3, v9
	s_wait_dscnt 0x0
	s_barrier_signal -1
	s_barrier_wait -1
	global_inv scope:SCOPE_SE
	ds_load_2addr_b64 v[13:16], v65 offset1:1
	ds_load_2addr_b64 v[9:12], v65 offset0:2 offset1:3
	ds_load_2addr_b64 v[5:8], v65 offset0:4 offset1:5
	;; [unrolled: 1-line block ×3, first 2 shown]
	v_bfe_u32 v71, v0, 10, 10
	v_bfe_u32 v72, v0, 20, 10
	v_mbcnt_lo_u32_b32 v69, -1, 0
	v_and_b32_e32 v70, 0x3e0, v46
	v_lshlrev_b32_e32 v67, 2, v66
	s_and_b32 vcc_lo, exec_lo, s8
	s_wait_loadcnt_dscnt 0x0
	s_barrier_signal -1
	s_barrier_wait -1
	global_inv scope:SCOPE_SE
	s_wait_alu 0xfffe
	s_cbranch_vccz .LBB222_82
; %bb.31:
	v_pk_ashrrev_i16 v0, 15, v49 op_sel_hi:[0,1]
	v_pk_ashrrev_i16 v17, 15, v50 op_sel_hi:[0,1]
	;; [unrolled: 1-line block ×4, first 2 shown]
	v_or_b32_e32 v21, v69, v70
	v_or_b32_e32 v0, 0x80008000, v0
	;; [unrolled: 1-line block ×5, first 2 shown]
	v_and_or_b32 v84, 0x1f00, v66, v69
	s_mov_b32 s12, 0
	v_xor_b32_e32 v17, v0, v49
	v_xor_b32_e32 v18, v20, v50
	;; [unrolled: 1-line block ×4, first 2 shown]
	s_wait_alu 0xfffe
	s_mov_b32 s13, s12
	s_mov_b32 s14, s12
	;; [unrolled: 1-line block ×3, first 2 shown]
	v_lshlrev_b32_e32 v23, 4, v21
	v_lshlrev_b32_e32 v73, 1, v84
	s_getpc_b64 s[8:9]
	s_wait_alu 0xfffe
	s_sext_i32_i16 s9, s9
	s_add_co_u32 s8, s8, _ZN7rocprim17ROCPRIM_400000_NS16block_radix_sortI6__halfLj128ELj8ElLj1ELj1ELj0ELNS0_26block_radix_rank_algorithmE1ELNS0_18block_padding_hintE2ELNS0_4arch9wavefront6targetE0EE19radix_bits_per_passE@rel32@lo+12
	s_wait_alu 0xfffe
	s_add_co_ci_u32 s9, s9, _ZN7rocprim17ROCPRIM_400000_NS16block_radix_sortI6__halfLj128ELj8ElLj1ELj1ELj0ELNS0_26block_radix_rank_algorithmE1ELNS0_18block_padding_hintE2ELNS0_4arch9wavefront6targetE0EE19radix_bits_per_passE@rel32@hi+24
	s_load_b32 s19, s[8:9], 0x0
	ds_store_b128 v23, v[17:20]
	; wave barrier
	ds_load_u16 v74, v73
	v_mad_u32_u24 v0, v21, 48, v23
	ds_load_u16 v75, v73 offset:64
	ds_load_u16 v76, v73 offset:128
	;; [unrolled: 1-line block ×7, first 2 shown]
	s_wait_loadcnt_dscnt 0x0
	s_barrier_signal -1
	s_barrier_wait -1
	global_inv scope:SCOPE_SE
	ds_store_b128 v0, v[13:16]
	ds_store_b128 v0, v[9:12] offset:16
	ds_store_b128 v0, v[5:8] offset:32
	;; [unrolled: 1-line block ×3, first 2 shown]
	v_mad_u32_u24 v29, v84, 6, v73
	; wave barrier
	s_wait_kmcnt 0x0
	s_min_u32 s8, s19, 16
	s_wait_alu 0xfffe
	s_lshl_b32 s8, -1, s8
	v_cmp_ne_u16_e32 vcc_lo, 0x7fff, v74
	s_wait_alu 0xfffe
	s_not_b32 s9, s8
	s_wait_alu 0xfffd
	v_cndmask_b32_e32 v17, 0xffff8000, v74, vcc_lo
	s_delay_alu instid0(VALU_DEP_1) | instskip(SKIP_1) | instid1(VALU_DEP_1)
	v_and_b32_e32 v17, 0xffff, v17
	s_wait_alu 0xfffe
	v_and_b32_e32 v40, s9, v17
	ds_load_2addr_b64 v[17:20], v29 offset1:32
	ds_load_2addr_b64 v[25:28], v29 offset0:64 offset1:96
	ds_load_2addr_b64 v[21:24], v29 offset0:128 offset1:160
	;; [unrolled: 1-line block ×3, first 2 shown]
	s_wait_loadcnt_dscnt 0x0
	v_and_b32_e32 v0, 1, v40
	v_lshlrev_b32_e32 v33, 30, v40
	v_lshlrev_b32_e32 v36, 28, v40
	s_barrier_signal -1
	s_barrier_wait -1
	v_add_co_u32 v0, s8, v0, -1
	s_wait_alu 0xf1ff
	v_cndmask_b32_e64 v34, 0, 1, s8
	v_not_b32_e32 v35, v33
	v_cmp_gt_i32_e64 s8, 0, v33
	global_inv scope:SCOPE_SE
	v_cmp_ne_u32_e32 vcc_lo, 0, v34
	v_lshlrev_b32_e32 v34, 29, v40
	v_ashrrev_i32_e32 v33, 31, v35
	s_wait_alu 0xfffd
	v_xor_b32_e32 v0, vcc_lo, v0
	s_delay_alu instid0(VALU_DEP_3)
	v_not_b32_e32 v35, v34
	s_wait_alu 0xf1ff
	v_xor_b32_e32 v33, s8, v33
	v_cmp_gt_i32_e32 vcc_lo, 0, v34
	s_load_b32 s8, s[36:37], 0xc
	v_and_b32_e32 v0, exec_lo, v0
	v_ashrrev_i32_e32 v34, 31, v35
	v_not_b32_e32 v35, v36
	s_delay_alu instid0(VALU_DEP_3) | instskip(SKIP_1) | instid1(VALU_DEP_4)
	v_and_b32_e32 v0, v0, v33
	v_lshlrev_b32_e32 v33, 27, v40
	v_xor_b32_e32 v34, vcc_lo, v34
	v_cmp_gt_i32_e32 vcc_lo, 0, v36
	v_ashrrev_i32_e32 v35, 31, v35
	s_delay_alu instid0(VALU_DEP_4) | instskip(NEXT) | instid1(VALU_DEP_4)
	v_not_b32_e32 v36, v33
	v_and_b32_e32 v0, v0, v34
	v_lshlrev_b32_e32 v34, 26, v40
	s_wait_alu 0xfffd
	v_xor_b32_e32 v35, vcc_lo, v35
	v_cmp_gt_i32_e32 vcc_lo, 0, v33
	v_ashrrev_i32_e32 v33, 31, v36
	v_not_b32_e32 v36, v34
	s_delay_alu instid0(VALU_DEP_4)
	v_and_b32_e32 v0, v0, v35
	v_lshlrev_b32_e32 v35, 25, v40
	s_wait_alu 0xfffd
	v_xor_b32_e32 v33, vcc_lo, v33
	v_cmp_gt_i32_e32 vcc_lo, 0, v34
	v_ashrrev_i32_e32 v34, 31, v36
	s_wait_kmcnt 0x0
	s_lshr_b32 s10, s8, 16
	v_not_b32_e32 v36, v35
	v_and_b32_e32 v0, v0, v33
	v_lshlrev_b32_e32 v33, 24, v40
	s_wait_alu 0xfffd
	v_xor_b32_e32 v34, vcc_lo, v34
	v_cmp_gt_i32_e32 vcc_lo, 0, v35
	v_ashrrev_i32_e32 v35, 31, v36
	v_mad_u32_u24 v37, v72, s10, v71
	v_not_b32_e32 v36, v33
	v_and_b32_e32 v0, v0, v34
	s_and_b32 s8, s8, 0xffff
	s_wait_alu 0xfffd
	v_xor_b32_e32 v34, vcc_lo, v35
	v_cmp_gt_i32_e32 vcc_lo, 0, v33
	v_ashrrev_i32_e32 v33, 31, v36
	s_wait_alu 0xfffe
	v_mad_co_u64_u32 v[38:39], null, v37, s8, v[46:47]
	v_dual_mov_b32 v37, s15 :: v_dual_and_b32 v0, v0, v34
	s_wait_alu 0xfffd
	v_xor_b32_e32 v33, vcc_lo, v33
	v_dual_mov_b32 v36, s14 :: v_dual_mov_b32 v35, s13
	v_mov_b32_e32 v34, s12
	ds_store_b128 v67, v[34:37] offset:16
	ds_store_b128 v67, v[34:37] offset:32
	v_and_b32_e32 v33, v0, v33
	v_lshrrev_b32_e32 v0, 5, v38
	v_lshlrev_b32_e32 v34, 4, v40
	s_wait_loadcnt_dscnt 0x0
	s_barrier_signal -1
	v_mbcnt_lo_u32_b32 v86, v33, 0
	v_lshlrev_b32_e32 v0, 2, v0
	v_cmp_ne_u32_e64 s8, 0, v33
	s_barrier_wait -1
	global_inv scope:SCOPE_SE
	v_cmp_eq_u32_e32 vcc_lo, 0, v86
	v_add_nc_u32_e32 v87, v0, v34
	; wave barrier
	s_and_b32 s10, s8, vcc_lo
	s_wait_alu 0xfffe
	s_and_saveexec_b32 s8, s10
; %bb.32:
	v_bcnt_u32_b32 v33, v33, 0
	ds_store_b32 v87, v33 offset:16
; %bb.33:
	s_wait_alu 0xfffe
	s_or_b32 exec_lo, exec_lo, s8
	v_cmp_ne_u16_e32 vcc_lo, 0x7fff, v75
	; wave barrier
	s_wait_alu 0xfffd
	v_cndmask_b32_e32 v33, 0xffff8000, v75, vcc_lo
	s_delay_alu instid0(VALU_DEP_1) | instskip(NEXT) | instid1(VALU_DEP_1)
	v_and_b32_e32 v33, 0xffff, v33
	v_and_b32_e32 v33, s9, v33
	s_delay_alu instid0(VALU_DEP_1)
	v_and_b32_e32 v34, 1, v33
	v_lshlrev_b32_e32 v35, 30, v33
	v_lshlrev_b32_e32 v36, 29, v33
	;; [unrolled: 1-line block ×4, first 2 shown]
	v_add_co_u32 v34, s8, v34, -1
	s_wait_alu 0xf1ff
	v_cndmask_b32_e64 v38, 0, 1, s8
	v_not_b32_e32 v83, v35
	v_cmp_gt_i32_e64 s8, 0, v35
	v_not_b32_e32 v35, v36
	v_lshlrev_b32_e32 v40, 26, v33
	v_cmp_ne_u32_e32 vcc_lo, 0, v38
	v_ashrrev_i32_e32 v83, 31, v83
	v_lshlrev_b32_e32 v82, 25, v33
	v_ashrrev_i32_e32 v35, 31, v35
	v_lshlrev_b32_e32 v38, 24, v33
	s_wait_alu 0xfffd
	v_xor_b32_e32 v34, vcc_lo, v34
	v_cmp_gt_i32_e32 vcc_lo, 0, v36
	v_not_b32_e32 v36, v37
	s_wait_alu 0xf1ff
	v_xor_b32_e32 v83, s8, v83
	v_cmp_gt_i32_e64 s8, 0, v37
	v_and_b32_e32 v34, exec_lo, v34
	v_not_b32_e32 v37, v39
	v_ashrrev_i32_e32 v36, 31, v36
	s_wait_alu 0xfffd
	v_xor_b32_e32 v35, vcc_lo, v35
	v_cmp_gt_i32_e32 vcc_lo, 0, v39
	v_and_b32_e32 v34, v34, v83
	v_not_b32_e32 v39, v40
	v_ashrrev_i32_e32 v37, 31, v37
	s_wait_alu 0xf1ff
	v_xor_b32_e32 v36, s8, v36
	v_cmp_gt_i32_e64 s8, 0, v40
	v_and_b32_e32 v34, v34, v35
	v_not_b32_e32 v35, v82
	v_ashrrev_i32_e32 v39, 31, v39
	s_wait_alu 0xfffd
	v_xor_b32_e32 v37, vcc_lo, v37
	v_cmp_gt_i32_e32 vcc_lo, 0, v82
	v_and_b32_e32 v34, v34, v36
	v_not_b32_e32 v36, v38
	v_ashrrev_i32_e32 v35, 31, v35
	s_wait_alu 0xf1ff
	v_xor_b32_e32 v39, s8, v39
	v_lshlrev_b32_e32 v33, 4, v33
	v_and_b32_e32 v34, v34, v37
	v_cmp_gt_i32_e64 s8, 0, v38
	v_ashrrev_i32_e32 v36, 31, v36
	s_wait_alu 0xfffd
	v_xor_b32_e32 v35, vcc_lo, v35
	v_add_nc_u32_e32 v90, v0, v33
	v_and_b32_e32 v34, v34, v39
	s_wait_alu 0xf1ff
	v_xor_b32_e32 v33, s8, v36
	ds_load_b32 v88, v90 offset:16
	v_and_b32_e32 v34, v34, v35
	; wave barrier
	s_delay_alu instid0(VALU_DEP_1) | instskip(NEXT) | instid1(VALU_DEP_1)
	v_and_b32_e32 v33, v34, v33
	v_mbcnt_lo_u32_b32 v89, v33, 0
	v_cmp_ne_u32_e64 s8, 0, v33
	s_delay_alu instid0(VALU_DEP_2)
	v_cmp_eq_u32_e32 vcc_lo, 0, v89
	s_and_b32 s10, s8, vcc_lo
	s_wait_alu 0xfffe
	s_and_saveexec_b32 s8, s10
	s_cbranch_execz .LBB222_35
; %bb.34:
	s_wait_dscnt 0x0
	v_bcnt_u32_b32 v33, v33, v88
	ds_store_b32 v90, v33 offset:16
.LBB222_35:
	s_wait_alu 0xfffe
	s_or_b32 exec_lo, exec_lo, s8
	v_cmp_ne_u16_e32 vcc_lo, 0x7fff, v76
	; wave barrier
	s_wait_alu 0xfffd
	v_cndmask_b32_e32 v33, 0xffff8000, v76, vcc_lo
	s_delay_alu instid0(VALU_DEP_1) | instskip(NEXT) | instid1(VALU_DEP_1)
	v_and_b32_e32 v33, 0xffff, v33
	v_and_b32_e32 v33, s9, v33
	s_delay_alu instid0(VALU_DEP_1)
	v_and_b32_e32 v34, 1, v33
	v_lshlrev_b32_e32 v35, 30, v33
	v_lshlrev_b32_e32 v36, 29, v33
	;; [unrolled: 1-line block ×4, first 2 shown]
	v_add_co_u32 v34, s8, v34, -1
	s_wait_alu 0xf1ff
	v_cndmask_b32_e64 v38, 0, 1, s8
	v_not_b32_e32 v83, v35
	v_cmp_gt_i32_e64 s8, 0, v35
	v_not_b32_e32 v35, v36
	v_lshlrev_b32_e32 v40, 26, v33
	v_cmp_ne_u32_e32 vcc_lo, 0, v38
	v_ashrrev_i32_e32 v83, 31, v83
	v_lshlrev_b32_e32 v82, 25, v33
	v_ashrrev_i32_e32 v35, 31, v35
	v_lshlrev_b32_e32 v38, 24, v33
	s_wait_alu 0xfffd
	v_xor_b32_e32 v34, vcc_lo, v34
	v_cmp_gt_i32_e32 vcc_lo, 0, v36
	v_not_b32_e32 v36, v37
	s_wait_alu 0xf1ff
	v_xor_b32_e32 v83, s8, v83
	v_cmp_gt_i32_e64 s8, 0, v37
	v_and_b32_e32 v34, exec_lo, v34
	v_not_b32_e32 v37, v39
	v_ashrrev_i32_e32 v36, 31, v36
	s_wait_alu 0xfffd
	v_xor_b32_e32 v35, vcc_lo, v35
	v_cmp_gt_i32_e32 vcc_lo, 0, v39
	v_and_b32_e32 v34, v34, v83
	v_not_b32_e32 v39, v40
	v_ashrrev_i32_e32 v37, 31, v37
	s_wait_alu 0xf1ff
	v_xor_b32_e32 v36, s8, v36
	v_cmp_gt_i32_e64 s8, 0, v40
	v_and_b32_e32 v34, v34, v35
	v_not_b32_e32 v35, v82
	v_ashrrev_i32_e32 v39, 31, v39
	s_wait_alu 0xfffd
	v_xor_b32_e32 v37, vcc_lo, v37
	v_cmp_gt_i32_e32 vcc_lo, 0, v82
	v_and_b32_e32 v34, v34, v36
	v_not_b32_e32 v36, v38
	v_ashrrev_i32_e32 v35, 31, v35
	s_wait_alu 0xf1ff
	v_xor_b32_e32 v39, s8, v39
	v_lshlrev_b32_e32 v33, 4, v33
	v_and_b32_e32 v34, v34, v37
	v_cmp_gt_i32_e64 s8, 0, v38
	v_ashrrev_i32_e32 v36, 31, v36
	s_wait_alu 0xfffd
	v_xor_b32_e32 v35, vcc_lo, v35
	v_add_nc_u32_e32 v93, v0, v33
	v_and_b32_e32 v34, v34, v39
	s_wait_alu 0xf1ff
	v_xor_b32_e32 v33, s8, v36
	ds_load_b32 v91, v93 offset:16
	v_and_b32_e32 v34, v34, v35
	; wave barrier
	s_delay_alu instid0(VALU_DEP_1) | instskip(NEXT) | instid1(VALU_DEP_1)
	v_and_b32_e32 v33, v34, v33
	v_mbcnt_lo_u32_b32 v92, v33, 0
	v_cmp_ne_u32_e64 s8, 0, v33
	s_delay_alu instid0(VALU_DEP_2)
	v_cmp_eq_u32_e32 vcc_lo, 0, v92
	s_and_b32 s10, s8, vcc_lo
	s_wait_alu 0xfffe
	s_and_saveexec_b32 s8, s10
	s_cbranch_execz .LBB222_37
; %bb.36:
	s_wait_dscnt 0x0
	v_bcnt_u32_b32 v33, v33, v91
	ds_store_b32 v93, v33 offset:16
.LBB222_37:
	s_wait_alu 0xfffe
	s_or_b32 exec_lo, exec_lo, s8
	v_cmp_ne_u16_e32 vcc_lo, 0x7fff, v77
	; wave barrier
	s_wait_alu 0xfffd
	v_cndmask_b32_e32 v33, 0xffff8000, v77, vcc_lo
	s_delay_alu instid0(VALU_DEP_1) | instskip(NEXT) | instid1(VALU_DEP_1)
	v_and_b32_e32 v33, 0xffff, v33
	v_and_b32_e32 v33, s9, v33
	s_delay_alu instid0(VALU_DEP_1)
	v_and_b32_e32 v34, 1, v33
	v_lshlrev_b32_e32 v35, 30, v33
	v_lshlrev_b32_e32 v36, 29, v33
	v_lshlrev_b32_e32 v37, 28, v33
	v_lshlrev_b32_e32 v39, 27, v33
	v_add_co_u32 v34, s8, v34, -1
	s_wait_alu 0xf1ff
	v_cndmask_b32_e64 v38, 0, 1, s8
	v_not_b32_e32 v83, v35
	v_cmp_gt_i32_e64 s8, 0, v35
	v_not_b32_e32 v35, v36
	v_lshlrev_b32_e32 v40, 26, v33
	v_cmp_ne_u32_e32 vcc_lo, 0, v38
	v_ashrrev_i32_e32 v83, 31, v83
	v_lshlrev_b32_e32 v82, 25, v33
	v_ashrrev_i32_e32 v35, 31, v35
	v_lshlrev_b32_e32 v38, 24, v33
	s_wait_alu 0xfffd
	v_xor_b32_e32 v34, vcc_lo, v34
	v_cmp_gt_i32_e32 vcc_lo, 0, v36
	v_not_b32_e32 v36, v37
	s_wait_alu 0xf1ff
	v_xor_b32_e32 v83, s8, v83
	v_cmp_gt_i32_e64 s8, 0, v37
	v_and_b32_e32 v34, exec_lo, v34
	v_not_b32_e32 v37, v39
	v_ashrrev_i32_e32 v36, 31, v36
	s_wait_alu 0xfffd
	v_xor_b32_e32 v35, vcc_lo, v35
	v_cmp_gt_i32_e32 vcc_lo, 0, v39
	v_and_b32_e32 v34, v34, v83
	v_not_b32_e32 v39, v40
	v_ashrrev_i32_e32 v37, 31, v37
	s_wait_alu 0xf1ff
	v_xor_b32_e32 v36, s8, v36
	v_cmp_gt_i32_e64 s8, 0, v40
	v_and_b32_e32 v34, v34, v35
	v_not_b32_e32 v35, v82
	v_ashrrev_i32_e32 v39, 31, v39
	s_wait_alu 0xfffd
	v_xor_b32_e32 v37, vcc_lo, v37
	v_cmp_gt_i32_e32 vcc_lo, 0, v82
	v_and_b32_e32 v34, v34, v36
	v_not_b32_e32 v36, v38
	v_ashrrev_i32_e32 v35, 31, v35
	s_wait_alu 0xf1ff
	v_xor_b32_e32 v39, s8, v39
	v_lshlrev_b32_e32 v33, 4, v33
	v_and_b32_e32 v34, v34, v37
	v_cmp_gt_i32_e64 s8, 0, v38
	v_ashrrev_i32_e32 v36, 31, v36
	s_wait_alu 0xfffd
	v_xor_b32_e32 v35, vcc_lo, v35
	v_add_nc_u32_e32 v96, v0, v33
	v_and_b32_e32 v34, v34, v39
	s_wait_alu 0xf1ff
	v_xor_b32_e32 v33, s8, v36
	ds_load_b32 v94, v96 offset:16
	v_and_b32_e32 v34, v34, v35
	; wave barrier
	s_delay_alu instid0(VALU_DEP_1) | instskip(NEXT) | instid1(VALU_DEP_1)
	v_and_b32_e32 v33, v34, v33
	v_mbcnt_lo_u32_b32 v95, v33, 0
	v_cmp_ne_u32_e64 s8, 0, v33
	s_delay_alu instid0(VALU_DEP_2)
	v_cmp_eq_u32_e32 vcc_lo, 0, v95
	s_and_b32 s10, s8, vcc_lo
	s_wait_alu 0xfffe
	s_and_saveexec_b32 s8, s10
	s_cbranch_execz .LBB222_39
; %bb.38:
	s_wait_dscnt 0x0
	v_bcnt_u32_b32 v33, v33, v94
	ds_store_b32 v96, v33 offset:16
.LBB222_39:
	s_wait_alu 0xfffe
	s_or_b32 exec_lo, exec_lo, s8
	v_cmp_ne_u16_e32 vcc_lo, 0x7fff, v78
	; wave barrier
	s_wait_alu 0xfffd
	v_cndmask_b32_e32 v33, 0xffff8000, v78, vcc_lo
	s_delay_alu instid0(VALU_DEP_1) | instskip(NEXT) | instid1(VALU_DEP_1)
	v_and_b32_e32 v33, 0xffff, v33
	v_and_b32_e32 v33, s9, v33
	s_delay_alu instid0(VALU_DEP_1)
	v_and_b32_e32 v34, 1, v33
	v_lshlrev_b32_e32 v35, 30, v33
	v_lshlrev_b32_e32 v36, 29, v33
	;; [unrolled: 1-line block ×4, first 2 shown]
	v_add_co_u32 v34, s8, v34, -1
	s_wait_alu 0xf1ff
	v_cndmask_b32_e64 v38, 0, 1, s8
	v_not_b32_e32 v83, v35
	v_cmp_gt_i32_e64 s8, 0, v35
	v_not_b32_e32 v35, v36
	v_lshlrev_b32_e32 v40, 26, v33
	v_cmp_ne_u32_e32 vcc_lo, 0, v38
	v_ashrrev_i32_e32 v83, 31, v83
	v_lshlrev_b32_e32 v82, 25, v33
	v_ashrrev_i32_e32 v35, 31, v35
	v_lshlrev_b32_e32 v38, 24, v33
	s_wait_alu 0xfffd
	v_xor_b32_e32 v34, vcc_lo, v34
	v_cmp_gt_i32_e32 vcc_lo, 0, v36
	v_not_b32_e32 v36, v37
	s_wait_alu 0xf1ff
	v_xor_b32_e32 v83, s8, v83
	v_cmp_gt_i32_e64 s8, 0, v37
	v_and_b32_e32 v34, exec_lo, v34
	v_not_b32_e32 v37, v39
	v_ashrrev_i32_e32 v36, 31, v36
	s_wait_alu 0xfffd
	v_xor_b32_e32 v35, vcc_lo, v35
	v_cmp_gt_i32_e32 vcc_lo, 0, v39
	v_and_b32_e32 v34, v34, v83
	v_not_b32_e32 v39, v40
	v_ashrrev_i32_e32 v37, 31, v37
	s_wait_alu 0xf1ff
	v_xor_b32_e32 v36, s8, v36
	v_cmp_gt_i32_e64 s8, 0, v40
	v_and_b32_e32 v34, v34, v35
	v_not_b32_e32 v35, v82
	v_ashrrev_i32_e32 v39, 31, v39
	s_wait_alu 0xfffd
	v_xor_b32_e32 v37, vcc_lo, v37
	v_cmp_gt_i32_e32 vcc_lo, 0, v82
	v_and_b32_e32 v34, v34, v36
	v_not_b32_e32 v36, v38
	v_ashrrev_i32_e32 v35, 31, v35
	s_wait_alu 0xf1ff
	v_xor_b32_e32 v39, s8, v39
	v_lshlrev_b32_e32 v33, 4, v33
	v_and_b32_e32 v34, v34, v37
	v_cmp_gt_i32_e64 s8, 0, v38
	v_ashrrev_i32_e32 v36, 31, v36
	s_wait_alu 0xfffd
	v_xor_b32_e32 v35, vcc_lo, v35
	v_add_nc_u32_e32 v99, v0, v33
	v_and_b32_e32 v34, v34, v39
	s_wait_alu 0xf1ff
	v_xor_b32_e32 v33, s8, v36
	ds_load_b32 v97, v99 offset:16
	v_and_b32_e32 v34, v34, v35
	; wave barrier
	s_delay_alu instid0(VALU_DEP_1) | instskip(NEXT) | instid1(VALU_DEP_1)
	v_and_b32_e32 v33, v34, v33
	v_mbcnt_lo_u32_b32 v98, v33, 0
	v_cmp_ne_u32_e64 s8, 0, v33
	s_delay_alu instid0(VALU_DEP_2)
	v_cmp_eq_u32_e32 vcc_lo, 0, v98
	s_and_b32 s10, s8, vcc_lo
	s_wait_alu 0xfffe
	s_and_saveexec_b32 s8, s10
	s_cbranch_execz .LBB222_41
; %bb.40:
	s_wait_dscnt 0x0
	v_bcnt_u32_b32 v33, v33, v97
	ds_store_b32 v99, v33 offset:16
.LBB222_41:
	s_wait_alu 0xfffe
	s_or_b32 exec_lo, exec_lo, s8
	v_cmp_ne_u16_e32 vcc_lo, 0x7fff, v79
	; wave barrier
	s_wait_alu 0xfffd
	v_cndmask_b32_e32 v33, 0xffff8000, v79, vcc_lo
	s_delay_alu instid0(VALU_DEP_1) | instskip(NEXT) | instid1(VALU_DEP_1)
	v_and_b32_e32 v33, 0xffff, v33
	v_and_b32_e32 v33, s9, v33
	s_delay_alu instid0(VALU_DEP_1)
	v_and_b32_e32 v34, 1, v33
	v_lshlrev_b32_e32 v35, 30, v33
	v_lshlrev_b32_e32 v36, 29, v33
	;; [unrolled: 1-line block ×4, first 2 shown]
	v_add_co_u32 v34, s8, v34, -1
	s_wait_alu 0xf1ff
	v_cndmask_b32_e64 v38, 0, 1, s8
	v_not_b32_e32 v83, v35
	v_cmp_gt_i32_e64 s8, 0, v35
	v_not_b32_e32 v35, v36
	v_lshlrev_b32_e32 v40, 26, v33
	v_cmp_ne_u32_e32 vcc_lo, 0, v38
	v_ashrrev_i32_e32 v83, 31, v83
	v_lshlrev_b32_e32 v82, 25, v33
	v_ashrrev_i32_e32 v35, 31, v35
	v_lshlrev_b32_e32 v38, 24, v33
	s_wait_alu 0xfffd
	v_xor_b32_e32 v34, vcc_lo, v34
	v_cmp_gt_i32_e32 vcc_lo, 0, v36
	v_not_b32_e32 v36, v37
	s_wait_alu 0xf1ff
	v_xor_b32_e32 v83, s8, v83
	v_cmp_gt_i32_e64 s8, 0, v37
	v_and_b32_e32 v34, exec_lo, v34
	v_not_b32_e32 v37, v39
	v_ashrrev_i32_e32 v36, 31, v36
	s_wait_alu 0xfffd
	v_xor_b32_e32 v35, vcc_lo, v35
	v_cmp_gt_i32_e32 vcc_lo, 0, v39
	v_and_b32_e32 v34, v34, v83
	v_not_b32_e32 v39, v40
	v_ashrrev_i32_e32 v37, 31, v37
	s_wait_alu 0xf1ff
	v_xor_b32_e32 v36, s8, v36
	v_cmp_gt_i32_e64 s8, 0, v40
	v_and_b32_e32 v34, v34, v35
	v_not_b32_e32 v35, v82
	v_ashrrev_i32_e32 v39, 31, v39
	s_wait_alu 0xfffd
	v_xor_b32_e32 v37, vcc_lo, v37
	v_cmp_gt_i32_e32 vcc_lo, 0, v82
	v_and_b32_e32 v34, v34, v36
	v_not_b32_e32 v36, v38
	v_ashrrev_i32_e32 v35, 31, v35
	s_wait_alu 0xf1ff
	v_xor_b32_e32 v39, s8, v39
	v_lshlrev_b32_e32 v33, 4, v33
	v_and_b32_e32 v34, v34, v37
	v_cmp_gt_i32_e64 s8, 0, v38
	v_ashrrev_i32_e32 v36, 31, v36
	s_wait_alu 0xfffd
	v_xor_b32_e32 v35, vcc_lo, v35
	v_add_nc_u32_e32 v102, v0, v33
	v_and_b32_e32 v34, v34, v39
	s_wait_alu 0xf1ff
	v_xor_b32_e32 v33, s8, v36
	ds_load_b32 v100, v102 offset:16
	v_and_b32_e32 v34, v34, v35
	; wave barrier
	s_delay_alu instid0(VALU_DEP_1) | instskip(NEXT) | instid1(VALU_DEP_1)
	v_and_b32_e32 v33, v34, v33
	v_mbcnt_lo_u32_b32 v101, v33, 0
	v_cmp_ne_u32_e64 s8, 0, v33
	s_delay_alu instid0(VALU_DEP_2)
	v_cmp_eq_u32_e32 vcc_lo, 0, v101
	s_and_b32 s10, s8, vcc_lo
	s_wait_alu 0xfffe
	s_and_saveexec_b32 s8, s10
	s_cbranch_execz .LBB222_43
; %bb.42:
	s_wait_dscnt 0x0
	v_bcnt_u32_b32 v33, v33, v100
	ds_store_b32 v102, v33 offset:16
.LBB222_43:
	s_wait_alu 0xfffe
	s_or_b32 exec_lo, exec_lo, s8
	v_cmp_ne_u16_e32 vcc_lo, 0x7fff, v80
	; wave barrier
	s_wait_alu 0xfffd
	v_cndmask_b32_e32 v33, 0xffff8000, v80, vcc_lo
	s_delay_alu instid0(VALU_DEP_1) | instskip(NEXT) | instid1(VALU_DEP_1)
	v_and_b32_e32 v33, 0xffff, v33
	v_and_b32_e32 v33, s9, v33
	s_delay_alu instid0(VALU_DEP_1)
	v_and_b32_e32 v34, 1, v33
	v_lshlrev_b32_e32 v35, 30, v33
	v_lshlrev_b32_e32 v36, 29, v33
	;; [unrolled: 1-line block ×4, first 2 shown]
	v_add_co_u32 v34, s8, v34, -1
	s_wait_alu 0xf1ff
	v_cndmask_b32_e64 v38, 0, 1, s8
	v_not_b32_e32 v83, v35
	v_cmp_gt_i32_e64 s8, 0, v35
	v_not_b32_e32 v35, v36
	v_lshlrev_b32_e32 v40, 26, v33
	v_cmp_ne_u32_e32 vcc_lo, 0, v38
	v_ashrrev_i32_e32 v83, 31, v83
	v_lshlrev_b32_e32 v82, 25, v33
	v_ashrrev_i32_e32 v35, 31, v35
	v_lshlrev_b32_e32 v38, 24, v33
	s_wait_alu 0xfffd
	v_xor_b32_e32 v34, vcc_lo, v34
	v_cmp_gt_i32_e32 vcc_lo, 0, v36
	v_not_b32_e32 v36, v37
	s_wait_alu 0xf1ff
	v_xor_b32_e32 v83, s8, v83
	v_cmp_gt_i32_e64 s8, 0, v37
	v_and_b32_e32 v34, exec_lo, v34
	v_not_b32_e32 v37, v39
	v_ashrrev_i32_e32 v36, 31, v36
	s_wait_alu 0xfffd
	v_xor_b32_e32 v35, vcc_lo, v35
	v_cmp_gt_i32_e32 vcc_lo, 0, v39
	v_and_b32_e32 v34, v34, v83
	v_not_b32_e32 v39, v40
	v_ashrrev_i32_e32 v37, 31, v37
	s_wait_alu 0xf1ff
	v_xor_b32_e32 v36, s8, v36
	v_cmp_gt_i32_e64 s8, 0, v40
	v_and_b32_e32 v34, v34, v35
	v_not_b32_e32 v35, v82
	v_ashrrev_i32_e32 v39, 31, v39
	s_wait_alu 0xfffd
	v_xor_b32_e32 v37, vcc_lo, v37
	v_cmp_gt_i32_e32 vcc_lo, 0, v82
	v_and_b32_e32 v34, v34, v36
	v_not_b32_e32 v36, v38
	v_ashrrev_i32_e32 v35, 31, v35
	s_wait_alu 0xf1ff
	v_xor_b32_e32 v39, s8, v39
	v_lshlrev_b32_e32 v33, 4, v33
	v_and_b32_e32 v34, v34, v37
	v_cmp_gt_i32_e64 s8, 0, v38
	v_ashrrev_i32_e32 v36, 31, v36
	s_wait_alu 0xfffd
	v_xor_b32_e32 v35, vcc_lo, v35
	v_add_nc_u32_e32 v105, v0, v33
	v_and_b32_e32 v34, v34, v39
	s_wait_alu 0xf1ff
	v_xor_b32_e32 v33, s8, v36
	ds_load_b32 v103, v105 offset:16
	v_and_b32_e32 v34, v34, v35
	; wave barrier
	s_delay_alu instid0(VALU_DEP_1) | instskip(NEXT) | instid1(VALU_DEP_1)
	v_and_b32_e32 v33, v34, v33
	v_mbcnt_lo_u32_b32 v104, v33, 0
	v_cmp_ne_u32_e64 s8, 0, v33
	s_delay_alu instid0(VALU_DEP_2)
	v_cmp_eq_u32_e32 vcc_lo, 0, v104
	s_and_b32 s10, s8, vcc_lo
	s_wait_alu 0xfffe
	s_and_saveexec_b32 s8, s10
	s_cbranch_execz .LBB222_45
; %bb.44:
	s_wait_dscnt 0x0
	v_bcnt_u32_b32 v33, v33, v103
	ds_store_b32 v105, v33 offset:16
.LBB222_45:
	s_wait_alu 0xfffe
	s_or_b32 exec_lo, exec_lo, s8
	v_cmp_ne_u16_e32 vcc_lo, 0x7fff, v81
	; wave barrier
	s_wait_alu 0xfffd
	v_cndmask_b32_e32 v33, 0xffff8000, v81, vcc_lo
	s_delay_alu instid0(VALU_DEP_1) | instskip(NEXT) | instid1(VALU_DEP_1)
	v_and_b32_e32 v33, 0xffff, v33
	v_and_b32_e32 v33, s9, v33
	s_delay_alu instid0(VALU_DEP_1)
	v_and_b32_e32 v34, 1, v33
	v_lshlrev_b32_e32 v35, 30, v33
	v_lshlrev_b32_e32 v36, 29, v33
	;; [unrolled: 1-line block ×4, first 2 shown]
	v_add_co_u32 v34, s8, v34, -1
	s_wait_alu 0xf1ff
	v_cndmask_b32_e64 v38, 0, 1, s8
	v_not_b32_e32 v83, v35
	v_cmp_gt_i32_e64 s8, 0, v35
	v_not_b32_e32 v35, v36
	v_lshlrev_b32_e32 v40, 26, v33
	v_cmp_ne_u32_e32 vcc_lo, 0, v38
	v_ashrrev_i32_e32 v83, 31, v83
	v_lshlrev_b32_e32 v82, 25, v33
	v_ashrrev_i32_e32 v35, 31, v35
	v_lshlrev_b32_e32 v38, 24, v33
	s_wait_alu 0xfffd
	v_xor_b32_e32 v34, vcc_lo, v34
	v_cmp_gt_i32_e32 vcc_lo, 0, v36
	v_not_b32_e32 v36, v37
	s_wait_alu 0xf1ff
	v_xor_b32_e32 v83, s8, v83
	v_cmp_gt_i32_e64 s8, 0, v37
	v_and_b32_e32 v34, exec_lo, v34
	v_not_b32_e32 v37, v39
	v_ashrrev_i32_e32 v36, 31, v36
	s_wait_alu 0xfffd
	v_xor_b32_e32 v35, vcc_lo, v35
	v_cmp_gt_i32_e32 vcc_lo, 0, v39
	v_and_b32_e32 v34, v34, v83
	v_not_b32_e32 v39, v40
	v_ashrrev_i32_e32 v37, 31, v37
	s_wait_alu 0xf1ff
	v_xor_b32_e32 v36, s8, v36
	v_cmp_gt_i32_e64 s8, 0, v40
	v_and_b32_e32 v34, v34, v35
	v_not_b32_e32 v35, v82
	v_ashrrev_i32_e32 v39, 31, v39
	s_wait_alu 0xfffd
	v_xor_b32_e32 v37, vcc_lo, v37
	v_cmp_gt_i32_e32 vcc_lo, 0, v82
	v_and_b32_e32 v34, v34, v36
	v_not_b32_e32 v36, v38
	v_ashrrev_i32_e32 v35, 31, v35
	s_wait_alu 0xf1ff
	v_xor_b32_e32 v39, s8, v39
	v_lshlrev_b32_e32 v33, 4, v33
	v_and_b32_e32 v34, v34, v37
	v_cmp_gt_i32_e64 s8, 0, v38
	v_ashrrev_i32_e32 v36, 31, v36
	s_wait_alu 0xfffd
	v_xor_b32_e32 v35, vcc_lo, v35
	v_add_nc_u32_e32 v108, v0, v33
	v_and_b32_e32 v34, v34, v39
	v_min_u32_e32 v82, 0x60, v70
	s_wait_alu 0xf1ff
	v_xor_b32_e32 v33, s8, v36
	ds_load_b32 v106, v108 offset:16
	v_and_b32_e32 v34, v34, v35
	; wave barrier
	s_delay_alu instid0(VALU_DEP_1) | instskip(NEXT) | instid1(VALU_DEP_1)
	v_and_b32_e32 v33, v34, v33
	v_mbcnt_lo_u32_b32 v107, v33, 0
	v_cmp_ne_u32_e64 s8, 0, v33
	s_delay_alu instid0(VALU_DEP_2)
	v_cmp_eq_u32_e32 vcc_lo, 0, v107
	s_and_b32 s9, s8, vcc_lo
	s_wait_alu 0xfffe
	s_and_saveexec_b32 s8, s9
	s_cbranch_execz .LBB222_47
; %bb.46:
	s_wait_dscnt 0x0
	v_bcnt_u32_b32 v33, v33, v106
	ds_store_b32 v108, v33 offset:16
.LBB222_47:
	s_wait_alu 0xfffe
	s_or_b32 exec_lo, exec_lo, s8
	; wave barrier
	s_wait_loadcnt_dscnt 0x0
	s_barrier_signal -1
	s_barrier_wait -1
	global_inv scope:SCOPE_SE
	ds_load_b128 v[37:40], v67 offset:16
	ds_load_b128 v[33:36], v67 offset:32
	v_and_b32_e32 v109, 16, v69
	v_or_b32_e32 v82, 31, v82
	s_delay_alu instid0(VALU_DEP_2) | instskip(NEXT) | instid1(VALU_DEP_2)
	v_cmp_eq_u32_e64 s16, 0, v109
	v_cmp_eq_u32_e64 s14, v46, v82
	v_lshlrev_b32_e32 v82, 2, v68
	s_wait_dscnt 0x1
	v_add_nc_u32_e32 v83, v38, v37
	s_delay_alu instid0(VALU_DEP_1) | instskip(SKIP_1) | instid1(VALU_DEP_1)
	v_add3_u32 v83, v83, v39, v40
	s_wait_dscnt 0x0
	v_add3_u32 v83, v83, v33, v34
	s_delay_alu instid0(VALU_DEP_1) | instskip(SKIP_1) | instid1(VALU_DEP_2)
	v_add3_u32 v36, v83, v35, v36
	v_and_b32_e32 v83, 15, v69
	v_mov_b32_dpp v85, v36 row_shr:1 row_mask:0xf bank_mask:0xf
	s_delay_alu instid0(VALU_DEP_2)
	v_cmp_eq_u32_e64 s8, 0, v83
	v_cmp_lt_u32_e64 s10, 1, v83
	v_cmp_lt_u32_e64 s11, 3, v83
	;; [unrolled: 1-line block ×3, first 2 shown]
	s_wait_alu 0xf1ff
	v_cndmask_b32_e64 v85, v85, 0, s8
	s_delay_alu instid0(VALU_DEP_1) | instskip(NEXT) | instid1(VALU_DEP_1)
	v_add_nc_u32_e32 v36, v85, v36
	v_mov_b32_dpp v85, v36 row_shr:2 row_mask:0xf bank_mask:0xf
	s_delay_alu instid0(VALU_DEP_1) | instskip(NEXT) | instid1(VALU_DEP_1)
	v_cndmask_b32_e64 v85, 0, v85, s10
	v_add_nc_u32_e32 v36, v36, v85
	s_delay_alu instid0(VALU_DEP_1) | instskip(NEXT) | instid1(VALU_DEP_1)
	v_mov_b32_dpp v85, v36 row_shr:4 row_mask:0xf bank_mask:0xf
	v_cndmask_b32_e64 v85, 0, v85, s11
	s_delay_alu instid0(VALU_DEP_1) | instskip(NEXT) | instid1(VALU_DEP_1)
	v_add_nc_u32_e32 v36, v36, v85
	v_mov_b32_dpp v85, v36 row_shr:8 row_mask:0xf bank_mask:0xf
	s_delay_alu instid0(VALU_DEP_1) | instskip(SKIP_1) | instid1(VALU_DEP_2)
	v_cndmask_b32_e64 v83, 0, v85, s13
	v_bfe_i32 v85, v69, 4, 1
	v_add_nc_u32_e32 v83, v36, v83
	ds_swizzle_b32 v36, v83 offset:swizzle(BROADCAST,32,15)
	s_wait_dscnt 0x0
	v_and_b32_e32 v85, v85, v36
	v_mul_i32_i24_e32 v36, 0xffffffe4, v46
	s_delay_alu instid0(VALU_DEP_2)
	v_add_nc_u32_e32 v85, v83, v85
	s_and_saveexec_b32 s9, s14
; %bb.48:
	ds_store_b32 v82, v85
; %bb.49:
	s_wait_alu 0xfffe
	s_or_b32 exec_lo, exec_lo, s9
	v_and_b32_e32 v83, 3, v69
	v_cmp_gt_u32_e64 s15, 4, v46
	s_wait_loadcnt_dscnt 0x0
	s_barrier_signal -1
	s_barrier_wait -1
	v_cmp_eq_u32_e64 s12, 0, v83
	v_cmp_lt_u32_e64 s9, 1, v83
	v_add_nc_u32_e32 v83, v67, v36
	global_inv scope:SCOPE_SE
	s_and_saveexec_b32 s17, s15
	s_cbranch_execz .LBB222_51
; %bb.50:
	ds_load_b32 v36, v83
	s_wait_dscnt 0x0
	v_mov_b32_dpp v109, v36 row_shr:1 row_mask:0xf bank_mask:0xf
	s_delay_alu instid0(VALU_DEP_1) | instskip(NEXT) | instid1(VALU_DEP_1)
	v_cndmask_b32_e64 v109, v109, 0, s12
	v_add_nc_u32_e32 v36, v109, v36
	s_delay_alu instid0(VALU_DEP_1) | instskip(NEXT) | instid1(VALU_DEP_1)
	v_mov_b32_dpp v109, v36 row_shr:2 row_mask:0xf bank_mask:0xf
	v_cndmask_b32_e64 v109, 0, v109, s9
	s_delay_alu instid0(VALU_DEP_1)
	v_add_nc_u32_e32 v36, v36, v109
	ds_store_b32 v83, v36
.LBB222_51:
	s_or_b32 exec_lo, exec_lo, s17
	v_mul_u32_u24_e32 v36, 6, v84
	v_sub_co_u32 v109, vcc_lo, v69, 1
	v_cmp_lt_u32_e64 s17, 31, v46
	v_add_nc_u32_e32 v84, -4, v82
	v_mov_b32_e32 v110, 0
	s_wait_loadcnt_dscnt 0x0
	s_barrier_signal -1
	s_barrier_wait -1
	global_inv scope:SCOPE_SE
	s_and_saveexec_b32 s18, s17
; %bb.52:
	ds_load_b32 v110, v84
; %bb.53:
	s_or_b32 exec_lo, exec_lo, s18
	v_cmp_gt_i32_e64 s18, 0, v109
	s_mov_b32 s24, 0
	s_min_u32 s19, s19, 8
	s_mov_b32 s25, s24
	s_mov_b32 s26, s24
	v_cndmask_b32_e64 v109, v109, v69, s18
	s_mov_b32 s27, s24
	s_wait_dscnt 0x0
	v_add_nc_u32_e32 v111, v110, v85
	v_cmp_eq_u32_e64 s18, 0, v46
	s_lshl_b32 s19, -1, s19
	v_lshlrev_b32_e32 v85, 2, v109
	s_wait_alu 0xfffe
	s_not_b32 s21, s19
	ds_bpermute_b32 v109, v85, v111
	s_wait_dscnt 0x0
	s_wait_alu 0xfffd
	v_cndmask_b32_e32 v109, v109, v110, vcc_lo
	s_delay_alu instid0(VALU_DEP_1) | instskip(NEXT) | instid1(VALU_DEP_1)
	v_cndmask_b32_e64 v109, v109, 0, s18
	v_add_nc_u32_e32 v110, v109, v37
	s_delay_alu instid0(VALU_DEP_1) | instskip(NEXT) | instid1(VALU_DEP_1)
	v_add_nc_u32_e32 v111, v110, v38
	v_add_nc_u32_e32 v112, v111, v39
	s_delay_alu instid0(VALU_DEP_1) | instskip(NEXT) | instid1(VALU_DEP_1)
	v_add_nc_u32_e32 v37, v112, v40
	;; [unrolled: 3-line block ×3, first 2 shown]
	v_add_nc_u32_e32 v40, v39, v35
	ds_store_b128 v67, v[109:112] offset:16
	ds_store_b128 v67, v[37:40] offset:32
	s_wait_loadcnt_dscnt 0x0
	s_barrier_signal -1
	s_barrier_wait -1
	global_inv scope:SCOPE_SE
	ds_load_b32 v33, v87 offset:16
	ds_load_b32 v34, v90 offset:16
	;; [unrolled: 1-line block ×8, first 2 shown]
	v_add_nc_u32_e32 v90, v73, v36
	s_wait_loadcnt_dscnt 0x0
	s_barrier_signal -1
	s_barrier_wait -1
	global_inv scope:SCOPE_SE
	v_add_nc_u32_e32 v86, v33, v86
	v_add3_u32 v88, v89, v88, v34
	v_add3_u32 v89, v92, v91, v35
	;; [unrolled: 1-line block ×7, first 2 shown]
	v_lshlrev_b32_e32 v33, 1, v86
	v_lshlrev_b32_e32 v34, 1, v88
	;; [unrolled: 1-line block ×8, first 2 shown]
	ds_store_b16 v33, v74
	ds_store_b16 v34, v75
	;; [unrolled: 1-line block ×8, first 2 shown]
	s_wait_loadcnt_dscnt 0x0
	s_barrier_signal -1
	s_barrier_wait -1
	global_inv scope:SCOPE_SE
	ds_load_u16 v74, v73
	ds_load_u16 v75, v73 offset:64
	ds_load_u16 v76, v73 offset:128
	ds_load_u16 v77, v73 offset:192
	ds_load_u16 v78, v73 offset:256
	ds_load_u16 v79, v73 offset:320
	ds_load_u16 v80, v73 offset:384
	ds_load_u16 v73, v73 offset:448
	v_mad_co_u64_u32 v[86:87], null, v86, 6, v[33:34]
	v_mad_co_u64_u32 v[33:34], null, v88, 6, v[34:35]
	v_mad_co_u64_u32 v[34:35], null, v89, 6, v[35:36]
	s_wait_loadcnt_dscnt 0x0
	s_barrier_signal -1
	s_barrier_wait -1
	global_inv scope:SCOPE_SE
	v_mad_co_u64_u32 v[35:36], null, v91, 6, v[36:37]
	v_lshrrev_b16 v81, 8, v74
	v_cmp_ne_u16_e64 s19, 0x7fff, v74
	ds_store_b64 v86, v[17:18]
	v_mad_co_u64_u32 v[36:37], null, v92, 6, v[37:38]
	v_mad_co_u64_u32 v[37:38], null, v93, 6, v[38:39]
	s_wait_alu 0xf1ff
	v_cndmask_b32_e64 v81, 0x80, v81, s19
	v_mad_co_u64_u32 v[38:39], null, v94, 6, v[39:40]
	v_mad_co_u64_u32 v[39:40], null, v95, 6, v[40:41]
	s_delay_alu instid0(VALU_DEP_3)
	v_and_b32_e32 v17, 0xffff, v81
	ds_store_b64 v33, v[19:20]
	ds_store_b64 v34, v[25:26]
	;; [unrolled: 1-line block ×7, first 2 shown]
	s_wait_alu 0xfffe
	v_and_b32_e32 v40, s21, v17
	s_wait_loadcnt_dscnt 0x0
	s_barrier_signal -1
	s_barrier_wait -1
	global_inv scope:SCOPE_SE
	v_and_b32_e32 v17, 1, v40
	v_lshlrev_b32_e32 v18, 30, v40
	v_lshlrev_b32_e32 v19, 29, v40
	;; [unrolled: 1-line block ×4, first 2 shown]
	v_add_co_u32 v17, s19, v17, -1
	s_wait_alu 0xf1ff
	v_cndmask_b32_e64 v21, 0, 1, s19
	v_not_b32_e32 v25, v18
	v_cmp_gt_i32_e64 s20, 0, v18
	v_not_b32_e32 v18, v19
	v_lshlrev_b32_e32 v23, 26, v40
	v_cmp_ne_u32_e64 s19, 0, v21
	v_ashrrev_i32_e32 v25, 31, v25
	v_lshlrev_b32_e32 v24, 25, v40
	v_ashrrev_i32_e32 v18, 31, v18
	v_lshlrev_b32_e32 v21, 24, v40
	s_wait_alu 0xf1ff
	v_xor_b32_e32 v17, s19, v17
	v_cmp_gt_i32_e64 s19, 0, v19
	v_not_b32_e32 v19, v20
	v_xor_b32_e32 v25, s20, v25
	v_cmp_gt_i32_e64 s20, 0, v20
	v_and_b32_e32 v17, exec_lo, v17
	v_not_b32_e32 v20, v22
	v_ashrrev_i32_e32 v19, 31, v19
	s_wait_alu 0xf1ff
	v_xor_b32_e32 v18, s19, v18
	v_cmp_gt_i32_e64 s19, 0, v22
	v_and_b32_e32 v17, v17, v25
	v_not_b32_e32 v22, v23
	v_ashrrev_i32_e32 v20, 31, v20
	v_xor_b32_e32 v19, s20, v19
	v_cmp_gt_i32_e64 s20, 0, v23
	v_and_b32_e32 v17, v17, v18
	v_not_b32_e32 v18, v24
	v_ashrrev_i32_e32 v22, 31, v22
	s_wait_alu 0xf1ff
	v_xor_b32_e32 v20, s19, v20
	v_cmp_gt_i32_e64 s19, 0, v24
	v_and_b32_e32 v17, v17, v19
	v_not_b32_e32 v19, v21
	v_ashrrev_i32_e32 v18, 31, v18
	v_xor_b32_e32 v22, s20, v22
	v_cmp_gt_i32_e64 s20, 0, v21
	v_and_b32_e32 v17, v17, v20
	v_ashrrev_i32_e32 v19, 31, v19
	s_wait_alu 0xf1ff
	v_xor_b32_e32 v18, s19, v18
	v_dual_mov_b32 v37, s27 :: v_dual_mov_b32 v36, s26
	v_and_b32_e32 v17, v17, v22
	v_xor_b32_e32 v33, s20, v19
	ds_load_2addr_b64 v[21:24], v90 offset1:32
	v_dual_mov_b32 v35, s25 :: v_dual_mov_b32 v34, s24
	v_and_b32_e32 v38, v17, v18
	ds_load_2addr_b64 v[29:32], v90 offset0:64 offset1:96
	ds_load_2addr_b64 v[25:28], v90 offset0:128 offset1:160
	;; [unrolled: 1-line block ×3, first 2 shown]
	v_lshl_add_u32 v86, v40, 4, v0
	s_wait_loadcnt_dscnt 0x0
	s_barrier_signal -1
	v_and_b32_e32 v33, v38, v33
	s_barrier_wait -1
	global_inv scope:SCOPE_SE
	ds_store_b128 v67, v[34:37] offset:16
	ds_store_b128 v67, v[34:37] offset:32
	s_wait_loadcnt_dscnt 0x0
	v_mbcnt_lo_u32_b32 v81, v33, 0
	v_cmp_ne_u32_e64 s20, 0, v33
	s_barrier_signal -1
	s_barrier_wait -1
	global_inv scope:SCOPE_SE
	v_cmp_eq_u32_e64 s19, 0, v81
	; wave barrier
	s_and_b32 s20, s20, s19
	s_wait_alu 0xfffe
	s_and_saveexec_b32 s19, s20
; %bb.54:
	v_bcnt_u32_b32 v33, v33, 0
	ds_store_b32 v86, v33 offset:16
; %bb.55:
	s_wait_alu 0xfffe
	s_or_b32 exec_lo, exec_lo, s19
	v_lshrrev_b16 v33, 8, v75
	v_cmp_ne_u16_e64 s19, 0x7fff, v75
	; wave barrier
	s_wait_alu 0xf1ff
	s_delay_alu instid0(VALU_DEP_1) | instskip(NEXT) | instid1(VALU_DEP_1)
	v_cndmask_b32_e64 v33, 0x80, v33, s19
	v_and_b32_e32 v33, s21, v33
	s_delay_alu instid0(VALU_DEP_1)
	v_and_b32_e32 v34, 1, v33
	v_lshlrev_b32_e32 v35, 30, v33
	v_lshlrev_b32_e32 v36, 29, v33
	;; [unrolled: 1-line block ×4, first 2 shown]
	v_add_co_u32 v34, s19, v34, -1
	s_wait_alu 0xf1ff
	v_cndmask_b32_e64 v38, 0, 1, s19
	v_not_b32_e32 v88, v35
	v_cmp_gt_i32_e64 s20, 0, v35
	v_not_b32_e32 v35, v36
	v_lshlrev_b32_e32 v40, 26, v33
	v_cmp_ne_u32_e64 s19, 0, v38
	v_ashrrev_i32_e32 v88, 31, v88
	v_lshlrev_b32_e32 v87, 25, v33
	v_ashrrev_i32_e32 v35, 31, v35
	v_lshlrev_b32_e32 v38, 24, v33
	s_wait_alu 0xf1ff
	v_xor_b32_e32 v34, s19, v34
	v_cmp_gt_i32_e64 s19, 0, v36
	v_not_b32_e32 v36, v37
	v_xor_b32_e32 v88, s20, v88
	v_cmp_gt_i32_e64 s20, 0, v37
	v_and_b32_e32 v34, exec_lo, v34
	v_not_b32_e32 v37, v39
	v_ashrrev_i32_e32 v36, 31, v36
	s_wait_alu 0xf1ff
	v_xor_b32_e32 v35, s19, v35
	v_cmp_gt_i32_e64 s19, 0, v39
	v_and_b32_e32 v34, v34, v88
	v_not_b32_e32 v39, v40
	v_ashrrev_i32_e32 v37, 31, v37
	v_xor_b32_e32 v36, s20, v36
	v_cmp_gt_i32_e64 s20, 0, v40
	v_and_b32_e32 v34, v34, v35
	v_not_b32_e32 v35, v87
	v_ashrrev_i32_e32 v39, 31, v39
	s_wait_alu 0xf1ff
	v_xor_b32_e32 v37, s19, v37
	v_cmp_gt_i32_e64 s19, 0, v87
	v_and_b32_e32 v34, v34, v36
	v_not_b32_e32 v36, v38
	v_ashrrev_i32_e32 v35, 31, v35
	v_xor_b32_e32 v39, s20, v39
	v_cmp_gt_i32_e64 s20, 0, v38
	v_and_b32_e32 v34, v34, v37
	v_ashrrev_i32_e32 v36, 31, v36
	s_wait_alu 0xf1ff
	v_xor_b32_e32 v35, s19, v35
	v_lshl_add_u32 v89, v33, 4, v0
	v_and_b32_e32 v34, v34, v39
	v_xor_b32_e32 v33, s20, v36
	ds_load_b32 v87, v89 offset:16
	v_and_b32_e32 v34, v34, v35
	; wave barrier
	s_delay_alu instid0(VALU_DEP_1) | instskip(NEXT) | instid1(VALU_DEP_1)
	v_and_b32_e32 v33, v34, v33
	v_mbcnt_lo_u32_b32 v88, v33, 0
	v_cmp_ne_u32_e64 s20, 0, v33
	s_delay_alu instid0(VALU_DEP_2)
	v_cmp_eq_u32_e64 s19, 0, v88
	s_and_b32 s20, s20, s19
	s_wait_alu 0xfffe
	s_and_saveexec_b32 s19, s20
	s_cbranch_execz .LBB222_57
; %bb.56:
	s_wait_dscnt 0x0
	v_bcnt_u32_b32 v33, v33, v87
	ds_store_b32 v89, v33 offset:16
.LBB222_57:
	s_wait_alu 0xfffe
	s_or_b32 exec_lo, exec_lo, s19
	v_lshrrev_b16 v33, 8, v76
	v_cmp_ne_u16_e64 s19, 0x7fff, v76
	; wave barrier
	s_wait_alu 0xf1ff
	s_delay_alu instid0(VALU_DEP_1) | instskip(NEXT) | instid1(VALU_DEP_1)
	v_cndmask_b32_e64 v33, 0x80, v33, s19
	v_and_b32_e32 v33, s21, v33
	s_delay_alu instid0(VALU_DEP_1)
	v_and_b32_e32 v34, 1, v33
	v_lshlrev_b32_e32 v35, 30, v33
	v_lshlrev_b32_e32 v36, 29, v33
	;; [unrolled: 1-line block ×4, first 2 shown]
	v_add_co_u32 v34, s19, v34, -1
	s_wait_alu 0xf1ff
	v_cndmask_b32_e64 v38, 0, 1, s19
	v_not_b32_e32 v91, v35
	v_cmp_gt_i32_e64 s20, 0, v35
	v_not_b32_e32 v35, v36
	v_lshlrev_b32_e32 v40, 26, v33
	v_cmp_ne_u32_e64 s19, 0, v38
	v_ashrrev_i32_e32 v91, 31, v91
	v_lshlrev_b32_e32 v90, 25, v33
	v_ashrrev_i32_e32 v35, 31, v35
	v_lshlrev_b32_e32 v38, 24, v33
	s_wait_alu 0xf1ff
	v_xor_b32_e32 v34, s19, v34
	v_cmp_gt_i32_e64 s19, 0, v36
	v_not_b32_e32 v36, v37
	v_xor_b32_e32 v91, s20, v91
	v_cmp_gt_i32_e64 s20, 0, v37
	v_and_b32_e32 v34, exec_lo, v34
	v_not_b32_e32 v37, v39
	v_ashrrev_i32_e32 v36, 31, v36
	s_wait_alu 0xf1ff
	v_xor_b32_e32 v35, s19, v35
	v_cmp_gt_i32_e64 s19, 0, v39
	v_and_b32_e32 v34, v34, v91
	v_not_b32_e32 v39, v40
	v_ashrrev_i32_e32 v37, 31, v37
	v_xor_b32_e32 v36, s20, v36
	v_cmp_gt_i32_e64 s20, 0, v40
	v_and_b32_e32 v34, v34, v35
	v_not_b32_e32 v35, v90
	v_ashrrev_i32_e32 v39, 31, v39
	s_wait_alu 0xf1ff
	v_xor_b32_e32 v37, s19, v37
	v_cmp_gt_i32_e64 s19, 0, v90
	v_and_b32_e32 v34, v34, v36
	v_not_b32_e32 v36, v38
	v_ashrrev_i32_e32 v35, 31, v35
	v_xor_b32_e32 v39, s20, v39
	v_cmp_gt_i32_e64 s20, 0, v38
	v_and_b32_e32 v34, v34, v37
	v_ashrrev_i32_e32 v36, 31, v36
	s_wait_alu 0xf1ff
	v_xor_b32_e32 v35, s19, v35
	v_lshl_add_u32 v92, v33, 4, v0
	v_and_b32_e32 v34, v34, v39
	v_xor_b32_e32 v33, s20, v36
	ds_load_b32 v90, v92 offset:16
	v_and_b32_e32 v34, v34, v35
	; wave barrier
	s_delay_alu instid0(VALU_DEP_1) | instskip(NEXT) | instid1(VALU_DEP_1)
	v_and_b32_e32 v33, v34, v33
	v_mbcnt_lo_u32_b32 v91, v33, 0
	v_cmp_ne_u32_e64 s20, 0, v33
	s_delay_alu instid0(VALU_DEP_2)
	v_cmp_eq_u32_e64 s19, 0, v91
	s_and_b32 s20, s20, s19
	s_wait_alu 0xfffe
	s_and_saveexec_b32 s19, s20
	s_cbranch_execz .LBB222_59
; %bb.58:
	s_wait_dscnt 0x0
	v_bcnt_u32_b32 v33, v33, v90
	ds_store_b32 v92, v33 offset:16
.LBB222_59:
	s_wait_alu 0xfffe
	s_or_b32 exec_lo, exec_lo, s19
	v_lshrrev_b16 v33, 8, v77
	v_cmp_ne_u16_e64 s19, 0x7fff, v77
	; wave barrier
	s_wait_alu 0xf1ff
	s_delay_alu instid0(VALU_DEP_1) | instskip(NEXT) | instid1(VALU_DEP_1)
	v_cndmask_b32_e64 v33, 0x80, v33, s19
	v_and_b32_e32 v33, s21, v33
	s_delay_alu instid0(VALU_DEP_1)
	v_and_b32_e32 v34, 1, v33
	v_lshlrev_b32_e32 v35, 30, v33
	v_lshlrev_b32_e32 v36, 29, v33
	;; [unrolled: 1-line block ×4, first 2 shown]
	v_add_co_u32 v34, s19, v34, -1
	s_wait_alu 0xf1ff
	v_cndmask_b32_e64 v38, 0, 1, s19
	v_not_b32_e32 v94, v35
	v_cmp_gt_i32_e64 s20, 0, v35
	v_not_b32_e32 v35, v36
	v_lshlrev_b32_e32 v40, 26, v33
	v_cmp_ne_u32_e64 s19, 0, v38
	v_ashrrev_i32_e32 v94, 31, v94
	v_lshlrev_b32_e32 v93, 25, v33
	v_ashrrev_i32_e32 v35, 31, v35
	v_lshlrev_b32_e32 v38, 24, v33
	s_wait_alu 0xf1ff
	v_xor_b32_e32 v34, s19, v34
	v_cmp_gt_i32_e64 s19, 0, v36
	v_not_b32_e32 v36, v37
	v_xor_b32_e32 v94, s20, v94
	v_cmp_gt_i32_e64 s20, 0, v37
	v_and_b32_e32 v34, exec_lo, v34
	v_not_b32_e32 v37, v39
	v_ashrrev_i32_e32 v36, 31, v36
	s_wait_alu 0xf1ff
	v_xor_b32_e32 v35, s19, v35
	v_cmp_gt_i32_e64 s19, 0, v39
	v_and_b32_e32 v34, v34, v94
	v_not_b32_e32 v39, v40
	v_ashrrev_i32_e32 v37, 31, v37
	v_xor_b32_e32 v36, s20, v36
	v_cmp_gt_i32_e64 s20, 0, v40
	v_and_b32_e32 v34, v34, v35
	v_not_b32_e32 v35, v93
	v_ashrrev_i32_e32 v39, 31, v39
	s_wait_alu 0xf1ff
	v_xor_b32_e32 v37, s19, v37
	v_cmp_gt_i32_e64 s19, 0, v93
	v_and_b32_e32 v34, v34, v36
	v_not_b32_e32 v36, v38
	v_ashrrev_i32_e32 v35, 31, v35
	v_xor_b32_e32 v39, s20, v39
	v_cmp_gt_i32_e64 s20, 0, v38
	v_and_b32_e32 v34, v34, v37
	v_ashrrev_i32_e32 v36, 31, v36
	s_wait_alu 0xf1ff
	v_xor_b32_e32 v35, s19, v35
	v_lshl_add_u32 v95, v33, 4, v0
	v_and_b32_e32 v34, v34, v39
	v_xor_b32_e32 v33, s20, v36
	ds_load_b32 v93, v95 offset:16
	v_and_b32_e32 v34, v34, v35
	; wave barrier
	s_delay_alu instid0(VALU_DEP_1) | instskip(NEXT) | instid1(VALU_DEP_1)
	v_and_b32_e32 v33, v34, v33
	v_mbcnt_lo_u32_b32 v94, v33, 0
	v_cmp_ne_u32_e64 s20, 0, v33
	s_delay_alu instid0(VALU_DEP_2)
	v_cmp_eq_u32_e64 s19, 0, v94
	s_and_b32 s20, s20, s19
	s_wait_alu 0xfffe
	s_and_saveexec_b32 s19, s20
	s_cbranch_execz .LBB222_61
; %bb.60:
	s_wait_dscnt 0x0
	v_bcnt_u32_b32 v33, v33, v93
	ds_store_b32 v95, v33 offset:16
.LBB222_61:
	s_wait_alu 0xfffe
	s_or_b32 exec_lo, exec_lo, s19
	v_lshrrev_b16 v33, 8, v78
	v_cmp_ne_u16_e64 s19, 0x7fff, v78
	; wave barrier
	s_wait_alu 0xf1ff
	s_delay_alu instid0(VALU_DEP_1) | instskip(NEXT) | instid1(VALU_DEP_1)
	v_cndmask_b32_e64 v33, 0x80, v33, s19
	v_and_b32_e32 v33, s21, v33
	s_delay_alu instid0(VALU_DEP_1)
	v_and_b32_e32 v34, 1, v33
	v_lshlrev_b32_e32 v35, 30, v33
	v_lshlrev_b32_e32 v36, 29, v33
	;; [unrolled: 1-line block ×4, first 2 shown]
	v_add_co_u32 v34, s19, v34, -1
	s_wait_alu 0xf1ff
	v_cndmask_b32_e64 v38, 0, 1, s19
	v_not_b32_e32 v97, v35
	v_cmp_gt_i32_e64 s20, 0, v35
	v_not_b32_e32 v35, v36
	v_lshlrev_b32_e32 v40, 26, v33
	v_cmp_ne_u32_e64 s19, 0, v38
	v_ashrrev_i32_e32 v97, 31, v97
	v_lshlrev_b32_e32 v96, 25, v33
	v_ashrrev_i32_e32 v35, 31, v35
	v_lshlrev_b32_e32 v38, 24, v33
	s_wait_alu 0xf1ff
	v_xor_b32_e32 v34, s19, v34
	v_cmp_gt_i32_e64 s19, 0, v36
	v_not_b32_e32 v36, v37
	v_xor_b32_e32 v97, s20, v97
	v_cmp_gt_i32_e64 s20, 0, v37
	v_and_b32_e32 v34, exec_lo, v34
	v_not_b32_e32 v37, v39
	v_ashrrev_i32_e32 v36, 31, v36
	s_wait_alu 0xf1ff
	v_xor_b32_e32 v35, s19, v35
	v_cmp_gt_i32_e64 s19, 0, v39
	v_and_b32_e32 v34, v34, v97
	v_not_b32_e32 v39, v40
	v_ashrrev_i32_e32 v37, 31, v37
	v_xor_b32_e32 v36, s20, v36
	v_cmp_gt_i32_e64 s20, 0, v40
	v_and_b32_e32 v34, v34, v35
	v_not_b32_e32 v35, v96
	v_ashrrev_i32_e32 v39, 31, v39
	s_wait_alu 0xf1ff
	v_xor_b32_e32 v37, s19, v37
	v_cmp_gt_i32_e64 s19, 0, v96
	v_and_b32_e32 v34, v34, v36
	v_not_b32_e32 v36, v38
	v_ashrrev_i32_e32 v35, 31, v35
	v_xor_b32_e32 v39, s20, v39
	v_cmp_gt_i32_e64 s20, 0, v38
	v_and_b32_e32 v34, v34, v37
	v_ashrrev_i32_e32 v36, 31, v36
	s_wait_alu 0xf1ff
	v_xor_b32_e32 v35, s19, v35
	v_lshl_add_u32 v98, v33, 4, v0
	v_and_b32_e32 v34, v34, v39
	v_xor_b32_e32 v33, s20, v36
	ds_load_b32 v96, v98 offset:16
	v_and_b32_e32 v34, v34, v35
	; wave barrier
	s_delay_alu instid0(VALU_DEP_1) | instskip(NEXT) | instid1(VALU_DEP_1)
	v_and_b32_e32 v33, v34, v33
	v_mbcnt_lo_u32_b32 v97, v33, 0
	v_cmp_ne_u32_e64 s20, 0, v33
	s_delay_alu instid0(VALU_DEP_2)
	v_cmp_eq_u32_e64 s19, 0, v97
	s_and_b32 s20, s20, s19
	s_wait_alu 0xfffe
	s_and_saveexec_b32 s19, s20
	s_cbranch_execz .LBB222_63
; %bb.62:
	s_wait_dscnt 0x0
	v_bcnt_u32_b32 v33, v33, v96
	ds_store_b32 v98, v33 offset:16
.LBB222_63:
	s_wait_alu 0xfffe
	s_or_b32 exec_lo, exec_lo, s19
	v_lshrrev_b16 v33, 8, v79
	v_cmp_ne_u16_e64 s19, 0x7fff, v79
	; wave barrier
	s_wait_alu 0xf1ff
	s_delay_alu instid0(VALU_DEP_1) | instskip(NEXT) | instid1(VALU_DEP_1)
	v_cndmask_b32_e64 v33, 0x80, v33, s19
	v_and_b32_e32 v33, s21, v33
	s_delay_alu instid0(VALU_DEP_1)
	v_and_b32_e32 v34, 1, v33
	v_lshlrev_b32_e32 v35, 30, v33
	v_lshlrev_b32_e32 v36, 29, v33
	;; [unrolled: 1-line block ×4, first 2 shown]
	v_add_co_u32 v34, s19, v34, -1
	s_wait_alu 0xf1ff
	v_cndmask_b32_e64 v38, 0, 1, s19
	v_not_b32_e32 v100, v35
	v_cmp_gt_i32_e64 s20, 0, v35
	v_not_b32_e32 v35, v36
	v_lshlrev_b32_e32 v40, 26, v33
	v_cmp_ne_u32_e64 s19, 0, v38
	v_ashrrev_i32_e32 v100, 31, v100
	v_lshlrev_b32_e32 v99, 25, v33
	v_ashrrev_i32_e32 v35, 31, v35
	v_lshlrev_b32_e32 v38, 24, v33
	s_wait_alu 0xf1ff
	v_xor_b32_e32 v34, s19, v34
	v_cmp_gt_i32_e64 s19, 0, v36
	v_not_b32_e32 v36, v37
	v_xor_b32_e32 v100, s20, v100
	v_cmp_gt_i32_e64 s20, 0, v37
	v_and_b32_e32 v34, exec_lo, v34
	v_not_b32_e32 v37, v39
	v_ashrrev_i32_e32 v36, 31, v36
	s_wait_alu 0xf1ff
	v_xor_b32_e32 v35, s19, v35
	v_cmp_gt_i32_e64 s19, 0, v39
	v_and_b32_e32 v34, v34, v100
	v_not_b32_e32 v39, v40
	v_ashrrev_i32_e32 v37, 31, v37
	v_xor_b32_e32 v36, s20, v36
	v_cmp_gt_i32_e64 s20, 0, v40
	v_and_b32_e32 v34, v34, v35
	v_not_b32_e32 v35, v99
	v_ashrrev_i32_e32 v39, 31, v39
	s_wait_alu 0xf1ff
	v_xor_b32_e32 v37, s19, v37
	v_cmp_gt_i32_e64 s19, 0, v99
	v_and_b32_e32 v34, v34, v36
	v_not_b32_e32 v36, v38
	v_ashrrev_i32_e32 v35, 31, v35
	v_xor_b32_e32 v39, s20, v39
	v_cmp_gt_i32_e64 s20, 0, v38
	v_and_b32_e32 v34, v34, v37
	v_ashrrev_i32_e32 v36, 31, v36
	s_wait_alu 0xf1ff
	v_xor_b32_e32 v35, s19, v35
	v_lshl_add_u32 v101, v33, 4, v0
	v_and_b32_e32 v34, v34, v39
	v_xor_b32_e32 v33, s20, v36
	ds_load_b32 v99, v101 offset:16
	v_and_b32_e32 v34, v34, v35
	; wave barrier
	s_delay_alu instid0(VALU_DEP_1) | instskip(NEXT) | instid1(VALU_DEP_1)
	v_and_b32_e32 v33, v34, v33
	v_mbcnt_lo_u32_b32 v100, v33, 0
	v_cmp_ne_u32_e64 s20, 0, v33
	s_delay_alu instid0(VALU_DEP_2)
	v_cmp_eq_u32_e64 s19, 0, v100
	s_and_b32 s20, s20, s19
	s_wait_alu 0xfffe
	s_and_saveexec_b32 s19, s20
	s_cbranch_execz .LBB222_65
; %bb.64:
	s_wait_dscnt 0x0
	v_bcnt_u32_b32 v33, v33, v99
	ds_store_b32 v101, v33 offset:16
.LBB222_65:
	s_wait_alu 0xfffe
	s_or_b32 exec_lo, exec_lo, s19
	v_lshrrev_b16 v33, 8, v80
	v_cmp_ne_u16_e64 s19, 0x7fff, v80
	; wave barrier
	s_wait_alu 0xf1ff
	s_delay_alu instid0(VALU_DEP_1) | instskip(NEXT) | instid1(VALU_DEP_1)
	v_cndmask_b32_e64 v33, 0x80, v33, s19
	v_and_b32_e32 v33, s21, v33
	s_delay_alu instid0(VALU_DEP_1)
	v_and_b32_e32 v34, 1, v33
	v_lshlrev_b32_e32 v35, 30, v33
	v_lshlrev_b32_e32 v36, 29, v33
	;; [unrolled: 1-line block ×4, first 2 shown]
	v_add_co_u32 v34, s19, v34, -1
	s_wait_alu 0xf1ff
	v_cndmask_b32_e64 v38, 0, 1, s19
	v_not_b32_e32 v103, v35
	v_cmp_gt_i32_e64 s20, 0, v35
	v_not_b32_e32 v35, v36
	v_lshlrev_b32_e32 v40, 26, v33
	v_cmp_ne_u32_e64 s19, 0, v38
	v_ashrrev_i32_e32 v103, 31, v103
	v_lshlrev_b32_e32 v102, 25, v33
	v_ashrrev_i32_e32 v35, 31, v35
	v_lshlrev_b32_e32 v38, 24, v33
	s_wait_alu 0xf1ff
	v_xor_b32_e32 v34, s19, v34
	v_cmp_gt_i32_e64 s19, 0, v36
	v_not_b32_e32 v36, v37
	v_xor_b32_e32 v103, s20, v103
	v_cmp_gt_i32_e64 s20, 0, v37
	v_and_b32_e32 v34, exec_lo, v34
	v_not_b32_e32 v37, v39
	v_ashrrev_i32_e32 v36, 31, v36
	s_wait_alu 0xf1ff
	v_xor_b32_e32 v35, s19, v35
	v_cmp_gt_i32_e64 s19, 0, v39
	v_and_b32_e32 v34, v34, v103
	v_not_b32_e32 v39, v40
	v_ashrrev_i32_e32 v37, 31, v37
	v_xor_b32_e32 v36, s20, v36
	v_cmp_gt_i32_e64 s20, 0, v40
	v_and_b32_e32 v34, v34, v35
	v_not_b32_e32 v35, v102
	v_ashrrev_i32_e32 v39, 31, v39
	s_wait_alu 0xf1ff
	v_xor_b32_e32 v37, s19, v37
	v_cmp_gt_i32_e64 s19, 0, v102
	v_and_b32_e32 v34, v34, v36
	v_not_b32_e32 v36, v38
	v_ashrrev_i32_e32 v35, 31, v35
	v_xor_b32_e32 v39, s20, v39
	v_cmp_gt_i32_e64 s20, 0, v38
	v_and_b32_e32 v34, v34, v37
	v_ashrrev_i32_e32 v36, 31, v36
	s_wait_alu 0xf1ff
	v_xor_b32_e32 v35, s19, v35
	v_lshl_add_u32 v104, v33, 4, v0
	v_and_b32_e32 v34, v34, v39
	v_xor_b32_e32 v33, s20, v36
	ds_load_b32 v102, v104 offset:16
	v_and_b32_e32 v34, v34, v35
	; wave barrier
	s_delay_alu instid0(VALU_DEP_1) | instskip(NEXT) | instid1(VALU_DEP_1)
	v_and_b32_e32 v33, v34, v33
	v_mbcnt_lo_u32_b32 v103, v33, 0
	v_cmp_ne_u32_e64 s20, 0, v33
	s_delay_alu instid0(VALU_DEP_2)
	v_cmp_eq_u32_e64 s19, 0, v103
	s_and_b32 s20, s20, s19
	s_wait_alu 0xfffe
	s_and_saveexec_b32 s19, s20
	s_cbranch_execz .LBB222_67
; %bb.66:
	s_wait_dscnt 0x0
	v_bcnt_u32_b32 v33, v33, v102
	ds_store_b32 v104, v33 offset:16
.LBB222_67:
	s_wait_alu 0xfffe
	s_or_b32 exec_lo, exec_lo, s19
	v_lshrrev_b16 v33, 8, v73
	v_cmp_ne_u16_e64 s19, 0x7fff, v73
	; wave barrier
	s_wait_alu 0xf1ff
	s_delay_alu instid0(VALU_DEP_1) | instskip(NEXT) | instid1(VALU_DEP_1)
	v_cndmask_b32_e64 v33, 0x80, v33, s19
	v_and_b32_e32 v33, s21, v33
	s_delay_alu instid0(VALU_DEP_1)
	v_and_b32_e32 v34, 1, v33
	v_lshlrev_b32_e32 v35, 30, v33
	v_lshlrev_b32_e32 v36, 29, v33
	;; [unrolled: 1-line block ×4, first 2 shown]
	v_add_co_u32 v34, s19, v34, -1
	s_wait_alu 0xf1ff
	v_cndmask_b32_e64 v38, 0, 1, s19
	v_not_b32_e32 v106, v35
	v_cmp_gt_i32_e64 s20, 0, v35
	v_not_b32_e32 v35, v36
	v_lshlrev_b32_e32 v40, 26, v33
	v_cmp_ne_u32_e64 s19, 0, v38
	v_ashrrev_i32_e32 v106, 31, v106
	v_lshlrev_b32_e32 v105, 25, v33
	v_ashrrev_i32_e32 v35, 31, v35
	v_lshlrev_b32_e32 v38, 24, v33
	s_wait_alu 0xf1ff
	v_xor_b32_e32 v34, s19, v34
	v_cmp_gt_i32_e64 s19, 0, v36
	v_not_b32_e32 v36, v37
	v_xor_b32_e32 v106, s20, v106
	v_cmp_gt_i32_e64 s20, 0, v37
	v_and_b32_e32 v34, exec_lo, v34
	v_not_b32_e32 v37, v39
	v_ashrrev_i32_e32 v36, 31, v36
	s_wait_alu 0xf1ff
	v_xor_b32_e32 v35, s19, v35
	v_cmp_gt_i32_e64 s19, 0, v39
	v_and_b32_e32 v34, v34, v106
	v_not_b32_e32 v39, v40
	v_ashrrev_i32_e32 v37, 31, v37
	v_xor_b32_e32 v36, s20, v36
	v_cmp_gt_i32_e64 s20, 0, v40
	v_and_b32_e32 v34, v34, v35
	v_not_b32_e32 v35, v105
	v_ashrrev_i32_e32 v39, 31, v39
	s_wait_alu 0xf1ff
	v_xor_b32_e32 v37, s19, v37
	v_cmp_gt_i32_e64 s19, 0, v105
	v_and_b32_e32 v34, v34, v36
	v_not_b32_e32 v36, v38
	v_ashrrev_i32_e32 v35, 31, v35
	v_xor_b32_e32 v39, s20, v39
	v_cmp_gt_i32_e64 s20, 0, v38
	v_and_b32_e32 v34, v34, v37
	v_ashrrev_i32_e32 v36, 31, v36
	s_wait_alu 0xf1ff
	v_xor_b32_e32 v35, s19, v35
	v_lshl_add_u32 v106, v33, 4, v0
	v_and_b32_e32 v34, v34, v39
	v_xor_b32_e32 v33, s20, v36
	ds_load_b32 v0, v106 offset:16
	v_and_b32_e32 v34, v34, v35
	; wave barrier
	s_delay_alu instid0(VALU_DEP_1) | instskip(NEXT) | instid1(VALU_DEP_1)
	v_and_b32_e32 v33, v34, v33
	v_mbcnt_lo_u32_b32 v105, v33, 0
	v_cmp_ne_u32_e64 s20, 0, v33
	s_delay_alu instid0(VALU_DEP_2)
	v_cmp_eq_u32_e64 s19, 0, v105
	s_and_b32 s20, s20, s19
	s_wait_alu 0xfffe
	s_and_saveexec_b32 s19, s20
	s_cbranch_execz .LBB222_69
; %bb.68:
	s_wait_dscnt 0x0
	v_bcnt_u32_b32 v33, v33, v0
	ds_store_b32 v106, v33 offset:16
.LBB222_69:
	s_wait_alu 0xfffe
	s_or_b32 exec_lo, exec_lo, s19
	; wave barrier
	s_wait_loadcnt_dscnt 0x0
	s_barrier_signal -1
	s_barrier_wait -1
	global_inv scope:SCOPE_SE
	ds_load_b128 v[37:40], v67 offset:16
	ds_load_b128 v[33:36], v67 offset:32
	s_wait_dscnt 0x1
	v_add_nc_u32_e32 v107, v38, v37
	s_delay_alu instid0(VALU_DEP_1) | instskip(SKIP_1) | instid1(VALU_DEP_1)
	v_add3_u32 v107, v107, v39, v40
	s_wait_dscnt 0x0
	v_add3_u32 v107, v107, v33, v34
	s_delay_alu instid0(VALU_DEP_1) | instskip(NEXT) | instid1(VALU_DEP_1)
	v_add3_u32 v36, v107, v35, v36
	v_mov_b32_dpp v107, v36 row_shr:1 row_mask:0xf bank_mask:0xf
	s_delay_alu instid0(VALU_DEP_1) | instskip(NEXT) | instid1(VALU_DEP_1)
	v_cndmask_b32_e64 v107, v107, 0, s8
	v_add_nc_u32_e32 v36, v107, v36
	s_delay_alu instid0(VALU_DEP_1) | instskip(NEXT) | instid1(VALU_DEP_1)
	v_mov_b32_dpp v107, v36 row_shr:2 row_mask:0xf bank_mask:0xf
	v_cndmask_b32_e64 v107, 0, v107, s10
	s_delay_alu instid0(VALU_DEP_1) | instskip(NEXT) | instid1(VALU_DEP_1)
	v_add_nc_u32_e32 v36, v36, v107
	v_mov_b32_dpp v107, v36 row_shr:4 row_mask:0xf bank_mask:0xf
	s_delay_alu instid0(VALU_DEP_1) | instskip(NEXT) | instid1(VALU_DEP_1)
	v_cndmask_b32_e64 v107, 0, v107, s11
	v_add_nc_u32_e32 v36, v36, v107
	s_delay_alu instid0(VALU_DEP_1) | instskip(NEXT) | instid1(VALU_DEP_1)
	v_mov_b32_dpp v107, v36 row_shr:8 row_mask:0xf bank_mask:0xf
	v_cndmask_b32_e64 v107, 0, v107, s13
	s_delay_alu instid0(VALU_DEP_1) | instskip(SKIP_3) | instid1(VALU_DEP_1)
	v_add_nc_u32_e32 v36, v36, v107
	ds_swizzle_b32 v107, v36 offset:swizzle(BROADCAST,32,15)
	s_wait_dscnt 0x0
	v_cndmask_b32_e64 v107, v107, 0, s16
	v_add_nc_u32_e32 v36, v36, v107
	s_and_saveexec_b32 s8, s14
; %bb.70:
	ds_store_b32 v82, v36
; %bb.71:
	s_wait_alu 0xfffe
	s_or_b32 exec_lo, exec_lo, s8
	s_wait_loadcnt_dscnt 0x0
	s_barrier_signal -1
	s_barrier_wait -1
	global_inv scope:SCOPE_SE
	s_and_saveexec_b32 s8, s15
	s_cbranch_execz .LBB222_73
; %bb.72:
	ds_load_b32 v82, v83
	s_wait_dscnt 0x0
	v_mov_b32_dpp v107, v82 row_shr:1 row_mask:0xf bank_mask:0xf
	s_delay_alu instid0(VALU_DEP_1) | instskip(NEXT) | instid1(VALU_DEP_1)
	v_cndmask_b32_e64 v107, v107, 0, s12
	v_add_nc_u32_e32 v82, v107, v82
	s_delay_alu instid0(VALU_DEP_1) | instskip(NEXT) | instid1(VALU_DEP_1)
	v_mov_b32_dpp v107, v82 row_shr:2 row_mask:0xf bank_mask:0xf
	v_cndmask_b32_e64 v107, 0, v107, s9
	s_delay_alu instid0(VALU_DEP_1)
	v_add_nc_u32_e32 v82, v82, v107
	ds_store_b32 v83, v82
.LBB222_73:
	s_wait_alu 0xfffe
	s_or_b32 exec_lo, exec_lo, s8
	v_mov_b32_e32 v82, 0
	s_wait_loadcnt_dscnt 0x0
	s_barrier_signal -1
	s_barrier_wait -1
	global_inv scope:SCOPE_SE
	s_and_saveexec_b32 s8, s17
; %bb.74:
	ds_load_b32 v82, v84
; %bb.75:
	s_wait_alu 0xfffe
	s_or_b32 exec_lo, exec_lo, s8
	s_wait_dscnt 0x0
	v_add_nc_u32_e32 v36, v82, v36
	ds_bpermute_b32 v36, v85, v36
	s_wait_dscnt 0x0
	v_cndmask_b32_e32 v36, v36, v82, vcc_lo
	s_delay_alu instid0(VALU_DEP_1) | instskip(NEXT) | instid1(VALU_DEP_1)
	v_cndmask_b32_e64 v36, v36, 0, s18
	v_add_nc_u32_e32 v37, v36, v37
	s_delay_alu instid0(VALU_DEP_1) | instskip(NEXT) | instid1(VALU_DEP_1)
	v_add_nc_u32_e32 v38, v37, v38
	v_add_nc_u32_e32 v39, v38, v39
	s_delay_alu instid0(VALU_DEP_1) | instskip(NEXT) | instid1(VALU_DEP_1)
	v_add_nc_u32_e32 v82, v39, v40
	;; [unrolled: 3-line block ×3, first 2 shown]
	v_add_nc_u32_e32 v85, v84, v35
	ds_store_b128 v67, v[36:39] offset:16
	ds_store_b128 v67, v[82:85] offset:32
	s_wait_loadcnt_dscnt 0x0
	s_barrier_signal -1
	s_barrier_wait -1
	global_inv scope:SCOPE_SE
	ds_load_b32 v33, v106 offset:16
	ds_load_b32 v34, v104 offset:16
	;; [unrolled: 1-line block ×8, first 2 shown]
	v_lshlrev_b32_e32 v82, 1, v66
	s_wait_loadcnt_dscnt 0x0
	s_barrier_signal -1
	s_barrier_wait -1
	global_inv scope:SCOPE_SE
	v_mad_u32_u24 v83, v46, 48, v82
	v_add3_u32 v84, v105, v0, v33
	v_add3_u32 v85, v103, v102, v34
	;; [unrolled: 1-line block ×3, first 2 shown]
	v_add_nc_u32_e32 v81, v36, v81
	v_add3_u32 v87, v88, v87, v37
	v_add3_u32 v88, v91, v90, v38
	;; [unrolled: 1-line block ×4, first 2 shown]
	v_lshlrev_b32_e32 v0, 1, v81
	v_lshlrev_b32_e32 v33, 1, v87
	;; [unrolled: 1-line block ×8, first 2 shown]
	ds_store_b16 v0, v74
	ds_store_b16 v33, v75
	;; [unrolled: 1-line block ×8, first 2 shown]
	v_mad_co_u64_u32 v[73:74], null, v81, 6, v[0:1]
	v_mad_co_u64_u32 v[74:75], null, v87, 6, v[33:34]
	;; [unrolled: 1-line block ×4, first 2 shown]
	s_wait_loadcnt_dscnt 0x0
	s_barrier_signal -1
	s_barrier_wait -1
	global_inv scope:SCOPE_SE
	v_mad_co_u64_u32 v[77:78], null, v40, 6, v[36:37]
	ds_load_b128 v[33:36], v82
	v_mad_co_u64_u32 v[78:79], null, v86, 6, v[37:38]
	v_mad_co_u64_u32 v[37:38], null, v85, 6, v[38:39]
	;; [unrolled: 1-line block ×3, first 2 shown]
	s_wait_loadcnt_dscnt 0x0
	s_barrier_signal -1
	s_barrier_wait -1
	global_inv scope:SCOPE_SE
	ds_store_b64 v73, v[21:22]
	ds_store_b64 v74, v[23:24]
	;; [unrolled: 1-line block ×8, first 2 shown]
	s_wait_loadcnt_dscnt 0x0
	s_barrier_signal -1
	s_barrier_wait -1
	global_inv scope:SCOPE_SE
	ds_load_b128 v[29:32], v83
	ds_load_b128 v[25:28], v83 offset:16
	ds_load_b128 v[21:24], v83 offset:32
	;; [unrolled: 1-line block ×3, first 2 shown]
	v_cmp_lt_i16_e32 vcc_lo, -1, v33
	v_lshrrev_b32_e32 v0, 16, v33
	v_lshrrev_b32_e32 v38, 16, v34
	;; [unrolled: 1-line block ×4, first 2 shown]
	s_wait_alu 0xfffd
	v_cndmask_b32_e64 v37, 0xffff8000, -1, vcc_lo
	v_cmp_lt_i16_e32 vcc_lo, -1, v34
	s_wait_alu 0xfffd
	v_cndmask_b32_e64 v39, 0xffff8000, -1, vcc_lo
	v_cmp_lt_i16_e32 vcc_lo, -1, v35
	;; [unrolled: 3-line block ×5, first 2 shown]
	s_delay_alu instid0(VALU_DEP_2) | instskip(SKIP_3) | instid1(VALU_DEP_3)
	v_perm_b32 v0, v0, v37, 0x5040100
	s_wait_alu 0xfffd
	v_cndmask_b32_e64 v38, 0xffff8000, -1, vcc_lo
	v_cmp_lt_i16_e32 vcc_lo, -1, v40
	v_xor_b32_e32 v0, v0, v33
	s_delay_alu instid0(VALU_DEP_3) | instskip(SKIP_3) | instid1(VALU_DEP_3)
	v_perm_b32 v37, v38, v39, 0x5040100
	s_wait_alu 0xfffd
	v_cndmask_b32_e64 v40, 0xffff8000, -1, vcc_lo
	v_cmp_lt_i16_e32 vcc_lo, -1, v74
	v_xor_b32_e32 v34, v37, v34
	s_delay_alu instid0(VALU_DEP_3) | instskip(SKIP_2) | instid1(VALU_DEP_2)
	v_perm_b32 v38, v40, v73, 0x5040100
	s_wait_alu 0xfffd
	v_cndmask_b32_e64 v74, 0xffff8000, -1, vcc_lo
	v_xor_b32_e32 v33, v38, v35
	s_delay_alu instid0(VALU_DEP_2) | instskip(NEXT) | instid1(VALU_DEP_1)
	v_perm_b32 v39, v74, v75, 0x5040100
	v_xor_b32_e32 v35, v39, v36
	s_branch .LBB222_128
.LBB222_76:
	v_lshlrev_b64_e32 v[1:2], 3, v[41:42]
	v_dual_mov_b32 v43, v42 :: v_dual_mov_b32 v10, v42
	v_dual_mov_b32 v9, v42 :: v_dual_mov_b32 v12, v42
	v_mov_b32_e32 v11, v42
	s_delay_alu instid0(VALU_DEP_4)
	v_add_co_u32 v1, vcc_lo, s34, v1
	s_wait_alu 0xfffd
	v_add_co_ci_u32_e64 v2, null, s35, v2, vcc_lo
	v_dual_mov_b32 v3, v42 :: v_dual_mov_b32 v6, v42
	v_dual_mov_b32 v5, v42 :: v_dual_mov_b32 v8, v42
	global_load_b64 v[13:14], v[1:2], off
	v_dual_mov_b32 v1, v42 :: v_dual_mov_b32 v4, v42
	v_dual_mov_b32 v2, v42 :: v_dual_mov_b32 v7, v42
	s_wait_alu 0xfffe
	s_or_b32 exec_lo, exec_lo, s9
	s_and_saveexec_b32 s9, s1
	s_cbranch_execz .LBB222_22
.LBB222_77:
	v_mul_lo_u32 v22, s28, v15
	v_mov_b32_e32 v23, 0
	s_delay_alu instid0(VALU_DEP_1) | instskip(NEXT) | instid1(VALU_DEP_1)
	v_lshlrev_b64_e32 v[22:23], 3, v[22:23]
	v_add_co_u32 v22, vcc_lo, s34, v22
	s_wait_alu 0xfffd
	s_delay_alu instid0(VALU_DEP_2)
	v_add_co_ci_u32_e64 v23, null, s35, v23, vcc_lo
	global_load_b64 v[42:43], v[22:23], off
	s_wait_alu 0xfffe
	s_or_b32 exec_lo, exec_lo, s9
	s_and_saveexec_b32 s9, s2
	s_cbranch_execz .LBB222_23
.LBB222_78:
	v_mul_lo_u32 v9, s28, v16
	v_mov_b32_e32 v10, 0
	s_delay_alu instid0(VALU_DEP_1) | instskip(NEXT) | instid1(VALU_DEP_1)
	v_lshlrev_b64_e32 v[9:10], 3, v[9:10]
	v_add_co_u32 v9, vcc_lo, s34, v9
	s_wait_alu 0xfffd
	s_delay_alu instid0(VALU_DEP_2)
	v_add_co_ci_u32_e64 v10, null, s35, v10, vcc_lo
	global_load_b64 v[9:10], v[9:10], off
	s_wait_alu 0xfffe
	s_or_b32 exec_lo, exec_lo, s9
	s_and_saveexec_b32 s9, s3
	s_cbranch_execz .LBB222_24
.LBB222_79:
	v_mul_lo_u32 v11, s28, v17
	v_mov_b32_e32 v12, 0
	s_delay_alu instid0(VALU_DEP_1) | instskip(NEXT) | instid1(VALU_DEP_1)
	v_lshlrev_b64_e32 v[11:12], 3, v[11:12]
	v_add_co_u32 v11, vcc_lo, s34, v11
	s_wait_alu 0xfffd
	s_delay_alu instid0(VALU_DEP_2)
	v_add_co_ci_u32_e64 v12, null, s35, v12, vcc_lo
	global_load_b64 v[11:12], v[11:12], off
	s_wait_alu 0xfffe
	s_or_b32 exec_lo, exec_lo, s9
	s_and_saveexec_b32 s9, s4
	s_cbranch_execz .LBB222_25
.LBB222_80:
	v_mul_lo_u32 v1, s28, v18
	v_mov_b32_e32 v2, 0
	s_delay_alu instid0(VALU_DEP_1) | instskip(NEXT) | instid1(VALU_DEP_1)
	v_lshlrev_b64_e32 v[1:2], 3, v[1:2]
	v_add_co_u32 v1, vcc_lo, s34, v1
	s_wait_alu 0xfffd
	s_delay_alu instid0(VALU_DEP_2)
	v_add_co_ci_u32_e64 v2, null, s35, v2, vcc_lo
	global_load_b64 v[1:2], v[1:2], off
	s_wait_alu 0xfffe
	s_or_b32 exec_lo, exec_lo, s9
	s_and_saveexec_b32 s9, s5
	s_cbranch_execz .LBB222_26
.LBB222_81:
	v_mul_lo_u32 v3, s28, v19
	v_mov_b32_e32 v4, 0
	s_delay_alu instid0(VALU_DEP_1) | instskip(NEXT) | instid1(VALU_DEP_1)
	v_lshlrev_b64_e32 v[3:4], 3, v[3:4]
	v_add_co_u32 v3, vcc_lo, s34, v3
	s_wait_alu 0xfffd
	s_delay_alu instid0(VALU_DEP_2)
	v_add_co_ci_u32_e64 v4, null, s35, v4, vcc_lo
	global_load_b64 v[3:4], v[3:4], off
	s_wait_alu 0xfffe
	s_or_b32 exec_lo, exec_lo, s9
	s_and_saveexec_b32 s9, s6
	s_cbranch_execnz .LBB222_27
	s_branch .LBB222_28
.LBB222_82:
                                        ; implicit-def: $vgpr19_vgpr20
                                        ; implicit-def: $vgpr23_vgpr24
                                        ; implicit-def: $vgpr27_vgpr28
                                        ; implicit-def: $vgpr31_vgpr32
                                        ; implicit-def: $vgpr35
                                        ; implicit-def: $vgpr33
                                        ; implicit-def: $vgpr34
                                        ; implicit-def: $vgpr0
	s_cbranch_execz .LBB222_128
; %bb.83:
	v_lshrrev_b32_e32 v0, 16, v49
	v_cmp_gt_i16_e32 vcc_lo, 0, v49
	s_wait_dscnt 0x0
	v_lshrrev_b32_e32 v17, 16, v50
	v_lshrrev_b32_e32 v18, 16, v47
	;; [unrolled: 1-line block ×3, first 2 shown]
	v_or_b32_e32 v21, v69, v70
	s_wait_alu 0xfffd
	v_cndmask_b32_e64 v20, 0x7fff, 0, vcc_lo
	v_cmp_gt_i16_e32 vcc_lo, 0, v0
	v_and_or_b32 v36, 0x1f00, v66, v69
	s_mov_b32 s12, 0
	s_getpc_b64 s[8:9]
	s_wait_alu 0xfffe
	s_sext_i32_i16 s9, s9
	s_add_co_u32 s8, s8, _ZN7rocprim17ROCPRIM_400000_NS16block_radix_sortI6__halfLj128ELj8ElLj1ELj1ELj0ELNS0_26block_radix_rank_algorithmE1ELNS0_18block_padding_hintE2ELNS0_4arch9wavefront6targetE0EE19radix_bits_per_passE@rel32@lo+12
	s_wait_alu 0xfffe
	s_add_co_ci_u32 s9, s9, _ZN7rocprim17ROCPRIM_400000_NS16block_radix_sortI6__halfLj128ELj8ElLj1ELj1ELj0ELNS0_26block_radix_rank_algorithmE1ELNS0_18block_padding_hintE2ELNS0_4arch9wavefront6targetE0EE19radix_bits_per_passE@rel32@hi+24
	s_mov_b32 s13, s12
	s_wait_alu 0xfffd
	v_cndmask_b32_e64 v0, 0x7fff, 0, vcc_lo
	v_cmp_gt_i16_e32 vcc_lo, 0, v50
	s_mov_b32 s14, s12
	s_mov_b32 s15, s12
	v_lshlrev_b32_e32 v25, 1, v36
	v_perm_b32 v0, v0, v20, 0x5040100
	s_wait_alu 0xfffd
	v_cndmask_b32_e64 v22, 0x7fff, 0, vcc_lo
	v_cmp_gt_i16_e32 vcc_lo, 0, v17
	s_load_b32 s19, s[8:9], 0x0
	v_cndmask_b32_e64 v17, 0x7fff, 0, vcc_lo
	v_cmp_gt_i16_e32 vcc_lo, 0, v47
	s_delay_alu instid0(VALU_DEP_2)
	v_perm_b32 v20, v17, v22, 0x5040100
	s_wait_alu 0xfffd
	v_cndmask_b32_e64 v23, 0x7fff, 0, vcc_lo
	v_cmp_gt_i16_e32 vcc_lo, 0, v18
	v_xor_b32_e32 v17, v0, v49
	s_wait_alu 0xfffd
	v_cndmask_b32_e64 v18, 0x7fff, 0, vcc_lo
	v_cmp_gt_i16_e32 vcc_lo, 0, v48
	s_wait_kmcnt 0x0
	s_min_u32 s8, s19, 16
	s_delay_alu instid0(VALU_DEP_2)
	v_perm_b32 v22, v18, v23, 0x5040100
	s_wait_alu 0xfffd
	v_cndmask_b32_e64 v24, 0x7fff, 0, vcc_lo
	v_cmp_gt_i16_e32 vcc_lo, 0, v19
	v_lshlrev_b32_e32 v23, 4, v21
	v_xor_b32_e32 v18, v20, v50
	s_wait_alu 0xfffe
	s_lshl_b32 s8, -1, s8
	s_wait_alu 0xfffd
	v_cndmask_b32_e64 v19, 0x7fff, 0, vcc_lo
	s_wait_alu 0xfffe
	s_not_b32 s9, s8
	s_delay_alu instid0(VALU_DEP_1) | instskip(SKIP_1) | instid1(VALU_DEP_2)
	v_perm_b32 v24, v19, v24, 0x5040100
	v_xor_b32_e32 v19, v22, v47
	v_xor_b32_e32 v20, v24, v48
	ds_store_b128 v23, v[17:20]
	; wave barrier
	ds_load_u16 v26, v25
	ds_load_u16 v27, v25 offset:64
	ds_load_u16 v28, v25 offset:128
	;; [unrolled: 1-line block ×7, first 2 shown]
	s_wait_loadcnt_dscnt 0x0
	s_barrier_signal -1
	s_barrier_wait -1
	global_inv scope:SCOPE_SE
	v_cmp_ne_u16_e32 vcc_lo, 0x8000, v26
	s_wait_alu 0xfffd
	v_cndmask_b32_e32 v0, 0x7fff, v26, vcc_lo
	v_mad_u32_u24 v17, v21, 48, v23
	ds_store_b128 v17, v[13:16]
	ds_store_b128 v17, v[9:12] offset:16
	v_and_b32_e32 v0, 0xffff, v0
	ds_store_b128 v17, v[5:8] offset:32
	ds_store_b128 v17, v[1:4] offset:48
	v_mad_u32_u24 v12, v36, 6, v25
	; wave barrier
	s_wait_alu 0xfffe
	v_and_b32_e32 v23, s9, v0
	ds_load_2addr_b64 v[8:11], v12 offset1:32
	ds_load_2addr_b64 v[0:3], v12 offset0:64 offset1:96
	v_and_b32_e32 v4, 1, v23
	v_lshlrev_b32_e32 v18, 30, v23
	v_lshlrev_b32_e32 v19, 29, v23
	;; [unrolled: 1-line block ×3, first 2 shown]
	s_delay_alu instid0(VALU_DEP_4)
	v_add_co_u32 v16, s8, v4, -1
	s_wait_alu 0xf1ff
	v_cndmask_b32_e64 v17, 0, 1, s8
	ds_load_2addr_b64 v[4:7], v12 offset0:128 offset1:160
	ds_load_2addr_b64 v[12:15], v12 offset0:192 offset1:224
	s_wait_loadcnt_dscnt 0x0
	s_barrier_signal -1
	v_cmp_ne_u32_e32 vcc_lo, 0, v17
	v_not_b32_e32 v17, v18
	s_barrier_wait -1
	global_inv scope:SCOPE_SE
	s_load_b32 s8, s[36:37], 0xc
	v_xor_b32_e32 v16, vcc_lo, v16
	v_cmp_gt_i32_e32 vcc_lo, 0, v18
	v_ashrrev_i32_e32 v17, 31, v17
	v_not_b32_e32 v18, v19
	s_delay_alu instid0(VALU_DEP_4) | instskip(SKIP_1) | instid1(VALU_DEP_3)
	v_and_b32_e32 v16, exec_lo, v16
	s_wait_alu 0xfffd
	v_xor_b32_e32 v17, vcc_lo, v17
	v_cmp_gt_i32_e32 vcc_lo, 0, v19
	v_ashrrev_i32_e32 v18, 31, v18
	v_not_b32_e32 v19, v20
	s_delay_alu instid0(VALU_DEP_4)
	v_and_b32_e32 v16, v16, v17
	v_lshlrev_b32_e32 v17, 27, v23
	s_wait_alu 0xfffd
	v_xor_b32_e32 v18, vcc_lo, v18
	v_cmp_gt_i32_e32 vcc_lo, 0, v20
	v_ashrrev_i32_e32 v19, 31, v19
	v_not_b32_e32 v20, v17
	s_delay_alu instid0(VALU_DEP_4)
	v_and_b32_e32 v16, v16, v18
	v_lshlrev_b32_e32 v18, 26, v23
	s_wait_alu 0xfffd
	v_xor_b32_e32 v19, vcc_lo, v19
	v_cmp_gt_i32_e32 vcc_lo, 0, v17
	v_ashrrev_i32_e32 v17, 31, v20
	s_wait_kmcnt 0x0
	s_lshr_b32 s10, s8, 16
	v_not_b32_e32 v20, v18
	v_and_b32_e32 v16, v16, v19
	v_lshlrev_b32_e32 v19, 25, v23
	s_wait_alu 0xfffd
	v_xor_b32_e32 v17, vcc_lo, v17
	v_cmp_gt_i32_e32 vcc_lo, 0, v18
	v_ashrrev_i32_e32 v18, 31, v20
	v_mad_u32_u24 v21, v72, s10, v71
	v_not_b32_e32 v20, v19
	v_and_b32_e32 v16, v16, v17
	v_lshlrev_b32_e32 v17, 24, v23
	s_wait_alu 0xfffd
	v_xor_b32_e32 v18, vcc_lo, v18
	v_cmp_gt_i32_e32 vcc_lo, 0, v19
	v_ashrrev_i32_e32 v19, 31, v20
	s_and_b32 s8, s8, 0xffff
	v_not_b32_e32 v20, v17
	v_and_b32_e32 v16, v16, v18
	s_wait_alu 0xfffe
	v_mad_co_u64_u32 v[21:22], null, v21, s8, v[46:47]
	s_wait_alu 0xfffd
	v_xor_b32_e32 v18, vcc_lo, v19
	v_cmp_gt_i32_e32 vcc_lo, 0, v17
	v_ashrrev_i32_e32 v17, 31, v20
	s_delay_alu instid0(VALU_DEP_3) | instskip(SKIP_2) | instid1(VALU_DEP_3)
	v_and_b32_e32 v16, v16, v18
	v_lshrrev_b32_e32 v21, 5, v21
	s_wait_alu 0xfffd
	v_xor_b32_e32 v22, vcc_lo, v17
	v_dual_mov_b32 v20, s15 :: v_dual_mov_b32 v19, s14
	v_dual_mov_b32 v18, s13 :: v_dual_mov_b32 v17, s12
	s_delay_alu instid0(VALU_DEP_3)
	v_and_b32_e32 v16, v16, v22
	ds_store_b128 v67, v[17:20] offset:16
	ds_store_b128 v67, v[17:20] offset:32
	v_mbcnt_lo_u32_b32 v38, v16, 0
	v_lshlrev_b32_e32 v24, 2, v21
	v_lshlrev_b32_e32 v17, 4, v23
	v_cmp_ne_u32_e64 s8, 0, v16
	s_wait_loadcnt_dscnt 0x0
	v_cmp_eq_u32_e32 vcc_lo, 0, v38
	s_barrier_signal -1
	v_add_nc_u32_e32 v39, v24, v17
	s_barrier_wait -1
	global_inv scope:SCOPE_SE
	s_and_b32 s10, s8, vcc_lo
	; wave barrier
	s_wait_alu 0xfffe
	s_and_saveexec_b32 s8, s10
; %bb.84:
	v_bcnt_u32_b32 v16, v16, 0
	ds_store_b32 v39, v16 offset:16
; %bb.85:
	s_wait_alu 0xfffe
	s_or_b32 exec_lo, exec_lo, s8
	v_cmp_ne_u16_e32 vcc_lo, 0x8000, v27
	; wave barrier
	s_wait_alu 0xfffd
	v_cndmask_b32_e32 v16, 0x7fff, v27, vcc_lo
	s_delay_alu instid0(VALU_DEP_1) | instskip(NEXT) | instid1(VALU_DEP_1)
	v_and_b32_e32 v16, 0xffff, v16
	v_and_b32_e32 v16, s9, v16
	s_delay_alu instid0(VALU_DEP_1)
	v_and_b32_e32 v17, 1, v16
	v_lshlrev_b32_e32 v18, 30, v16
	v_lshlrev_b32_e32 v19, 29, v16
	;; [unrolled: 1-line block ×4, first 2 shown]
	v_add_co_u32 v17, s8, v17, -1
	s_wait_alu 0xf1ff
	v_cndmask_b32_e64 v21, 0, 1, s8
	v_not_b32_e32 v35, v18
	v_cmp_gt_i32_e64 s8, 0, v18
	v_not_b32_e32 v18, v19
	v_lshlrev_b32_e32 v23, 26, v16
	v_cmp_ne_u32_e32 vcc_lo, 0, v21
	v_ashrrev_i32_e32 v35, 31, v35
	v_lshlrev_b32_e32 v34, 25, v16
	v_ashrrev_i32_e32 v18, 31, v18
	v_lshlrev_b32_e32 v21, 24, v16
	s_wait_alu 0xfffd
	v_xor_b32_e32 v17, vcc_lo, v17
	v_cmp_gt_i32_e32 vcc_lo, 0, v19
	v_not_b32_e32 v19, v20
	s_wait_alu 0xf1ff
	v_xor_b32_e32 v35, s8, v35
	v_cmp_gt_i32_e64 s8, 0, v20
	v_and_b32_e32 v17, exec_lo, v17
	v_not_b32_e32 v20, v22
	v_ashrrev_i32_e32 v19, 31, v19
	s_wait_alu 0xfffd
	v_xor_b32_e32 v18, vcc_lo, v18
	v_cmp_gt_i32_e32 vcc_lo, 0, v22
	v_and_b32_e32 v17, v17, v35
	v_not_b32_e32 v22, v23
	v_ashrrev_i32_e32 v20, 31, v20
	s_wait_alu 0xf1ff
	v_xor_b32_e32 v19, s8, v19
	v_cmp_gt_i32_e64 s8, 0, v23
	v_and_b32_e32 v17, v17, v18
	v_not_b32_e32 v18, v34
	v_ashrrev_i32_e32 v22, 31, v22
	s_wait_alu 0xfffd
	v_xor_b32_e32 v20, vcc_lo, v20
	v_cmp_gt_i32_e32 vcc_lo, 0, v34
	v_and_b32_e32 v17, v17, v19
	v_not_b32_e32 v19, v21
	v_ashrrev_i32_e32 v18, 31, v18
	s_wait_alu 0xf1ff
	v_xor_b32_e32 v22, s8, v22
	v_lshlrev_b32_e32 v16, 4, v16
	v_and_b32_e32 v17, v17, v20
	v_cmp_gt_i32_e64 s8, 0, v21
	v_ashrrev_i32_e32 v19, 31, v19
	s_wait_alu 0xfffd
	v_xor_b32_e32 v18, vcc_lo, v18
	v_add_nc_u32_e32 v48, v24, v16
	v_and_b32_e32 v17, v17, v22
	s_wait_alu 0xf1ff
	v_xor_b32_e32 v16, s8, v19
	ds_load_b32 v40, v48 offset:16
	v_and_b32_e32 v17, v17, v18
	; wave barrier
	s_delay_alu instid0(VALU_DEP_1) | instskip(NEXT) | instid1(VALU_DEP_1)
	v_and_b32_e32 v16, v17, v16
	v_mbcnt_lo_u32_b32 v47, v16, 0
	v_cmp_ne_u32_e64 s8, 0, v16
	s_delay_alu instid0(VALU_DEP_2)
	v_cmp_eq_u32_e32 vcc_lo, 0, v47
	s_and_b32 s10, s8, vcc_lo
	s_wait_alu 0xfffe
	s_and_saveexec_b32 s8, s10
	s_cbranch_execz .LBB222_87
; %bb.86:
	s_wait_dscnt 0x0
	v_bcnt_u32_b32 v16, v16, v40
	ds_store_b32 v48, v16 offset:16
.LBB222_87:
	s_wait_alu 0xfffe
	s_or_b32 exec_lo, exec_lo, s8
	v_cmp_ne_u16_e32 vcc_lo, 0x8000, v28
	; wave barrier
	s_wait_alu 0xfffd
	v_cndmask_b32_e32 v16, 0x7fff, v28, vcc_lo
	s_delay_alu instid0(VALU_DEP_1) | instskip(NEXT) | instid1(VALU_DEP_1)
	v_and_b32_e32 v16, 0xffff, v16
	v_and_b32_e32 v16, s9, v16
	s_delay_alu instid0(VALU_DEP_1)
	v_and_b32_e32 v17, 1, v16
	v_lshlrev_b32_e32 v18, 30, v16
	v_lshlrev_b32_e32 v19, 29, v16
	;; [unrolled: 1-line block ×4, first 2 shown]
	v_add_co_u32 v17, s8, v17, -1
	s_wait_alu 0xf1ff
	v_cndmask_b32_e64 v21, 0, 1, s8
	v_not_b32_e32 v35, v18
	v_cmp_gt_i32_e64 s8, 0, v18
	v_not_b32_e32 v18, v19
	v_lshlrev_b32_e32 v23, 26, v16
	v_cmp_ne_u32_e32 vcc_lo, 0, v21
	v_ashrrev_i32_e32 v35, 31, v35
	v_lshlrev_b32_e32 v34, 25, v16
	v_ashrrev_i32_e32 v18, 31, v18
	v_lshlrev_b32_e32 v21, 24, v16
	s_wait_alu 0xfffd
	v_xor_b32_e32 v17, vcc_lo, v17
	v_cmp_gt_i32_e32 vcc_lo, 0, v19
	v_not_b32_e32 v19, v20
	s_wait_alu 0xf1ff
	v_xor_b32_e32 v35, s8, v35
	v_cmp_gt_i32_e64 s8, 0, v20
	v_and_b32_e32 v17, exec_lo, v17
	v_not_b32_e32 v20, v22
	v_ashrrev_i32_e32 v19, 31, v19
	s_wait_alu 0xfffd
	v_xor_b32_e32 v18, vcc_lo, v18
	v_cmp_gt_i32_e32 vcc_lo, 0, v22
	v_and_b32_e32 v17, v17, v35
	v_not_b32_e32 v22, v23
	v_ashrrev_i32_e32 v20, 31, v20
	s_wait_alu 0xf1ff
	v_xor_b32_e32 v19, s8, v19
	v_cmp_gt_i32_e64 s8, 0, v23
	v_and_b32_e32 v17, v17, v18
	v_not_b32_e32 v18, v34
	v_ashrrev_i32_e32 v22, 31, v22
	s_wait_alu 0xfffd
	v_xor_b32_e32 v20, vcc_lo, v20
	v_cmp_gt_i32_e32 vcc_lo, 0, v34
	v_and_b32_e32 v17, v17, v19
	v_not_b32_e32 v19, v21
	v_ashrrev_i32_e32 v18, 31, v18
	s_wait_alu 0xf1ff
	v_xor_b32_e32 v22, s8, v22
	v_lshlrev_b32_e32 v16, 4, v16
	v_and_b32_e32 v17, v17, v20
	v_cmp_gt_i32_e64 s8, 0, v21
	v_ashrrev_i32_e32 v19, 31, v19
	s_wait_alu 0xfffd
	v_xor_b32_e32 v18, vcc_lo, v18
	v_add_nc_u32_e32 v71, v24, v16
	v_and_b32_e32 v17, v17, v22
	s_wait_alu 0xf1ff
	v_xor_b32_e32 v16, s8, v19
	ds_load_b32 v49, v71 offset:16
	v_and_b32_e32 v17, v17, v18
	; wave barrier
	s_delay_alu instid0(VALU_DEP_1) | instskip(NEXT) | instid1(VALU_DEP_1)
	v_and_b32_e32 v16, v17, v16
	v_mbcnt_lo_u32_b32 v50, v16, 0
	v_cmp_ne_u32_e64 s8, 0, v16
	s_delay_alu instid0(VALU_DEP_2)
	v_cmp_eq_u32_e32 vcc_lo, 0, v50
	s_and_b32 s10, s8, vcc_lo
	s_wait_alu 0xfffe
	s_and_saveexec_b32 s8, s10
	s_cbranch_execz .LBB222_89
; %bb.88:
	s_wait_dscnt 0x0
	v_bcnt_u32_b32 v16, v16, v49
	ds_store_b32 v71, v16 offset:16
.LBB222_89:
	s_wait_alu 0xfffe
	s_or_b32 exec_lo, exec_lo, s8
	v_cmp_ne_u16_e32 vcc_lo, 0x8000, v29
	; wave barrier
	s_wait_alu 0xfffd
	v_cndmask_b32_e32 v16, 0x7fff, v29, vcc_lo
	s_delay_alu instid0(VALU_DEP_1) | instskip(NEXT) | instid1(VALU_DEP_1)
	v_and_b32_e32 v16, 0xffff, v16
	v_and_b32_e32 v16, s9, v16
	s_delay_alu instid0(VALU_DEP_1)
	v_and_b32_e32 v17, 1, v16
	v_lshlrev_b32_e32 v18, 30, v16
	v_lshlrev_b32_e32 v19, 29, v16
	v_lshlrev_b32_e32 v20, 28, v16
	v_lshlrev_b32_e32 v22, 27, v16
	v_add_co_u32 v17, s8, v17, -1
	s_wait_alu 0xf1ff
	v_cndmask_b32_e64 v21, 0, 1, s8
	v_not_b32_e32 v35, v18
	v_cmp_gt_i32_e64 s8, 0, v18
	v_not_b32_e32 v18, v19
	v_lshlrev_b32_e32 v23, 26, v16
	v_cmp_ne_u32_e32 vcc_lo, 0, v21
	v_ashrrev_i32_e32 v35, 31, v35
	v_lshlrev_b32_e32 v34, 25, v16
	v_ashrrev_i32_e32 v18, 31, v18
	v_lshlrev_b32_e32 v21, 24, v16
	s_wait_alu 0xfffd
	v_xor_b32_e32 v17, vcc_lo, v17
	v_cmp_gt_i32_e32 vcc_lo, 0, v19
	v_not_b32_e32 v19, v20
	s_wait_alu 0xf1ff
	v_xor_b32_e32 v35, s8, v35
	v_cmp_gt_i32_e64 s8, 0, v20
	v_and_b32_e32 v17, exec_lo, v17
	v_not_b32_e32 v20, v22
	v_ashrrev_i32_e32 v19, 31, v19
	s_wait_alu 0xfffd
	v_xor_b32_e32 v18, vcc_lo, v18
	v_cmp_gt_i32_e32 vcc_lo, 0, v22
	v_and_b32_e32 v17, v17, v35
	v_not_b32_e32 v22, v23
	v_ashrrev_i32_e32 v20, 31, v20
	s_wait_alu 0xf1ff
	v_xor_b32_e32 v19, s8, v19
	v_cmp_gt_i32_e64 s8, 0, v23
	v_and_b32_e32 v17, v17, v18
	v_not_b32_e32 v18, v34
	v_ashrrev_i32_e32 v22, 31, v22
	s_wait_alu 0xfffd
	v_xor_b32_e32 v20, vcc_lo, v20
	v_cmp_gt_i32_e32 vcc_lo, 0, v34
	v_and_b32_e32 v17, v17, v19
	v_not_b32_e32 v19, v21
	v_ashrrev_i32_e32 v18, 31, v18
	s_wait_alu 0xf1ff
	v_xor_b32_e32 v22, s8, v22
	v_lshlrev_b32_e32 v16, 4, v16
	v_and_b32_e32 v17, v17, v20
	v_cmp_gt_i32_e64 s8, 0, v21
	v_ashrrev_i32_e32 v19, 31, v19
	s_wait_alu 0xfffd
	v_xor_b32_e32 v18, vcc_lo, v18
	v_add_nc_u32_e32 v74, v24, v16
	v_and_b32_e32 v17, v17, v22
	s_wait_alu 0xf1ff
	v_xor_b32_e32 v16, s8, v19
	ds_load_b32 v72, v74 offset:16
	v_and_b32_e32 v17, v17, v18
	; wave barrier
	s_delay_alu instid0(VALU_DEP_1) | instskip(NEXT) | instid1(VALU_DEP_1)
	v_and_b32_e32 v16, v17, v16
	v_mbcnt_lo_u32_b32 v73, v16, 0
	v_cmp_ne_u32_e64 s8, 0, v16
	s_delay_alu instid0(VALU_DEP_2)
	v_cmp_eq_u32_e32 vcc_lo, 0, v73
	s_and_b32 s10, s8, vcc_lo
	s_wait_alu 0xfffe
	s_and_saveexec_b32 s8, s10
	s_cbranch_execz .LBB222_91
; %bb.90:
	s_wait_dscnt 0x0
	v_bcnt_u32_b32 v16, v16, v72
	ds_store_b32 v74, v16 offset:16
.LBB222_91:
	s_wait_alu 0xfffe
	s_or_b32 exec_lo, exec_lo, s8
	v_cmp_ne_u16_e32 vcc_lo, 0x8000, v30
	; wave barrier
	s_wait_alu 0xfffd
	v_cndmask_b32_e32 v16, 0x7fff, v30, vcc_lo
	s_delay_alu instid0(VALU_DEP_1) | instskip(NEXT) | instid1(VALU_DEP_1)
	v_and_b32_e32 v16, 0xffff, v16
	v_and_b32_e32 v16, s9, v16
	s_delay_alu instid0(VALU_DEP_1)
	v_and_b32_e32 v17, 1, v16
	v_lshlrev_b32_e32 v18, 30, v16
	v_lshlrev_b32_e32 v19, 29, v16
	;; [unrolled: 1-line block ×4, first 2 shown]
	v_add_co_u32 v17, s8, v17, -1
	s_wait_alu 0xf1ff
	v_cndmask_b32_e64 v21, 0, 1, s8
	v_not_b32_e32 v35, v18
	v_cmp_gt_i32_e64 s8, 0, v18
	v_not_b32_e32 v18, v19
	v_lshlrev_b32_e32 v23, 26, v16
	v_cmp_ne_u32_e32 vcc_lo, 0, v21
	v_ashrrev_i32_e32 v35, 31, v35
	v_lshlrev_b32_e32 v34, 25, v16
	v_ashrrev_i32_e32 v18, 31, v18
	v_lshlrev_b32_e32 v21, 24, v16
	s_wait_alu 0xfffd
	v_xor_b32_e32 v17, vcc_lo, v17
	v_cmp_gt_i32_e32 vcc_lo, 0, v19
	v_not_b32_e32 v19, v20
	s_wait_alu 0xf1ff
	v_xor_b32_e32 v35, s8, v35
	v_cmp_gt_i32_e64 s8, 0, v20
	v_and_b32_e32 v17, exec_lo, v17
	v_not_b32_e32 v20, v22
	v_ashrrev_i32_e32 v19, 31, v19
	s_wait_alu 0xfffd
	v_xor_b32_e32 v18, vcc_lo, v18
	v_cmp_gt_i32_e32 vcc_lo, 0, v22
	v_and_b32_e32 v17, v17, v35
	v_not_b32_e32 v22, v23
	v_ashrrev_i32_e32 v20, 31, v20
	s_wait_alu 0xf1ff
	v_xor_b32_e32 v19, s8, v19
	v_cmp_gt_i32_e64 s8, 0, v23
	v_and_b32_e32 v17, v17, v18
	v_not_b32_e32 v18, v34
	v_ashrrev_i32_e32 v22, 31, v22
	s_wait_alu 0xfffd
	v_xor_b32_e32 v20, vcc_lo, v20
	v_cmp_gt_i32_e32 vcc_lo, 0, v34
	v_and_b32_e32 v17, v17, v19
	v_not_b32_e32 v19, v21
	v_ashrrev_i32_e32 v18, 31, v18
	s_wait_alu 0xf1ff
	v_xor_b32_e32 v22, s8, v22
	v_lshlrev_b32_e32 v16, 4, v16
	v_and_b32_e32 v17, v17, v20
	v_cmp_gt_i32_e64 s8, 0, v21
	v_ashrrev_i32_e32 v19, 31, v19
	s_wait_alu 0xfffd
	v_xor_b32_e32 v18, vcc_lo, v18
	v_add_nc_u32_e32 v77, v24, v16
	v_and_b32_e32 v17, v17, v22
	s_wait_alu 0xf1ff
	v_xor_b32_e32 v16, s8, v19
	ds_load_b32 v75, v77 offset:16
	v_and_b32_e32 v17, v17, v18
	; wave barrier
	s_delay_alu instid0(VALU_DEP_1) | instskip(NEXT) | instid1(VALU_DEP_1)
	v_and_b32_e32 v16, v17, v16
	v_mbcnt_lo_u32_b32 v76, v16, 0
	v_cmp_ne_u32_e64 s8, 0, v16
	s_delay_alu instid0(VALU_DEP_2)
	v_cmp_eq_u32_e32 vcc_lo, 0, v76
	s_and_b32 s10, s8, vcc_lo
	s_wait_alu 0xfffe
	s_and_saveexec_b32 s8, s10
	s_cbranch_execz .LBB222_93
; %bb.92:
	s_wait_dscnt 0x0
	v_bcnt_u32_b32 v16, v16, v75
	ds_store_b32 v77, v16 offset:16
.LBB222_93:
	s_wait_alu 0xfffe
	s_or_b32 exec_lo, exec_lo, s8
	v_cmp_ne_u16_e32 vcc_lo, 0x8000, v31
	; wave barrier
	s_wait_alu 0xfffd
	v_cndmask_b32_e32 v16, 0x7fff, v31, vcc_lo
	s_delay_alu instid0(VALU_DEP_1) | instskip(NEXT) | instid1(VALU_DEP_1)
	v_and_b32_e32 v16, 0xffff, v16
	v_and_b32_e32 v16, s9, v16
	s_delay_alu instid0(VALU_DEP_1)
	v_and_b32_e32 v17, 1, v16
	v_lshlrev_b32_e32 v18, 30, v16
	v_lshlrev_b32_e32 v19, 29, v16
	;; [unrolled: 1-line block ×4, first 2 shown]
	v_add_co_u32 v17, s8, v17, -1
	s_wait_alu 0xf1ff
	v_cndmask_b32_e64 v21, 0, 1, s8
	v_not_b32_e32 v35, v18
	v_cmp_gt_i32_e64 s8, 0, v18
	v_not_b32_e32 v18, v19
	v_lshlrev_b32_e32 v23, 26, v16
	v_cmp_ne_u32_e32 vcc_lo, 0, v21
	v_ashrrev_i32_e32 v35, 31, v35
	v_lshlrev_b32_e32 v34, 25, v16
	v_ashrrev_i32_e32 v18, 31, v18
	v_lshlrev_b32_e32 v21, 24, v16
	s_wait_alu 0xfffd
	v_xor_b32_e32 v17, vcc_lo, v17
	v_cmp_gt_i32_e32 vcc_lo, 0, v19
	v_not_b32_e32 v19, v20
	s_wait_alu 0xf1ff
	v_xor_b32_e32 v35, s8, v35
	v_cmp_gt_i32_e64 s8, 0, v20
	v_and_b32_e32 v17, exec_lo, v17
	v_not_b32_e32 v20, v22
	v_ashrrev_i32_e32 v19, 31, v19
	s_wait_alu 0xfffd
	v_xor_b32_e32 v18, vcc_lo, v18
	v_cmp_gt_i32_e32 vcc_lo, 0, v22
	v_and_b32_e32 v17, v17, v35
	v_not_b32_e32 v22, v23
	v_ashrrev_i32_e32 v20, 31, v20
	s_wait_alu 0xf1ff
	v_xor_b32_e32 v19, s8, v19
	v_cmp_gt_i32_e64 s8, 0, v23
	v_and_b32_e32 v17, v17, v18
	v_not_b32_e32 v18, v34
	v_ashrrev_i32_e32 v22, 31, v22
	s_wait_alu 0xfffd
	v_xor_b32_e32 v20, vcc_lo, v20
	v_cmp_gt_i32_e32 vcc_lo, 0, v34
	v_and_b32_e32 v17, v17, v19
	v_not_b32_e32 v19, v21
	v_ashrrev_i32_e32 v18, 31, v18
	s_wait_alu 0xf1ff
	v_xor_b32_e32 v22, s8, v22
	v_lshlrev_b32_e32 v16, 4, v16
	v_and_b32_e32 v17, v17, v20
	v_cmp_gt_i32_e64 s8, 0, v21
	v_ashrrev_i32_e32 v19, 31, v19
	s_wait_alu 0xfffd
	v_xor_b32_e32 v18, vcc_lo, v18
	v_add_nc_u32_e32 v80, v24, v16
	v_and_b32_e32 v17, v17, v22
	s_wait_alu 0xf1ff
	v_xor_b32_e32 v16, s8, v19
	ds_load_b32 v78, v80 offset:16
	v_and_b32_e32 v17, v17, v18
	; wave barrier
	s_delay_alu instid0(VALU_DEP_1) | instskip(NEXT) | instid1(VALU_DEP_1)
	v_and_b32_e32 v16, v17, v16
	v_mbcnt_lo_u32_b32 v79, v16, 0
	v_cmp_ne_u32_e64 s8, 0, v16
	s_delay_alu instid0(VALU_DEP_2)
	v_cmp_eq_u32_e32 vcc_lo, 0, v79
	s_and_b32 s10, s8, vcc_lo
	s_wait_alu 0xfffe
	s_and_saveexec_b32 s8, s10
	s_cbranch_execz .LBB222_95
; %bb.94:
	s_wait_dscnt 0x0
	v_bcnt_u32_b32 v16, v16, v78
	ds_store_b32 v80, v16 offset:16
.LBB222_95:
	s_wait_alu 0xfffe
	s_or_b32 exec_lo, exec_lo, s8
	v_cmp_ne_u16_e32 vcc_lo, 0x8000, v32
	; wave barrier
	s_wait_alu 0xfffd
	v_cndmask_b32_e32 v16, 0x7fff, v32, vcc_lo
	s_delay_alu instid0(VALU_DEP_1) | instskip(NEXT) | instid1(VALU_DEP_1)
	v_and_b32_e32 v16, 0xffff, v16
	v_and_b32_e32 v16, s9, v16
	s_delay_alu instid0(VALU_DEP_1)
	v_and_b32_e32 v17, 1, v16
	v_lshlrev_b32_e32 v18, 30, v16
	v_lshlrev_b32_e32 v19, 29, v16
	;; [unrolled: 1-line block ×4, first 2 shown]
	v_add_co_u32 v17, s8, v17, -1
	s_wait_alu 0xf1ff
	v_cndmask_b32_e64 v21, 0, 1, s8
	v_not_b32_e32 v35, v18
	v_cmp_gt_i32_e64 s8, 0, v18
	v_not_b32_e32 v18, v19
	v_lshlrev_b32_e32 v23, 26, v16
	v_cmp_ne_u32_e32 vcc_lo, 0, v21
	v_ashrrev_i32_e32 v35, 31, v35
	v_lshlrev_b32_e32 v34, 25, v16
	v_ashrrev_i32_e32 v18, 31, v18
	v_lshlrev_b32_e32 v21, 24, v16
	s_wait_alu 0xfffd
	v_xor_b32_e32 v17, vcc_lo, v17
	v_cmp_gt_i32_e32 vcc_lo, 0, v19
	v_not_b32_e32 v19, v20
	s_wait_alu 0xf1ff
	v_xor_b32_e32 v35, s8, v35
	v_cmp_gt_i32_e64 s8, 0, v20
	v_and_b32_e32 v17, exec_lo, v17
	v_not_b32_e32 v20, v22
	v_ashrrev_i32_e32 v19, 31, v19
	s_wait_alu 0xfffd
	v_xor_b32_e32 v18, vcc_lo, v18
	v_cmp_gt_i32_e32 vcc_lo, 0, v22
	v_and_b32_e32 v17, v17, v35
	v_not_b32_e32 v22, v23
	v_ashrrev_i32_e32 v20, 31, v20
	s_wait_alu 0xf1ff
	v_xor_b32_e32 v19, s8, v19
	v_cmp_gt_i32_e64 s8, 0, v23
	v_and_b32_e32 v17, v17, v18
	v_not_b32_e32 v18, v34
	v_ashrrev_i32_e32 v22, 31, v22
	s_wait_alu 0xfffd
	v_xor_b32_e32 v20, vcc_lo, v20
	v_cmp_gt_i32_e32 vcc_lo, 0, v34
	v_and_b32_e32 v17, v17, v19
	v_not_b32_e32 v19, v21
	v_ashrrev_i32_e32 v18, 31, v18
	s_wait_alu 0xf1ff
	v_xor_b32_e32 v22, s8, v22
	v_lshlrev_b32_e32 v16, 4, v16
	v_and_b32_e32 v17, v17, v20
	v_cmp_gt_i32_e64 s8, 0, v21
	v_ashrrev_i32_e32 v19, 31, v19
	s_wait_alu 0xfffd
	v_xor_b32_e32 v18, vcc_lo, v18
	v_add_nc_u32_e32 v83, v24, v16
	v_and_b32_e32 v17, v17, v22
	s_wait_alu 0xf1ff
	v_xor_b32_e32 v16, s8, v19
	ds_load_b32 v81, v83 offset:16
	v_and_b32_e32 v17, v17, v18
	; wave barrier
	s_delay_alu instid0(VALU_DEP_1) | instskip(NEXT) | instid1(VALU_DEP_1)
	v_and_b32_e32 v16, v17, v16
	v_mbcnt_lo_u32_b32 v82, v16, 0
	v_cmp_ne_u32_e64 s8, 0, v16
	s_delay_alu instid0(VALU_DEP_2)
	v_cmp_eq_u32_e32 vcc_lo, 0, v82
	s_and_b32 s10, s8, vcc_lo
	s_wait_alu 0xfffe
	s_and_saveexec_b32 s8, s10
	s_cbranch_execz .LBB222_97
; %bb.96:
	s_wait_dscnt 0x0
	v_bcnt_u32_b32 v16, v16, v81
	ds_store_b32 v83, v16 offset:16
.LBB222_97:
	s_wait_alu 0xfffe
	s_or_b32 exec_lo, exec_lo, s8
	v_cmp_ne_u16_e32 vcc_lo, 0x8000, v33
	; wave barrier
	s_wait_alu 0xfffd
	v_cndmask_b32_e32 v16, 0x7fff, v33, vcc_lo
	s_delay_alu instid0(VALU_DEP_1) | instskip(NEXT) | instid1(VALU_DEP_1)
	v_and_b32_e32 v16, 0xffff, v16
	v_and_b32_e32 v16, s9, v16
	s_delay_alu instid0(VALU_DEP_1)
	v_and_b32_e32 v17, 1, v16
	v_lshlrev_b32_e32 v18, 30, v16
	v_lshlrev_b32_e32 v19, 29, v16
	;; [unrolled: 1-line block ×4, first 2 shown]
	v_add_co_u32 v17, s8, v17, -1
	s_wait_alu 0xf1ff
	v_cndmask_b32_e64 v21, 0, 1, s8
	v_not_b32_e32 v35, v18
	v_cmp_gt_i32_e64 s8, 0, v18
	v_not_b32_e32 v18, v19
	v_lshlrev_b32_e32 v23, 26, v16
	v_cmp_ne_u32_e32 vcc_lo, 0, v21
	v_ashrrev_i32_e32 v35, 31, v35
	v_lshlrev_b32_e32 v34, 25, v16
	v_ashrrev_i32_e32 v18, 31, v18
	v_lshlrev_b32_e32 v21, 24, v16
	s_wait_alu 0xfffd
	v_xor_b32_e32 v17, vcc_lo, v17
	v_cmp_gt_i32_e32 vcc_lo, 0, v19
	v_not_b32_e32 v19, v20
	s_wait_alu 0xf1ff
	v_xor_b32_e32 v35, s8, v35
	v_cmp_gt_i32_e64 s8, 0, v20
	v_and_b32_e32 v17, exec_lo, v17
	v_not_b32_e32 v20, v22
	v_ashrrev_i32_e32 v19, 31, v19
	s_wait_alu 0xfffd
	v_xor_b32_e32 v18, vcc_lo, v18
	v_cmp_gt_i32_e32 vcc_lo, 0, v22
	v_and_b32_e32 v17, v17, v35
	v_not_b32_e32 v22, v23
	v_ashrrev_i32_e32 v20, 31, v20
	s_wait_alu 0xf1ff
	v_xor_b32_e32 v19, s8, v19
	v_cmp_gt_i32_e64 s8, 0, v23
	v_and_b32_e32 v17, v17, v18
	v_not_b32_e32 v18, v34
	v_ashrrev_i32_e32 v22, 31, v22
	s_wait_alu 0xfffd
	v_xor_b32_e32 v20, vcc_lo, v20
	v_cmp_gt_i32_e32 vcc_lo, 0, v34
	v_and_b32_e32 v17, v17, v19
	v_not_b32_e32 v19, v21
	v_ashrrev_i32_e32 v18, 31, v18
	s_wait_alu 0xf1ff
	v_xor_b32_e32 v22, s8, v22
	v_lshlrev_b32_e32 v16, 4, v16
	v_and_b32_e32 v17, v17, v20
	v_cmp_gt_i32_e64 s8, 0, v21
	v_ashrrev_i32_e32 v19, 31, v19
	s_wait_alu 0xfffd
	v_xor_b32_e32 v18, vcc_lo, v18
	v_add_nc_u32_e32 v86, v24, v16
	v_and_b32_e32 v17, v17, v22
	v_min_u32_e32 v34, 0x60, v70
	s_wait_alu 0xf1ff
	v_xor_b32_e32 v16, s8, v19
	ds_load_b32 v84, v86 offset:16
	v_and_b32_e32 v17, v17, v18
	; wave barrier
	s_delay_alu instid0(VALU_DEP_1) | instskip(NEXT) | instid1(VALU_DEP_1)
	v_and_b32_e32 v16, v17, v16
	v_mbcnt_lo_u32_b32 v85, v16, 0
	v_cmp_ne_u32_e64 s8, 0, v16
	s_delay_alu instid0(VALU_DEP_2)
	v_cmp_eq_u32_e32 vcc_lo, 0, v85
	s_and_b32 s9, s8, vcc_lo
	s_wait_alu 0xfffe
	s_and_saveexec_b32 s8, s9
	s_cbranch_execz .LBB222_99
; %bb.98:
	s_wait_dscnt 0x0
	v_bcnt_u32_b32 v16, v16, v84
	ds_store_b32 v86, v16 offset:16
.LBB222_99:
	s_wait_alu 0xfffe
	s_or_b32 exec_lo, exec_lo, s8
	; wave barrier
	s_wait_loadcnt_dscnt 0x0
	s_barrier_signal -1
	s_barrier_wait -1
	global_inv scope:SCOPE_SE
	ds_load_b128 v[20:23], v67 offset:16
	ds_load_b128 v[16:19], v67 offset:32
	v_and_b32_e32 v70, 16, v69
	v_or_b32_e32 v34, 31, v34
	s_delay_alu instid0(VALU_DEP_2) | instskip(NEXT) | instid1(VALU_DEP_2)
	v_cmp_eq_u32_e64 s16, 0, v70
	v_cmp_eq_u32_e64 s14, v46, v34
	v_lshlrev_b32_e32 v34, 2, v68
	s_wait_dscnt 0x1
	v_add_nc_u32_e32 v35, v21, v20
	s_delay_alu instid0(VALU_DEP_1) | instskip(SKIP_1) | instid1(VALU_DEP_1)
	v_add3_u32 v35, v35, v22, v23
	s_wait_dscnt 0x0
	v_add3_u32 v35, v35, v16, v17
	s_delay_alu instid0(VALU_DEP_1) | instskip(SKIP_1) | instid1(VALU_DEP_2)
	v_add3_u32 v19, v35, v18, v19
	v_and_b32_e32 v35, 15, v69
	v_mov_b32_dpp v37, v19 row_shr:1 row_mask:0xf bank_mask:0xf
	s_delay_alu instid0(VALU_DEP_2)
	v_cmp_eq_u32_e64 s8, 0, v35
	v_cmp_lt_u32_e64 s10, 1, v35
	v_cmp_lt_u32_e64 s11, 3, v35
	;; [unrolled: 1-line block ×3, first 2 shown]
	s_wait_alu 0xf1ff
	v_cndmask_b32_e64 v37, v37, 0, s8
	s_delay_alu instid0(VALU_DEP_1) | instskip(NEXT) | instid1(VALU_DEP_1)
	v_add_nc_u32_e32 v19, v37, v19
	v_mov_b32_dpp v37, v19 row_shr:2 row_mask:0xf bank_mask:0xf
	s_delay_alu instid0(VALU_DEP_1) | instskip(NEXT) | instid1(VALU_DEP_1)
	v_cndmask_b32_e64 v37, 0, v37, s10
	v_add_nc_u32_e32 v19, v19, v37
	s_delay_alu instid0(VALU_DEP_1) | instskip(NEXT) | instid1(VALU_DEP_1)
	v_mov_b32_dpp v37, v19 row_shr:4 row_mask:0xf bank_mask:0xf
	v_cndmask_b32_e64 v37, 0, v37, s11
	s_delay_alu instid0(VALU_DEP_1) | instskip(NEXT) | instid1(VALU_DEP_1)
	v_add_nc_u32_e32 v19, v19, v37
	v_mov_b32_dpp v37, v19 row_shr:8 row_mask:0xf bank_mask:0xf
	s_delay_alu instid0(VALU_DEP_1) | instskip(SKIP_1) | instid1(VALU_DEP_2)
	v_cndmask_b32_e64 v35, 0, v37, s13
	v_bfe_i32 v37, v69, 4, 1
	v_add_nc_u32_e32 v35, v19, v35
	ds_swizzle_b32 v19, v35 offset:swizzle(BROADCAST,32,15)
	s_wait_dscnt 0x0
	v_and_b32_e32 v37, v37, v19
	v_mul_i32_i24_e32 v19, 0xffffffe4, v46
	s_delay_alu instid0(VALU_DEP_2)
	v_add_nc_u32_e32 v37, v35, v37
	s_and_saveexec_b32 s9, s14
; %bb.100:
	ds_store_b32 v34, v37
; %bb.101:
	s_wait_alu 0xfffe
	s_or_b32 exec_lo, exec_lo, s9
	v_and_b32_e32 v35, 3, v69
	v_cmp_gt_u32_e64 s15, 4, v46
	s_wait_loadcnt_dscnt 0x0
	s_barrier_signal -1
	s_barrier_wait -1
	v_cmp_eq_u32_e64 s12, 0, v35
	v_cmp_lt_u32_e64 s9, 1, v35
	v_add_nc_u32_e32 v35, v67, v19
	global_inv scope:SCOPE_SE
	s_and_saveexec_b32 s17, s15
	s_cbranch_execz .LBB222_103
; %bb.102:
	ds_load_b32 v19, v35
	s_wait_dscnt 0x0
	v_mov_b32_dpp v68, v19 row_shr:1 row_mask:0xf bank_mask:0xf
	s_delay_alu instid0(VALU_DEP_1) | instskip(NEXT) | instid1(VALU_DEP_1)
	v_cndmask_b32_e64 v68, v68, 0, s12
	v_add_nc_u32_e32 v19, v68, v19
	s_delay_alu instid0(VALU_DEP_1) | instskip(NEXT) | instid1(VALU_DEP_1)
	v_mov_b32_dpp v68, v19 row_shr:2 row_mask:0xf bank_mask:0xf
	v_cndmask_b32_e64 v68, 0, v68, s9
	s_delay_alu instid0(VALU_DEP_1)
	v_add_nc_u32_e32 v19, v19, v68
	ds_store_b32 v35, v19
.LBB222_103:
	s_or_b32 exec_lo, exec_lo, s17
	v_mul_u32_u24_e32 v19, 6, v36
	v_sub_co_u32 v68, vcc_lo, v69, 1
	v_cmp_lt_u32_e64 s17, 31, v46
	v_add_nc_u32_e32 v36, -4, v34
	v_mov_b32_e32 v70, 0
	s_wait_loadcnt_dscnt 0x0
	s_barrier_signal -1
	s_barrier_wait -1
	global_inv scope:SCOPE_SE
	s_and_saveexec_b32 s18, s17
; %bb.104:
	ds_load_b32 v70, v36
; %bb.105:
	s_or_b32 exec_lo, exec_lo, s18
	v_cmp_gt_i32_e64 s18, 0, v68
	s_mov_b32 s24, 0
	s_min_u32 s19, s19, 8
	s_mov_b32 s25, s24
	s_mov_b32 s26, s24
	v_cndmask_b32_e64 v68, v68, v69, s18
	s_wait_dscnt 0x0
	v_add_nc_u32_e32 v69, v70, v37
	s_mov_b32 s27, s24
	v_cmp_eq_u32_e64 s18, 0, v46
	s_lshl_b32 s19, -1, s19
	v_lshlrev_b32_e32 v37, 2, v68
	s_wait_alu 0xfffe
	s_not_b32 s21, s19
	ds_bpermute_b32 v68, v37, v69
	s_wait_dscnt 0x0
	s_wait_alu 0xfffd
	v_cndmask_b32_e32 v68, v68, v70, vcc_lo
	s_delay_alu instid0(VALU_DEP_1) | instskip(NEXT) | instid1(VALU_DEP_1)
	v_cndmask_b32_e64 v87, v68, 0, s18
	v_add_nc_u32_e32 v88, v87, v20
	s_delay_alu instid0(VALU_DEP_1) | instskip(NEXT) | instid1(VALU_DEP_1)
	v_add_nc_u32_e32 v89, v88, v21
	v_add_nc_u32_e32 v90, v89, v22
	s_delay_alu instid0(VALU_DEP_1) | instskip(NEXT) | instid1(VALU_DEP_1)
	v_add_nc_u32_e32 v20, v90, v23
	;; [unrolled: 3-line block ×3, first 2 shown]
	v_add_nc_u32_e32 v23, v22, v18
	ds_store_b128 v67, v[87:90] offset:16
	ds_store_b128 v67, v[20:23] offset:32
	s_wait_loadcnt_dscnt 0x0
	s_barrier_signal -1
	s_barrier_wait -1
	global_inv scope:SCOPE_SE
	ds_load_b32 v16, v39 offset:16
	ds_load_b32 v17, v48 offset:16
	;; [unrolled: 1-line block ×8, first 2 shown]
	v_add_nc_u32_e32 v48, v25, v19
	s_wait_loadcnt_dscnt 0x0
	s_barrier_signal -1
	s_barrier_wait -1
	global_inv scope:SCOPE_SE
	v_add_nc_u32_e32 v38, v16, v38
	v_add3_u32 v40, v47, v40, v17
	v_add3_u32 v47, v50, v49, v18
	v_add3_u32 v49, v73, v72, v20
	v_add3_u32 v50, v76, v75, v21
	v_add3_u32 v68, v79, v78, v22
	v_add3_u32 v69, v82, v81, v23
	v_add3_u32 v70, v85, v84, v39
	v_lshlrev_b32_e32 v16, 1, v38
	v_lshlrev_b32_e32 v17, 1, v40
	;; [unrolled: 1-line block ×8, first 2 shown]
	ds_store_b16 v16, v26
	ds_store_b16 v17, v27
	;; [unrolled: 1-line block ×8, first 2 shown]
	s_wait_loadcnt_dscnt 0x0
	s_barrier_signal -1
	s_barrier_wait -1
	global_inv scope:SCOPE_SE
	ds_load_u16 v26, v25
	ds_load_u16 v27, v25 offset:64
	ds_load_u16 v28, v25 offset:128
	;; [unrolled: 1-line block ×7, first 2 shown]
	v_mad_co_u64_u32 v[38:39], null, v38, 6, v[16:17]
	v_mad_co_u64_u32 v[16:17], null, v40, 6, v[17:18]
	;; [unrolled: 1-line block ×3, first 2 shown]
	s_wait_loadcnt_dscnt 0x0
	s_barrier_signal -1
	s_barrier_wait -1
	global_inv scope:SCOPE_SE
	v_mad_co_u64_u32 v[18:19], null, v49, 6, v[19:20]
	v_lshrrev_b16 v33, 8, v26
	v_cmp_ne_u16_e64 s19, 0x8000, v26
	ds_store_b64 v38, v[8:9]
	v_mad_co_u64_u32 v[19:20], null, v50, 6, v[20:21]
	v_mad_co_u64_u32 v[20:21], null, v68, 6, v[21:22]
	s_wait_alu 0xf1ff
	v_cndmask_b32_e64 v33, 0x7f, v33, s19
	v_mad_co_u64_u32 v[21:22], null, v69, 6, v[22:23]
	v_mad_co_u64_u32 v[22:23], null, v70, 6, v[23:24]
	s_delay_alu instid0(VALU_DEP_3)
	v_and_b32_e32 v8, 0xffff, v33
	ds_store_b64 v16, v[10:11]
	ds_store_b64 v17, v[0:1]
	;; [unrolled: 1-line block ×7, first 2 shown]
	s_wait_alu 0xfffe
	v_and_b32_e32 v23, s21, v8
	s_wait_loadcnt_dscnt 0x0
	s_barrier_signal -1
	s_barrier_wait -1
	global_inv scope:SCOPE_SE
	v_and_b32_e32 v0, 1, v23
	v_lshlrev_b32_e32 v1, 30, v23
	v_lshlrev_b32_e32 v2, 29, v23
	;; [unrolled: 1-line block ×4, first 2 shown]
	v_add_co_u32 v0, s19, v0, -1
	s_wait_alu 0xf1ff
	v_cndmask_b32_e64 v4, 0, 1, s19
	v_not_b32_e32 v8, v1
	v_cmp_gt_i32_e64 s20, 0, v1
	v_not_b32_e32 v1, v2
	v_lshlrev_b32_e32 v6, 26, v23
	v_cmp_ne_u32_e64 s19, 0, v4
	v_ashrrev_i32_e32 v8, 31, v8
	v_lshlrev_b32_e32 v7, 25, v23
	v_ashrrev_i32_e32 v1, 31, v1
	v_lshlrev_b32_e32 v4, 24, v23
	s_wait_alu 0xf1ff
	v_xor_b32_e32 v0, s19, v0
	v_cmp_gt_i32_e64 s19, 0, v2
	v_not_b32_e32 v2, v3
	v_xor_b32_e32 v8, s20, v8
	v_cmp_gt_i32_e64 s20, 0, v3
	v_and_b32_e32 v0, exec_lo, v0
	v_not_b32_e32 v3, v5
	v_ashrrev_i32_e32 v2, 31, v2
	s_wait_alu 0xf1ff
	v_xor_b32_e32 v1, s19, v1
	v_cmp_gt_i32_e64 s19, 0, v5
	v_and_b32_e32 v0, v0, v8
	v_not_b32_e32 v5, v6
	v_ashrrev_i32_e32 v3, 31, v3
	v_xor_b32_e32 v2, s20, v2
	v_cmp_gt_i32_e64 s20, 0, v6
	v_and_b32_e32 v0, v0, v1
	v_not_b32_e32 v1, v7
	v_ashrrev_i32_e32 v5, 31, v5
	s_wait_alu 0xf1ff
	v_xor_b32_e32 v3, s19, v3
	v_cmp_gt_i32_e64 s19, 0, v7
	v_and_b32_e32 v0, v0, v2
	v_not_b32_e32 v2, v4
	v_ashrrev_i32_e32 v1, 31, v1
	v_xor_b32_e32 v5, s20, v5
	v_cmp_gt_i32_e64 s20, 0, v4
	v_and_b32_e32 v0, v0, v3
	v_ashrrev_i32_e32 v2, 31, v2
	s_wait_alu 0xf1ff
	v_xor_b32_e32 v1, s19, v1
	v_dual_mov_b32 v17, s24 :: v_dual_mov_b32 v18, s25
	v_and_b32_e32 v0, v0, v5
	v_xor_b32_e32 v16, s20, v2
	ds_load_2addr_b64 v[4:7], v48 offset1:32
	v_dual_mov_b32 v19, s26 :: v_dual_mov_b32 v20, s27
	v_and_b32_e32 v21, v0, v1
	ds_load_2addr_b64 v[12:15], v48 offset0:64 offset1:96
	ds_load_2addr_b64 v[8:11], v48 offset0:128 offset1:160
	;; [unrolled: 1-line block ×3, first 2 shown]
	v_lshl_add_u32 v38, v23, 4, v24
	s_wait_loadcnt_dscnt 0x0
	s_barrier_signal -1
	v_and_b32_e32 v16, v21, v16
	s_barrier_wait -1
	global_inv scope:SCOPE_SE
	ds_store_b128 v67, v[17:20] offset:16
	ds_store_b128 v67, v[17:20] offset:32
	s_wait_loadcnt_dscnt 0x0
	v_mbcnt_lo_u32_b32 v33, v16, 0
	v_cmp_ne_u32_e64 s20, 0, v16
	s_barrier_signal -1
	s_barrier_wait -1
	global_inv scope:SCOPE_SE
	v_cmp_eq_u32_e64 s19, 0, v33
	; wave barrier
	s_and_b32 s20, s20, s19
	s_wait_alu 0xfffe
	s_and_saveexec_b32 s19, s20
; %bb.106:
	v_bcnt_u32_b32 v16, v16, 0
	ds_store_b32 v38, v16 offset:16
; %bb.107:
	s_wait_alu 0xfffe
	s_or_b32 exec_lo, exec_lo, s19
	v_lshrrev_b16 v16, 8, v27
	v_cmp_ne_u16_e64 s19, 0x8000, v27
	; wave barrier
	s_wait_alu 0xf1ff
	s_delay_alu instid0(VALU_DEP_1) | instskip(NEXT) | instid1(VALU_DEP_1)
	v_cndmask_b32_e64 v16, 0x7f, v16, s19
	v_and_b32_e32 v16, s21, v16
	s_delay_alu instid0(VALU_DEP_1)
	v_and_b32_e32 v17, 1, v16
	v_lshlrev_b32_e32 v18, 30, v16
	v_lshlrev_b32_e32 v19, 29, v16
	;; [unrolled: 1-line block ×4, first 2 shown]
	v_add_co_u32 v17, s19, v17, -1
	s_wait_alu 0xf1ff
	v_cndmask_b32_e64 v21, 0, 1, s19
	v_not_b32_e32 v40, v18
	v_cmp_gt_i32_e64 s20, 0, v18
	v_not_b32_e32 v18, v19
	v_lshlrev_b32_e32 v23, 26, v16
	v_cmp_ne_u32_e64 s19, 0, v21
	v_ashrrev_i32_e32 v40, 31, v40
	v_lshlrev_b32_e32 v39, 25, v16
	v_ashrrev_i32_e32 v18, 31, v18
	v_lshlrev_b32_e32 v21, 24, v16
	s_wait_alu 0xf1ff
	v_xor_b32_e32 v17, s19, v17
	v_cmp_gt_i32_e64 s19, 0, v19
	v_not_b32_e32 v19, v20
	v_xor_b32_e32 v40, s20, v40
	v_cmp_gt_i32_e64 s20, 0, v20
	v_and_b32_e32 v17, exec_lo, v17
	v_not_b32_e32 v20, v22
	v_ashrrev_i32_e32 v19, 31, v19
	s_wait_alu 0xf1ff
	v_xor_b32_e32 v18, s19, v18
	v_cmp_gt_i32_e64 s19, 0, v22
	v_and_b32_e32 v17, v17, v40
	v_not_b32_e32 v22, v23
	v_ashrrev_i32_e32 v20, 31, v20
	v_xor_b32_e32 v19, s20, v19
	v_cmp_gt_i32_e64 s20, 0, v23
	v_and_b32_e32 v17, v17, v18
	v_not_b32_e32 v18, v39
	v_ashrrev_i32_e32 v22, 31, v22
	s_wait_alu 0xf1ff
	v_xor_b32_e32 v20, s19, v20
	v_cmp_gt_i32_e64 s19, 0, v39
	v_and_b32_e32 v17, v17, v19
	v_not_b32_e32 v19, v21
	v_ashrrev_i32_e32 v18, 31, v18
	v_xor_b32_e32 v22, s20, v22
	v_cmp_gt_i32_e64 s20, 0, v21
	v_and_b32_e32 v17, v17, v20
	v_ashrrev_i32_e32 v19, 31, v19
	s_wait_alu 0xf1ff
	v_xor_b32_e32 v18, s19, v18
	v_lshl_add_u32 v47, v16, 4, v24
	v_and_b32_e32 v17, v17, v22
	v_xor_b32_e32 v16, s20, v19
	ds_load_b32 v39, v47 offset:16
	v_and_b32_e32 v17, v17, v18
	; wave barrier
	s_delay_alu instid0(VALU_DEP_1) | instskip(NEXT) | instid1(VALU_DEP_1)
	v_and_b32_e32 v16, v17, v16
	v_mbcnt_lo_u32_b32 v40, v16, 0
	v_cmp_ne_u32_e64 s20, 0, v16
	s_delay_alu instid0(VALU_DEP_2)
	v_cmp_eq_u32_e64 s19, 0, v40
	s_and_b32 s20, s20, s19
	s_wait_alu 0xfffe
	s_and_saveexec_b32 s19, s20
	s_cbranch_execz .LBB222_109
; %bb.108:
	s_wait_dscnt 0x0
	v_bcnt_u32_b32 v16, v16, v39
	ds_store_b32 v47, v16 offset:16
.LBB222_109:
	s_wait_alu 0xfffe
	s_or_b32 exec_lo, exec_lo, s19
	v_lshrrev_b16 v16, 8, v28
	v_cmp_ne_u16_e64 s19, 0x8000, v28
	; wave barrier
	s_wait_alu 0xf1ff
	s_delay_alu instid0(VALU_DEP_1) | instskip(NEXT) | instid1(VALU_DEP_1)
	v_cndmask_b32_e64 v16, 0x7f, v16, s19
	v_and_b32_e32 v16, s21, v16
	s_delay_alu instid0(VALU_DEP_1)
	v_and_b32_e32 v17, 1, v16
	v_lshlrev_b32_e32 v18, 30, v16
	v_lshlrev_b32_e32 v19, 29, v16
	;; [unrolled: 1-line block ×4, first 2 shown]
	v_add_co_u32 v17, s19, v17, -1
	s_wait_alu 0xf1ff
	v_cndmask_b32_e64 v21, 0, 1, s19
	v_not_b32_e32 v49, v18
	v_cmp_gt_i32_e64 s20, 0, v18
	v_not_b32_e32 v18, v19
	v_lshlrev_b32_e32 v23, 26, v16
	v_cmp_ne_u32_e64 s19, 0, v21
	v_ashrrev_i32_e32 v49, 31, v49
	v_lshlrev_b32_e32 v48, 25, v16
	v_ashrrev_i32_e32 v18, 31, v18
	v_lshlrev_b32_e32 v21, 24, v16
	s_wait_alu 0xf1ff
	v_xor_b32_e32 v17, s19, v17
	v_cmp_gt_i32_e64 s19, 0, v19
	v_not_b32_e32 v19, v20
	v_xor_b32_e32 v49, s20, v49
	v_cmp_gt_i32_e64 s20, 0, v20
	v_and_b32_e32 v17, exec_lo, v17
	v_not_b32_e32 v20, v22
	v_ashrrev_i32_e32 v19, 31, v19
	s_wait_alu 0xf1ff
	v_xor_b32_e32 v18, s19, v18
	v_cmp_gt_i32_e64 s19, 0, v22
	v_and_b32_e32 v17, v17, v49
	v_not_b32_e32 v22, v23
	v_ashrrev_i32_e32 v20, 31, v20
	v_xor_b32_e32 v19, s20, v19
	v_cmp_gt_i32_e64 s20, 0, v23
	v_and_b32_e32 v17, v17, v18
	v_not_b32_e32 v18, v48
	v_ashrrev_i32_e32 v22, 31, v22
	s_wait_alu 0xf1ff
	v_xor_b32_e32 v20, s19, v20
	v_cmp_gt_i32_e64 s19, 0, v48
	v_and_b32_e32 v17, v17, v19
	v_not_b32_e32 v19, v21
	v_ashrrev_i32_e32 v18, 31, v18
	v_xor_b32_e32 v22, s20, v22
	v_cmp_gt_i32_e64 s20, 0, v21
	v_and_b32_e32 v17, v17, v20
	v_ashrrev_i32_e32 v19, 31, v19
	s_wait_alu 0xf1ff
	v_xor_b32_e32 v18, s19, v18
	v_lshl_add_u32 v50, v16, 4, v24
	v_and_b32_e32 v17, v17, v22
	v_xor_b32_e32 v16, s20, v19
	ds_load_b32 v48, v50 offset:16
	v_and_b32_e32 v17, v17, v18
	; wave barrier
	s_delay_alu instid0(VALU_DEP_1) | instskip(NEXT) | instid1(VALU_DEP_1)
	v_and_b32_e32 v16, v17, v16
	v_mbcnt_lo_u32_b32 v49, v16, 0
	v_cmp_ne_u32_e64 s20, 0, v16
	s_delay_alu instid0(VALU_DEP_2)
	v_cmp_eq_u32_e64 s19, 0, v49
	s_and_b32 s20, s20, s19
	s_wait_alu 0xfffe
	s_and_saveexec_b32 s19, s20
	s_cbranch_execz .LBB222_111
; %bb.110:
	s_wait_dscnt 0x0
	v_bcnt_u32_b32 v16, v16, v48
	ds_store_b32 v50, v16 offset:16
.LBB222_111:
	s_wait_alu 0xfffe
	s_or_b32 exec_lo, exec_lo, s19
	v_lshrrev_b16 v16, 8, v29
	v_cmp_ne_u16_e64 s19, 0x8000, v29
	; wave barrier
	s_wait_alu 0xf1ff
	s_delay_alu instid0(VALU_DEP_1) | instskip(NEXT) | instid1(VALU_DEP_1)
	v_cndmask_b32_e64 v16, 0x7f, v16, s19
	v_and_b32_e32 v16, s21, v16
	s_delay_alu instid0(VALU_DEP_1)
	v_and_b32_e32 v17, 1, v16
	v_lshlrev_b32_e32 v18, 30, v16
	v_lshlrev_b32_e32 v19, 29, v16
	v_lshlrev_b32_e32 v20, 28, v16
	v_lshlrev_b32_e32 v22, 27, v16
	v_add_co_u32 v17, s19, v17, -1
	s_wait_alu 0xf1ff
	v_cndmask_b32_e64 v21, 0, 1, s19
	v_not_b32_e32 v69, v18
	v_cmp_gt_i32_e64 s20, 0, v18
	v_not_b32_e32 v18, v19
	v_lshlrev_b32_e32 v23, 26, v16
	v_cmp_ne_u32_e64 s19, 0, v21
	v_ashrrev_i32_e32 v69, 31, v69
	v_lshlrev_b32_e32 v68, 25, v16
	v_ashrrev_i32_e32 v18, 31, v18
	v_lshlrev_b32_e32 v21, 24, v16
	s_wait_alu 0xf1ff
	v_xor_b32_e32 v17, s19, v17
	v_cmp_gt_i32_e64 s19, 0, v19
	v_not_b32_e32 v19, v20
	v_xor_b32_e32 v69, s20, v69
	v_cmp_gt_i32_e64 s20, 0, v20
	v_and_b32_e32 v17, exec_lo, v17
	v_not_b32_e32 v20, v22
	v_ashrrev_i32_e32 v19, 31, v19
	s_wait_alu 0xf1ff
	v_xor_b32_e32 v18, s19, v18
	v_cmp_gt_i32_e64 s19, 0, v22
	v_and_b32_e32 v17, v17, v69
	v_not_b32_e32 v22, v23
	v_ashrrev_i32_e32 v20, 31, v20
	v_xor_b32_e32 v19, s20, v19
	v_cmp_gt_i32_e64 s20, 0, v23
	v_and_b32_e32 v17, v17, v18
	v_not_b32_e32 v18, v68
	v_ashrrev_i32_e32 v22, 31, v22
	s_wait_alu 0xf1ff
	v_xor_b32_e32 v20, s19, v20
	v_cmp_gt_i32_e64 s19, 0, v68
	v_and_b32_e32 v17, v17, v19
	v_not_b32_e32 v19, v21
	v_ashrrev_i32_e32 v18, 31, v18
	v_xor_b32_e32 v22, s20, v22
	v_cmp_gt_i32_e64 s20, 0, v21
	v_and_b32_e32 v17, v17, v20
	v_ashrrev_i32_e32 v19, 31, v19
	s_wait_alu 0xf1ff
	v_xor_b32_e32 v18, s19, v18
	v_lshl_add_u32 v70, v16, 4, v24
	v_and_b32_e32 v17, v17, v22
	v_xor_b32_e32 v16, s20, v19
	ds_load_b32 v68, v70 offset:16
	v_and_b32_e32 v17, v17, v18
	; wave barrier
	s_delay_alu instid0(VALU_DEP_1) | instskip(NEXT) | instid1(VALU_DEP_1)
	v_and_b32_e32 v16, v17, v16
	v_mbcnt_lo_u32_b32 v69, v16, 0
	v_cmp_ne_u32_e64 s20, 0, v16
	s_delay_alu instid0(VALU_DEP_2)
	v_cmp_eq_u32_e64 s19, 0, v69
	s_and_b32 s20, s20, s19
	s_wait_alu 0xfffe
	s_and_saveexec_b32 s19, s20
	s_cbranch_execz .LBB222_113
; %bb.112:
	s_wait_dscnt 0x0
	v_bcnt_u32_b32 v16, v16, v68
	ds_store_b32 v70, v16 offset:16
.LBB222_113:
	s_wait_alu 0xfffe
	s_or_b32 exec_lo, exec_lo, s19
	v_lshrrev_b16 v16, 8, v30
	v_cmp_ne_u16_e64 s19, 0x8000, v30
	; wave barrier
	s_wait_alu 0xf1ff
	s_delay_alu instid0(VALU_DEP_1) | instskip(NEXT) | instid1(VALU_DEP_1)
	v_cndmask_b32_e64 v16, 0x7f, v16, s19
	v_and_b32_e32 v16, s21, v16
	s_delay_alu instid0(VALU_DEP_1)
	v_and_b32_e32 v17, 1, v16
	v_lshlrev_b32_e32 v18, 30, v16
	v_lshlrev_b32_e32 v19, 29, v16
	;; [unrolled: 1-line block ×4, first 2 shown]
	v_add_co_u32 v17, s19, v17, -1
	s_wait_alu 0xf1ff
	v_cndmask_b32_e64 v21, 0, 1, s19
	v_not_b32_e32 v72, v18
	v_cmp_gt_i32_e64 s20, 0, v18
	v_not_b32_e32 v18, v19
	v_lshlrev_b32_e32 v23, 26, v16
	v_cmp_ne_u32_e64 s19, 0, v21
	v_ashrrev_i32_e32 v72, 31, v72
	v_lshlrev_b32_e32 v71, 25, v16
	v_ashrrev_i32_e32 v18, 31, v18
	v_lshlrev_b32_e32 v21, 24, v16
	s_wait_alu 0xf1ff
	v_xor_b32_e32 v17, s19, v17
	v_cmp_gt_i32_e64 s19, 0, v19
	v_not_b32_e32 v19, v20
	v_xor_b32_e32 v72, s20, v72
	v_cmp_gt_i32_e64 s20, 0, v20
	v_and_b32_e32 v17, exec_lo, v17
	v_not_b32_e32 v20, v22
	v_ashrrev_i32_e32 v19, 31, v19
	s_wait_alu 0xf1ff
	v_xor_b32_e32 v18, s19, v18
	v_cmp_gt_i32_e64 s19, 0, v22
	v_and_b32_e32 v17, v17, v72
	v_not_b32_e32 v22, v23
	v_ashrrev_i32_e32 v20, 31, v20
	v_xor_b32_e32 v19, s20, v19
	v_cmp_gt_i32_e64 s20, 0, v23
	v_and_b32_e32 v17, v17, v18
	v_not_b32_e32 v18, v71
	v_ashrrev_i32_e32 v22, 31, v22
	s_wait_alu 0xf1ff
	v_xor_b32_e32 v20, s19, v20
	v_cmp_gt_i32_e64 s19, 0, v71
	v_and_b32_e32 v17, v17, v19
	v_not_b32_e32 v19, v21
	v_ashrrev_i32_e32 v18, 31, v18
	v_xor_b32_e32 v22, s20, v22
	v_cmp_gt_i32_e64 s20, 0, v21
	v_and_b32_e32 v17, v17, v20
	v_ashrrev_i32_e32 v19, 31, v19
	s_wait_alu 0xf1ff
	v_xor_b32_e32 v18, s19, v18
	v_lshl_add_u32 v73, v16, 4, v24
	v_and_b32_e32 v17, v17, v22
	v_xor_b32_e32 v16, s20, v19
	ds_load_b32 v71, v73 offset:16
	v_and_b32_e32 v17, v17, v18
	; wave barrier
	s_delay_alu instid0(VALU_DEP_1) | instskip(NEXT) | instid1(VALU_DEP_1)
	v_and_b32_e32 v16, v17, v16
	v_mbcnt_lo_u32_b32 v72, v16, 0
	v_cmp_ne_u32_e64 s20, 0, v16
	s_delay_alu instid0(VALU_DEP_2)
	v_cmp_eq_u32_e64 s19, 0, v72
	s_and_b32 s20, s20, s19
	s_wait_alu 0xfffe
	s_and_saveexec_b32 s19, s20
	s_cbranch_execz .LBB222_115
; %bb.114:
	s_wait_dscnt 0x0
	v_bcnt_u32_b32 v16, v16, v71
	ds_store_b32 v73, v16 offset:16
.LBB222_115:
	s_wait_alu 0xfffe
	s_or_b32 exec_lo, exec_lo, s19
	v_lshrrev_b16 v16, 8, v31
	v_cmp_ne_u16_e64 s19, 0x8000, v31
	; wave barrier
	s_wait_alu 0xf1ff
	s_delay_alu instid0(VALU_DEP_1) | instskip(NEXT) | instid1(VALU_DEP_1)
	v_cndmask_b32_e64 v16, 0x7f, v16, s19
	v_and_b32_e32 v16, s21, v16
	s_delay_alu instid0(VALU_DEP_1)
	v_and_b32_e32 v17, 1, v16
	v_lshlrev_b32_e32 v18, 30, v16
	v_lshlrev_b32_e32 v19, 29, v16
	;; [unrolled: 1-line block ×4, first 2 shown]
	v_add_co_u32 v17, s19, v17, -1
	s_wait_alu 0xf1ff
	v_cndmask_b32_e64 v21, 0, 1, s19
	v_not_b32_e32 v75, v18
	v_cmp_gt_i32_e64 s20, 0, v18
	v_not_b32_e32 v18, v19
	v_lshlrev_b32_e32 v23, 26, v16
	v_cmp_ne_u32_e64 s19, 0, v21
	v_ashrrev_i32_e32 v75, 31, v75
	v_lshlrev_b32_e32 v74, 25, v16
	v_ashrrev_i32_e32 v18, 31, v18
	v_lshlrev_b32_e32 v21, 24, v16
	s_wait_alu 0xf1ff
	v_xor_b32_e32 v17, s19, v17
	v_cmp_gt_i32_e64 s19, 0, v19
	v_not_b32_e32 v19, v20
	v_xor_b32_e32 v75, s20, v75
	v_cmp_gt_i32_e64 s20, 0, v20
	v_and_b32_e32 v17, exec_lo, v17
	v_not_b32_e32 v20, v22
	v_ashrrev_i32_e32 v19, 31, v19
	s_wait_alu 0xf1ff
	v_xor_b32_e32 v18, s19, v18
	v_cmp_gt_i32_e64 s19, 0, v22
	v_and_b32_e32 v17, v17, v75
	v_not_b32_e32 v22, v23
	v_ashrrev_i32_e32 v20, 31, v20
	v_xor_b32_e32 v19, s20, v19
	v_cmp_gt_i32_e64 s20, 0, v23
	v_and_b32_e32 v17, v17, v18
	v_not_b32_e32 v18, v74
	v_ashrrev_i32_e32 v22, 31, v22
	s_wait_alu 0xf1ff
	v_xor_b32_e32 v20, s19, v20
	v_cmp_gt_i32_e64 s19, 0, v74
	v_and_b32_e32 v17, v17, v19
	v_not_b32_e32 v19, v21
	v_ashrrev_i32_e32 v18, 31, v18
	v_xor_b32_e32 v22, s20, v22
	v_cmp_gt_i32_e64 s20, 0, v21
	v_and_b32_e32 v17, v17, v20
	v_ashrrev_i32_e32 v19, 31, v19
	s_wait_alu 0xf1ff
	v_xor_b32_e32 v18, s19, v18
	v_lshl_add_u32 v76, v16, 4, v24
	v_and_b32_e32 v17, v17, v22
	v_xor_b32_e32 v16, s20, v19
	ds_load_b32 v74, v76 offset:16
	v_and_b32_e32 v17, v17, v18
	; wave barrier
	s_delay_alu instid0(VALU_DEP_1) | instskip(NEXT) | instid1(VALU_DEP_1)
	v_and_b32_e32 v16, v17, v16
	v_mbcnt_lo_u32_b32 v75, v16, 0
	v_cmp_ne_u32_e64 s20, 0, v16
	s_delay_alu instid0(VALU_DEP_2)
	v_cmp_eq_u32_e64 s19, 0, v75
	s_and_b32 s20, s20, s19
	s_wait_alu 0xfffe
	s_and_saveexec_b32 s19, s20
	s_cbranch_execz .LBB222_117
; %bb.116:
	s_wait_dscnt 0x0
	v_bcnt_u32_b32 v16, v16, v74
	ds_store_b32 v76, v16 offset:16
.LBB222_117:
	s_wait_alu 0xfffe
	s_or_b32 exec_lo, exec_lo, s19
	v_lshrrev_b16 v16, 8, v32
	v_cmp_ne_u16_e64 s19, 0x8000, v32
	; wave barrier
	s_wait_alu 0xf1ff
	s_delay_alu instid0(VALU_DEP_1) | instskip(NEXT) | instid1(VALU_DEP_1)
	v_cndmask_b32_e64 v16, 0x7f, v16, s19
	v_and_b32_e32 v16, s21, v16
	s_delay_alu instid0(VALU_DEP_1)
	v_and_b32_e32 v17, 1, v16
	v_lshlrev_b32_e32 v18, 30, v16
	v_lshlrev_b32_e32 v19, 29, v16
	;; [unrolled: 1-line block ×4, first 2 shown]
	v_add_co_u32 v17, s19, v17, -1
	s_wait_alu 0xf1ff
	v_cndmask_b32_e64 v21, 0, 1, s19
	v_not_b32_e32 v78, v18
	v_cmp_gt_i32_e64 s20, 0, v18
	v_not_b32_e32 v18, v19
	v_lshlrev_b32_e32 v23, 26, v16
	v_cmp_ne_u32_e64 s19, 0, v21
	v_ashrrev_i32_e32 v78, 31, v78
	v_lshlrev_b32_e32 v77, 25, v16
	v_ashrrev_i32_e32 v18, 31, v18
	v_lshlrev_b32_e32 v21, 24, v16
	s_wait_alu 0xf1ff
	v_xor_b32_e32 v17, s19, v17
	v_cmp_gt_i32_e64 s19, 0, v19
	v_not_b32_e32 v19, v20
	v_xor_b32_e32 v78, s20, v78
	v_cmp_gt_i32_e64 s20, 0, v20
	v_and_b32_e32 v17, exec_lo, v17
	v_not_b32_e32 v20, v22
	v_ashrrev_i32_e32 v19, 31, v19
	s_wait_alu 0xf1ff
	v_xor_b32_e32 v18, s19, v18
	v_cmp_gt_i32_e64 s19, 0, v22
	v_and_b32_e32 v17, v17, v78
	v_not_b32_e32 v22, v23
	v_ashrrev_i32_e32 v20, 31, v20
	v_xor_b32_e32 v19, s20, v19
	v_cmp_gt_i32_e64 s20, 0, v23
	v_and_b32_e32 v17, v17, v18
	v_not_b32_e32 v18, v77
	v_ashrrev_i32_e32 v22, 31, v22
	s_wait_alu 0xf1ff
	v_xor_b32_e32 v20, s19, v20
	v_cmp_gt_i32_e64 s19, 0, v77
	v_and_b32_e32 v17, v17, v19
	v_not_b32_e32 v19, v21
	v_ashrrev_i32_e32 v18, 31, v18
	v_xor_b32_e32 v22, s20, v22
	v_cmp_gt_i32_e64 s20, 0, v21
	v_and_b32_e32 v17, v17, v20
	v_ashrrev_i32_e32 v19, 31, v19
	s_wait_alu 0xf1ff
	v_xor_b32_e32 v18, s19, v18
	v_lshl_add_u32 v79, v16, 4, v24
	v_and_b32_e32 v17, v17, v22
	v_xor_b32_e32 v16, s20, v19
	ds_load_b32 v77, v79 offset:16
	v_and_b32_e32 v17, v17, v18
	; wave barrier
	s_delay_alu instid0(VALU_DEP_1) | instskip(NEXT) | instid1(VALU_DEP_1)
	v_and_b32_e32 v16, v17, v16
	v_mbcnt_lo_u32_b32 v78, v16, 0
	v_cmp_ne_u32_e64 s20, 0, v16
	s_delay_alu instid0(VALU_DEP_2)
	v_cmp_eq_u32_e64 s19, 0, v78
	s_and_b32 s20, s20, s19
	s_wait_alu 0xfffe
	s_and_saveexec_b32 s19, s20
	s_cbranch_execz .LBB222_119
; %bb.118:
	s_wait_dscnt 0x0
	v_bcnt_u32_b32 v16, v16, v77
	ds_store_b32 v79, v16 offset:16
.LBB222_119:
	s_wait_alu 0xfffe
	s_or_b32 exec_lo, exec_lo, s19
	v_lshrrev_b16 v16, 8, v25
	v_cmp_ne_u16_e64 s19, 0x8000, v25
	; wave barrier
	s_wait_alu 0xf1ff
	s_delay_alu instid0(VALU_DEP_1) | instskip(NEXT) | instid1(VALU_DEP_1)
	v_cndmask_b32_e64 v16, 0x7f, v16, s19
	v_and_b32_e32 v16, s21, v16
	s_delay_alu instid0(VALU_DEP_1)
	v_and_b32_e32 v17, 1, v16
	v_lshlrev_b32_e32 v18, 30, v16
	v_lshlrev_b32_e32 v19, 29, v16
	;; [unrolled: 1-line block ×4, first 2 shown]
	v_add_co_u32 v17, s19, v17, -1
	s_wait_alu 0xf1ff
	v_cndmask_b32_e64 v21, 0, 1, s19
	v_not_b32_e32 v81, v18
	v_cmp_gt_i32_e64 s20, 0, v18
	v_not_b32_e32 v18, v19
	v_lshlrev_b32_e32 v23, 26, v16
	v_cmp_ne_u32_e64 s19, 0, v21
	v_ashrrev_i32_e32 v81, 31, v81
	v_lshlrev_b32_e32 v80, 25, v16
	v_ashrrev_i32_e32 v18, 31, v18
	v_lshlrev_b32_e32 v21, 24, v16
	s_wait_alu 0xf1ff
	v_xor_b32_e32 v17, s19, v17
	v_cmp_gt_i32_e64 s19, 0, v19
	v_not_b32_e32 v19, v20
	v_xor_b32_e32 v81, s20, v81
	v_cmp_gt_i32_e64 s20, 0, v20
	v_and_b32_e32 v17, exec_lo, v17
	v_not_b32_e32 v20, v22
	v_ashrrev_i32_e32 v19, 31, v19
	s_wait_alu 0xf1ff
	v_xor_b32_e32 v18, s19, v18
	v_cmp_gt_i32_e64 s19, 0, v22
	v_and_b32_e32 v17, v17, v81
	v_not_b32_e32 v22, v23
	v_ashrrev_i32_e32 v20, 31, v20
	v_xor_b32_e32 v19, s20, v19
	v_cmp_gt_i32_e64 s20, 0, v23
	v_and_b32_e32 v17, v17, v18
	v_not_b32_e32 v18, v80
	v_ashrrev_i32_e32 v22, 31, v22
	s_wait_alu 0xf1ff
	v_xor_b32_e32 v20, s19, v20
	v_cmp_gt_i32_e64 s19, 0, v80
	v_and_b32_e32 v17, v17, v19
	v_not_b32_e32 v19, v21
	v_ashrrev_i32_e32 v18, 31, v18
	v_xor_b32_e32 v22, s20, v22
	v_cmp_gt_i32_e64 s20, 0, v21
	v_and_b32_e32 v17, v17, v20
	v_ashrrev_i32_e32 v19, 31, v19
	s_wait_alu 0xf1ff
	v_xor_b32_e32 v18, s19, v18
	v_lshl_add_u32 v81, v16, 4, v24
	v_and_b32_e32 v17, v17, v22
	v_xor_b32_e32 v16, s20, v19
	ds_load_b32 v24, v81 offset:16
	v_and_b32_e32 v17, v17, v18
	; wave barrier
	s_delay_alu instid0(VALU_DEP_1) | instskip(NEXT) | instid1(VALU_DEP_1)
	v_and_b32_e32 v16, v17, v16
	v_mbcnt_lo_u32_b32 v80, v16, 0
	v_cmp_ne_u32_e64 s20, 0, v16
	s_delay_alu instid0(VALU_DEP_2)
	v_cmp_eq_u32_e64 s19, 0, v80
	s_and_b32 s20, s20, s19
	s_wait_alu 0xfffe
	s_and_saveexec_b32 s19, s20
	s_cbranch_execz .LBB222_121
; %bb.120:
	s_wait_dscnt 0x0
	v_bcnt_u32_b32 v16, v16, v24
	ds_store_b32 v81, v16 offset:16
.LBB222_121:
	s_wait_alu 0xfffe
	s_or_b32 exec_lo, exec_lo, s19
	; wave barrier
	s_wait_loadcnt_dscnt 0x0
	s_barrier_signal -1
	s_barrier_wait -1
	global_inv scope:SCOPE_SE
	ds_load_b128 v[20:23], v67 offset:16
	ds_load_b128 v[16:19], v67 offset:32
	s_wait_dscnt 0x1
	v_add_nc_u32_e32 v82, v21, v20
	s_delay_alu instid0(VALU_DEP_1) | instskip(SKIP_1) | instid1(VALU_DEP_1)
	v_add3_u32 v82, v82, v22, v23
	s_wait_dscnt 0x0
	v_add3_u32 v82, v82, v16, v17
	s_delay_alu instid0(VALU_DEP_1) | instskip(NEXT) | instid1(VALU_DEP_1)
	v_add3_u32 v19, v82, v18, v19
	v_mov_b32_dpp v82, v19 row_shr:1 row_mask:0xf bank_mask:0xf
	s_delay_alu instid0(VALU_DEP_1) | instskip(NEXT) | instid1(VALU_DEP_1)
	v_cndmask_b32_e64 v82, v82, 0, s8
	v_add_nc_u32_e32 v19, v82, v19
	s_delay_alu instid0(VALU_DEP_1) | instskip(NEXT) | instid1(VALU_DEP_1)
	v_mov_b32_dpp v82, v19 row_shr:2 row_mask:0xf bank_mask:0xf
	v_cndmask_b32_e64 v82, 0, v82, s10
	s_delay_alu instid0(VALU_DEP_1) | instskip(NEXT) | instid1(VALU_DEP_1)
	v_add_nc_u32_e32 v19, v19, v82
	v_mov_b32_dpp v82, v19 row_shr:4 row_mask:0xf bank_mask:0xf
	s_delay_alu instid0(VALU_DEP_1) | instskip(NEXT) | instid1(VALU_DEP_1)
	v_cndmask_b32_e64 v82, 0, v82, s11
	v_add_nc_u32_e32 v19, v19, v82
	s_delay_alu instid0(VALU_DEP_1) | instskip(NEXT) | instid1(VALU_DEP_1)
	v_mov_b32_dpp v82, v19 row_shr:8 row_mask:0xf bank_mask:0xf
	v_cndmask_b32_e64 v82, 0, v82, s13
	s_delay_alu instid0(VALU_DEP_1) | instskip(SKIP_3) | instid1(VALU_DEP_1)
	v_add_nc_u32_e32 v19, v19, v82
	ds_swizzle_b32 v82, v19 offset:swizzle(BROADCAST,32,15)
	s_wait_dscnt 0x0
	v_cndmask_b32_e64 v82, v82, 0, s16
	v_add_nc_u32_e32 v19, v19, v82
	s_and_saveexec_b32 s8, s14
; %bb.122:
	ds_store_b32 v34, v19
; %bb.123:
	s_wait_alu 0xfffe
	s_or_b32 exec_lo, exec_lo, s8
	s_wait_loadcnt_dscnt 0x0
	s_barrier_signal -1
	s_barrier_wait -1
	global_inv scope:SCOPE_SE
	s_and_saveexec_b32 s8, s15
	s_cbranch_execz .LBB222_125
; %bb.124:
	ds_load_b32 v34, v35
	s_wait_dscnt 0x0
	v_mov_b32_dpp v82, v34 row_shr:1 row_mask:0xf bank_mask:0xf
	s_delay_alu instid0(VALU_DEP_1) | instskip(NEXT) | instid1(VALU_DEP_1)
	v_cndmask_b32_e64 v82, v82, 0, s12
	v_add_nc_u32_e32 v34, v82, v34
	s_delay_alu instid0(VALU_DEP_1) | instskip(NEXT) | instid1(VALU_DEP_1)
	v_mov_b32_dpp v82, v34 row_shr:2 row_mask:0xf bank_mask:0xf
	v_cndmask_b32_e64 v82, 0, v82, s9
	s_delay_alu instid0(VALU_DEP_1)
	v_add_nc_u32_e32 v34, v34, v82
	ds_store_b32 v35, v34
.LBB222_125:
	s_wait_alu 0xfffe
	s_or_b32 exec_lo, exec_lo, s8
	v_mov_b32_e32 v34, 0
	s_wait_loadcnt_dscnt 0x0
	s_barrier_signal -1
	s_barrier_wait -1
	global_inv scope:SCOPE_SE
	s_and_saveexec_b32 s8, s17
; %bb.126:
	ds_load_b32 v34, v36
; %bb.127:
	s_wait_alu 0xfffe
	s_or_b32 exec_lo, exec_lo, s8
	s_wait_dscnt 0x0
	v_add_nc_u32_e32 v19, v34, v19
	ds_bpermute_b32 v19, v37, v19
	s_wait_dscnt 0x0
	v_cndmask_b32_e32 v19, v19, v34, vcc_lo
	s_delay_alu instid0(VALU_DEP_1) | instskip(NEXT) | instid1(VALU_DEP_1)
	v_cndmask_b32_e64 v19, v19, 0, s18
	v_add_nc_u32_e32 v20, v19, v20
	s_delay_alu instid0(VALU_DEP_1) | instskip(NEXT) | instid1(VALU_DEP_1)
	v_add_nc_u32_e32 v21, v20, v21
	v_add_nc_u32_e32 v22, v21, v22
	s_delay_alu instid0(VALU_DEP_1) | instskip(NEXT) | instid1(VALU_DEP_1)
	v_add_nc_u32_e32 v34, v22, v23
	;; [unrolled: 3-line block ×3, first 2 shown]
	v_add_nc_u32_e32 v37, v36, v18
	ds_store_b128 v67, v[19:22] offset:16
	ds_store_b128 v67, v[34:37] offset:32
	s_wait_loadcnt_dscnt 0x0
	s_barrier_signal -1
	s_barrier_wait -1
	global_inv scope:SCOPE_SE
	ds_load_b32 v16, v81 offset:16
	ds_load_b32 v17, v79 offset:16
	;; [unrolled: 1-line block ×8, first 2 shown]
	v_lshlrev_b32_e32 v34, 1, v66
	s_wait_loadcnt_dscnt 0x0
	s_barrier_signal -1
	s_barrier_wait -1
	global_inv scope:SCOPE_SE
	v_mad_u32_u24 v37, v46, 48, v34
	v_add3_u32 v35, v80, v24, v16
	v_add3_u32 v36, v78, v77, v17
	;; [unrolled: 1-line block ×3, first 2 shown]
	v_add_nc_u32_e32 v24, v19, v33
	v_add3_u32 v33, v40, v39, v20
	v_add3_u32 v39, v49, v48, v21
	;; [unrolled: 1-line block ×4, first 2 shown]
	v_lshlrev_b32_e32 v16, 1, v24
	v_lshlrev_b32_e32 v17, 1, v33
	;; [unrolled: 1-line block ×8, first 2 shown]
	ds_store_b16 v16, v26
	ds_store_b16 v17, v27
	;; [unrolled: 1-line block ×8, first 2 shown]
	v_mad_co_u64_u32 v[24:25], null, v24, 6, v[16:17]
	v_mad_co_u64_u32 v[16:17], null, v33, 6, v[17:18]
	;; [unrolled: 1-line block ×7, first 2 shown]
	s_wait_loadcnt_dscnt 0x0
	s_barrier_signal -1
	s_barrier_wait -1
	global_inv scope:SCOPE_SE
	v_mad_co_u64_u32 v[22:23], null, v35, 6, v[23:24]
	ds_load_b128 v[33:36], v34
	s_wait_loadcnt_dscnt 0x0
	s_barrier_signal -1
	s_barrier_wait -1
	global_inv scope:SCOPE_SE
	ds_store_b64 v24, v[4:5]
	ds_store_b64 v16, v[6:7]
	;; [unrolled: 1-line block ×8, first 2 shown]
	s_wait_loadcnt_dscnt 0x0
	s_barrier_signal -1
	s_barrier_wait -1
	global_inv scope:SCOPE_SE
	ds_load_b128 v[29:32], v37
	ds_load_b128 v[25:28], v37 offset:16
	ds_load_b128 v[21:24], v37 offset:32
	;; [unrolled: 1-line block ×3, first 2 shown]
	v_cmp_gt_i16_e32 vcc_lo, 0, v33
	v_lshrrev_b32_e32 v0, 16, v33
	v_lshrrev_b32_e32 v2, 16, v34
	;; [unrolled: 1-line block ×4, first 2 shown]
	s_wait_alu 0xfffd
	v_cndmask_b32_e64 v1, 0x7fff, 0, vcc_lo
	v_cmp_gt_i16_e32 vcc_lo, 0, v34
	s_wait_alu 0xfffd
	v_cndmask_b32_e64 v3, 0x7fff, 0, vcc_lo
	v_cmp_gt_i16_e32 vcc_lo, 0, v35
	;; [unrolled: 3-line block ×5, first 2 shown]
	s_delay_alu instid0(VALU_DEP_2) | instskip(SKIP_3) | instid1(VALU_DEP_3)
	v_perm_b32 v0, v0, v1, 0x5040100
	s_wait_alu 0xfffd
	v_cndmask_b32_e64 v2, 0x7fff, 0, vcc_lo
	v_cmp_gt_i16_e32 vcc_lo, 0, v4
	v_xor_b32_e32 v0, v0, v33
	s_delay_alu instid0(VALU_DEP_3) | instskip(SKIP_3) | instid1(VALU_DEP_3)
	v_perm_b32 v1, v2, v3, 0x5040100
	s_wait_alu 0xfffd
	v_cndmask_b32_e64 v4, 0x7fff, 0, vcc_lo
	v_cmp_gt_i16_e32 vcc_lo, 0, v6
	v_xor_b32_e32 v34, v1, v34
	s_delay_alu instid0(VALU_DEP_3) | instskip(SKIP_2) | instid1(VALU_DEP_2)
	v_perm_b32 v2, v4, v5, 0x5040100
	s_wait_alu 0xfffd
	v_cndmask_b32_e64 v6, 0x7fff, 0, vcc_lo
	v_xor_b32_e32 v33, v2, v35
	s_delay_alu instid0(VALU_DEP_2) | instskip(NEXT) | instid1(VALU_DEP_1)
	v_perm_b32 v3, v6, v7, 0x5040100
	v_xor_b32_e32 v35, v3, v36
.LBB222_128:
	s_wait_loadcnt_dscnt 0x0
	s_barrier_signal -1
	s_barrier_wait -1
	global_inv scope:SCOPE_SE
	ds_store_2addr_b32 v58, v0, v34 offset1:1
	ds_store_2addr_b32 v58, v33, v35 offset0:2 offset1:3
	s_wait_loadcnt_dscnt 0x0
	s_barrier_signal -1
	s_barrier_wait -1
	global_inv scope:SCOPE_SE
	ds_load_u16 v8, v45 offset:256
	ds_load_u16 v7, v52 offset:512
	;; [unrolled: 1-line block ×7, first 2 shown]
	v_mov_b32_e32 v45, 0
	s_delay_alu instid0(VALU_DEP_1) | instskip(NEXT) | instid1(VALU_DEP_1)
	v_lshlrev_b64_e32 v[0:1], 1, v[44:45]
	v_add_co_u32 v0, vcc_lo, s30, v0
	s_wait_alu 0xfffd
	s_delay_alu instid0(VALU_DEP_2)
	v_add_co_ci_u32_e64 v1, null, s31, v1, vcc_lo
	s_and_saveexec_b32 s8, s0
	s_cbranch_execnz .LBB222_147
; %bb.129:
	s_wait_alu 0xfffe
	s_or_b32 exec_lo, exec_lo, s8
	s_and_saveexec_b32 s8, s1
	s_cbranch_execnz .LBB222_148
.LBB222_130:
	s_wait_alu 0xfffe
	s_or_b32 exec_lo, exec_lo, s8
	s_and_saveexec_b32 s8, s2
	s_cbranch_execnz .LBB222_149
.LBB222_131:
	s_wait_alu 0xfffe
	s_or_b32 exec_lo, exec_lo, s8
	s_and_saveexec_b32 s8, s3
	s_cbranch_execnz .LBB222_150
.LBB222_132:
	s_wait_alu 0xfffe
	s_or_b32 exec_lo, exec_lo, s8
	s_and_saveexec_b32 s8, s4
	s_cbranch_execnz .LBB222_151
.LBB222_133:
	s_wait_alu 0xfffe
	s_or_b32 exec_lo, exec_lo, s8
	s_and_saveexec_b32 s8, s5
	s_cbranch_execnz .LBB222_152
.LBB222_134:
	s_wait_alu 0xfffe
	s_or_b32 exec_lo, exec_lo, s8
	s_and_saveexec_b32 s8, s6
	s_cbranch_execnz .LBB222_153
.LBB222_135:
	s_wait_alu 0xfffe
	s_or_b32 exec_lo, exec_lo, s8
	s_and_saveexec_b32 s8, s7
	s_cbranch_execz .LBB222_137
.LBB222_136:
	s_mul_i32 s10, s22, 0x380
	s_mov_b32 s11, 0
	s_wait_alu 0xfffe
	s_lshl_b64 s[10:11], s[10:11], 1
	s_wait_alu 0xfffe
	v_add_co_u32 v0, vcc_lo, v0, s10
	s_wait_alu 0xfffd
	v_add_co_ci_u32_e64 v1, null, s11, v1, vcc_lo
	s_wait_dscnt 0x0
	global_store_b16 v[0:1], v2, off
.LBB222_137:
	s_wait_alu 0xfffe
	s_or_b32 exec_lo, exec_lo, s8
	s_wait_storecnt 0x0
	s_wait_loadcnt_dscnt 0x0
	s_barrier_signal -1
	s_barrier_wait -1
	global_inv scope:SCOPE_SE
	ds_store_2addr_b64 v65, v[29:30], v[31:32] offset1:1
	ds_store_2addr_b64 v65, v[25:26], v[27:28] offset0:2 offset1:3
	ds_store_2addr_b64 v65, v[21:22], v[23:24] offset0:4 offset1:5
	;; [unrolled: 1-line block ×3, first 2 shown]
	s_wait_loadcnt_dscnt 0x0
	s_barrier_signal -1
	s_barrier_wait -1
	global_inv scope:SCOPE_SE
	ds_load_b64 v[14:15], v60 offset:1024
	ds_load_b64 v[12:13], v61 offset:2048
	;; [unrolled: 1-line block ×7, first 2 shown]
	v_mov_b32_e32 v42, 0
	s_delay_alu instid0(VALU_DEP_1) | instskip(NEXT) | instid1(VALU_DEP_1)
	v_lshlrev_b64_e32 v[2:3], 3, v[41:42]
	v_add_co_u32 v2, vcc_lo, s34, v2
	s_wait_alu 0xfffd
	s_delay_alu instid0(VALU_DEP_2)
	v_add_co_ci_u32_e64 v3, null, s35, v3, vcc_lo
	s_and_saveexec_b32 s8, s0
	s_cbranch_execnz .LBB222_154
; %bb.138:
	s_wait_alu 0xfffe
	s_or_b32 exec_lo, exec_lo, s8
	s_and_saveexec_b32 s0, s1
	s_cbranch_execnz .LBB222_155
.LBB222_139:
	s_or_b32 exec_lo, exec_lo, s0
	s_and_saveexec_b32 s0, s2
	s_cbranch_execnz .LBB222_156
.LBB222_140:
	s_or_b32 exec_lo, exec_lo, s0
	s_and_saveexec_b32 s0, s3
	s_cbranch_execnz .LBB222_157
.LBB222_141:
	s_or_b32 exec_lo, exec_lo, s0
	s_and_saveexec_b32 s0, s4
	s_cbranch_execnz .LBB222_158
.LBB222_142:
	s_or_b32 exec_lo, exec_lo, s0
	s_and_saveexec_b32 s0, s5
	s_cbranch_execnz .LBB222_159
.LBB222_143:
	s_or_b32 exec_lo, exec_lo, s0
	s_and_saveexec_b32 s0, s6
	s_cbranch_execnz .LBB222_160
.LBB222_144:
	s_or_b32 exec_lo, exec_lo, s0
	s_and_saveexec_b32 s0, s7
	s_cbranch_execz .LBB222_146
.LBB222_145:
	s_mul_i32 s0, s28, 0x380
	s_mov_b32 s1, 0
	s_delay_alu instid0(SALU_CYCLE_1) | instskip(NEXT) | instid1(SALU_CYCLE_1)
	s_lshl_b64 s[0:1], s[0:1], 3
	v_add_co_u32 v2, vcc_lo, v2, s0
	s_wait_alu 0xfffd
	v_add_co_ci_u32_e64 v3, null, s1, v3, vcc_lo
	s_wait_dscnt 0x0
	global_store_b64 v[2:3], v[0:1], off
.LBB222_146:
	s_nop 0
	s_sendmsg sendmsg(MSG_DEALLOC_VGPRS)
	s_endpgm
.LBB222_147:
	ds_load_u16 v9, v51
	s_wait_dscnt 0x0
	global_store_b16 v[0:1], v9, off
	s_wait_alu 0xfffe
	s_or_b32 exec_lo, exec_lo, s8
	s_and_saveexec_b32 s8, s1
	s_cbranch_execz .LBB222_130
.LBB222_148:
	s_lshl_b32 s10, s22, 7
	s_mov_b32 s11, 0
	s_wait_alu 0xfffe
	s_lshl_b64 s[10:11], s[10:11], 1
	s_wait_alu 0xfffe
	v_add_co_u32 v9, vcc_lo, v0, s10
	s_wait_alu 0xfffd
	v_add_co_ci_u32_e64 v10, null, s11, v1, vcc_lo
	s_wait_dscnt 0x6
	global_store_b16 v[9:10], v8, off
	s_or_b32 exec_lo, exec_lo, s8
	s_and_saveexec_b32 s8, s2
	s_cbranch_execz .LBB222_131
.LBB222_149:
	s_lshl_b32 s10, s22, 8
	s_mov_b32 s11, 0
	s_wait_alu 0xfffe
	s_lshl_b64 s[10:11], s[10:11], 1
	s_wait_dscnt 0x6
	s_wait_alu 0xfffe
	v_add_co_u32 v8, vcc_lo, v0, s10
	s_wait_alu 0xfffd
	v_add_co_ci_u32_e64 v9, null, s11, v1, vcc_lo
	s_wait_dscnt 0x5
	global_store_b16 v[8:9], v7, off
	s_or_b32 exec_lo, exec_lo, s8
	s_and_saveexec_b32 s8, s3
	s_cbranch_execz .LBB222_132
.LBB222_150:
	s_mul_i32 s10, s22, 0x180
	s_mov_b32 s11, 0
	s_wait_alu 0xfffe
	s_lshl_b64 s[10:11], s[10:11], 1
	s_wait_dscnt 0x5
	s_wait_alu 0xfffe
	v_add_co_u32 v7, vcc_lo, v0, s10
	s_wait_alu 0xfffd
	v_add_co_ci_u32_e64 v8, null, s11, v1, vcc_lo
	s_wait_dscnt 0x4
	global_store_b16 v[7:8], v6, off
	s_or_b32 exec_lo, exec_lo, s8
	s_and_saveexec_b32 s8, s4
	s_cbranch_execz .LBB222_133
.LBB222_151:
	s_lshl_b32 s10, s22, 9
	s_mov_b32 s11, 0
	s_wait_alu 0xfffe
	s_lshl_b64 s[10:11], s[10:11], 1
	s_wait_dscnt 0x4
	s_wait_alu 0xfffe
	v_add_co_u32 v6, vcc_lo, v0, s10
	s_wait_alu 0xfffd
	v_add_co_ci_u32_e64 v7, null, s11, v1, vcc_lo
	s_wait_dscnt 0x3
	global_store_b16 v[6:7], v5, off
	s_or_b32 exec_lo, exec_lo, s8
	s_and_saveexec_b32 s8, s5
	s_cbranch_execz .LBB222_134
.LBB222_152:
	s_mul_i32 s10, s22, 0x280
	s_mov_b32 s11, 0
	s_wait_alu 0xfffe
	s_lshl_b64 s[10:11], s[10:11], 1
	s_wait_dscnt 0x3
	s_wait_alu 0xfffe
	v_add_co_u32 v5, vcc_lo, v0, s10
	s_wait_alu 0xfffd
	v_add_co_ci_u32_e64 v6, null, s11, v1, vcc_lo
	s_wait_dscnt 0x2
	global_store_b16 v[5:6], v4, off
	s_or_b32 exec_lo, exec_lo, s8
	s_and_saveexec_b32 s8, s6
	s_cbranch_execz .LBB222_135
.LBB222_153:
	s_mul_i32 s10, s22, 0x300
	s_mov_b32 s11, 0
	s_wait_alu 0xfffe
	s_lshl_b64 s[10:11], s[10:11], 1
	s_wait_dscnt 0x2
	s_wait_alu 0xfffe
	v_add_co_u32 v4, vcc_lo, v0, s10
	s_wait_alu 0xfffd
	v_add_co_ci_u32_e64 v5, null, s11, v1, vcc_lo
	s_wait_dscnt 0x1
	global_store_b16 v[4:5], v3, off
	s_or_b32 exec_lo, exec_lo, s8
	s_and_saveexec_b32 s8, s7
	s_cbranch_execnz .LBB222_136
	s_branch .LBB222_137
.LBB222_154:
	ds_load_b64 v[16:17], v59
	s_wait_dscnt 0x0
	global_store_b64 v[2:3], v[16:17], off
	s_wait_alu 0xfffe
	s_or_b32 exec_lo, exec_lo, s8
	s_and_saveexec_b32 s0, s1
	s_cbranch_execz .LBB222_139
.LBB222_155:
	s_lshl_b32 s8, s28, 7
	s_mov_b32 s9, 0
	s_wait_alu 0xfffe
	s_lshl_b64 s[8:9], s[8:9], 3
	s_wait_alu 0xfffe
	v_add_co_u32 v16, vcc_lo, v2, s8
	s_wait_alu 0xfffd
	v_add_co_ci_u32_e64 v17, null, s9, v3, vcc_lo
	s_wait_dscnt 0x6
	global_store_b64 v[16:17], v[14:15], off
	s_or_b32 exec_lo, exec_lo, s0
	s_and_saveexec_b32 s0, s2
	s_cbranch_execz .LBB222_140
.LBB222_156:
	s_lshl_b32 s8, s28, 8
	s_mov_b32 s9, 0
	s_wait_alu 0xfffe
	s_lshl_b64 s[8:9], s[8:9], 3
	s_wait_dscnt 0x6
	s_wait_alu 0xfffe
	v_add_co_u32 v14, vcc_lo, v2, s8
	s_wait_alu 0xfffd
	v_add_co_ci_u32_e64 v15, null, s9, v3, vcc_lo
	s_wait_dscnt 0x5
	global_store_b64 v[14:15], v[12:13], off
	s_or_b32 exec_lo, exec_lo, s0
	s_and_saveexec_b32 s0, s3
	s_cbranch_execz .LBB222_141
.LBB222_157:
	s_mul_i32 s2, s28, 0x180
	s_mov_b32 s3, 0
	s_delay_alu instid0(SALU_CYCLE_1)
	s_lshl_b64 s[2:3], s[2:3], 3
	s_wait_dscnt 0x5
	v_add_co_u32 v12, vcc_lo, v2, s2
	s_wait_alu 0xfffd
	v_add_co_ci_u32_e64 v13, null, s3, v3, vcc_lo
	s_wait_dscnt 0x4
	global_store_b64 v[12:13], v[10:11], off
	s_or_b32 exec_lo, exec_lo, s0
	s_and_saveexec_b32 s0, s4
	s_cbranch_execz .LBB222_142
.LBB222_158:
	s_lshl_b32 s2, s28, 9
	s_mov_b32 s3, 0
	s_wait_alu 0xfffe
	s_lshl_b64 s[2:3], s[2:3], 3
	s_wait_dscnt 0x4
	s_wait_alu 0xfffe
	v_add_co_u32 v10, vcc_lo, v2, s2
	s_wait_alu 0xfffd
	v_add_co_ci_u32_e64 v11, null, s3, v3, vcc_lo
	s_wait_dscnt 0x3
	global_store_b64 v[10:11], v[8:9], off
	s_or_b32 exec_lo, exec_lo, s0
	s_and_saveexec_b32 s0, s5
	s_cbranch_execz .LBB222_143
.LBB222_159:
	s_mul_i32 s2, s28, 0x280
	s_mov_b32 s3, 0
	s_wait_alu 0xfffe
	s_lshl_b64 s[2:3], s[2:3], 3
	s_wait_dscnt 0x3
	s_wait_alu 0xfffe
	v_add_co_u32 v8, vcc_lo, v2, s2
	s_wait_alu 0xfffd
	v_add_co_ci_u32_e64 v9, null, s3, v3, vcc_lo
	s_wait_dscnt 0x2
	global_store_b64 v[8:9], v[6:7], off
	s_or_b32 exec_lo, exec_lo, s0
	s_and_saveexec_b32 s0, s6
	s_cbranch_execz .LBB222_144
.LBB222_160:
	s_mul_i32 s2, s28, 0x300
	s_mov_b32 s3, 0
	s_wait_alu 0xfffe
	s_lshl_b64 s[2:3], s[2:3], 3
	s_wait_dscnt 0x2
	s_wait_alu 0xfffe
	v_add_co_u32 v6, vcc_lo, v2, s2
	s_wait_alu 0xfffd
	v_add_co_ci_u32_e64 v7, null, s3, v3, vcc_lo
	s_wait_dscnt 0x1
	global_store_b64 v[6:7], v[4:5], off
	s_or_b32 exec_lo, exec_lo, s0
	s_and_saveexec_b32 s0, s7
	s_cbranch_execnz .LBB222_145
	s_branch .LBB222_146
	.section	.rodata,"a",@progbits
	.p2align	6, 0x0
	.amdhsa_kernel _ZN2at6native18radixSortKVInPlaceILin2ELin1ELi128ELi8EN3c104HalfEljEEvNS_4cuda6detail10TensorInfoIT3_T5_EES8_S8_S8_NS6_IT4_S8_EES8_b
		.amdhsa_group_segment_fixed_size 8448
		.amdhsa_private_segment_fixed_size 0
		.amdhsa_kernarg_size 712
		.amdhsa_user_sgpr_count 2
		.amdhsa_user_sgpr_dispatch_ptr 0
		.amdhsa_user_sgpr_queue_ptr 0
		.amdhsa_user_sgpr_kernarg_segment_ptr 1
		.amdhsa_user_sgpr_dispatch_id 0
		.amdhsa_user_sgpr_private_segment_size 0
		.amdhsa_wavefront_size32 1
		.amdhsa_uses_dynamic_stack 0
		.amdhsa_enable_private_segment 0
		.amdhsa_system_sgpr_workgroup_id_x 1
		.amdhsa_system_sgpr_workgroup_id_y 1
		.amdhsa_system_sgpr_workgroup_id_z 1
		.amdhsa_system_sgpr_workgroup_info 0
		.amdhsa_system_vgpr_workitem_id 2
		.amdhsa_next_free_vgpr 113
		.amdhsa_next_free_sgpr 38
		.amdhsa_reserve_vcc 1
		.amdhsa_float_round_mode_32 0
		.amdhsa_float_round_mode_16_64 0
		.amdhsa_float_denorm_mode_32 3
		.amdhsa_float_denorm_mode_16_64 3
		.amdhsa_fp16_overflow 0
		.amdhsa_workgroup_processor_mode 1
		.amdhsa_memory_ordered 1
		.amdhsa_forward_progress 1
		.amdhsa_inst_pref_size 179
		.amdhsa_round_robin_scheduling 0
		.amdhsa_exception_fp_ieee_invalid_op 0
		.amdhsa_exception_fp_denorm_src 0
		.amdhsa_exception_fp_ieee_div_zero 0
		.amdhsa_exception_fp_ieee_overflow 0
		.amdhsa_exception_fp_ieee_underflow 0
		.amdhsa_exception_fp_ieee_inexact 0
		.amdhsa_exception_int_div_zero 0
	.end_amdhsa_kernel
	.section	.text._ZN2at6native18radixSortKVInPlaceILin2ELin1ELi128ELi8EN3c104HalfEljEEvNS_4cuda6detail10TensorInfoIT3_T5_EES8_S8_S8_NS6_IT4_S8_EES8_b,"axG",@progbits,_ZN2at6native18radixSortKVInPlaceILin2ELin1ELi128ELi8EN3c104HalfEljEEvNS_4cuda6detail10TensorInfoIT3_T5_EES8_S8_S8_NS6_IT4_S8_EES8_b,comdat
.Lfunc_end222:
	.size	_ZN2at6native18radixSortKVInPlaceILin2ELin1ELi128ELi8EN3c104HalfEljEEvNS_4cuda6detail10TensorInfoIT3_T5_EES8_S8_S8_NS6_IT4_S8_EES8_b, .Lfunc_end222-_ZN2at6native18radixSortKVInPlaceILin2ELin1ELi128ELi8EN3c104HalfEljEEvNS_4cuda6detail10TensorInfoIT3_T5_EES8_S8_S8_NS6_IT4_S8_EES8_b
                                        ; -- End function
	.set _ZN2at6native18radixSortKVInPlaceILin2ELin1ELi128ELi8EN3c104HalfEljEEvNS_4cuda6detail10TensorInfoIT3_T5_EES8_S8_S8_NS6_IT4_S8_EES8_b.num_vgpr, 113
	.set _ZN2at6native18radixSortKVInPlaceILin2ELin1ELi128ELi8EN3c104HalfEljEEvNS_4cuda6detail10TensorInfoIT3_T5_EES8_S8_S8_NS6_IT4_S8_EES8_b.num_agpr, 0
	.set _ZN2at6native18radixSortKVInPlaceILin2ELin1ELi128ELi8EN3c104HalfEljEEvNS_4cuda6detail10TensorInfoIT3_T5_EES8_S8_S8_NS6_IT4_S8_EES8_b.numbered_sgpr, 38
	.set _ZN2at6native18radixSortKVInPlaceILin2ELin1ELi128ELi8EN3c104HalfEljEEvNS_4cuda6detail10TensorInfoIT3_T5_EES8_S8_S8_NS6_IT4_S8_EES8_b.num_named_barrier, 0
	.set _ZN2at6native18radixSortKVInPlaceILin2ELin1ELi128ELi8EN3c104HalfEljEEvNS_4cuda6detail10TensorInfoIT3_T5_EES8_S8_S8_NS6_IT4_S8_EES8_b.private_seg_size, 0
	.set _ZN2at6native18radixSortKVInPlaceILin2ELin1ELi128ELi8EN3c104HalfEljEEvNS_4cuda6detail10TensorInfoIT3_T5_EES8_S8_S8_NS6_IT4_S8_EES8_b.uses_vcc, 1
	.set _ZN2at6native18radixSortKVInPlaceILin2ELin1ELi128ELi8EN3c104HalfEljEEvNS_4cuda6detail10TensorInfoIT3_T5_EES8_S8_S8_NS6_IT4_S8_EES8_b.uses_flat_scratch, 0
	.set _ZN2at6native18radixSortKVInPlaceILin2ELin1ELi128ELi8EN3c104HalfEljEEvNS_4cuda6detail10TensorInfoIT3_T5_EES8_S8_S8_NS6_IT4_S8_EES8_b.has_dyn_sized_stack, 0
	.set _ZN2at6native18radixSortKVInPlaceILin2ELin1ELi128ELi8EN3c104HalfEljEEvNS_4cuda6detail10TensorInfoIT3_T5_EES8_S8_S8_NS6_IT4_S8_EES8_b.has_recursion, 0
	.set _ZN2at6native18radixSortKVInPlaceILin2ELin1ELi128ELi8EN3c104HalfEljEEvNS_4cuda6detail10TensorInfoIT3_T5_EES8_S8_S8_NS6_IT4_S8_EES8_b.has_indirect_call, 0
	.section	.AMDGPU.csdata,"",@progbits
; Kernel info:
; codeLenInByte = 22880
; TotalNumSgprs: 40
; NumVgprs: 113
; ScratchSize: 0
; MemoryBound: 0
; FloatMode: 240
; IeeeMode: 1
; LDSByteSize: 8448 bytes/workgroup (compile time only)
; SGPRBlocks: 0
; VGPRBlocks: 14
; NumSGPRsForWavesPerEU: 40
; NumVGPRsForWavesPerEU: 113
; Occupancy: 12
; WaveLimiterHint : 1
; COMPUTE_PGM_RSRC2:SCRATCH_EN: 0
; COMPUTE_PGM_RSRC2:USER_SGPR: 2
; COMPUTE_PGM_RSRC2:TRAP_HANDLER: 0
; COMPUTE_PGM_RSRC2:TGID_X_EN: 1
; COMPUTE_PGM_RSRC2:TGID_Y_EN: 1
; COMPUTE_PGM_RSRC2:TGID_Z_EN: 1
; COMPUTE_PGM_RSRC2:TIDIG_COMP_CNT: 2
	.section	.text._ZN2at6native18radixSortKVInPlaceILin2ELin1ELi32ELi4EN3c104HalfEljEEvNS_4cuda6detail10TensorInfoIT3_T5_EES8_S8_S8_NS6_IT4_S8_EES8_b,"axG",@progbits,_ZN2at6native18radixSortKVInPlaceILin2ELin1ELi32ELi4EN3c104HalfEljEEvNS_4cuda6detail10TensorInfoIT3_T5_EES8_S8_S8_NS6_IT4_S8_EES8_b,comdat
	.protected	_ZN2at6native18radixSortKVInPlaceILin2ELin1ELi32ELi4EN3c104HalfEljEEvNS_4cuda6detail10TensorInfoIT3_T5_EES8_S8_S8_NS6_IT4_S8_EES8_b ; -- Begin function _ZN2at6native18radixSortKVInPlaceILin2ELin1ELi32ELi4EN3c104HalfEljEEvNS_4cuda6detail10TensorInfoIT3_T5_EES8_S8_S8_NS6_IT4_S8_EES8_b
	.globl	_ZN2at6native18radixSortKVInPlaceILin2ELin1ELi32ELi4EN3c104HalfEljEEvNS_4cuda6detail10TensorInfoIT3_T5_EES8_S8_S8_NS6_IT4_S8_EES8_b
	.p2align	8
	.type	_ZN2at6native18radixSortKVInPlaceILin2ELin1ELi32ELi4EN3c104HalfEljEEvNS_4cuda6detail10TensorInfoIT3_T5_EES8_S8_S8_NS6_IT4_S8_EES8_b,@function
_ZN2at6native18radixSortKVInPlaceILin2ELin1ELi32ELi4EN3c104HalfEljEEvNS_4cuda6detail10TensorInfoIT3_T5_EES8_S8_S8_NS6_IT4_S8_EES8_b: ; @_ZN2at6native18radixSortKVInPlaceILin2ELin1ELi32ELi4EN3c104HalfEljEEvNS_4cuda6detail10TensorInfoIT3_T5_EES8_S8_S8_NS6_IT4_S8_EES8_b
; %bb.0:
	s_clause 0x1
	s_load_b64 s[2:3], s[0:1], 0x1c8
	s_load_b96 s[12:14], s[0:1], 0xd8
	s_lshr_b32 s4, ttmp7, 16
	s_wait_kmcnt 0x0
	s_mul_i32 s3, s3, s4
	s_and_b32 s4, ttmp7, 0xffff
	s_delay_alu instid0(SALU_CYCLE_1) | instskip(NEXT) | instid1(SALU_CYCLE_1)
	s_add_co_i32 s3, s3, s4
	s_mul_i32 s8, s3, s2
	s_delay_alu instid0(SALU_CYCLE_1) | instskip(NEXT) | instid1(SALU_CYCLE_1)
	s_add_co_i32 s8, s8, ttmp9
	s_cmp_ge_u32 s8, s12
	s_cbranch_scc1 .LBB223_74
; %bb.1:
	s_load_b32 s2, s[0:1], 0x1b8
	s_add_nc_u64 s[6:7], s[0:1], 0xe8
	s_mov_b32 s5, 0
	s_mov_b32 s4, s8
	s_wait_kmcnt 0x0
	s_cmp_lt_i32 s2, 2
	s_cbranch_scc1 .LBB223_4
; %bb.2:
	s_add_co_i32 s4, s2, -1
	s_add_co_i32 s9, s2, 1
	s_lshl_b64 s[10:11], s[4:5], 2
	s_mov_b32 s4, s8
	s_add_nc_u64 s[10:11], s[6:7], s[10:11]
	s_delay_alu instid0(SALU_CYCLE_1)
	s_add_nc_u64 s[2:3], s[10:11], 8
.LBB223_3:                              ; =>This Inner Loop Header: Depth=1
	s_clause 0x1
	s_load_b32 s10, s[2:3], 0x0
	s_load_b32 s11, s[2:3], 0x64
	s_mov_b32 s16, s4
	s_add_nc_u64 s[2:3], s[2:3], -4
	s_wait_kmcnt 0x0
	s_cvt_f32_u32 s12, s10
	s_sub_co_i32 s15, 0, s10
	s_wait_alu 0xfffe
	s_delay_alu instid0(SALU_CYCLE_1) | instskip(NEXT) | instid1(TRANS32_DEP_1)
	v_rcp_iflag_f32_e32 v1, s12
	v_readfirstlane_b32 s12, v1
	s_mul_f32 s12, s12, 0x4f7ffffe
	s_wait_alu 0xfffe
	s_delay_alu instid0(SALU_CYCLE_2) | instskip(SKIP_1) | instid1(SALU_CYCLE_2)
	s_cvt_u32_f32 s12, s12
	s_wait_alu 0xfffe
	s_mul_i32 s15, s15, s12
	s_delay_alu instid0(SALU_CYCLE_1) | instskip(NEXT) | instid1(SALU_CYCLE_1)
	s_mul_hi_u32 s15, s12, s15
	s_add_co_i32 s12, s12, s15
	s_wait_alu 0xfffe
	s_mul_hi_u32 s4, s4, s12
	s_delay_alu instid0(SALU_CYCLE_1)
	s_mul_i32 s12, s4, s10
	s_add_co_i32 s15, s4, 1
	s_wait_alu 0xfffe
	s_sub_co_i32 s12, s16, s12
	s_wait_alu 0xfffe
	s_sub_co_i32 s17, s12, s10
	s_cmp_ge_u32 s12, s10
	s_cselect_b32 s4, s15, s4
	s_cselect_b32 s12, s17, s12
	s_add_co_i32 s15, s4, 1
	s_wait_alu 0xfffe
	s_cmp_ge_u32 s12, s10
	s_cselect_b32 s4, s15, s4
	s_add_co_i32 s9, s9, -1
	s_mul_i32 s10, s4, s10
	s_delay_alu instid0(SALU_CYCLE_1) | instskip(NEXT) | instid1(SALU_CYCLE_1)
	s_sub_co_i32 s10, s16, s10
	s_mul_i32 s10, s11, s10
	s_delay_alu instid0(SALU_CYCLE_1)
	s_add_co_i32 s5, s10, s5
	s_cmp_gt_u32 s9, 2
	s_cbranch_scc1 .LBB223_3
.LBB223_4:
	s_clause 0x2
	s_load_b64 s[16:17], s[0:1], 0x1c0
	s_load_b64 s[2:3], s[0:1], 0x0
	s_load_b32 s9, s[0:1], 0x6c
	v_and_b32_e32 v21, 0x3ff, v0
	s_add_nc_u64 s[22:23], s[0:1], 0x1c8
	s_mov_b32 s0, 0xffff
	s_mov_b32 s11, 0
	s_delay_alu instid0(VALU_DEP_1) | instskip(SKIP_4) | instid1(SALU_CYCLE_1)
	v_mul_lo_u32 v17, s14, v21
	s_wait_kmcnt 0x0
	s_bitcmp1_b32 s17, 0
	s_mul_i32 s10, s9, s8
	s_cselect_b32 s8, -1, 0
	s_and_b32 s1, s8, exec_lo
	s_cselect_b32 s9, s0, 0x7fff
	v_cmp_gt_u32_e64 s0, s13, v21
	v_mov_b32_e32 v1, s9
	s_lshl_b64 s[10:11], s[10:11], 1
	s_delay_alu instid0(SALU_CYCLE_1)
	s_add_nc_u64 s[18:19], s[2:3], s[10:11]
	s_and_saveexec_b32 s1, s0
	s_cbranch_execz .LBB223_6
; %bb.5:
	v_mov_b32_e32 v18, 0
	s_delay_alu instid0(VALU_DEP_1) | instskip(NEXT) | instid1(VALU_DEP_1)
	v_lshlrev_b64_e32 v[1:2], 1, v[17:18]
	v_add_co_u32 v1, vcc_lo, s18, v1
	s_delay_alu instid0(VALU_DEP_1)
	v_add_co_ci_u32_e64 v2, null, s19, v2, vcc_lo
	global_load_u16 v1, v[1:2], off
.LBB223_6:
	s_or_b32 exec_lo, exec_lo, s1
	v_dual_mov_b32 v2, s9 :: v_dual_add_nc_u32 v9, 32, v21
	s_delay_alu instid0(VALU_DEP_1)
	v_cmp_gt_u32_e64 s1, s13, v9
	s_and_saveexec_b32 s2, s1
	s_cbranch_execz .LBB223_8
; %bb.7:
	v_mul_lo_u32 v2, s14, v9
	v_mov_b32_e32 v3, 0
	s_delay_alu instid0(VALU_DEP_1) | instskip(NEXT) | instid1(VALU_DEP_1)
	v_lshlrev_b64_e32 v[2:3], 1, v[2:3]
	v_add_co_u32 v2, vcc_lo, s18, v2
	s_wait_alu 0xfffd
	s_delay_alu instid0(VALU_DEP_2)
	v_add_co_ci_u32_e64 v3, null, s19, v3, vcc_lo
	global_load_u16 v2, v[2:3], off
.LBB223_8:
	s_or_b32 exec_lo, exec_lo, s2
	v_dual_mov_b32 v3, s9 :: v_dual_add_nc_u32 v10, 64, v21
	s_delay_alu instid0(VALU_DEP_1)
	v_cmp_gt_u32_e64 s2, s13, v10
	s_and_saveexec_b32 s3, s2
	s_cbranch_execz .LBB223_10
; %bb.9:
	v_mul_lo_u32 v3, s14, v10
	v_mov_b32_e32 v4, 0
	s_delay_alu instid0(VALU_DEP_1) | instskip(NEXT) | instid1(VALU_DEP_1)
	v_lshlrev_b64_e32 v[3:4], 1, v[3:4]
	v_add_co_u32 v3, vcc_lo, s18, v3
	s_wait_alu 0xfffd
	s_delay_alu instid0(VALU_DEP_2)
	v_add_co_ci_u32_e64 v4, null, s19, v4, vcc_lo
	global_load_u16 v3, v[3:4], off
.LBB223_10:
	s_or_b32 exec_lo, exec_lo, s3
	s_clause 0x1
	s_load_b32 s10, s[6:7], 0x6c
	s_load_b64 s[6:7], s[6:7], 0x0
	v_dual_mov_b32 v4, s9 :: v_dual_add_nc_u32 v11, 0x60, v21
	s_delay_alu instid0(VALU_DEP_1)
	v_cmp_gt_u32_e64 s3, s13, v11
	s_and_saveexec_b32 s9, s3
	s_cbranch_execz .LBB223_12
; %bb.11:
	v_mul_lo_u32 v4, s14, v11
	v_mov_b32_e32 v5, 0
	s_delay_alu instid0(VALU_DEP_1) | instskip(NEXT) | instid1(VALU_DEP_1)
	v_lshlrev_b64_e32 v[4:5], 1, v[4:5]
	v_add_co_u32 v4, vcc_lo, s18, v4
	s_wait_alu 0xfffd
	s_delay_alu instid0(VALU_DEP_2)
	v_add_co_ci_u32_e64 v5, null, s19, v5, vcc_lo
	global_load_u16 v4, v[4:5], off
.LBB223_12:
	s_wait_alu 0xfffe
	s_or_b32 exec_lo, exec_lo, s9
	v_lshrrev_b32_e32 v5, 4, v21
	v_lshrrev_b32_e32 v6, 4, v9
	v_lshlrev_b32_e32 v7, 1, v21
	v_lshrrev_b32_e32 v8, 4, v10
	v_lshrrev_b32_e32 v13, 2, v21
	v_and_b32_e32 v5, 60, v5
	v_and_b32_e32 v6, 0x7c, v6
	v_lshrrev_b32_e32 v12, 4, v11
	v_and_b32_e32 v8, 0x7c, v8
	s_wait_kmcnt 0x0
	s_mul_i32 s4, s10, s4
	v_add_nc_u32_e32 v32, v5, v7
	v_add_nc_u32_e32 v18, v6, v7
	v_and_b32_e32 v5, 0xfc, v13
	v_and_b32_e32 v12, 0x7c, v12
	v_mul_lo_u32 v19, s16, v21
	s_wait_loadcnt 0x0
	ds_store_b16 v32, v1
	ds_store_b16 v18, v2 offset:64
	v_mov_b32_e32 v1, 0
	v_lshl_add_u32 v35, v21, 3, v5
	v_dual_mov_b32 v2, 0 :: v_dual_add_nc_u32 v33, v8, v7
	v_add_nc_u32_e32 v34, v12, v7
	ds_store_b16 v33, v3 offset:128
	ds_store_b16 v34, v4 offset:192
	s_wait_dscnt 0x0
	; wave barrier
	global_inv scope:SCOPE_SE
	ds_load_2addr_b32 v[22:23], v35 offset1:1
	s_add_co_i32 s4, s4, s5
	s_mov_b32 s5, 0
	v_mov_b32_e32 v3, 0
	v_mov_b32_e32 v4, 0
	s_lshl_b64 s[4:5], s[4:5], 3
	s_wait_loadcnt_dscnt 0x0
	s_add_nc_u64 s[20:21], s[6:7], s[4:5]
	; wave barrier
	global_inv scope:SCOPE_SE
	s_and_saveexec_b32 s4, s0
	s_cbranch_execz .LBB223_14
; %bb.13:
	v_mov_b32_e32 v20, 0
	s_delay_alu instid0(VALU_DEP_1) | instskip(NEXT) | instid1(VALU_DEP_1)
	v_lshlrev_b64_e32 v[3:4], 3, v[19:20]
	v_add_co_u32 v3, vcc_lo, s20, v3
	s_wait_alu 0xfffd
	s_delay_alu instid0(VALU_DEP_2)
	v_add_co_ci_u32_e64 v4, null, s21, v4, vcc_lo
	global_load_b64 v[3:4], v[3:4], off
.LBB223_14:
	s_or_b32 exec_lo, exec_lo, s4
	s_and_saveexec_b32 s4, s1
	s_cbranch_execz .LBB223_16
; %bb.15:
	v_mul_lo_u32 v1, s16, v9
	v_mov_b32_e32 v2, 0
	s_delay_alu instid0(VALU_DEP_1) | instskip(NEXT) | instid1(VALU_DEP_1)
	v_lshlrev_b64_e32 v[1:2], 3, v[1:2]
	v_add_co_u32 v1, vcc_lo, s20, v1
	s_wait_alu 0xfffd
	s_delay_alu instid0(VALU_DEP_2)
	v_add_co_ci_u32_e64 v2, null, s21, v2, vcc_lo
	global_load_b64 v[1:2], v[1:2], off
.LBB223_16:
	s_or_b32 exec_lo, exec_lo, s4
	v_mov_b32_e32 v5, 0
	v_dual_mov_b32 v6, 0 :: v_dual_mov_b32 v7, 0
	v_mov_b32_e32 v8, 0
	s_and_saveexec_b32 s4, s2
	s_cbranch_execz .LBB223_18
; %bb.17:
	v_mul_lo_u32 v7, s16, v10
	v_mov_b32_e32 v8, 0
	s_delay_alu instid0(VALU_DEP_1) | instskip(NEXT) | instid1(VALU_DEP_1)
	v_lshlrev_b64_e32 v[7:8], 3, v[7:8]
	v_add_co_u32 v7, vcc_lo, s20, v7
	s_wait_alu 0xfffd
	s_delay_alu instid0(VALU_DEP_2)
	v_add_co_ci_u32_e64 v8, null, s21, v8, vcc_lo
	global_load_b64 v[7:8], v[7:8], off
.LBB223_18:
	s_or_b32 exec_lo, exec_lo, s4
	v_lshrrev_b32_e32 v12, 5, v21
	v_lshrrev_b32_e32 v9, 5, v9
	;; [unrolled: 1-line block ×4, first 2 shown]
	v_lshlrev_b32_e32 v41, 2, v21
	v_lshrrev_b32_e32 v14, 3, v21
	s_xor_b32 s6, s8, -1
	s_and_saveexec_b32 s4, s3
	s_cbranch_execz .LBB223_20
; %bb.19:
	v_mul_lo_u32 v5, s16, v11
	v_mov_b32_e32 v6, 0
	s_delay_alu instid0(VALU_DEP_1) | instskip(NEXT) | instid1(VALU_DEP_1)
	v_lshlrev_b64_e32 v[5:6], 3, v[5:6]
	v_add_co_u32 v5, vcc_lo, s20, v5
	s_wait_alu 0xfffd
	s_delay_alu instid0(VALU_DEP_2)
	v_add_co_ci_u32_e64 v6, null, s21, v6, vcc_lo
	global_load_b64 v[5:6], v[5:6], off
.LBB223_20:
	s_or_b32 exec_lo, exec_lo, s4
	v_lshlrev_b32_e32 v11, 3, v21
	v_lshlrev_b32_e32 v40, 3, v41
	v_mbcnt_lo_u32_b32 v44, -1, 0
	v_lshrrev_b32_e32 v48, 16, v22
	v_lshrrev_b32_e32 v47, 16, v23
	v_lshl_add_u32 v36, v12, 3, v11
	v_lshl_add_u32 v39, v14, 3, v40
	;; [unrolled: 1-line block ×5, first 2 shown]
	s_wait_loadcnt 0x0
	ds_store_b64 v36, v[3:4]
	ds_store_b64 v20, v[1:2] offset:256
	ds_store_b64 v37, v[7:8] offset:512
	ds_store_b64 v38, v[5:6] offset:768
	s_wait_dscnt 0x0
	; wave barrier
	global_inv scope:SCOPE_SE
	ds_load_2addr_b64 v[5:8], v39 offset1:1
	ds_load_2addr_b64 v[1:4], v39 offset0:2 offset1:3
	v_and_b32_e32 v43, 3, v44
	v_and_b32_e32 v45, 28, v44
	s_and_b32 vcc_lo, exec_lo, s6
	v_bfe_u32 v46, v0, 10, 10
	v_bfe_u32 v0, v0, 20, 10
	v_cmp_eq_u32_e64 s5, 1, v43
	v_cmp_eq_u32_e64 s4, 2, v43
	v_cmp_eq_u32_e64 s6, 3, v43
	v_lshlrev_b32_e32 v42, 5, v21
	s_mov_b32 s7, -1
	; wave barrier
	s_wait_loadcnt_dscnt 0x0
	global_inv scope:SCOPE_SE
                                        ; implicit-def: $vgpr14
                                        ; implicit-def: $vgpr13
	s_wait_alu 0xfffe
	s_cbranch_vccz .LBB223_42
; %bb.21:
	v_cmp_lt_i16_e32 vcc_lo, -1, v22
	s_getpc_b64 s[8:9]
	s_wait_alu 0xfffe
	s_sext_i32_i16 s9, s9
	s_add_co_u32 s8, s8, _ZN7rocprim17ROCPRIM_400000_NS16block_radix_sortI6__halfLj32ELj4ElLj1ELj1ELj0ELNS0_26block_radix_rank_algorithmE1ELNS0_18block_padding_hintE2ELNS0_4arch9wavefront6targetE0EE19radix_bits_per_passE@rel32@lo+12
	s_wait_alu 0xfffe
	s_add_co_ci_u32 s9, s9, _ZN7rocprim17ROCPRIM_400000_NS16block_radix_sortI6__halfLj32ELj4ElLj1ELj1ELj0ELNS0_26block_radix_rank_algorithmE1ELNS0_18block_padding_hintE2ELNS0_4arch9wavefront6targetE0EE19radix_bits_per_passE@rel32@hi+24
	s_wait_loadcnt 0x0
	s_load_b32 s13, s[8:9], 0x0
	; wave barrier
	global_inv scope:SCOPE_SE
	v_cndmask_b32_e64 v9, -1, 0xffff8000, vcc_lo
	v_cmp_lt_i16_e32 vcc_lo, -1, v48
	s_load_b32 s9, s[22:23], 0xc
	ds_bpermute_b32 v56, v45, v5
	ds_bpermute_b32 v31, v45, v6
	v_xor_b32_e32 v9, v9, v22
	v_cndmask_b32_e64 v10, -1, 0xffff8000, vcc_lo
	v_cmp_lt_i16_e32 vcc_lo, -1, v23
	ds_bpermute_b32 v49, v45, v7
	ds_bpermute_b32 v28, v45, v8
	v_and_b32_e32 v9, 0xffff, v9
	v_xor_b32_e32 v10, v10, v48
	s_wait_alu 0xfffd
	v_cndmask_b32_e64 v11, -1, 0xffff8000, vcc_lo
	v_cmp_lt_i16_e32 vcc_lo, -1, v47
	ds_bpermute_b32 v29, v45, v1
	ds_bpermute_b32 v13, v45, v9
	v_dual_mov_b32 v83, 0 :: v_dual_and_b32 v10, 0xffff, v10
	s_wait_alu 0xfffd
	v_cndmask_b32_e64 v12, -1, 0xffff8000, vcc_lo
	v_xor_b32_e32 v11, v11, v23
	s_wait_kmcnt 0x0
	s_min_u32 s7, s13, 16
	ds_bpermute_b32 v14, v45, v10
	s_lshl_b32 s7, -1, s7
	v_xor_b32_e32 v12, v12, v47
	v_and_b32_e32 v11, 0xffff, v11
	s_not_b32 s8, s7
	ds_bpermute_b32 v25, v45, v2
	ds_bpermute_b32 v26, v45, v3
	v_and_b32_e32 v12, 0xffff, v12
	ds_bpermute_b32 v15, v45, v11
	ds_bpermute_b32 v27, v45, v4
	ds_bpermute_b32 v63, v45, v5 offset:32
	ds_bpermute_b32 v64, v45, v6 offset:32
	ds_bpermute_b32 v16, v45, v12
	ds_bpermute_b32 v55, v45, v7 offset:32
	ds_bpermute_b32 v57, v45, v8 offset:32
	;; [unrolled: 1-line block ×7, first 2 shown]
	s_wait_dscnt 0xe
	v_cndmask_b32_e64 v13, v13, v14, s5
	ds_bpermute_b32 v66, v45, v6 offset:64
	ds_bpermute_b32 v60, v45, v7 offset:64
	;; [unrolled: 1-line block ×7, first 2 shown]
	s_wait_dscnt 0x12
	v_cndmask_b32_e64 v13, v13, v15, s4
	ds_bpermute_b32 v67, v45, v5 offset:96
	ds_bpermute_b32 v68, v45, v9 offset:32
	;; [unrolled: 1-line block ×4, first 2 shown]
	s_wait_dscnt 0x12
	v_cndmask_b32_e64 v62, v13, v16, s6
	ds_bpermute_b32 v80, v45, v12 offset:32
	ds_bpermute_b32 v14, v45, v10 offset:64
	;; [unrolled: 1-line block ×4, first 2 shown]
	v_and_b32_e32 v13, 0xffff, v62
	v_cmp_ne_u16_e32 vcc_lo, 0x7fff, v62
	ds_bpermute_b32 v12, v45, v12 offset:96
	ds_store_2addr_b32 v42, v83, v83 offset0:1 offset1:2
	ds_store_2addr_b32 v42, v83, v83 offset0:3 offset1:4
	;; [unrolled: 1-line block ×4, first 2 shown]
	; wave barrier
	s_wait_loadcnt_dscnt 0x0
	global_inv scope:SCOPE_SE
	s_wait_alu 0xfffd
	v_cndmask_b32_e32 v13, 0x8000, v13, vcc_lo
	; wave barrier
	s_wait_alu 0xfffe
	s_delay_alu instid0(VALU_DEP_1)
	v_and_b32_e32 v78, s8, v13
	ds_bpermute_b32 v13, v45, v9 offset:64
	ds_bpermute_b32 v9, v45, v9 offset:96
	v_and_b32_e32 v15, 1, v78
	v_lshlrev_b32_e32 v24, 30, v78
	v_lshlrev_b32_e32 v72, 28, v78
	s_delay_alu instid0(VALU_DEP_3)
	v_add_co_u32 v69, s7, v15, -1
	s_wait_alu 0xf1ff
	v_cndmask_b32_e64 v70, 0, 1, s7
	v_not_b32_e32 v71, v24
	v_cmp_gt_i32_e64 s7, 0, v24
	ds_bpermute_b32 v15, v45, v11 offset:64
	ds_bpermute_b32 v11, v45, v11 offset:96
	v_cmp_ne_u32_e32 vcc_lo, 0, v70
	v_lshlrev_b32_e32 v70, 29, v78
	v_ashrrev_i32_e32 v24, 31, v71
	s_wait_alu 0xfffd
	v_xor_b32_e32 v69, vcc_lo, v69
	s_delay_alu instid0(VALU_DEP_3)
	v_not_b32_e32 v71, v70
	s_wait_alu 0xf1ff
	v_xor_b32_e32 v24, s7, v24
	v_cmp_gt_i32_e32 vcc_lo, 0, v70
	s_lshr_b32 s7, s9, 16
	v_and_b32_e32 v69, exec_lo, v69
	v_ashrrev_i32_e32 v70, 31, v71
	v_not_b32_e32 v71, v72
	s_wait_alu 0xfffe
	v_mad_u32_u24 v75, v0, s7, v46
	s_and_b32 s9, s9, 0xffff
	v_and_b32_e32 v24, v69, v24
	v_lshlrev_b32_e32 v69, 27, v78
	s_wait_alu 0xfffd
	v_xor_b32_e32 v70, vcc_lo, v70
	v_cmp_gt_i32_e32 vcc_lo, 0, v72
	v_ashrrev_i32_e32 v72, 31, v71
	s_wait_alu 0xfffe
	v_mad_co_u64_u32 v[81:82], null, v75, s9, v[21:22]
	v_not_b32_e32 v73, v69
	v_and_b32_e32 v24, v24, v70
	v_lshlrev_b32_e32 v70, 26, v78
	s_wait_alu 0xfffd
	v_xor_b32_e32 v72, vcc_lo, v72
	v_cmp_gt_i32_e32 vcc_lo, 0, v69
	v_ashrrev_i32_e32 v73, 31, v73
	ds_bpermute_b32 v71, v45, v6 offset:96
	v_not_b32_e32 v74, v70
	v_and_b32_e32 v24, v24, v72
	v_lshlrev_b32_e32 v72, 25, v78
	s_wait_alu 0xfffd
	v_xor_b32_e32 v73, vcc_lo, v73
	v_cmp_gt_i32_e32 vcc_lo, 0, v70
	v_ashrrev_i32_e32 v70, 31, v74
	ds_bpermute_b32 v69, v45, v7 offset:96
	v_not_b32_e32 v74, v72
	v_and_b32_e32 v24, v24, v73
	v_lshlrev_b32_e32 v73, 24, v78
	s_wait_alu 0xfffd
	v_xor_b32_e32 v70, vcc_lo, v70
	v_cmp_gt_i32_e32 vcc_lo, 0, v72
	v_ashrrev_i32_e32 v72, 31, v74
	ds_bpermute_b32 v75, v45, v8 offset:96
	v_not_b32_e32 v74, v73
	v_and_b32_e32 v24, v24, v70
	v_lshrrev_b32_e32 v82, 5, v81
	s_wait_alu 0xfffd
	v_xor_b32_e32 v70, vcc_lo, v72
	v_cmp_gt_i32_e32 vcc_lo, 0, v73
	v_ashrrev_i32_e32 v72, 31, v74
	ds_bpermute_b32 v73, v45, v1 offset:96
	ds_bpermute_b32 v74, v45, v2 offset:96
	v_and_b32_e32 v24, v24, v70
	ds_bpermute_b32 v70, v45, v3 offset:96
	s_wait_alu 0xfffd
	v_xor_b32_e32 v76, vcc_lo, v72
	ds_bpermute_b32 v72, v45, v4 offset:96
	v_and_b32_e32 v81, v24, v76
	v_lshlrev_b32_e32 v24, 2, v82
	s_delay_alu instid0(VALU_DEP_2) | instskip(SKIP_1) | instid1(VALU_DEP_3)
	v_mbcnt_lo_u32_b32 v76, v81, 0
	v_cmp_ne_u32_e64 s7, 0, v81
	v_lshl_add_u32 v78, v78, 2, v24
	s_delay_alu instid0(VALU_DEP_3)
	v_cmp_eq_u32_e32 vcc_lo, 0, v76
	s_and_b32 s9, s7, vcc_lo
	s_wait_alu 0xfffe
	s_and_saveexec_b32 s7, s9
; %bb.22:
	v_bcnt_u32_b32 v81, v81, 0
	ds_store_b32 v78, v81 offset:4
; %bb.23:
	s_wait_alu 0xfffe
	s_or_b32 exec_lo, exec_lo, s7
	v_cndmask_b32_e64 v68, v68, v77, s5
	; wave barrier
	s_delay_alu instid0(VALU_DEP_1) | instskip(NEXT) | instid1(VALU_DEP_1)
	v_cndmask_b32_e64 v68, v68, v79, s4
	v_cndmask_b32_e64 v77, v68, v80, s6
	s_delay_alu instid0(VALU_DEP_1) | instskip(SKIP_2) | instid1(VALU_DEP_2)
	v_and_b32_e32 v68, 0xffff, v77
	v_cmp_ne_u16_e32 vcc_lo, 0x7fff, v77
	s_wait_alu 0xfffd
	v_cndmask_b32_e32 v68, 0x8000, v68, vcc_lo
	s_delay_alu instid0(VALU_DEP_1) | instskip(NEXT) | instid1(VALU_DEP_1)
	v_and_b32_e32 v68, s8, v68
	v_and_b32_e32 v79, 1, v68
	v_lshlrev_b32_e32 v80, 30, v68
	v_lshlrev_b32_e32 v81, 29, v68
	;; [unrolled: 1-line block ×4, first 2 shown]
	v_add_co_u32 v79, s7, v79, -1
	s_wait_alu 0xf1ff
	v_cndmask_b32_e64 v83, 0, 1, s7
	v_not_b32_e32 v87, v80
	v_cmp_gt_i32_e64 s7, 0, v80
	v_not_b32_e32 v80, v81
	v_lshlrev_b32_e32 v85, 26, v68
	v_cmp_ne_u32_e32 vcc_lo, 0, v83
	v_ashrrev_i32_e32 v87, 31, v87
	v_lshlrev_b32_e32 v86, 25, v68
	v_ashrrev_i32_e32 v80, 31, v80
	v_lshlrev_b32_e32 v83, 24, v68
	s_wait_alu 0xfffd
	v_xor_b32_e32 v79, vcc_lo, v79
	v_cmp_gt_i32_e32 vcc_lo, 0, v81
	v_not_b32_e32 v81, v82
	s_wait_alu 0xf1ff
	v_xor_b32_e32 v87, s7, v87
	v_cmp_gt_i32_e64 s7, 0, v82
	v_and_b32_e32 v79, exec_lo, v79
	v_not_b32_e32 v82, v84
	v_ashrrev_i32_e32 v81, 31, v81
	s_wait_alu 0xfffd
	v_xor_b32_e32 v80, vcc_lo, v80
	v_cmp_gt_i32_e32 vcc_lo, 0, v84
	v_and_b32_e32 v79, v79, v87
	v_not_b32_e32 v84, v85
	v_ashrrev_i32_e32 v82, 31, v82
	s_wait_alu 0xf1ff
	v_xor_b32_e32 v81, s7, v81
	v_cmp_gt_i32_e64 s7, 0, v85
	v_and_b32_e32 v79, v79, v80
	v_not_b32_e32 v80, v86
	v_ashrrev_i32_e32 v84, 31, v84
	s_wait_alu 0xfffd
	v_xor_b32_e32 v82, vcc_lo, v82
	v_cmp_gt_i32_e32 vcc_lo, 0, v86
	v_and_b32_e32 v79, v79, v81
	v_not_b32_e32 v81, v83
	v_ashrrev_i32_e32 v80, 31, v80
	s_wait_alu 0xf1ff
	v_xor_b32_e32 v84, s7, v84
	v_cmp_gt_i32_e64 s7, 0, v83
	v_and_b32_e32 v79, v79, v82
	v_ashrrev_i32_e32 v81, 31, v81
	s_wait_alu 0xfffd
	v_xor_b32_e32 v80, vcc_lo, v80
	v_lshl_add_u32 v82, v68, 2, v24
	v_and_b32_e32 v79, v79, v84
	s_wait_alu 0xf1ff
	v_xor_b32_e32 v68, s7, v81
	s_delay_alu instid0(VALU_DEP_2) | instskip(SKIP_2) | instid1(VALU_DEP_1)
	v_and_b32_e32 v80, v79, v80
	ds_load_b32 v79, v82 offset:4
	; wave barrier
	v_and_b32_e32 v68, v80, v68
	v_mbcnt_lo_u32_b32 v80, v68, 0
	v_cmp_ne_u32_e64 s7, 0, v68
	s_delay_alu instid0(VALU_DEP_2)
	v_cmp_eq_u32_e32 vcc_lo, 0, v80
	s_and_b32 s9, s7, vcc_lo
	s_wait_alu 0xfffe
	s_and_saveexec_b32 s7, s9
	s_cbranch_execz .LBB223_25
; %bb.24:
	s_wait_dscnt 0x0
	v_bcnt_u32_b32 v68, v68, v79
	ds_store_b32 v82, v68 offset:4
.LBB223_25:
	s_wait_alu 0xfffe
	s_or_b32 exec_lo, exec_lo, s7
	s_wait_dscnt 0xb
	v_cndmask_b32_e64 v13, v13, v14, s5
	; wave barrier
	s_wait_dscnt 0x9
	s_delay_alu instid0(VALU_DEP_1) | instskip(NEXT) | instid1(VALU_DEP_1)
	v_cndmask_b32_e64 v13, v13, v15, s4
	v_cndmask_b32_e64 v81, v13, v16, s6
	s_delay_alu instid0(VALU_DEP_1) | instskip(SKIP_2) | instid1(VALU_DEP_2)
	v_and_b32_e32 v13, 0xffff, v81
	v_cmp_ne_u16_e32 vcc_lo, 0x7fff, v81
	s_wait_alu 0xfffd
	v_cndmask_b32_e32 v13, 0x8000, v13, vcc_lo
	s_delay_alu instid0(VALU_DEP_1) | instskip(NEXT) | instid1(VALU_DEP_1)
	v_and_b32_e32 v13, s8, v13
	v_and_b32_e32 v14, 1, v13
	v_lshlrev_b32_e32 v15, 30, v13
	v_lshlrev_b32_e32 v16, 29, v13
	;; [unrolled: 1-line block ×4, first 2 shown]
	v_add_co_u32 v14, s7, v14, -1
	s_wait_alu 0xf1ff
	v_cndmask_b32_e64 v83, 0, 1, s7
	v_not_b32_e32 v87, v15
	v_cmp_gt_i32_e64 s7, 0, v15
	v_not_b32_e32 v15, v16
	v_lshlrev_b32_e32 v85, 26, v13
	v_cmp_ne_u32_e32 vcc_lo, 0, v83
	v_ashrrev_i32_e32 v87, 31, v87
	v_lshlrev_b32_e32 v86, 25, v13
	v_ashrrev_i32_e32 v15, 31, v15
	v_lshlrev_b32_e32 v83, 24, v13
	s_wait_alu 0xfffd
	v_xor_b32_e32 v14, vcc_lo, v14
	v_cmp_gt_i32_e32 vcc_lo, 0, v16
	v_not_b32_e32 v16, v68
	s_wait_alu 0xf1ff
	v_xor_b32_e32 v87, s7, v87
	v_cmp_gt_i32_e64 s7, 0, v68
	v_and_b32_e32 v14, exec_lo, v14
	v_not_b32_e32 v68, v84
	v_ashrrev_i32_e32 v16, 31, v16
	s_wait_alu 0xfffd
	v_xor_b32_e32 v15, vcc_lo, v15
	v_cmp_gt_i32_e32 vcc_lo, 0, v84
	v_and_b32_e32 v14, v14, v87
	v_not_b32_e32 v84, v85
	v_ashrrev_i32_e32 v68, 31, v68
	s_wait_alu 0xf1ff
	v_xor_b32_e32 v16, s7, v16
	v_cmp_gt_i32_e64 s7, 0, v85
	v_and_b32_e32 v14, v14, v15
	v_not_b32_e32 v15, v86
	v_ashrrev_i32_e32 v84, 31, v84
	s_wait_alu 0xfffd
	v_xor_b32_e32 v68, vcc_lo, v68
	v_cmp_gt_i32_e32 vcc_lo, 0, v86
	v_and_b32_e32 v14, v14, v16
	v_not_b32_e32 v16, v83
	v_ashrrev_i32_e32 v15, 31, v15
	s_wait_alu 0xf1ff
	v_xor_b32_e32 v84, s7, v84
	v_cmp_gt_i32_e64 s7, 0, v83
	v_and_b32_e32 v14, v14, v68
	v_ashrrev_i32_e32 v16, 31, v16
	s_wait_alu 0xfffd
	v_xor_b32_e32 v15, vcc_lo, v15
	v_lshl_add_u32 v86, v13, 2, v24
	v_and_b32_e32 v14, v14, v84
	s_wait_alu 0xf1ff
	v_xor_b32_e32 v13, s7, v16
	ds_load_b32 v83, v86 offset:4
	v_and_b32_e32 v14, v14, v15
	; wave barrier
	s_delay_alu instid0(VALU_DEP_1) | instskip(NEXT) | instid1(VALU_DEP_1)
	v_and_b32_e32 v13, v14, v13
	v_mbcnt_lo_u32_b32 v84, v13, 0
	v_cmp_ne_u32_e64 s7, 0, v13
	s_delay_alu instid0(VALU_DEP_2)
	v_cmp_eq_u32_e32 vcc_lo, 0, v84
	s_and_b32 s9, s7, vcc_lo
	s_wait_alu 0xfffe
	s_and_saveexec_b32 s7, s9
	s_cbranch_execz .LBB223_27
; %bb.26:
	s_wait_dscnt 0x0
	v_bcnt_u32_b32 v13, v13, v83
	ds_store_b32 v86, v13 offset:4
.LBB223_27:
	s_wait_alu 0xfffe
	s_or_b32 exec_lo, exec_lo, s7
	v_cndmask_b32_e64 v9, v9, v10, s5
	; wave barrier
	v_and_or_b32 v90, 0xf80, v41, v44
	s_wait_dscnt 0x9
	s_delay_alu instid0(VALU_DEP_2) | instskip(NEXT) | instid1(VALU_DEP_1)
	v_cndmask_b32_e64 v9, v9, v11, s4
	v_cndmask_b32_e64 v85, v9, v12, s6
	s_delay_alu instid0(VALU_DEP_1) | instskip(SKIP_2) | instid1(VALU_DEP_2)
	v_and_b32_e32 v9, 0xffff, v85
	v_cmp_ne_u16_e32 vcc_lo, 0x7fff, v85
	s_wait_alu 0xfffd
	v_cndmask_b32_e32 v9, 0x8000, v9, vcc_lo
	s_delay_alu instid0(VALU_DEP_1) | instskip(NEXT) | instid1(VALU_DEP_1)
	v_and_b32_e32 v9, s8, v9
	v_and_b32_e32 v10, 1, v9
	v_lshlrev_b32_e32 v11, 30, v9
	v_lshlrev_b32_e32 v12, 29, v9
	;; [unrolled: 1-line block ×4, first 2 shown]
	v_add_co_u32 v10, s7, v10, -1
	s_wait_alu 0xf1ff
	v_cndmask_b32_e64 v14, 0, 1, s7
	v_not_b32_e32 v87, v11
	v_cmp_gt_i32_e64 s7, 0, v11
	v_not_b32_e32 v11, v12
	v_lshlrev_b32_e32 v16, 26, v9
	v_cmp_ne_u32_e32 vcc_lo, 0, v14
	v_ashrrev_i32_e32 v87, 31, v87
	v_lshlrev_b32_e32 v68, 25, v9
	v_ashrrev_i32_e32 v11, 31, v11
	v_lshlrev_b32_e32 v14, 24, v9
	s_wait_alu 0xfffd
	v_xor_b32_e32 v10, vcc_lo, v10
	v_cmp_gt_i32_e32 vcc_lo, 0, v12
	v_not_b32_e32 v12, v13
	s_wait_alu 0xf1ff
	v_xor_b32_e32 v87, s7, v87
	v_cmp_gt_i32_e64 s7, 0, v13
	v_and_b32_e32 v10, exec_lo, v10
	v_not_b32_e32 v13, v15
	v_ashrrev_i32_e32 v12, 31, v12
	s_wait_alu 0xfffd
	v_xor_b32_e32 v11, vcc_lo, v11
	v_cmp_gt_i32_e32 vcc_lo, 0, v15
	v_and_b32_e32 v10, v10, v87
	v_not_b32_e32 v15, v16
	v_ashrrev_i32_e32 v13, 31, v13
	s_wait_alu 0xf1ff
	v_xor_b32_e32 v12, s7, v12
	v_cmp_gt_i32_e64 s7, 0, v16
	v_and_b32_e32 v10, v10, v11
	v_not_b32_e32 v11, v68
	v_ashrrev_i32_e32 v15, 31, v15
	s_wait_alu 0xfffd
	v_xor_b32_e32 v13, vcc_lo, v13
	v_cmp_gt_i32_e32 vcc_lo, 0, v68
	v_and_b32_e32 v10, v10, v12
	v_not_b32_e32 v12, v14
	v_ashrrev_i32_e32 v11, 31, v11
	s_wait_alu 0xf1ff
	v_xor_b32_e32 v15, s7, v15
	v_cmp_gt_i32_e64 s7, 0, v14
	v_and_b32_e32 v10, v10, v13
	v_ashrrev_i32_e32 v12, 31, v12
	s_wait_alu 0xfffd
	v_xor_b32_e32 v11, vcc_lo, v11
	v_lshl_add_u32 v89, v9, 2, v24
	v_and_b32_e32 v10, v10, v15
	s_wait_alu 0xf1ff
	v_xor_b32_e32 v9, s7, v12
	ds_load_b32 v87, v89 offset:4
	v_and_b32_e32 v10, v10, v11
	; wave barrier
	s_delay_alu instid0(VALU_DEP_1) | instskip(NEXT) | instid1(VALU_DEP_1)
	v_and_b32_e32 v9, v10, v9
	v_mbcnt_lo_u32_b32 v88, v9, 0
	v_cmp_ne_u32_e64 s7, 0, v9
	s_delay_alu instid0(VALU_DEP_2)
	v_cmp_eq_u32_e32 vcc_lo, 0, v88
	s_and_b32 s8, s7, vcc_lo
	s_wait_alu 0xfffe
	s_and_saveexec_b32 s7, s8
	s_cbranch_execz .LBB223_29
; %bb.28:
	s_wait_dscnt 0x0
	v_bcnt_u32_b32 v9, v9, v87
	ds_store_b32 v89, v9 offset:4
.LBB223_29:
	s_wait_alu 0xfffe
	s_or_b32 exec_lo, exec_lo, s7
	; wave barrier
	; wave barrier
	s_wait_loadcnt_dscnt 0x0
	global_inv scope:SCOPE_SE
	ds_load_2addr_b32 v[15:16], v42 offset0:1 offset1:2
	ds_load_2addr_b32 v[13:14], v42 offset0:3 offset1:4
	ds_load_2addr_b32 v[11:12], v42 offset0:5 offset1:6
	ds_load_2addr_b32 v[9:10], v42 offset0:7 offset1:8
	v_and_b32_e32 v92, 16, v44
	v_cmp_eq_u32_e64 s10, 31, v21
	s_delay_alu instid0(VALU_DEP_2) | instskip(SKIP_3) | instid1(VALU_DEP_1)
	v_cmp_eq_u32_e64 s11, 0, v92
	s_wait_dscnt 0x3
	v_add_nc_u32_e32 v68, v16, v15
	s_wait_dscnt 0x2
	v_add3_u32 v68, v68, v13, v14
	s_wait_dscnt 0x1
	s_delay_alu instid0(VALU_DEP_1) | instskip(SKIP_1) | instid1(VALU_DEP_1)
	v_add3_u32 v68, v68, v11, v12
	s_wait_dscnt 0x0
	v_add3_u32 v10, v68, v9, v10
	v_and_b32_e32 v68, 15, v44
	s_delay_alu instid0(VALU_DEP_2) | instskip(NEXT) | instid1(VALU_DEP_2)
	v_mov_b32_dpp v91, v10 row_shr:1 row_mask:0xf bank_mask:0xf
	v_cmp_eq_u32_e32 vcc_lo, 0, v68
	v_cmp_lt_u32_e64 s7, 1, v68
	v_cmp_lt_u32_e64 s8, 3, v68
	;; [unrolled: 1-line block ×3, first 2 shown]
	s_wait_alu 0xfffd
	v_cndmask_b32_e64 v91, v91, 0, vcc_lo
	s_delay_alu instid0(VALU_DEP_1) | instskip(NEXT) | instid1(VALU_DEP_1)
	v_add_nc_u32_e32 v10, v91, v10
	v_mov_b32_dpp v91, v10 row_shr:2 row_mask:0xf bank_mask:0xf
	s_wait_alu 0xf1ff
	s_delay_alu instid0(VALU_DEP_1) | instskip(NEXT) | instid1(VALU_DEP_1)
	v_cndmask_b32_e64 v91, 0, v91, s7
	v_add_nc_u32_e32 v10, v10, v91
	s_delay_alu instid0(VALU_DEP_1) | instskip(NEXT) | instid1(VALU_DEP_1)
	v_mov_b32_dpp v91, v10 row_shr:4 row_mask:0xf bank_mask:0xf
	v_cndmask_b32_e64 v91, 0, v91, s8
	s_delay_alu instid0(VALU_DEP_1) | instskip(NEXT) | instid1(VALU_DEP_1)
	v_add_nc_u32_e32 v10, v10, v91
	v_mov_b32_dpp v91, v10 row_shr:8 row_mask:0xf bank_mask:0xf
	s_delay_alu instid0(VALU_DEP_1) | instskip(NEXT) | instid1(VALU_DEP_1)
	v_cndmask_b32_e64 v68, 0, v91, s9
	v_add_nc_u32_e32 v91, v10, v68
	v_bfe_i32 v68, v44, 4, 1
	ds_swizzle_b32 v10, v91 offset:swizzle(BROADCAST,32,15)
	s_wait_dscnt 0x0
	v_and_b32_e32 v93, v68, v10
	v_sub_co_u32 v68, s15, v44, 1
	v_mul_u32_u24_e32 v10, 6, v90
	s_delay_alu instid0(VALU_DEP_3)
	v_add_nc_u32_e32 v91, v91, v93
	s_and_saveexec_b32 s12, s10
; %bb.30:
	v_mov_b32_e32 v92, 0
	ds_store_b32 v92, v91
; %bb.31:
	s_wait_alu 0xfffe
	s_or_b32 exec_lo, exec_lo, s12
	v_cmp_gt_i32_e64 s12, 0, v68
	; wave barrier
	s_wait_loadcnt_dscnt 0x0
	global_inv scope:SCOPE_SE
	s_min_u32 s13, s13, 8
	s_wait_alu 0xfffe
	s_lshl_b32 s13, -1, s13
	v_cndmask_b32_e64 v68, v68, v44, s12
	v_cmp_eq_u32_e64 s12, 0, v21
	s_wait_alu 0xfffe
	s_not_b32 s13, s13
	v_lshlrev_b32_e32 v68, 2, v68
	s_or_b32 s15, s12, s15
	v_cmp_eq_u32_e64 s12, 0, v43
	ds_bpermute_b32 v91, v68, v91
	s_wait_dscnt 0x0
	s_wait_alu 0xfffe
	v_cndmask_b32_e64 v91, v91, 0, s15
	s_delay_alu instid0(VALU_DEP_1) | instskip(NEXT) | instid1(VALU_DEP_1)
	v_add_nc_u32_e32 v15, v91, v15
	v_add_nc_u32_e32 v16, v15, v16
	s_delay_alu instid0(VALU_DEP_1) | instskip(NEXT) | instid1(VALU_DEP_1)
	v_add_nc_u32_e32 v13, v16, v13
	v_add_nc_u32_e32 v14, v13, v14
	;; [unrolled: 3-line block ×3, first 2 shown]
	s_delay_alu instid0(VALU_DEP_1)
	v_add_nc_u32_e32 v9, v12, v9
	ds_store_2addr_b32 v42, v91, v15 offset0:1 offset1:2
	ds_store_2addr_b32 v42, v16, v13 offset0:3 offset1:4
	;; [unrolled: 1-line block ×4, first 2 shown]
	; wave barrier
	s_wait_loadcnt_dscnt 0x0
	global_inv scope:SCOPE_SE
	ds_load_b32 v9, v78 offset:4
	ds_load_b32 v11, v82 offset:4
	;; [unrolled: 1-line block ×4, first 2 shown]
	s_wait_alu 0xf1ff
	v_cndmask_b32_e64 v14, 0, v56, s12
	v_lshlrev_b32_e32 v15, 1, v90
	v_cndmask_b32_e64 v56, 0, v64, s12
	v_cndmask_b32_e64 v64, 0, v66, s12
	;; [unrolled: 1-line block ×9, first 2 shown]
	v_add_nc_u32_e32 v67, v15, v10
	; wave barrier
	s_wait_loadcnt_dscnt 0x0
	global_inv scope:SCOPE_SE
	v_cndmask_b32_e64 v16, v16, v28, s5
	v_cndmask_b32_e64 v28, v56, v57, s5
	v_add_nc_u32_e32 v29, v9, v76
	v_add3_u32 v71, v80, v79, v11
	v_add3_u32 v76, v84, v83, v12
	;; [unrolled: 1-line block ×3, first 2 shown]
	v_cndmask_b32_e64 v31, v31, v55, s5
	v_lshlrev_b32_e32 v9, 1, v29
	v_lshlrev_b32_e32 v10, 1, v71
	;; [unrolled: 1-line block ×4, first 2 shown]
	ds_store_b16 v9, v62
	ds_store_b16 v10, v77
	;; [unrolled: 1-line block ×4, first 2 shown]
	; wave barrier
	s_wait_loadcnt_dscnt 0x0
	global_inv scope:SCOPE_SE
	ds_load_u16 v49, v15
	v_cndmask_b32_e64 v16, v16, v25, s4
	v_cndmask_b32_e64 v55, v64, v61, s5
	v_cndmask_b32_e64 v13, v14, v26, s6
	v_cndmask_b32_e64 v25, v31, v52, s4
	v_cndmask_b32_e64 v26, v28, v53, s4
	v_cndmask_b32_e64 v14, v16, v27, s6
	v_cndmask_b32_e64 v31, v55, v59, s4
	v_cndmask_b32_e64 v56, v63, v60, s5
	v_cndmask_b32_e64 v57, v66, v75, s5
	v_cndmask_b32_e64 v16, v26, v50, s6
	ds_load_u16 v50, v15 offset:64
	ds_load_u16 v52, v15 offset:128
	;; [unrolled: 1-line block ×3, first 2 shown]
	v_cndmask_b32_e64 v15, v25, v30, s6
	v_cndmask_b32_e64 v26, v31, v54, s6
	;; [unrolled: 1-line block ×5, first 2 shown]
	; wave barrier
	s_wait_loadcnt_dscnt 0x0
	global_inv scope:SCOPE_SE
	v_cndmask_b32_e64 v55, v60, v73, s4
	v_lshrrev_b16 v27, 8, v49
	v_cmp_ne_u16_e64 s12, 0x7fff, v49
	v_cndmask_b32_e64 v25, v28, v51, s6
	v_cndmask_b32_e64 v28, v56, v72, s6
	s_wait_alu 0xf1ff
	s_delay_alu instid0(VALU_DEP_3) | instskip(SKIP_1) | instid1(VALU_DEP_2)
	v_cndmask_b32_e64 v30, 0x80, v27, s12
	v_cndmask_b32_e64 v27, v55, v70, s6
	v_and_b32_e32 v31, 0xffff, v30
	v_mad_co_u64_u32 v[29:30], null, v29, 6, v[9:10]
	v_mad_co_u64_u32 v[9:10], null, v71, 6, v[10:11]
	s_delay_alu instid0(VALU_DEP_3) | instskip(SKIP_2) | instid1(VALU_DEP_3)
	v_and_b32_e32 v30, s13, v31
	v_mad_co_u64_u32 v[10:11], null, v76, 6, v[11:12]
	v_mad_co_u64_u32 v[11:12], null, v78, 6, v[12:13]
	v_and_b32_e32 v12, 1, v30
	ds_store_b64 v29, v[13:14]
	v_lshlrev_b32_e32 v13, 30, v30
	v_lshlrev_b32_e32 v14, 29, v30
	;; [unrolled: 1-line block ×3, first 2 shown]
	v_add_co_u32 v12, s6, v12, -1
	s_wait_alu 0xf1ff
	v_cndmask_b32_e64 v31, 0, 1, s6
	v_not_b32_e32 v56, v13
	v_cmp_gt_i32_e64 s12, 0, v13
	v_not_b32_e32 v13, v14
	v_lshlrev_b32_e32 v51, 27, v30
	v_cmp_ne_u32_e64 s6, 0, v31
	v_ashrrev_i32_e32 v56, 31, v56
	v_lshlrev_b32_e32 v54, 26, v30
	v_ashrrev_i32_e32 v13, 31, v13
	v_lshlrev_b32_e32 v55, 25, v30
	s_wait_alu 0xf1ff
	v_xor_b32_e32 v12, s6, v12
	v_cmp_gt_i32_e64 s6, 0, v14
	v_not_b32_e32 v14, v29
	v_xor_b32_e32 v56, s12, v56
	v_cmp_gt_i32_e64 s12, 0, v29
	v_and_b32_e32 v12, exec_lo, v12
	v_not_b32_e32 v29, v51
	v_ashrrev_i32_e32 v14, 31, v14
	s_wait_alu 0xf1ff
	v_xor_b32_e32 v13, s6, v13
	v_cmp_gt_i32_e64 s6, 0, v51
	v_and_b32_e32 v12, v12, v56
	v_not_b32_e32 v51, v54
	v_ashrrev_i32_e32 v29, 31, v29
	v_xor_b32_e32 v14, s12, v14
	v_lshlrev_b32_e32 v31, 24, v30
	v_and_b32_e32 v12, v12, v13
	v_cmp_gt_i32_e64 s12, 0, v54
	v_not_b32_e32 v13, v55
	v_ashrrev_i32_e32 v51, 31, v51
	s_wait_alu 0xf1ff
	v_xor_b32_e32 v29, s6, v29
	v_and_b32_e32 v12, v12, v14
	v_cmp_gt_i32_e64 s6, 0, v55
	v_not_b32_e32 v14, v31
	v_ashrrev_i32_e32 v13, 31, v13
	v_xor_b32_e32 v51, s12, v51
	v_and_b32_e32 v12, v12, v29
	ds_store_b64 v9, v[15:16]
	v_cmp_gt_i32_e64 s12, 0, v31
	v_ashrrev_i32_e32 v9, 31, v14
	s_wait_alu 0xf1ff
	v_xor_b32_e32 v13, s6, v13
	v_and_b32_e32 v12, v12, v51
	ds_store_b64 v10, v[25:26]
	ds_store_b64 v11, v[27:28]
	s_wait_loadcnt_dscnt 0x0
	v_xor_b32_e32 v25, s12, v9
	; wave barrier
	global_inv scope:SCOPE_SE
	v_and_b32_e32 v26, v12, v13
	ds_load_2addr_b64 v[13:16], v67 offset1:32
	ds_load_2addr_b64 v[9:12], v67 offset0:64 offset1:96
	v_lshl_add_u32 v54, v30, 2, v24
	; wave barrier
	s_wait_loadcnt_dscnt 0x0
	global_inv scope:SCOPE_SE
	v_dual_mov_b32 v26, 0 :: v_dual_and_b32 v25, v26, v25
	ds_store_2addr_b32 v42, v26, v26 offset0:1 offset1:2
	ds_store_2addr_b32 v42, v26, v26 offset0:3 offset1:4
	;; [unrolled: 1-line block ×4, first 2 shown]
	v_mbcnt_lo_u32_b32 v51, v25, 0
	v_cmp_ne_u32_e64 s12, 0, v25
	; wave barrier
	s_wait_loadcnt_dscnt 0x0
	global_inv scope:SCOPE_SE
	v_cmp_eq_u32_e64 s6, 0, v51
	; wave barrier
	s_and_b32 s12, s12, s6
	s_wait_alu 0xfffe
	s_and_saveexec_b32 s6, s12
; %bb.32:
	v_bcnt_u32_b32 v25, v25, 0
	ds_store_b32 v54, v25 offset:4
; %bb.33:
	s_wait_alu 0xfffe
	s_or_b32 exec_lo, exec_lo, s6
	v_lshrrev_b16 v25, 8, v50
	v_cmp_ne_u16_e64 s6, 0x7fff, v50
	; wave barrier
	s_wait_alu 0xf1ff
	s_delay_alu instid0(VALU_DEP_1) | instskip(NEXT) | instid1(VALU_DEP_1)
	v_cndmask_b32_e64 v25, 0x80, v25, s6
	v_and_b32_e32 v25, s13, v25
	s_delay_alu instid0(VALU_DEP_1)
	v_and_b32_e32 v26, 1, v25
	v_lshlrev_b32_e32 v27, 30, v25
	v_lshlrev_b32_e32 v28, 29, v25
	;; [unrolled: 1-line block ×4, first 2 shown]
	v_add_co_u32 v26, s6, v26, -1
	s_wait_alu 0xf1ff
	v_cndmask_b32_e64 v30, 0, 1, s6
	v_not_b32_e32 v57, v27
	v_cmp_gt_i32_e64 s12, 0, v27
	v_not_b32_e32 v27, v28
	v_lshlrev_b32_e32 v55, 26, v25
	v_cmp_ne_u32_e64 s6, 0, v30
	v_ashrrev_i32_e32 v57, 31, v57
	v_lshlrev_b32_e32 v56, 25, v25
	v_ashrrev_i32_e32 v27, 31, v27
	v_lshlrev_b32_e32 v30, 24, v25
	s_wait_alu 0xf1ff
	v_xor_b32_e32 v26, s6, v26
	v_cmp_gt_i32_e64 s6, 0, v28
	v_not_b32_e32 v28, v29
	v_xor_b32_e32 v57, s12, v57
	v_cmp_gt_i32_e64 s12, 0, v29
	v_and_b32_e32 v26, exec_lo, v26
	v_not_b32_e32 v29, v31
	v_ashrrev_i32_e32 v28, 31, v28
	s_wait_alu 0xf1ff
	v_xor_b32_e32 v27, s6, v27
	v_cmp_gt_i32_e64 s6, 0, v31
	v_and_b32_e32 v26, v26, v57
	v_not_b32_e32 v31, v55
	v_ashrrev_i32_e32 v29, 31, v29
	v_xor_b32_e32 v28, s12, v28
	v_cmp_gt_i32_e64 s12, 0, v55
	v_and_b32_e32 v26, v26, v27
	v_not_b32_e32 v27, v56
	v_ashrrev_i32_e32 v31, 31, v31
	s_wait_alu 0xf1ff
	v_xor_b32_e32 v29, s6, v29
	v_cmp_gt_i32_e64 s6, 0, v56
	v_and_b32_e32 v26, v26, v28
	v_not_b32_e32 v28, v30
	v_ashrrev_i32_e32 v27, 31, v27
	v_xor_b32_e32 v31, s12, v31
	v_cmp_gt_i32_e64 s12, 0, v30
	v_and_b32_e32 v26, v26, v29
	v_ashrrev_i32_e32 v28, 31, v28
	s_wait_alu 0xf1ff
	v_xor_b32_e32 v27, s6, v27
	v_lshl_add_u32 v57, v25, 2, v24
	v_and_b32_e32 v26, v26, v31
	v_xor_b32_e32 v25, s12, v28
	ds_load_b32 v55, v57 offset:4
	v_and_b32_e32 v26, v26, v27
	; wave barrier
	s_delay_alu instid0(VALU_DEP_1) | instskip(NEXT) | instid1(VALU_DEP_1)
	v_and_b32_e32 v25, v26, v25
	v_mbcnt_lo_u32_b32 v56, v25, 0
	v_cmp_ne_u32_e64 s12, 0, v25
	s_delay_alu instid0(VALU_DEP_2)
	v_cmp_eq_u32_e64 s6, 0, v56
	s_and_b32 s12, s12, s6
	s_wait_alu 0xfffe
	s_and_saveexec_b32 s6, s12
	s_cbranch_execz .LBB223_35
; %bb.34:
	s_wait_dscnt 0x0
	v_bcnt_u32_b32 v25, v25, v55
	ds_store_b32 v57, v25 offset:4
.LBB223_35:
	s_wait_alu 0xfffe
	s_or_b32 exec_lo, exec_lo, s6
	v_lshrrev_b16 v25, 8, v52
	v_cmp_ne_u16_e64 s6, 0x7fff, v52
	; wave barrier
	s_wait_alu 0xf1ff
	s_delay_alu instid0(VALU_DEP_1) | instskip(NEXT) | instid1(VALU_DEP_1)
	v_cndmask_b32_e64 v25, 0x80, v25, s6
	v_and_b32_e32 v25, s13, v25
	s_delay_alu instid0(VALU_DEP_1)
	v_and_b32_e32 v26, 1, v25
	v_lshlrev_b32_e32 v27, 30, v25
	v_lshlrev_b32_e32 v28, 29, v25
	;; [unrolled: 1-line block ×4, first 2 shown]
	v_add_co_u32 v26, s6, v26, -1
	s_wait_alu 0xf1ff
	v_cndmask_b32_e64 v30, 0, 1, s6
	v_not_b32_e32 v60, v27
	v_cmp_gt_i32_e64 s12, 0, v27
	v_not_b32_e32 v27, v28
	v_lshlrev_b32_e32 v58, 26, v25
	v_cmp_ne_u32_e64 s6, 0, v30
	v_ashrrev_i32_e32 v60, 31, v60
	v_lshlrev_b32_e32 v59, 25, v25
	v_ashrrev_i32_e32 v27, 31, v27
	v_lshlrev_b32_e32 v30, 24, v25
	s_wait_alu 0xf1ff
	v_xor_b32_e32 v26, s6, v26
	v_cmp_gt_i32_e64 s6, 0, v28
	v_not_b32_e32 v28, v29
	v_xor_b32_e32 v60, s12, v60
	v_cmp_gt_i32_e64 s12, 0, v29
	v_and_b32_e32 v26, exec_lo, v26
	v_not_b32_e32 v29, v31
	v_ashrrev_i32_e32 v28, 31, v28
	s_wait_alu 0xf1ff
	v_xor_b32_e32 v27, s6, v27
	v_cmp_gt_i32_e64 s6, 0, v31
	v_and_b32_e32 v26, v26, v60
	v_not_b32_e32 v31, v58
	v_ashrrev_i32_e32 v29, 31, v29
	v_xor_b32_e32 v28, s12, v28
	v_cmp_gt_i32_e64 s12, 0, v58
	v_and_b32_e32 v26, v26, v27
	v_not_b32_e32 v27, v59
	v_ashrrev_i32_e32 v31, 31, v31
	s_wait_alu 0xf1ff
	v_xor_b32_e32 v29, s6, v29
	v_cmp_gt_i32_e64 s6, 0, v59
	v_and_b32_e32 v26, v26, v28
	v_not_b32_e32 v28, v30
	v_ashrrev_i32_e32 v27, 31, v27
	v_xor_b32_e32 v31, s12, v31
	v_cmp_gt_i32_e64 s12, 0, v30
	v_and_b32_e32 v26, v26, v29
	v_ashrrev_i32_e32 v28, 31, v28
	s_wait_alu 0xf1ff
	v_xor_b32_e32 v27, s6, v27
	v_lshl_add_u32 v60, v25, 2, v24
	v_and_b32_e32 v26, v26, v31
	v_xor_b32_e32 v25, s12, v28
	ds_load_b32 v58, v60 offset:4
	v_and_b32_e32 v26, v26, v27
	; wave barrier
	s_delay_alu instid0(VALU_DEP_1) | instskip(NEXT) | instid1(VALU_DEP_1)
	v_and_b32_e32 v25, v26, v25
	v_mbcnt_lo_u32_b32 v59, v25, 0
	v_cmp_ne_u32_e64 s12, 0, v25
	s_delay_alu instid0(VALU_DEP_2)
	v_cmp_eq_u32_e64 s6, 0, v59
	s_and_b32 s12, s12, s6
	s_wait_alu 0xfffe
	s_and_saveexec_b32 s6, s12
	s_cbranch_execz .LBB223_37
; %bb.36:
	s_wait_dscnt 0x0
	v_bcnt_u32_b32 v25, v25, v58
	ds_store_b32 v60, v25 offset:4
.LBB223_37:
	s_wait_alu 0xfffe
	s_or_b32 exec_lo, exec_lo, s6
	v_lshrrev_b16 v25, 8, v53
	v_cmp_ne_u16_e64 s6, 0x7fff, v53
	; wave barrier
	s_wait_alu 0xf1ff
	s_delay_alu instid0(VALU_DEP_1) | instskip(NEXT) | instid1(VALU_DEP_1)
	v_cndmask_b32_e64 v25, 0x80, v25, s6
	v_and_b32_e32 v25, s13, v25
	s_delay_alu instid0(VALU_DEP_1)
	v_and_b32_e32 v26, 1, v25
	v_lshlrev_b32_e32 v27, 30, v25
	v_lshlrev_b32_e32 v28, 29, v25
	;; [unrolled: 1-line block ×4, first 2 shown]
	v_add_co_u32 v26, s6, v26, -1
	s_wait_alu 0xf1ff
	v_cndmask_b32_e64 v30, 0, 1, s6
	v_not_b32_e32 v63, v27
	v_cmp_gt_i32_e64 s12, 0, v27
	v_not_b32_e32 v27, v28
	v_lshlrev_b32_e32 v61, 26, v25
	v_cmp_ne_u32_e64 s6, 0, v30
	v_ashrrev_i32_e32 v63, 31, v63
	v_lshlrev_b32_e32 v62, 25, v25
	v_ashrrev_i32_e32 v27, 31, v27
	v_lshlrev_b32_e32 v30, 24, v25
	s_wait_alu 0xf1ff
	v_xor_b32_e32 v26, s6, v26
	v_cmp_gt_i32_e64 s6, 0, v28
	v_not_b32_e32 v28, v29
	v_xor_b32_e32 v63, s12, v63
	v_cmp_gt_i32_e64 s12, 0, v29
	v_and_b32_e32 v26, exec_lo, v26
	v_not_b32_e32 v29, v31
	v_ashrrev_i32_e32 v28, 31, v28
	s_wait_alu 0xf1ff
	v_xor_b32_e32 v27, s6, v27
	v_cmp_gt_i32_e64 s6, 0, v31
	v_and_b32_e32 v26, v26, v63
	v_not_b32_e32 v31, v61
	v_ashrrev_i32_e32 v29, 31, v29
	v_xor_b32_e32 v28, s12, v28
	v_cmp_gt_i32_e64 s12, 0, v61
	v_and_b32_e32 v26, v26, v27
	v_not_b32_e32 v27, v62
	v_ashrrev_i32_e32 v31, 31, v31
	s_wait_alu 0xf1ff
	v_xor_b32_e32 v29, s6, v29
	v_cmp_gt_i32_e64 s6, 0, v62
	v_and_b32_e32 v26, v26, v28
	v_not_b32_e32 v28, v30
	v_ashrrev_i32_e32 v27, 31, v27
	v_xor_b32_e32 v31, s12, v31
	v_cmp_gt_i32_e64 s12, 0, v30
	v_and_b32_e32 v26, v26, v29
	v_ashrrev_i32_e32 v28, 31, v28
	s_wait_alu 0xf1ff
	v_xor_b32_e32 v27, s6, v27
	v_lshl_add_u32 v63, v25, 2, v24
	v_and_b32_e32 v26, v26, v31
	v_xor_b32_e32 v24, s12, v28
	ds_load_b32 v61, v63 offset:4
	v_and_b32_e32 v25, v26, v27
	; wave barrier
	s_delay_alu instid0(VALU_DEP_1) | instskip(NEXT) | instid1(VALU_DEP_1)
	v_and_b32_e32 v24, v25, v24
	v_mbcnt_lo_u32_b32 v62, v24, 0
	v_cmp_ne_u32_e64 s12, 0, v24
	s_delay_alu instid0(VALU_DEP_2)
	v_cmp_eq_u32_e64 s6, 0, v62
	s_and_b32 s12, s12, s6
	s_wait_alu 0xfffe
	s_and_saveexec_b32 s6, s12
	s_cbranch_execz .LBB223_39
; %bb.38:
	s_wait_dscnt 0x0
	v_bcnt_u32_b32 v24, v24, v61
	ds_store_b32 v63, v24 offset:4
.LBB223_39:
	s_wait_alu 0xfffe
	s_or_b32 exec_lo, exec_lo, s6
	; wave barrier
	; wave barrier
	s_wait_loadcnt_dscnt 0x0
	global_inv scope:SCOPE_SE
	ds_load_2addr_b32 v[30:31], v42 offset0:1 offset1:2
	ds_load_2addr_b32 v[28:29], v42 offset0:3 offset1:4
	;; [unrolled: 1-line block ×4, first 2 shown]
	s_wait_dscnt 0x3
	v_add_nc_u32_e32 v64, v31, v30
	s_wait_dscnt 0x2
	s_delay_alu instid0(VALU_DEP_1) | instskip(SKIP_1) | instid1(VALU_DEP_1)
	v_add3_u32 v64, v64, v28, v29
	s_wait_dscnt 0x1
	v_add3_u32 v64, v64, v26, v27
	s_wait_dscnt 0x0
	s_delay_alu instid0(VALU_DEP_1) | instskip(NEXT) | instid1(VALU_DEP_1)
	v_add3_u32 v25, v64, v24, v25
	v_mov_b32_dpp v64, v25 row_shr:1 row_mask:0xf bank_mask:0xf
	s_delay_alu instid0(VALU_DEP_1) | instskip(NEXT) | instid1(VALU_DEP_1)
	v_cndmask_b32_e64 v64, v64, 0, vcc_lo
	v_add_nc_u32_e32 v25, v64, v25
	s_delay_alu instid0(VALU_DEP_1) | instskip(NEXT) | instid1(VALU_DEP_1)
	v_mov_b32_dpp v64, v25 row_shr:2 row_mask:0xf bank_mask:0xf
	v_cndmask_b32_e64 v64, 0, v64, s7
	s_mov_b32 s7, 0
	s_delay_alu instid0(VALU_DEP_1) | instskip(NEXT) | instid1(VALU_DEP_1)
	v_add_nc_u32_e32 v25, v25, v64
	v_mov_b32_dpp v64, v25 row_shr:4 row_mask:0xf bank_mask:0xf
	s_delay_alu instid0(VALU_DEP_1) | instskip(NEXT) | instid1(VALU_DEP_1)
	v_cndmask_b32_e64 v64, 0, v64, s8
	v_add_nc_u32_e32 v25, v25, v64
	s_delay_alu instid0(VALU_DEP_1) | instskip(NEXT) | instid1(VALU_DEP_1)
	v_mov_b32_dpp v64, v25 row_shr:8 row_mask:0xf bank_mask:0xf
	v_cndmask_b32_e64 v64, 0, v64, s9
	s_delay_alu instid0(VALU_DEP_1) | instskip(SKIP_3) | instid1(VALU_DEP_1)
	v_add_nc_u32_e32 v25, v25, v64
	ds_swizzle_b32 v64, v25 offset:swizzle(BROADCAST,32,15)
	s_wait_dscnt 0x0
	v_cndmask_b32_e64 v64, v64, 0, s11
	v_add_nc_u32_e32 v25, v25, v64
	s_and_saveexec_b32 s6, s10
; %bb.40:
	v_mov_b32_e32 v64, 0
	ds_store_b32 v64, v25
; %bb.41:
	s_wait_alu 0xfffe
	s_or_b32 exec_lo, exec_lo, s6
	ds_bpermute_b32 v25, v68, v25
	; wave barrier
	s_wait_loadcnt_dscnt 0x0
	global_inv scope:SCOPE_SE
	v_cndmask_b32_e64 v25, v25, 0, s15
	s_delay_alu instid0(VALU_DEP_1) | instskip(NEXT) | instid1(VALU_DEP_1)
	v_add_nc_u32_e32 v30, v25, v30
	v_add_nc_u32_e32 v31, v30, v31
	s_delay_alu instid0(VALU_DEP_1) | instskip(NEXT) | instid1(VALU_DEP_1)
	v_add_nc_u32_e32 v28, v31, v28
	v_add_nc_u32_e32 v29, v28, v29
	;; [unrolled: 3-line block ×3, first 2 shown]
	s_delay_alu instid0(VALU_DEP_1)
	v_add_nc_u32_e32 v24, v27, v24
	ds_store_2addr_b32 v42, v25, v30 offset0:1 offset1:2
	ds_store_2addr_b32 v42, v31, v28 offset0:3 offset1:4
	;; [unrolled: 1-line block ×4, first 2 shown]
	; wave barrier
	s_wait_loadcnt_dscnt 0x0
	global_inv scope:SCOPE_SE
	ds_load_b32 v24, v54 offset:4
	ds_load_b32 v25, v57 offset:4
	;; [unrolled: 1-line block ×4, first 2 shown]
	v_lshlrev_b32_e32 v28, 1, v41
	; wave barrier
	s_wait_loadcnt_dscnt 0x0
	global_inv scope:SCOPE_SE
	v_add_nc_u32_e32 v30, v24, v51
	v_add3_u32 v51, v56, v55, v25
	v_add3_u32 v54, v59, v58, v26
	;; [unrolled: 1-line block ×3, first 2 shown]
	s_delay_alu instid0(VALU_DEP_4) | instskip(NEXT) | instid1(VALU_DEP_4)
	v_lshlrev_b32_e32 v24, 1, v30
	v_lshlrev_b32_e32 v25, 1, v51
	s_delay_alu instid0(VALU_DEP_4) | instskip(NEXT) | instid1(VALU_DEP_4)
	v_lshlrev_b32_e32 v26, 1, v54
	v_lshlrev_b32_e32 v27, 1, v55
	ds_store_b16 v24, v49
	ds_store_b16 v25, v50
	;; [unrolled: 1-line block ×4, first 2 shown]
	; wave barrier
	s_wait_loadcnt_dscnt 0x0
	global_inv scope:SCOPE_SE
	ds_load_b64 v[28:29], v28
	v_mad_co_u64_u32 v[30:31], null, v30, 6, v[24:25]
	v_mad_co_u64_u32 v[24:25], null, v51, 6, v[25:26]
	;; [unrolled: 1-line block ×3, first 2 shown]
	; wave barrier
	s_wait_loadcnt_dscnt 0x0
	global_inv scope:SCOPE_SE
	ds_store_b64 v30, v[13:14]
	ds_store_b64 v24, v[15:16]
	v_cmp_lt_i16_e32 vcc_lo, -1, v28
	v_lshrrev_b32_e32 v26, 16, v28
	v_lshrrev_b32_e32 v49, 16, v29
	s_wait_alu 0xfffd
	v_cndmask_b32_e64 v31, 0xffff8000, -1, vcc_lo
	v_cmp_lt_i16_e32 vcc_lo, -1, v29
	s_wait_alu 0xfffd
	v_cndmask_b32_e64 v50, 0xffff8000, -1, vcc_lo
	v_cmp_lt_i16_e32 vcc_lo, -1, v26
	v_mad_co_u64_u32 v[26:27], null, v55, 6, v[27:28]
	ds_store_b64 v25, v[9:10]
	ds_store_b64 v26, v[11:12]
	s_wait_alu 0xfffd
	v_cndmask_b32_e64 v51, 0xffff8000, -1, vcc_lo
	v_cmp_lt_i16_e32 vcc_lo, -1, v49
	; wave barrier
	s_wait_loadcnt_dscnt 0x0
	global_inv scope:SCOPE_SE
	v_perm_b32 v27, v51, v31, 0x5040100
	s_wait_alu 0xfffd
	v_cndmask_b32_e64 v49, 0xffff8000, -1, vcc_lo
	s_delay_alu instid0(VALU_DEP_2) | instskip(NEXT) | instid1(VALU_DEP_2)
	v_xor_b32_e32 v13, v27, v28
	v_perm_b32 v31, v49, v50, 0x5040100
	s_delay_alu instid0(VALU_DEP_1)
	v_xor_b32_e32 v14, v31, v29
.LBB223_42:
	s_and_b32 vcc_lo, exec_lo, s7
	s_wait_alu 0xfffe
	s_cbranch_vccz .LBB223_64
; %bb.43:
	v_cmp_gt_i16_e32 vcc_lo, 0, v22
	s_getpc_b64 s[6:7]
	s_wait_alu 0xfffe
	s_sext_i32_i16 s7, s7
	s_add_co_u32 s6, s6, _ZN7rocprim17ROCPRIM_400000_NS16block_radix_sortI6__halfLj32ELj4ElLj1ELj1ELj0ELNS0_26block_radix_rank_algorithmE1ELNS0_18block_padding_hintE2ELNS0_4arch9wavefront6targetE0EE19radix_bits_per_passE@rel32@lo+12
	s_wait_alu 0xfffe
	s_add_co_ci_u32 s7, s7, _ZN7rocprim17ROCPRIM_400000_NS16block_radix_sortI6__halfLj32ELj4ElLj1ELj1ELj0ELNS0_26block_radix_rank_algorithmE1ELNS0_18block_padding_hintE2ELNS0_4arch9wavefront6targetE0EE19radix_bits_per_passE@rel32@hi+24
	ds_bpermute_b32 v27, v45, v5
	s_load_b32 s13, s[6:7], 0x0
	ds_bpermute_b32 v50, v45, v5 offset:32
	v_cndmask_b32_e64 v9, 0x7fff, 0, vcc_lo
	v_cmp_gt_i16_e32 vcc_lo, 0, v48
	ds_bpermute_b32 v52, v45, v5 offset:64
	ds_bpermute_b32 v54, v45, v5 offset:96
	ds_bpermute_b32 v15, v45, v6
	v_xor_b32_e32 v9, v9, v22
	s_wait_alu 0xfffd
	v_cndmask_b32_e64 v10, 0x7fff, 0, vcc_lo
	v_cmp_gt_i16_e32 vcc_lo, 0, v23
	ds_bpermute_b32 v51, v45, v6 offset:32
	ds_bpermute_b32 v53, v45, v6 offset:64
	v_and_b32_e32 v55, 0xffff, v9
	v_xor_b32_e32 v10, v10, v48
	s_wait_alu 0xfffd
	v_cndmask_b32_e64 v11, 0x7fff, 0, vcc_lo
	v_cmp_gt_i16_e32 vcc_lo, 0, v47
	s_wait_loadcnt_dscnt 0x0
	ds_bpermute_b32 v14, v45, v55
	ds_bpermute_b32 v61, v45, v55 offset:32
	v_xor_b32_e32 v11, v11, v23
	s_wait_alu 0xfffd
	v_cndmask_b32_e64 v12, 0x7fff, 0, vcc_lo
	v_cmp_eq_u32_e32 vcc_lo, 3, v43
	s_wait_kmcnt 0x0
	s_min_u32 s7, s13, 16
	ds_bpermute_b32 v65, v45, v55 offset:64
	v_and_b32_e32 v57, 0xffff, v11
	v_xor_b32_e32 v9, v12, v47
	; wave barrier
	s_wait_dscnt 0x0
	global_inv scope:SCOPE_SE
	ds_bpermute_b32 v16, v45, v7
	ds_bpermute_b32 v26, v45, v7 offset:32
	ds_bpermute_b32 v23, v45, v57
	v_and_b32_e32 v58, 0xffff, v9
	ds_bpermute_b32 v64, v45, v57 offset:32
	ds_bpermute_b32 v69, v45, v57 offset:64
	;; [unrolled: 1-line block ×4, first 2 shown]
	ds_bpermute_b32 v29, v45, v58
	v_and_b32_e32 v56, 0xffff, v10
	ds_bpermute_b32 v66, v45, v58 offset:32
	ds_bpermute_b32 v72, v45, v58 offset:64
	ds_bpermute_b32 v13, v45, v1
	ds_bpermute_b32 v24, v45, v1 offset:32
	ds_bpermute_b32 v22, v45, v56
	ds_bpermute_b32 v12, v45, v8
	;; [unrolled: 1-line block ×5, first 2 shown]
	ds_bpermute_b32 v28, v45, v8 offset:32
	ds_bpermute_b32 v25, v45, v2 offset:32
	;; [unrolled: 1-line block ×4, first 2 shown]
	s_wait_dscnt 0x8
	v_cndmask_b32_e64 v30, v14, v22, s5
	ds_bpermute_b32 v22, v45, v4 offset:32
	ds_bpermute_b32 v14, v45, v3 offset:32
	v_cndmask_b32_e64 v23, v30, v23, s4
	ds_bpermute_b32 v30, v45, v2 offset:64
	s_wait_alu 0xfffd
	v_cndmask_b32_e32 v49, v23, v29, vcc_lo
	ds_bpermute_b32 v63, v45, v56 offset:32
	ds_bpermute_b32 v67, v45, v56 offset:64
	;; [unrolled: 1-line block ×4, first 2 shown]
	v_and_b32_e32 v59, 0xffff, v49
	v_cmp_ne_u16_e64 s6, 0x8000, v49
	ds_bpermute_b32 v23, v45, v3 offset:64
	s_wait_alu 0xf1ff
	v_cndmask_b32_e64 v5, 0x7fff, v59, s6
	s_wait_alu 0xfffe
	s_lshl_b32 s6, -1, s7
	s_wait_alu 0xfffe
	s_not_b32 s8, s6
	s_wait_alu 0xfffe
	v_and_b32_e32 v62, s8, v5
	s_delay_alu instid0(VALU_DEP_1) | instskip(SKIP_2) | instid1(VALU_DEP_3)
	v_and_b32_e32 v5, 1, v62
	v_lshlrev_b32_e32 v71, 30, v62
	v_lshlrev_b32_e32 v56, 29, v62
	v_add_co_u32 v59, s6, v5, -1
	s_wait_alu 0xf1ff
	v_cndmask_b32_e64 v60, 0, 1, s6
	ds_bpermute_b32 v5, v45, v55 offset:96
	v_not_b32_e32 v55, v71
	v_cmp_gt_i32_e64 s7, 0, v71
	ds_bpermute_b32 v71, v45, v58 offset:96
	v_cmp_ne_u32_e64 s6, 0, v60
	v_not_b32_e32 v58, v56
	v_ashrrev_i32_e32 v55, 31, v55
	s_wait_alu 0xf1ff
	s_delay_alu instid0(VALU_DEP_3) | instskip(SKIP_1) | instid1(VALU_DEP_3)
	v_xor_b32_e32 v57, s6, v59
	v_lshlrev_b32_e32 v59, 28, v62
	v_xor_b32_e32 v55, s7, v55
	v_cmp_gt_i32_e64 s6, 0, v56
	v_ashrrev_i32_e32 v56, 31, v58
	v_and_b32_e32 v57, exec_lo, v57
	v_not_b32_e32 v58, v59
	s_load_b32 s7, s[22:23], 0xc
	s_delay_alu instid0(VALU_DEP_3) | instskip(NEXT) | instid1(VALU_DEP_3)
	v_xor_b32_e32 v60, s6, v56
	v_and_b32_e32 v55, v57, v55
	v_lshlrev_b32_e32 v57, 27, v62
	v_cmp_gt_i32_e64 s6, 0, v59
	v_ashrrev_i32_e32 v58, 31, v58
	ds_bpermute_b32 v56, v45, v6 offset:96
	v_and_b32_e32 v59, v55, v60
	v_not_b32_e32 v6, v57
	v_lshlrev_b32_e32 v60, 26, v62
	s_wait_alu 0xf1ff
	v_xor_b32_e32 v58, s6, v58
	v_cmp_gt_i32_e64 s6, 0, v57
	ds_bpermute_b32 v55, v45, v7 offset:96
	v_ashrrev_i32_e32 v6, 31, v6
	v_not_b32_e32 v7, v60
	v_and_b32_e32 v57, v59, v58
	v_lshlrev_b32_e32 v58, 25, v62
	s_wait_alu 0xf1ff
	v_xor_b32_e32 v6, s6, v6
	v_cmp_gt_i32_e64 s6, 0, v60
	v_ashrrev_i32_e32 v7, 31, v7
	v_not_b32_e32 v59, v58
	s_wait_kmcnt 0x0
	s_lshr_b32 s9, s7, 16
	v_and_b32_e32 v6, v57, v6
	v_lshlrev_b32_e32 v57, 24, v62
	v_xor_b32_e32 v7, s6, v7
	v_cmp_gt_i32_e64 s6, 0, v58
	v_ashrrev_i32_e32 v58, 31, v59
	s_wait_alu 0xfffe
	v_mad_u32_u24 v0, v0, s9, v46
	v_not_b32_e32 v59, v57
	v_and_b32_e32 v46, v6, v7
	s_and_b32 s7, s7, 0xffff
	v_xor_b32_e32 v58, s6, v58
	v_cmp_gt_i32_e64 s6, 0, v57
	v_ashrrev_i32_e32 v60, 31, v59
	s_wait_dscnt 0xb
	s_wait_alu 0xfffe
	v_mad_co_u64_u32 v[6:7], null, v0, s7, v[21:22]
	ds_bpermute_b32 v57, v45, v1 offset:96
	v_and_b32_e32 v0, v46, v58
	s_wait_alu 0xf1ff
	v_xor_b32_e32 v1, s6, v60
	ds_bpermute_b32 v59, v45, v8 offset:96
	ds_bpermute_b32 v58, v45, v2 offset:96
	;; [unrolled: 1-line block ×4, first 2 shown]
	v_and_b32_e32 v0, v0, v1
	v_lshrrev_b32_e32 v2, 5, v6
	v_mov_b32_e32 v1, 0
	ds_store_2addr_b32 v42, v1, v1 offset0:1 offset1:2
	ds_store_2addr_b32 v42, v1, v1 offset0:3 offset1:4
	;; [unrolled: 1-line block ×4, first 2 shown]
	v_mbcnt_lo_u32_b32 v60, v0, 0
	v_lshlrev_b32_e32 v8, 2, v2
	v_cmp_ne_u32_e64 s7, 0, v0
	; wave barrier
	s_wait_loadcnt_dscnt 0x0
	global_inv scope:SCOPE_SE
	v_cmp_eq_u32_e64 s6, 0, v60
	v_lshl_add_u32 v62, v62, 2, v8
	; wave barrier
	s_and_b32 s7, s7, s6
	s_wait_alu 0xfffe
	s_and_saveexec_b32 s6, s7
; %bb.44:
	v_bcnt_u32_b32 v0, v0, 0
	ds_store_b32 v62, v0 offset:4
; %bb.45:
	s_wait_alu 0xfffe
	s_or_b32 exec_lo, exec_lo, s6
	v_cndmask_b32_e64 v0, v61, v63, s5
	; wave barrier
	s_delay_alu instid0(VALU_DEP_1) | instskip(NEXT) | instid1(VALU_DEP_1)
	v_cndmask_b32_e64 v0, v0, v64, s4
	v_cndmask_b32_e32 v61, v0, v66, vcc_lo
	s_delay_alu instid0(VALU_DEP_1) | instskip(SKIP_2) | instid1(VALU_DEP_1)
	v_and_b32_e32 v0, 0xffff, v61
	v_cmp_ne_u16_e64 s6, 0x8000, v61
	s_wait_alu 0xf1ff
	v_cndmask_b32_e64 v0, 0x7fff, v0, s6
	s_delay_alu instid0(VALU_DEP_1) | instskip(NEXT) | instid1(VALU_DEP_1)
	v_and_b32_e32 v0, s8, v0
	v_and_b32_e32 v1, 1, v0
	v_lshlrev_b32_e32 v2, 30, v0
	v_lshlrev_b32_e32 v3, 29, v0
	;; [unrolled: 1-line block ×4, first 2 shown]
	v_add_co_u32 v1, s6, v1, -1
	s_wait_alu 0xf1ff
	v_cndmask_b32_e64 v6, 0, 1, s6
	v_not_b32_e32 v66, v2
	v_cmp_gt_i32_e64 s7, 0, v2
	v_not_b32_e32 v2, v3
	v_lshlrev_b32_e32 v63, 26, v0
	v_cmp_ne_u32_e64 s6, 0, v6
	v_ashrrev_i32_e32 v66, 31, v66
	v_lshlrev_b32_e32 v64, 25, v0
	v_ashrrev_i32_e32 v2, 31, v2
	v_lshlrev_b32_e32 v6, 24, v0
	s_wait_alu 0xf1ff
	v_xor_b32_e32 v1, s6, v1
	v_cmp_gt_i32_e64 s6, 0, v3
	v_not_b32_e32 v3, v4
	v_xor_b32_e32 v66, s7, v66
	v_cmp_gt_i32_e64 s7, 0, v4
	v_and_b32_e32 v1, exec_lo, v1
	v_not_b32_e32 v4, v7
	v_ashrrev_i32_e32 v3, 31, v3
	s_wait_alu 0xf1ff
	v_xor_b32_e32 v2, s6, v2
	v_cmp_gt_i32_e64 s6, 0, v7
	v_and_b32_e32 v1, v1, v66
	v_not_b32_e32 v7, v63
	v_ashrrev_i32_e32 v4, 31, v4
	v_xor_b32_e32 v3, s7, v3
	v_cmp_gt_i32_e64 s7, 0, v63
	v_and_b32_e32 v1, v1, v2
	v_not_b32_e32 v2, v64
	v_ashrrev_i32_e32 v7, 31, v7
	s_wait_alu 0xf1ff
	v_xor_b32_e32 v4, s6, v4
	v_cmp_gt_i32_e64 s6, 0, v64
	v_and_b32_e32 v1, v1, v3
	v_not_b32_e32 v3, v6
	v_ashrrev_i32_e32 v2, 31, v2
	v_xor_b32_e32 v7, s7, v7
	v_cmp_gt_i32_e64 s7, 0, v6
	v_and_b32_e32 v1, v1, v4
	v_ashrrev_i32_e32 v3, 31, v3
	s_wait_alu 0xf1ff
	v_xor_b32_e32 v2, s6, v2
	v_lshl_add_u32 v66, v0, 2, v8
	v_and_b32_e32 v1, v1, v7
	v_xor_b32_e32 v0, s7, v3
	ds_load_b32 v63, v66 offset:4
	v_and_b32_e32 v1, v1, v2
	; wave barrier
	s_delay_alu instid0(VALU_DEP_1) | instskip(NEXT) | instid1(VALU_DEP_1)
	v_and_b32_e32 v0, v1, v0
	v_mbcnt_lo_u32_b32 v64, v0, 0
	v_cmp_ne_u32_e64 s7, 0, v0
	s_delay_alu instid0(VALU_DEP_2)
	v_cmp_eq_u32_e64 s6, 0, v64
	s_and_b32 s7, s7, s6
	s_wait_alu 0xfffe
	s_and_saveexec_b32 s6, s7
	s_cbranch_execz .LBB223_47
; %bb.46:
	s_wait_dscnt 0x0
	v_bcnt_u32_b32 v0, v0, v63
	ds_store_b32 v66, v0 offset:4
.LBB223_47:
	s_wait_alu 0xfffe
	s_or_b32 exec_lo, exec_lo, s6
	v_cndmask_b32_e64 v0, v65, v67, s5
	; wave barrier
	s_delay_alu instid0(VALU_DEP_1) | instskip(NEXT) | instid1(VALU_DEP_1)
	v_cndmask_b32_e64 v0, v0, v69, s4
	v_cndmask_b32_e32 v65, v0, v72, vcc_lo
	s_delay_alu instid0(VALU_DEP_1) | instskip(SKIP_2) | instid1(VALU_DEP_1)
	v_and_b32_e32 v0, 0xffff, v65
	v_cmp_ne_u16_e64 s6, 0x8000, v65
	s_wait_alu 0xf1ff
	v_cndmask_b32_e64 v0, 0x7fff, v0, s6
	s_delay_alu instid0(VALU_DEP_1) | instskip(NEXT) | instid1(VALU_DEP_1)
	v_and_b32_e32 v0, s8, v0
	v_and_b32_e32 v1, 1, v0
	v_lshlrev_b32_e32 v2, 30, v0
	v_lshlrev_b32_e32 v3, 29, v0
	;; [unrolled: 1-line block ×4, first 2 shown]
	v_add_co_u32 v1, s6, v1, -1
	s_wait_alu 0xf1ff
	v_cndmask_b32_e64 v6, 0, 1, s6
	v_not_b32_e32 v72, v2
	v_cmp_gt_i32_e64 s7, 0, v2
	v_not_b32_e32 v2, v3
	v_lshlrev_b32_e32 v67, 26, v0
	v_cmp_ne_u32_e64 s6, 0, v6
	v_ashrrev_i32_e32 v72, 31, v72
	v_lshlrev_b32_e32 v69, 25, v0
	v_ashrrev_i32_e32 v2, 31, v2
	v_lshlrev_b32_e32 v6, 24, v0
	s_wait_alu 0xf1ff
	v_xor_b32_e32 v1, s6, v1
	v_cmp_gt_i32_e64 s6, 0, v3
	v_not_b32_e32 v3, v4
	v_xor_b32_e32 v72, s7, v72
	v_cmp_gt_i32_e64 s7, 0, v4
	v_and_b32_e32 v1, exec_lo, v1
	v_not_b32_e32 v4, v7
	v_ashrrev_i32_e32 v3, 31, v3
	s_wait_alu 0xf1ff
	v_xor_b32_e32 v2, s6, v2
	v_cmp_gt_i32_e64 s6, 0, v7
	v_and_b32_e32 v1, v1, v72
	v_not_b32_e32 v7, v67
	v_ashrrev_i32_e32 v4, 31, v4
	v_xor_b32_e32 v3, s7, v3
	v_cmp_gt_i32_e64 s7, 0, v67
	v_and_b32_e32 v1, v1, v2
	v_not_b32_e32 v2, v69
	v_ashrrev_i32_e32 v7, 31, v7
	s_wait_alu 0xf1ff
	v_xor_b32_e32 v4, s6, v4
	v_cmp_gt_i32_e64 s6, 0, v69
	v_and_b32_e32 v1, v1, v3
	v_not_b32_e32 v3, v6
	v_ashrrev_i32_e32 v2, 31, v2
	v_xor_b32_e32 v7, s7, v7
	v_cmp_gt_i32_e64 s7, 0, v6
	v_and_b32_e32 v1, v1, v4
	v_ashrrev_i32_e32 v3, 31, v3
	s_wait_alu 0xf1ff
	v_xor_b32_e32 v2, s6, v2
	v_lshl_add_u32 v72, v0, 2, v8
	v_and_b32_e32 v1, v1, v7
	v_xor_b32_e32 v0, s7, v3
	ds_load_b32 v67, v72 offset:4
	v_and_b32_e32 v1, v1, v2
	; wave barrier
	s_delay_alu instid0(VALU_DEP_1) | instskip(NEXT) | instid1(VALU_DEP_1)
	v_and_b32_e32 v0, v1, v0
	v_mbcnt_lo_u32_b32 v69, v0, 0
	v_cmp_ne_u32_e64 s7, 0, v0
	s_delay_alu instid0(VALU_DEP_2)
	v_cmp_eq_u32_e64 s6, 0, v69
	s_and_b32 s7, s7, s6
	s_wait_alu 0xfffe
	s_and_saveexec_b32 s6, s7
	s_cbranch_execz .LBB223_49
; %bb.48:
	s_wait_dscnt 0x0
	v_bcnt_u32_b32 v0, v0, v67
	ds_store_b32 v72, v0 offset:4
.LBB223_49:
	s_wait_alu 0xfffe
	s_or_b32 exec_lo, exec_lo, s6
	v_cndmask_b32_e64 v0, v5, v68, s5
	; wave barrier
	v_and_or_b32 v74, 0xf80, v41, v44
	s_delay_alu instid0(VALU_DEP_2) | instskip(NEXT) | instid1(VALU_DEP_1)
	v_cndmask_b32_e64 v0, v0, v70, s4
	v_cndmask_b32_e32 v68, v0, v71, vcc_lo
	s_delay_alu instid0(VALU_DEP_1) | instskip(SKIP_2) | instid1(VALU_DEP_1)
	v_and_b32_e32 v0, 0xffff, v68
	v_cmp_ne_u16_e64 s6, 0x8000, v68
	s_wait_alu 0xf1ff
	v_cndmask_b32_e64 v0, 0x7fff, v0, s6
	s_delay_alu instid0(VALU_DEP_1) | instskip(NEXT) | instid1(VALU_DEP_1)
	v_and_b32_e32 v0, s8, v0
	v_and_b32_e32 v1, 1, v0
	v_lshlrev_b32_e32 v2, 30, v0
	v_lshlrev_b32_e32 v3, 29, v0
	;; [unrolled: 1-line block ×4, first 2 shown]
	v_add_co_u32 v1, s6, v1, -1
	s_wait_alu 0xf1ff
	v_cndmask_b32_e64 v5, 0, 1, s6
	v_not_b32_e32 v71, v2
	v_cmp_gt_i32_e64 s7, 0, v2
	v_not_b32_e32 v2, v3
	v_lshlrev_b32_e32 v7, 26, v0
	v_cmp_ne_u32_e64 s6, 0, v5
	v_ashrrev_i32_e32 v71, 31, v71
	v_lshlrev_b32_e32 v70, 25, v0
	v_ashrrev_i32_e32 v2, 31, v2
	v_lshlrev_b32_e32 v5, 24, v0
	s_wait_alu 0xf1ff
	v_xor_b32_e32 v1, s6, v1
	v_cmp_gt_i32_e64 s6, 0, v3
	v_not_b32_e32 v3, v4
	v_xor_b32_e32 v71, s7, v71
	v_cmp_gt_i32_e64 s7, 0, v4
	v_and_b32_e32 v1, exec_lo, v1
	v_not_b32_e32 v4, v6
	v_ashrrev_i32_e32 v3, 31, v3
	s_wait_alu 0xf1ff
	v_xor_b32_e32 v2, s6, v2
	v_cmp_gt_i32_e64 s6, 0, v6
	v_and_b32_e32 v1, v1, v71
	v_not_b32_e32 v6, v7
	v_ashrrev_i32_e32 v4, 31, v4
	v_xor_b32_e32 v3, s7, v3
	v_cmp_gt_i32_e64 s7, 0, v7
	v_and_b32_e32 v1, v1, v2
	v_not_b32_e32 v2, v70
	v_ashrrev_i32_e32 v6, 31, v6
	s_wait_alu 0xf1ff
	v_xor_b32_e32 v4, s6, v4
	v_cmp_gt_i32_e64 s6, 0, v70
	v_and_b32_e32 v1, v1, v3
	v_not_b32_e32 v3, v5
	v_ashrrev_i32_e32 v2, 31, v2
	v_xor_b32_e32 v6, s7, v6
	v_cmp_gt_i32_e64 s7, 0, v5
	v_and_b32_e32 v1, v1, v4
	v_ashrrev_i32_e32 v3, 31, v3
	s_wait_alu 0xf1ff
	v_xor_b32_e32 v2, s6, v2
	v_lshl_add_u32 v73, v0, 2, v8
	v_and_b32_e32 v1, v1, v6
	v_xor_b32_e32 v0, s7, v3
	ds_load_b32 v70, v73 offset:4
	v_and_b32_e32 v1, v1, v2
	; wave barrier
	s_delay_alu instid0(VALU_DEP_1) | instskip(NEXT) | instid1(VALU_DEP_1)
	v_and_b32_e32 v0, v1, v0
	v_mbcnt_lo_u32_b32 v71, v0, 0
	v_cmp_ne_u32_e64 s7, 0, v0
	s_delay_alu instid0(VALU_DEP_2)
	v_cmp_eq_u32_e64 s6, 0, v71
	s_and_b32 s7, s7, s6
	s_wait_alu 0xfffe
	s_and_saveexec_b32 s6, s7
	s_cbranch_execz .LBB223_51
; %bb.50:
	s_wait_dscnt 0x0
	v_bcnt_u32_b32 v0, v0, v70
	ds_store_b32 v73, v0 offset:4
.LBB223_51:
	s_wait_alu 0xfffe
	s_or_b32 exec_lo, exec_lo, s6
	; wave barrier
	; wave barrier
	s_wait_loadcnt_dscnt 0x0
	global_inv scope:SCOPE_SE
	ds_load_2addr_b32 v[6:7], v42 offset0:1 offset1:2
	ds_load_2addr_b32 v[4:5], v42 offset0:3 offset1:4
	;; [unrolled: 1-line block ×4, first 2 shown]
	v_and_b32_e32 v77, 16, v44
	v_cmp_eq_u32_e64 s10, 31, v21
	s_delay_alu instid0(VALU_DEP_2) | instskip(SKIP_3) | instid1(VALU_DEP_1)
	v_cmp_eq_u32_e64 s11, 0, v77
	s_wait_dscnt 0x3
	v_add_nc_u32_e32 v75, v7, v6
	s_wait_dscnt 0x2
	v_add3_u32 v75, v75, v4, v5
	s_wait_dscnt 0x1
	s_delay_alu instid0(VALU_DEP_1) | instskip(SKIP_1) | instid1(VALU_DEP_1)
	v_add3_u32 v75, v75, v2, v3
	s_wait_dscnt 0x0
	v_add3_u32 v1, v75, v0, v1
	v_and_b32_e32 v75, 15, v44
	s_delay_alu instid0(VALU_DEP_2) | instskip(NEXT) | instid1(VALU_DEP_2)
	v_mov_b32_dpp v76, v1 row_shr:1 row_mask:0xf bank_mask:0xf
	v_cmp_eq_u32_e64 s6, 0, v75
	v_cmp_lt_u32_e64 s7, 1, v75
	v_cmp_lt_u32_e64 s8, 3, v75
	;; [unrolled: 1-line block ×3, first 2 shown]
	s_wait_alu 0xf1ff
	v_cndmask_b32_e64 v76, v76, 0, s6
	s_delay_alu instid0(VALU_DEP_1) | instskip(NEXT) | instid1(VALU_DEP_1)
	v_add_nc_u32_e32 v1, v76, v1
	v_mov_b32_dpp v76, v1 row_shr:2 row_mask:0xf bank_mask:0xf
	s_delay_alu instid0(VALU_DEP_1) | instskip(NEXT) | instid1(VALU_DEP_1)
	v_cndmask_b32_e64 v76, 0, v76, s7
	v_add_nc_u32_e32 v1, v1, v76
	s_delay_alu instid0(VALU_DEP_1) | instskip(NEXT) | instid1(VALU_DEP_1)
	v_mov_b32_dpp v76, v1 row_shr:4 row_mask:0xf bank_mask:0xf
	v_cndmask_b32_e64 v76, 0, v76, s8
	s_delay_alu instid0(VALU_DEP_1) | instskip(NEXT) | instid1(VALU_DEP_1)
	v_add_nc_u32_e32 v1, v1, v76
	v_mov_b32_dpp v76, v1 row_shr:8 row_mask:0xf bank_mask:0xf
	s_delay_alu instid0(VALU_DEP_1) | instskip(SKIP_1) | instid1(VALU_DEP_2)
	v_cndmask_b32_e64 v75, 0, v76, s9
	v_bfe_i32 v76, v44, 4, 1
	v_add_nc_u32_e32 v75, v1, v75
	ds_swizzle_b32 v1, v75 offset:swizzle(BROADCAST,32,15)
	s_wait_dscnt 0x0
	v_and_b32_e32 v78, v76, v1
	v_sub_co_u32 v76, s15, v44, 1
	v_mul_u32_u24_e32 v1, 6, v74
	s_delay_alu instid0(VALU_DEP_3)
	v_add_nc_u32_e32 v75, v75, v78
	s_and_saveexec_b32 s12, s10
; %bb.52:
	v_mov_b32_e32 v77, 0
	ds_store_b32 v77, v75
; %bb.53:
	s_wait_alu 0xfffe
	s_or_b32 exec_lo, exec_lo, s12
	v_cmp_gt_i32_e64 s12, 0, v76
	; wave barrier
	s_wait_loadcnt_dscnt 0x0
	global_inv scope:SCOPE_SE
	s_min_u32 s13, s13, 8
	s_wait_alu 0xfffe
	s_lshl_b32 s13, -1, s13
	v_cndmask_b32_e64 v44, v76, v44, s12
	v_cmp_eq_u32_e64 s12, 0, v21
	s_wait_alu 0xfffe
	s_not_b32 s13, s13
	v_lshlrev_b32_e32 v44, 2, v44
	s_or_b32 s15, s12, s15
	v_cmp_eq_u32_e64 s12, 0, v43
	ds_bpermute_b32 v75, v44, v75
	s_wait_alu 0xf1ff
	v_cndmask_b32_e64 v43, 0, v53, s12
	s_wait_dscnt 0x0
	s_wait_alu 0xfffe
	v_cndmask_b32_e64 v21, v75, 0, s15
	s_delay_alu instid0(VALU_DEP_1) | instskip(NEXT) | instid1(VALU_DEP_1)
	v_add_nc_u32_e32 v6, v21, v6
	v_add_nc_u32_e32 v7, v6, v7
	s_delay_alu instid0(VALU_DEP_1) | instskip(NEXT) | instid1(VALU_DEP_1)
	v_add_nc_u32_e32 v4, v7, v4
	v_add_nc_u32_e32 v5, v4, v5
	s_delay_alu instid0(VALU_DEP_1) | instskip(NEXT) | instid1(VALU_DEP_1)
	v_add_nc_u32_e32 v2, v5, v2
	v_add_nc_u32_e32 v3, v2, v3
	s_delay_alu instid0(VALU_DEP_1)
	v_add_nc_u32_e32 v0, v3, v0
	ds_store_2addr_b32 v42, v21, v6 offset0:1 offset1:2
	ds_store_2addr_b32 v42, v7, v4 offset0:3 offset1:4
	;; [unrolled: 1-line block ×4, first 2 shown]
	; wave barrier
	s_wait_loadcnt_dscnt 0x0
	global_inv scope:SCOPE_SE
	ds_load_b32 v0, v62 offset:4
	ds_load_b32 v2, v66 offset:4
	;; [unrolled: 1-line block ×4, first 2 shown]
	v_cndmask_b32_e64 v5, 0, v27, s12
	v_cndmask_b32_e64 v7, 0, v15, s12
	;; [unrolled: 1-line block ×13, first 2 shown]
	v_lshlrev_b32_e32 v6, 1, v74
	v_cndmask_b32_e64 v50, 0, v54, s12
	; wave barrier
	s_wait_loadcnt_dscnt 0x0
	global_inv scope:SCOPE_SE
	v_add3_u32 v53, v64, v63, v2
	v_add3_u32 v54, v69, v67, v3
	;; [unrolled: 1-line block ×3, first 2 shown]
	v_cndmask_b32_e32 v4, v5, v10, vcc_lo
	v_cndmask_b32_e64 v10, v12, v25, s4
	v_cndmask_b32_e64 v12, v26, v29, s4
	;; [unrolled: 1-line block ×3, first 2 shown]
	v_add_nc_u32_e32 v13, v0, v60
	v_add_nc_u32_e32 v52, v6, v1
	v_lshlrev_b32_e32 v1, 1, v53
	v_lshlrev_b32_e32 v2, 1, v54
	;; [unrolled: 1-line block ×4, first 2 shown]
	ds_store_b16 v0, v49
	ds_store_b16 v1, v61
	;; [unrolled: 1-line block ×4, first 2 shown]
	; wave barrier
	s_wait_loadcnt_dscnt 0x0
	global_inv scope:SCOPE_SE
	ds_load_u16 v16, v6
	v_cndmask_b32_e64 v21, v43, v47, s5
	v_cndmask_b32_e64 v28, v50, v55, s5
	v_cndmask_b32_e64 v7, v7, v9, s4
	v_cndmask_b32_e64 v9, v15, v24, s4
	s_delay_alu instid0(VALU_DEP_4) | instskip(NEXT) | instid1(VALU_DEP_4)
	v_cndmask_b32_e64 v15, v21, v30, s4
	v_cndmask_b32_e64 v25, v28, v57, s4
	s_delay_alu instid0(VALU_DEP_4)
	v_cndmask_b32_e32 v5, v7, v11, vcc_lo
	v_cndmask_b32_e32 v7, v10, v22, vcc_lo
	ds_load_u16 v21, v6 offset:64
	ds_load_u16 v22, v6 offset:128
	;; [unrolled: 1-line block ×3, first 2 shown]
	v_cndmask_b32_e32 v6, v9, v14, vcc_lo
	v_dual_cndmask_b32 v10, v15, v48 :: v_dual_cndmask_b32 v9, v12, v23
	v_cndmask_b32_e32 v12, v26, v45, vcc_lo
	; wave barrier
	s_wait_loadcnt_dscnt 0x0
	global_inv scope:SCOPE_SE
	v_lshrrev_b16 v11, 8, v16
	v_cmp_ne_u16_e64 s4, 0x8000, v16
	s_wait_alu 0xf1ff
	s_delay_alu instid0(VALU_DEP_1) | instskip(SKIP_1) | instid1(VALU_DEP_2)
	v_cndmask_b32_e64 v14, 0x7f, v11, s4
	v_cndmask_b32_e32 v11, v25, v46, vcc_lo
	v_and_b32_e32 v15, 0xffff, v14
	v_mad_co_u64_u32 v[13:14], null, v13, 6, v[0:1]
	v_mad_co_u64_u32 v[0:1], null, v53, 6, v[1:2]
	s_delay_alu instid0(VALU_DEP_3) | instskip(SKIP_2) | instid1(VALU_DEP_3)
	v_and_b32_e32 v14, s13, v15
	v_mad_co_u64_u32 v[1:2], null, v54, 6, v[2:3]
	v_mad_co_u64_u32 v[2:3], null, v56, 6, v[3:4]
	v_and_b32_e32 v3, 1, v14
	ds_store_b64 v13, v[4:5]
	v_lshlrev_b32_e32 v4, 30, v14
	v_lshlrev_b32_e32 v5, 29, v14
	v_lshlrev_b32_e32 v13, 28, v14
	v_add_co_u32 v3, s4, v3, -1
	s_wait_alu 0xf1ff
	v_cndmask_b32_e64 v15, 0, 1, s4
	v_not_b32_e32 v27, v4
	v_cmp_gt_i32_e64 s4, 0, v4
	v_not_b32_e32 v4, v5
	v_lshlrev_b32_e32 v23, 27, v14
	v_cmp_ne_u32_e32 vcc_lo, 0, v15
	v_ashrrev_i32_e32 v27, 31, v27
	v_lshlrev_b32_e32 v25, 26, v14
	v_ashrrev_i32_e32 v4, 31, v4
	v_lshlrev_b32_e32 v26, 25, v14
	s_wait_alu 0xfffd
	v_xor_b32_e32 v3, vcc_lo, v3
	v_cmp_gt_i32_e32 vcc_lo, 0, v5
	v_not_b32_e32 v5, v13
	s_wait_alu 0xf1ff
	v_xor_b32_e32 v27, s4, v27
	v_cmp_gt_i32_e64 s4, 0, v13
	v_and_b32_e32 v3, exec_lo, v3
	v_not_b32_e32 v13, v23
	v_ashrrev_i32_e32 v5, 31, v5
	s_wait_alu 0xfffd
	v_xor_b32_e32 v4, vcc_lo, v4
	v_cmp_gt_i32_e32 vcc_lo, 0, v23
	v_and_b32_e32 v3, v3, v27
	v_not_b32_e32 v23, v25
	v_ashrrev_i32_e32 v13, 31, v13
	s_wait_alu 0xf1ff
	v_xor_b32_e32 v5, s4, v5
	v_lshlrev_b32_e32 v15, 24, v14
	v_and_b32_e32 v3, v3, v4
	v_cmp_gt_i32_e64 s4, 0, v25
	v_not_b32_e32 v4, v26
	v_ashrrev_i32_e32 v23, 31, v23
	s_wait_alu 0xfffd
	v_xor_b32_e32 v13, vcc_lo, v13
	v_and_b32_e32 v3, v3, v5
	v_cmp_gt_i32_e32 vcc_lo, 0, v26
	v_not_b32_e32 v5, v15
	v_ashrrev_i32_e32 v4, 31, v4
	s_wait_alu 0xf1ff
	v_xor_b32_e32 v23, s4, v23
	v_and_b32_e32 v3, v3, v13
	ds_store_b64 v0, v[6:7]
	v_cmp_gt_i32_e64 s4, 0, v15
	v_ashrrev_i32_e32 v0, 31, v5
	s_wait_alu 0xfffd
	v_xor_b32_e32 v4, vcc_lo, v4
	v_and_b32_e32 v3, v3, v23
	ds_store_b64 v1, v[9:10]
	ds_store_b64 v2, v[11:12]
	s_wait_loadcnt_dscnt 0x0
	s_wait_alu 0xf1ff
	v_xor_b32_e32 v9, s4, v0
	; wave barrier
	global_inv scope:SCOPE_SE
	v_and_b32_e32 v10, v3, v4
	ds_load_2addr_b64 v[4:7], v52 offset1:32
	ds_load_2addr_b64 v[0:3], v52 offset0:64 offset1:96
	v_lshl_add_u32 v25, v14, 2, v8
	; wave barrier
	s_wait_loadcnt_dscnt 0x0
	global_inv scope:SCOPE_SE
	v_dual_mov_b32 v10, 0 :: v_dual_and_b32 v9, v10, v9
	ds_store_2addr_b32 v42, v10, v10 offset0:1 offset1:2
	ds_store_2addr_b32 v42, v10, v10 offset0:3 offset1:4
	;; [unrolled: 1-line block ×4, first 2 shown]
	v_mbcnt_lo_u32_b32 v23, v9, 0
	v_cmp_ne_u32_e64 s4, 0, v9
	; wave barrier
	s_wait_loadcnt_dscnt 0x0
	global_inv scope:SCOPE_SE
	v_cmp_eq_u32_e32 vcc_lo, 0, v23
	; wave barrier
	s_and_b32 s5, s4, vcc_lo
	s_wait_alu 0xfffe
	s_and_saveexec_b32 s4, s5
; %bb.54:
	v_bcnt_u32_b32 v9, v9, 0
	ds_store_b32 v25, v9 offset:4
; %bb.55:
	s_wait_alu 0xfffe
	s_or_b32 exec_lo, exec_lo, s4
	v_lshrrev_b16 v9, 8, v21
	v_cmp_ne_u16_e32 vcc_lo, 0x8000, v21
	; wave barrier
	s_wait_alu 0xfffd
	s_delay_alu instid0(VALU_DEP_2) | instskip(NEXT) | instid1(VALU_DEP_1)
	v_cndmask_b32_e32 v9, 0x7f, v9, vcc_lo
	v_and_b32_e32 v9, s13, v9
	s_delay_alu instid0(VALU_DEP_1)
	v_and_b32_e32 v10, 1, v9
	v_lshlrev_b32_e32 v11, 30, v9
	v_lshlrev_b32_e32 v12, 29, v9
	;; [unrolled: 1-line block ×4, first 2 shown]
	v_add_co_u32 v10, s4, v10, -1
	s_wait_alu 0xf1ff
	v_cndmask_b32_e64 v14, 0, 1, s4
	v_not_b32_e32 v28, v11
	v_cmp_gt_i32_e64 s4, 0, v11
	v_not_b32_e32 v11, v12
	v_lshlrev_b32_e32 v26, 26, v9
	v_cmp_ne_u32_e32 vcc_lo, 0, v14
	v_ashrrev_i32_e32 v28, 31, v28
	v_lshlrev_b32_e32 v27, 25, v9
	v_ashrrev_i32_e32 v11, 31, v11
	v_lshlrev_b32_e32 v14, 24, v9
	s_wait_alu 0xfffd
	v_xor_b32_e32 v10, vcc_lo, v10
	v_cmp_gt_i32_e32 vcc_lo, 0, v12
	v_not_b32_e32 v12, v13
	s_wait_alu 0xf1ff
	v_xor_b32_e32 v28, s4, v28
	v_cmp_gt_i32_e64 s4, 0, v13
	v_and_b32_e32 v10, exec_lo, v10
	v_not_b32_e32 v13, v15
	v_ashrrev_i32_e32 v12, 31, v12
	s_wait_alu 0xfffd
	v_xor_b32_e32 v11, vcc_lo, v11
	v_cmp_gt_i32_e32 vcc_lo, 0, v15
	v_and_b32_e32 v10, v10, v28
	v_not_b32_e32 v15, v26
	v_ashrrev_i32_e32 v13, 31, v13
	s_wait_alu 0xf1ff
	v_xor_b32_e32 v12, s4, v12
	v_cmp_gt_i32_e64 s4, 0, v26
	v_and_b32_e32 v10, v10, v11
	v_not_b32_e32 v11, v27
	v_ashrrev_i32_e32 v15, 31, v15
	s_wait_alu 0xfffd
	v_xor_b32_e32 v13, vcc_lo, v13
	v_cmp_gt_i32_e32 vcc_lo, 0, v27
	v_and_b32_e32 v10, v10, v12
	v_not_b32_e32 v12, v14
	v_ashrrev_i32_e32 v11, 31, v11
	s_wait_alu 0xf1ff
	v_xor_b32_e32 v15, s4, v15
	v_cmp_gt_i32_e64 s4, 0, v14
	v_and_b32_e32 v10, v10, v13
	v_ashrrev_i32_e32 v12, 31, v12
	s_wait_alu 0xfffd
	v_xor_b32_e32 v11, vcc_lo, v11
	v_lshl_add_u32 v28, v9, 2, v8
	v_and_b32_e32 v10, v10, v15
	s_wait_alu 0xf1ff
	v_xor_b32_e32 v9, s4, v12
	ds_load_b32 v26, v28 offset:4
	v_and_b32_e32 v10, v10, v11
	; wave barrier
	s_delay_alu instid0(VALU_DEP_1) | instskip(NEXT) | instid1(VALU_DEP_1)
	v_and_b32_e32 v9, v10, v9
	v_mbcnt_lo_u32_b32 v27, v9, 0
	v_cmp_ne_u32_e64 s4, 0, v9
	s_delay_alu instid0(VALU_DEP_2)
	v_cmp_eq_u32_e32 vcc_lo, 0, v27
	s_and_b32 s5, s4, vcc_lo
	s_wait_alu 0xfffe
	s_and_saveexec_b32 s4, s5
	s_cbranch_execz .LBB223_57
; %bb.56:
	s_wait_dscnt 0x0
	v_bcnt_u32_b32 v9, v9, v26
	ds_store_b32 v28, v9 offset:4
.LBB223_57:
	s_wait_alu 0xfffe
	s_or_b32 exec_lo, exec_lo, s4
	v_lshrrev_b16 v9, 8, v22
	v_cmp_ne_u16_e32 vcc_lo, 0x8000, v22
	; wave barrier
	s_wait_alu 0xfffd
	s_delay_alu instid0(VALU_DEP_2) | instskip(NEXT) | instid1(VALU_DEP_1)
	v_cndmask_b32_e32 v9, 0x7f, v9, vcc_lo
	v_and_b32_e32 v9, s13, v9
	s_delay_alu instid0(VALU_DEP_1)
	v_and_b32_e32 v10, 1, v9
	v_lshlrev_b32_e32 v11, 30, v9
	v_lshlrev_b32_e32 v12, 29, v9
	;; [unrolled: 1-line block ×4, first 2 shown]
	v_add_co_u32 v10, s4, v10, -1
	s_wait_alu 0xf1ff
	v_cndmask_b32_e64 v14, 0, 1, s4
	v_not_b32_e32 v31, v11
	v_cmp_gt_i32_e64 s4, 0, v11
	v_not_b32_e32 v11, v12
	v_lshlrev_b32_e32 v29, 26, v9
	v_cmp_ne_u32_e32 vcc_lo, 0, v14
	v_ashrrev_i32_e32 v31, 31, v31
	v_lshlrev_b32_e32 v30, 25, v9
	v_ashrrev_i32_e32 v11, 31, v11
	v_lshlrev_b32_e32 v14, 24, v9
	s_wait_alu 0xfffd
	v_xor_b32_e32 v10, vcc_lo, v10
	v_cmp_gt_i32_e32 vcc_lo, 0, v12
	v_not_b32_e32 v12, v13
	s_wait_alu 0xf1ff
	v_xor_b32_e32 v31, s4, v31
	v_cmp_gt_i32_e64 s4, 0, v13
	v_and_b32_e32 v10, exec_lo, v10
	v_not_b32_e32 v13, v15
	v_ashrrev_i32_e32 v12, 31, v12
	s_wait_alu 0xfffd
	v_xor_b32_e32 v11, vcc_lo, v11
	v_cmp_gt_i32_e32 vcc_lo, 0, v15
	v_and_b32_e32 v10, v10, v31
	v_not_b32_e32 v15, v29
	v_ashrrev_i32_e32 v13, 31, v13
	s_wait_alu 0xf1ff
	v_xor_b32_e32 v12, s4, v12
	v_cmp_gt_i32_e64 s4, 0, v29
	v_and_b32_e32 v10, v10, v11
	v_not_b32_e32 v11, v30
	v_ashrrev_i32_e32 v15, 31, v15
	s_wait_alu 0xfffd
	v_xor_b32_e32 v13, vcc_lo, v13
	v_cmp_gt_i32_e32 vcc_lo, 0, v30
	v_and_b32_e32 v10, v10, v12
	v_not_b32_e32 v12, v14
	v_ashrrev_i32_e32 v11, 31, v11
	s_wait_alu 0xf1ff
	v_xor_b32_e32 v15, s4, v15
	v_cmp_gt_i32_e64 s4, 0, v14
	v_and_b32_e32 v10, v10, v13
	v_ashrrev_i32_e32 v12, 31, v12
	s_wait_alu 0xfffd
	v_xor_b32_e32 v11, vcc_lo, v11
	v_lshl_add_u32 v31, v9, 2, v8
	v_and_b32_e32 v10, v10, v15
	s_wait_alu 0xf1ff
	v_xor_b32_e32 v9, s4, v12
	ds_load_b32 v29, v31 offset:4
	v_and_b32_e32 v10, v10, v11
	; wave barrier
	s_delay_alu instid0(VALU_DEP_1) | instskip(NEXT) | instid1(VALU_DEP_1)
	v_and_b32_e32 v9, v10, v9
	v_mbcnt_lo_u32_b32 v30, v9, 0
	v_cmp_ne_u32_e64 s4, 0, v9
	s_delay_alu instid0(VALU_DEP_2)
	v_cmp_eq_u32_e32 vcc_lo, 0, v30
	s_and_b32 s5, s4, vcc_lo
	s_wait_alu 0xfffe
	s_and_saveexec_b32 s4, s5
	s_cbranch_execz .LBB223_59
; %bb.58:
	s_wait_dscnt 0x0
	v_bcnt_u32_b32 v9, v9, v29
	ds_store_b32 v31, v9 offset:4
.LBB223_59:
	s_wait_alu 0xfffe
	s_or_b32 exec_lo, exec_lo, s4
	v_lshrrev_b16 v9, 8, v24
	v_cmp_ne_u16_e32 vcc_lo, 0x8000, v24
	; wave barrier
	s_wait_alu 0xfffd
	s_delay_alu instid0(VALU_DEP_2) | instskip(NEXT) | instid1(VALU_DEP_1)
	v_cndmask_b32_e32 v9, 0x7f, v9, vcc_lo
	v_and_b32_e32 v9, s13, v9
	s_delay_alu instid0(VALU_DEP_1)
	v_and_b32_e32 v10, 1, v9
	v_lshlrev_b32_e32 v11, 30, v9
	v_lshlrev_b32_e32 v12, 29, v9
	;; [unrolled: 1-line block ×4, first 2 shown]
	v_add_co_u32 v10, s4, v10, -1
	s_wait_alu 0xf1ff
	v_cndmask_b32_e64 v14, 0, 1, s4
	v_not_b32_e32 v46, v11
	v_cmp_gt_i32_e64 s4, 0, v11
	v_not_b32_e32 v11, v12
	v_lshlrev_b32_e32 v43, 26, v9
	v_cmp_ne_u32_e32 vcc_lo, 0, v14
	v_ashrrev_i32_e32 v46, 31, v46
	v_lshlrev_b32_e32 v45, 25, v9
	v_ashrrev_i32_e32 v11, 31, v11
	v_lshlrev_b32_e32 v14, 24, v9
	s_wait_alu 0xfffd
	v_xor_b32_e32 v10, vcc_lo, v10
	v_cmp_gt_i32_e32 vcc_lo, 0, v12
	v_not_b32_e32 v12, v13
	s_wait_alu 0xf1ff
	v_xor_b32_e32 v46, s4, v46
	v_cmp_gt_i32_e64 s4, 0, v13
	v_and_b32_e32 v10, exec_lo, v10
	v_not_b32_e32 v13, v15
	v_ashrrev_i32_e32 v12, 31, v12
	s_wait_alu 0xfffd
	v_xor_b32_e32 v11, vcc_lo, v11
	v_cmp_gt_i32_e32 vcc_lo, 0, v15
	v_and_b32_e32 v10, v10, v46
	v_not_b32_e32 v15, v43
	v_ashrrev_i32_e32 v13, 31, v13
	s_wait_alu 0xf1ff
	v_xor_b32_e32 v12, s4, v12
	v_cmp_gt_i32_e64 s4, 0, v43
	v_and_b32_e32 v10, v10, v11
	v_not_b32_e32 v11, v45
	v_ashrrev_i32_e32 v15, 31, v15
	s_wait_alu 0xfffd
	v_xor_b32_e32 v13, vcc_lo, v13
	v_cmp_gt_i32_e32 vcc_lo, 0, v45
	v_and_b32_e32 v10, v10, v12
	v_not_b32_e32 v12, v14
	v_ashrrev_i32_e32 v11, 31, v11
	s_wait_alu 0xf1ff
	v_xor_b32_e32 v15, s4, v15
	v_cmp_gt_i32_e64 s4, 0, v14
	v_and_b32_e32 v10, v10, v13
	v_ashrrev_i32_e32 v12, 31, v12
	s_wait_alu 0xfffd
	v_xor_b32_e32 v11, vcc_lo, v11
	v_lshl_add_u32 v46, v9, 2, v8
	v_and_b32_e32 v10, v10, v15
	s_wait_alu 0xf1ff
	v_xor_b32_e32 v8, s4, v12
	ds_load_b32 v43, v46 offset:4
	v_and_b32_e32 v9, v10, v11
	; wave barrier
	s_delay_alu instid0(VALU_DEP_1) | instskip(NEXT) | instid1(VALU_DEP_1)
	v_and_b32_e32 v8, v9, v8
	v_mbcnt_lo_u32_b32 v45, v8, 0
	v_cmp_ne_u32_e64 s4, 0, v8
	s_delay_alu instid0(VALU_DEP_2)
	v_cmp_eq_u32_e32 vcc_lo, 0, v45
	s_and_b32 s5, s4, vcc_lo
	s_wait_alu 0xfffe
	s_and_saveexec_b32 s4, s5
	s_cbranch_execz .LBB223_61
; %bb.60:
	s_wait_dscnt 0x0
	v_bcnt_u32_b32 v8, v8, v43
	ds_store_b32 v46, v8 offset:4
.LBB223_61:
	s_wait_alu 0xfffe
	s_or_b32 exec_lo, exec_lo, s4
	; wave barrier
	; wave barrier
	s_wait_loadcnt_dscnt 0x0
	global_inv scope:SCOPE_SE
	ds_load_2addr_b32 v[14:15], v42 offset0:1 offset1:2
	ds_load_2addr_b32 v[12:13], v42 offset0:3 offset1:4
	;; [unrolled: 1-line block ×4, first 2 shown]
	s_wait_dscnt 0x3
	v_add_nc_u32_e32 v47, v15, v14
	s_wait_dscnt 0x2
	s_delay_alu instid0(VALU_DEP_1) | instskip(SKIP_1) | instid1(VALU_DEP_1)
	v_add3_u32 v47, v47, v12, v13
	s_wait_dscnt 0x1
	v_add3_u32 v47, v47, v10, v11
	s_wait_dscnt 0x0
	s_delay_alu instid0(VALU_DEP_1) | instskip(NEXT) | instid1(VALU_DEP_1)
	v_add3_u32 v9, v47, v8, v9
	v_mov_b32_dpp v47, v9 row_shr:1 row_mask:0xf bank_mask:0xf
	s_delay_alu instid0(VALU_DEP_1) | instskip(NEXT) | instid1(VALU_DEP_1)
	v_cndmask_b32_e64 v47, v47, 0, s6
	v_add_nc_u32_e32 v9, v47, v9
	s_delay_alu instid0(VALU_DEP_1) | instskip(NEXT) | instid1(VALU_DEP_1)
	v_mov_b32_dpp v47, v9 row_shr:2 row_mask:0xf bank_mask:0xf
	v_cndmask_b32_e64 v47, 0, v47, s7
	s_delay_alu instid0(VALU_DEP_1) | instskip(NEXT) | instid1(VALU_DEP_1)
	v_add_nc_u32_e32 v9, v9, v47
	v_mov_b32_dpp v47, v9 row_shr:4 row_mask:0xf bank_mask:0xf
	s_delay_alu instid0(VALU_DEP_1) | instskip(NEXT) | instid1(VALU_DEP_1)
	v_cndmask_b32_e64 v47, 0, v47, s8
	v_add_nc_u32_e32 v9, v9, v47
	s_delay_alu instid0(VALU_DEP_1) | instskip(NEXT) | instid1(VALU_DEP_1)
	v_mov_b32_dpp v47, v9 row_shr:8 row_mask:0xf bank_mask:0xf
	v_cndmask_b32_e64 v47, 0, v47, s9
	s_delay_alu instid0(VALU_DEP_1) | instskip(SKIP_3) | instid1(VALU_DEP_1)
	v_add_nc_u32_e32 v9, v9, v47
	ds_swizzle_b32 v47, v9 offset:swizzle(BROADCAST,32,15)
	s_wait_dscnt 0x0
	v_cndmask_b32_e64 v47, v47, 0, s11
	v_add_nc_u32_e32 v9, v9, v47
	s_and_saveexec_b32 s4, s10
; %bb.62:
	v_mov_b32_e32 v47, 0
	ds_store_b32 v47, v9
; %bb.63:
	s_wait_alu 0xfffe
	s_or_b32 exec_lo, exec_lo, s4
	ds_bpermute_b32 v9, v44, v9
	; wave barrier
	s_wait_loadcnt_dscnt 0x0
	global_inv scope:SCOPE_SE
	v_cndmask_b32_e64 v9, v9, 0, s15
	s_delay_alu instid0(VALU_DEP_1) | instskip(NEXT) | instid1(VALU_DEP_1)
	v_add_nc_u32_e32 v14, v9, v14
	v_add_nc_u32_e32 v15, v14, v15
	s_delay_alu instid0(VALU_DEP_1) | instskip(NEXT) | instid1(VALU_DEP_1)
	v_add_nc_u32_e32 v12, v15, v12
	v_add_nc_u32_e32 v13, v12, v13
	;; [unrolled: 3-line block ×3, first 2 shown]
	s_delay_alu instid0(VALU_DEP_1)
	v_add_nc_u32_e32 v8, v11, v8
	ds_store_2addr_b32 v42, v9, v14 offset0:1 offset1:2
	ds_store_2addr_b32 v42, v15, v12 offset0:3 offset1:4
	ds_store_2addr_b32 v42, v13, v10 offset0:5 offset1:6
	ds_store_2addr_b32 v42, v11, v8 offset0:7 offset1:8
	; wave barrier
	s_wait_loadcnt_dscnt 0x0
	global_inv scope:SCOPE_SE
	ds_load_b32 v8, v25 offset:4
	ds_load_b32 v9, v28 offset:4
	;; [unrolled: 1-line block ×4, first 2 shown]
	v_lshlrev_b32_e32 v12, 1, v41
	; wave barrier
	s_wait_loadcnt_dscnt 0x0
	global_inv scope:SCOPE_SE
	v_add_nc_u32_e32 v15, v8, v23
	v_add3_u32 v23, v27, v26, v9
	v_add3_u32 v25, v30, v29, v10
	v_add3_u32 v26, v45, v43, v11
	s_delay_alu instid0(VALU_DEP_4) | instskip(NEXT) | instid1(VALU_DEP_4)
	v_lshlrev_b32_e32 v8, 1, v15
	v_lshlrev_b32_e32 v9, 1, v23
	s_delay_alu instid0(VALU_DEP_4) | instskip(NEXT) | instid1(VALU_DEP_4)
	v_lshlrev_b32_e32 v10, 1, v25
	v_lshlrev_b32_e32 v11, 1, v26
	ds_store_b16 v8, v16
	ds_store_b16 v9, v21
	;; [unrolled: 1-line block ×4, first 2 shown]
	; wave barrier
	s_wait_loadcnt_dscnt 0x0
	global_inv scope:SCOPE_SE
	ds_load_b64 v[13:14], v12
	v_mad_co_u64_u32 v[15:16], null, v15, 6, v[8:9]
	v_mad_co_u64_u32 v[8:9], null, v23, 6, v[9:10]
	;; [unrolled: 1-line block ×3, first 2 shown]
	; wave barrier
	s_wait_loadcnt_dscnt 0x0
	global_inv scope:SCOPE_SE
	ds_store_b64 v15, v[4:5]
	ds_store_b64 v8, v[6:7]
	v_cmp_gt_i16_e32 vcc_lo, 0, v13
	v_lshrrev_b32_e32 v10, 16, v13
	v_lshrrev_b32_e32 v16, 16, v14
	s_wait_alu 0xfffd
	v_cndmask_b32_e64 v12, 0x7fff, 0, vcc_lo
	v_cmp_gt_i16_e32 vcc_lo, 0, v14
	s_wait_alu 0xfffd
	v_cndmask_b32_e64 v21, 0x7fff, 0, vcc_lo
	v_cmp_gt_i16_e32 vcc_lo, 0, v10
	v_mad_co_u64_u32 v[10:11], null, v26, 6, v[11:12]
	ds_store_b64 v9, v[0:1]
	ds_store_b64 v10, v[2:3]
	s_wait_alu 0xfffd
	v_cndmask_b32_e64 v22, 0x7fff, 0, vcc_lo
	v_cmp_gt_i16_e32 vcc_lo, 0, v16
	; wave barrier
	s_wait_loadcnt_dscnt 0x0
	global_inv scope:SCOPE_SE
	v_perm_b32 v11, v22, v12, 0x5040100
	s_wait_alu 0xfffd
	v_cndmask_b32_e64 v16, 0x7fff, 0, vcc_lo
	s_delay_alu instid0(VALU_DEP_2) | instskip(NEXT) | instid1(VALU_DEP_2)
	v_xor_b32_e32 v13, v11, v13
	v_perm_b32 v12, v16, v21, 0x5040100
	s_delay_alu instid0(VALU_DEP_1)
	v_xor_b32_e32 v14, v12, v14
.LBB223_64:
	ds_load_b128 v[0:3], v40
	ds_load_b128 v[4:7], v40 offset:16
	; wave barrier
	s_wait_loadcnt_dscnt 0x0
	global_inv scope:SCOPE_SE
	ds_store_2addr_b32 v35, v13, v14 offset1:1
	; wave barrier
	s_wait_loadcnt_dscnt 0x0
	global_inv scope:SCOPE_SE
	ds_load_u16 v12, v18 offset:64
	ds_load_u16 v11, v33 offset:128
	;; [unrolled: 1-line block ×3, first 2 shown]
	v_mov_b32_e32 v18, 0
	s_delay_alu instid0(VALU_DEP_1) | instskip(NEXT) | instid1(VALU_DEP_1)
	v_lshlrev_b64_e32 v[8:9], 1, v[17:18]
	v_add_co_u32 v8, vcc_lo, s18, v8
	s_wait_alu 0xfffd
	s_delay_alu instid0(VALU_DEP_2)
	v_add_co_ci_u32_e64 v9, null, s19, v9, vcc_lo
	s_and_saveexec_b32 s4, s0
	s_cbranch_execnz .LBB223_75
; %bb.65:
	s_wait_alu 0xfffe
	s_or_b32 exec_lo, exec_lo, s4
	s_and_saveexec_b32 s4, s1
	s_cbranch_execnz .LBB223_76
.LBB223_66:
	s_wait_alu 0xfffe
	s_or_b32 exec_lo, exec_lo, s4
	s_and_saveexec_b32 s4, s2
	s_cbranch_execnz .LBB223_77
.LBB223_67:
	s_wait_alu 0xfffe
	s_or_b32 exec_lo, exec_lo, s4
	s_and_saveexec_b32 s4, s3
	s_cbranch_execz .LBB223_69
.LBB223_68:
	s_mul_i32 s6, s14, 0x60
	s_mov_b32 s7, 0
	s_wait_alu 0xfffe
	s_lshl_b64 s[6:7], s[6:7], 1
	s_wait_alu 0xfffe
	v_add_co_u32 v8, vcc_lo, v8, s6
	s_wait_alu 0xfffd
	v_add_co_ci_u32_e64 v9, null, s7, v9, vcc_lo
	s_wait_dscnt 0x0
	global_store_b16 v[8:9], v10, off
.LBB223_69:
	s_wait_alu 0xfffe
	s_or_b32 exec_lo, exec_lo, s4
	s_wait_storecnt 0x0
	; wave barrier
	s_wait_loadcnt_dscnt 0x0
	global_inv scope:SCOPE_SE
	ds_store_2addr_b64 v39, v[0:1], v[2:3] offset1:1
	ds_store_2addr_b64 v39, v[4:5], v[6:7] offset0:2 offset1:3
	; wave barrier
	s_wait_loadcnt_dscnt 0x0
	global_inv scope:SCOPE_SE
	ds_load_b64 v[6:7], v20 offset:256
	ds_load_b64 v[4:5], v37 offset:512
	;; [unrolled: 1-line block ×3, first 2 shown]
	v_mov_b32_e32 v20, 0
	s_delay_alu instid0(VALU_DEP_1) | instskip(NEXT) | instid1(VALU_DEP_1)
	v_lshlrev_b64_e32 v[2:3], 3, v[19:20]
	v_add_co_u32 v2, vcc_lo, s20, v2
	s_wait_alu 0xfffd
	s_delay_alu instid0(VALU_DEP_2)
	v_add_co_ci_u32_e64 v3, null, s21, v3, vcc_lo
	s_and_saveexec_b32 s4, s0
	s_cbranch_execnz .LBB223_78
; %bb.70:
	s_wait_alu 0xfffe
	s_or_b32 exec_lo, exec_lo, s4
	s_and_saveexec_b32 s0, s1
	s_cbranch_execnz .LBB223_79
.LBB223_71:
	s_or_b32 exec_lo, exec_lo, s0
	s_and_saveexec_b32 s0, s2
	s_cbranch_execnz .LBB223_80
.LBB223_72:
	s_or_b32 exec_lo, exec_lo, s0
	s_and_saveexec_b32 s0, s3
	s_cbranch_execz .LBB223_74
.LBB223_73:
	s_mul_i32 s0, s16, 0x60
	s_mov_b32 s1, 0
	s_delay_alu instid0(SALU_CYCLE_1) | instskip(NEXT) | instid1(SALU_CYCLE_1)
	s_lshl_b64 s[0:1], s[0:1], 3
	v_add_co_u32 v2, vcc_lo, v2, s0
	s_wait_alu 0xfffd
	v_add_co_ci_u32_e64 v3, null, s1, v3, vcc_lo
	s_wait_dscnt 0x0
	global_store_b64 v[2:3], v[0:1], off
.LBB223_74:
	s_endpgm
.LBB223_75:
	ds_load_u16 v13, v32
	s_wait_dscnt 0x0
	global_store_b16 v[8:9], v13, off
	s_wait_alu 0xfffe
	s_or_b32 exec_lo, exec_lo, s4
	s_and_saveexec_b32 s4, s1
	s_cbranch_execz .LBB223_66
.LBB223_76:
	s_lshl_b32 s6, s14, 5
	s_mov_b32 s7, 0
	s_wait_alu 0xfffe
	s_lshl_b64 s[6:7], s[6:7], 1
	s_wait_alu 0xfffe
	v_add_co_u32 v13, vcc_lo, v8, s6
	s_wait_alu 0xfffd
	v_add_co_ci_u32_e64 v14, null, s7, v9, vcc_lo
	s_wait_dscnt 0x2
	global_store_b16 v[13:14], v12, off
	s_or_b32 exec_lo, exec_lo, s4
	s_and_saveexec_b32 s4, s2
	s_cbranch_execz .LBB223_67
.LBB223_77:
	s_lshl_b32 s6, s14, 6
	s_mov_b32 s7, 0
	s_wait_alu 0xfffe
	s_lshl_b64 s[6:7], s[6:7], 1
	s_wait_dscnt 0x2
	s_wait_alu 0xfffe
	v_add_co_u32 v12, vcc_lo, v8, s6
	s_wait_alu 0xfffd
	v_add_co_ci_u32_e64 v13, null, s7, v9, vcc_lo
	s_wait_dscnt 0x1
	global_store_b16 v[12:13], v11, off
	s_or_b32 exec_lo, exec_lo, s4
	s_and_saveexec_b32 s4, s3
	s_cbranch_execnz .LBB223_68
	s_branch .LBB223_69
.LBB223_78:
	ds_load_b64 v[8:9], v36
	s_wait_dscnt 0x0
	global_store_b64 v[2:3], v[8:9], off
	s_wait_alu 0xfffe
	s_or_b32 exec_lo, exec_lo, s4
	s_and_saveexec_b32 s0, s1
	s_cbranch_execz .LBB223_71
.LBB223_79:
	s_lshl_b32 s4, s16, 5
	s_mov_b32 s5, 0
	s_wait_alu 0xfffe
	s_lshl_b64 s[4:5], s[4:5], 3
	s_wait_alu 0xfffe
	v_add_co_u32 v8, vcc_lo, v2, s4
	s_wait_alu 0xfffd
	v_add_co_ci_u32_e64 v9, null, s5, v3, vcc_lo
	s_wait_dscnt 0x2
	global_store_b64 v[8:9], v[6:7], off
	s_or_b32 exec_lo, exec_lo, s0
	s_and_saveexec_b32 s0, s2
	s_cbranch_execz .LBB223_72
.LBB223_80:
	s_lshl_b32 s4, s16, 6
	s_mov_b32 s5, 0
	s_wait_alu 0xfffe
	s_lshl_b64 s[4:5], s[4:5], 3
	s_wait_dscnt 0x2
	s_wait_alu 0xfffe
	v_add_co_u32 v6, vcc_lo, v2, s4
	s_wait_alu 0xfffd
	v_add_co_ci_u32_e64 v7, null, s5, v3, vcc_lo
	s_wait_dscnt 0x1
	global_store_b64 v[6:7], v[4:5], off
	s_or_b32 exec_lo, exec_lo, s0
	s_and_saveexec_b32 s0, s3
	s_cbranch_execnz .LBB223_73
	s_branch .LBB223_74
	.section	.rodata,"a",@progbits
	.p2align	6, 0x0
	.amdhsa_kernel _ZN2at6native18radixSortKVInPlaceILin2ELin1ELi32ELi4EN3c104HalfEljEEvNS_4cuda6detail10TensorInfoIT3_T5_EES8_S8_S8_NS6_IT4_S8_EES8_b
		.amdhsa_group_segment_fixed_size 1056
		.amdhsa_private_segment_fixed_size 0
		.amdhsa_kernarg_size 712
		.amdhsa_user_sgpr_count 2
		.amdhsa_user_sgpr_dispatch_ptr 0
		.amdhsa_user_sgpr_queue_ptr 0
		.amdhsa_user_sgpr_kernarg_segment_ptr 1
		.amdhsa_user_sgpr_dispatch_id 0
		.amdhsa_user_sgpr_private_segment_size 0
		.amdhsa_wavefront_size32 1
		.amdhsa_uses_dynamic_stack 0
		.amdhsa_enable_private_segment 0
		.amdhsa_system_sgpr_workgroup_id_x 1
		.amdhsa_system_sgpr_workgroup_id_y 1
		.amdhsa_system_sgpr_workgroup_id_z 1
		.amdhsa_system_sgpr_workgroup_info 0
		.amdhsa_system_vgpr_workitem_id 2
		.amdhsa_next_free_vgpr 94
		.amdhsa_next_free_sgpr 24
		.amdhsa_reserve_vcc 1
		.amdhsa_float_round_mode_32 0
		.amdhsa_float_round_mode_16_64 0
		.amdhsa_float_denorm_mode_32 3
		.amdhsa_float_denorm_mode_16_64 3
		.amdhsa_fp16_overflow 0
		.amdhsa_workgroup_processor_mode 1
		.amdhsa_memory_ordered 1
		.amdhsa_forward_progress 1
		.amdhsa_inst_pref_size 109
		.amdhsa_round_robin_scheduling 0
		.amdhsa_exception_fp_ieee_invalid_op 0
		.amdhsa_exception_fp_denorm_src 0
		.amdhsa_exception_fp_ieee_div_zero 0
		.amdhsa_exception_fp_ieee_overflow 0
		.amdhsa_exception_fp_ieee_underflow 0
		.amdhsa_exception_fp_ieee_inexact 0
		.amdhsa_exception_int_div_zero 0
	.end_amdhsa_kernel
	.section	.text._ZN2at6native18radixSortKVInPlaceILin2ELin1ELi32ELi4EN3c104HalfEljEEvNS_4cuda6detail10TensorInfoIT3_T5_EES8_S8_S8_NS6_IT4_S8_EES8_b,"axG",@progbits,_ZN2at6native18radixSortKVInPlaceILin2ELin1ELi32ELi4EN3c104HalfEljEEvNS_4cuda6detail10TensorInfoIT3_T5_EES8_S8_S8_NS6_IT4_S8_EES8_b,comdat
.Lfunc_end223:
	.size	_ZN2at6native18radixSortKVInPlaceILin2ELin1ELi32ELi4EN3c104HalfEljEEvNS_4cuda6detail10TensorInfoIT3_T5_EES8_S8_S8_NS6_IT4_S8_EES8_b, .Lfunc_end223-_ZN2at6native18radixSortKVInPlaceILin2ELin1ELi32ELi4EN3c104HalfEljEEvNS_4cuda6detail10TensorInfoIT3_T5_EES8_S8_S8_NS6_IT4_S8_EES8_b
                                        ; -- End function
	.set _ZN2at6native18radixSortKVInPlaceILin2ELin1ELi32ELi4EN3c104HalfEljEEvNS_4cuda6detail10TensorInfoIT3_T5_EES8_S8_S8_NS6_IT4_S8_EES8_b.num_vgpr, 94
	.set _ZN2at6native18radixSortKVInPlaceILin2ELin1ELi32ELi4EN3c104HalfEljEEvNS_4cuda6detail10TensorInfoIT3_T5_EES8_S8_S8_NS6_IT4_S8_EES8_b.num_agpr, 0
	.set _ZN2at6native18radixSortKVInPlaceILin2ELin1ELi32ELi4EN3c104HalfEljEEvNS_4cuda6detail10TensorInfoIT3_T5_EES8_S8_S8_NS6_IT4_S8_EES8_b.numbered_sgpr, 24
	.set _ZN2at6native18radixSortKVInPlaceILin2ELin1ELi32ELi4EN3c104HalfEljEEvNS_4cuda6detail10TensorInfoIT3_T5_EES8_S8_S8_NS6_IT4_S8_EES8_b.num_named_barrier, 0
	.set _ZN2at6native18radixSortKVInPlaceILin2ELin1ELi32ELi4EN3c104HalfEljEEvNS_4cuda6detail10TensorInfoIT3_T5_EES8_S8_S8_NS6_IT4_S8_EES8_b.private_seg_size, 0
	.set _ZN2at6native18radixSortKVInPlaceILin2ELin1ELi32ELi4EN3c104HalfEljEEvNS_4cuda6detail10TensorInfoIT3_T5_EES8_S8_S8_NS6_IT4_S8_EES8_b.uses_vcc, 1
	.set _ZN2at6native18radixSortKVInPlaceILin2ELin1ELi32ELi4EN3c104HalfEljEEvNS_4cuda6detail10TensorInfoIT3_T5_EES8_S8_S8_NS6_IT4_S8_EES8_b.uses_flat_scratch, 0
	.set _ZN2at6native18radixSortKVInPlaceILin2ELin1ELi32ELi4EN3c104HalfEljEEvNS_4cuda6detail10TensorInfoIT3_T5_EES8_S8_S8_NS6_IT4_S8_EES8_b.has_dyn_sized_stack, 0
	.set _ZN2at6native18radixSortKVInPlaceILin2ELin1ELi32ELi4EN3c104HalfEljEEvNS_4cuda6detail10TensorInfoIT3_T5_EES8_S8_S8_NS6_IT4_S8_EES8_b.has_recursion, 0
	.set _ZN2at6native18radixSortKVInPlaceILin2ELin1ELi32ELi4EN3c104HalfEljEEvNS_4cuda6detail10TensorInfoIT3_T5_EES8_S8_S8_NS6_IT4_S8_EES8_b.has_indirect_call, 0
	.section	.AMDGPU.csdata,"",@progbits
; Kernel info:
; codeLenInByte = 13916
; TotalNumSgprs: 26
; NumVgprs: 94
; ScratchSize: 0
; MemoryBound: 0
; FloatMode: 240
; IeeeMode: 1
; LDSByteSize: 1056 bytes/workgroup (compile time only)
; SGPRBlocks: 0
; VGPRBlocks: 11
; NumSGPRsForWavesPerEU: 26
; NumVGPRsForWavesPerEU: 94
; Occupancy: 16
; WaveLimiterHint : 1
; COMPUTE_PGM_RSRC2:SCRATCH_EN: 0
; COMPUTE_PGM_RSRC2:USER_SGPR: 2
; COMPUTE_PGM_RSRC2:TRAP_HANDLER: 0
; COMPUTE_PGM_RSRC2:TGID_X_EN: 1
; COMPUTE_PGM_RSRC2:TGID_Y_EN: 1
; COMPUTE_PGM_RSRC2:TGID_Z_EN: 1
; COMPUTE_PGM_RSRC2:TIDIG_COMP_CNT: 2
	.section	.text._ZN2at6native18radixSortKVInPlaceILin2ELin1ELi16ELi2EN3c104HalfEljEEvNS_4cuda6detail10TensorInfoIT3_T5_EES8_S8_S8_NS6_IT4_S8_EES8_b,"axG",@progbits,_ZN2at6native18radixSortKVInPlaceILin2ELin1ELi16ELi2EN3c104HalfEljEEvNS_4cuda6detail10TensorInfoIT3_T5_EES8_S8_S8_NS6_IT4_S8_EES8_b,comdat
	.protected	_ZN2at6native18radixSortKVInPlaceILin2ELin1ELi16ELi2EN3c104HalfEljEEvNS_4cuda6detail10TensorInfoIT3_T5_EES8_S8_S8_NS6_IT4_S8_EES8_b ; -- Begin function _ZN2at6native18radixSortKVInPlaceILin2ELin1ELi16ELi2EN3c104HalfEljEEvNS_4cuda6detail10TensorInfoIT3_T5_EES8_S8_S8_NS6_IT4_S8_EES8_b
	.globl	_ZN2at6native18radixSortKVInPlaceILin2ELin1ELi16ELi2EN3c104HalfEljEEvNS_4cuda6detail10TensorInfoIT3_T5_EES8_S8_S8_NS6_IT4_S8_EES8_b
	.p2align	8
	.type	_ZN2at6native18radixSortKVInPlaceILin2ELin1ELi16ELi2EN3c104HalfEljEEvNS_4cuda6detail10TensorInfoIT3_T5_EES8_S8_S8_NS6_IT4_S8_EES8_b,@function
_ZN2at6native18radixSortKVInPlaceILin2ELin1ELi16ELi2EN3c104HalfEljEEvNS_4cuda6detail10TensorInfoIT3_T5_EES8_S8_S8_NS6_IT4_S8_EES8_b: ; @_ZN2at6native18radixSortKVInPlaceILin2ELin1ELi16ELi2EN3c104HalfEljEEvNS_4cuda6detail10TensorInfoIT3_T5_EES8_S8_S8_NS6_IT4_S8_EES8_b
; %bb.0:
	s_clause 0x1
	s_load_b64 s[2:3], s[0:1], 0x1c8
	s_load_b96 s[8:10], s[0:1], 0xd8
	s_lshr_b32 s4, ttmp7, 16
	s_wait_kmcnt 0x0
	s_mul_i32 s3, s3, s4
	s_and_b32 s4, ttmp7, 0xffff
	s_delay_alu instid0(SALU_CYCLE_1) | instskip(NEXT) | instid1(SALU_CYCLE_1)
	s_add_co_i32 s3, s3, s4
	s_mul_i32 s11, s3, s2
	s_delay_alu instid0(SALU_CYCLE_1) | instskip(NEXT) | instid1(SALU_CYCLE_1)
	s_add_co_i32 s11, s11, ttmp9
	s_cmp_ge_u32 s11, s8
	s_cbranch_scc1 .LBB224_112
; %bb.1:
	s_load_b32 s6, s[0:1], 0x1b8
	s_add_nc_u64 s[4:5], s[0:1], 0xe8
	s_mov_b32 s3, 0
	s_mov_b32 s2, s11
	s_wait_kmcnt 0x0
	s_cmp_lt_i32 s6, 2
	s_cbranch_scc1 .LBB224_4
; %bb.2:
	s_add_co_i32 s2, s6, -1
	s_add_co_i32 s8, s6, 1
	s_lshl_b64 s[12:13], s[2:3], 2
	s_mov_b32 s2, s11
	s_add_nc_u64 s[12:13], s[4:5], s[12:13]
	s_delay_alu instid0(SALU_CYCLE_1)
	s_add_nc_u64 s[6:7], s[12:13], 8
.LBB224_3:                              ; =>This Inner Loop Header: Depth=1
	s_clause 0x1
	s_load_b32 s12, s[6:7], 0x0
	s_load_b32 s13, s[6:7], 0x64
	s_mov_b32 s16, s2
	s_add_nc_u64 s[6:7], s[6:7], -4
	s_wait_kmcnt 0x0
	s_cvt_f32_u32 s14, s12
	s_sub_co_i32 s15, 0, s12
	s_wait_alu 0xfffe
	s_delay_alu instid0(SALU_CYCLE_1) | instskip(NEXT) | instid1(TRANS32_DEP_1)
	v_rcp_iflag_f32_e32 v1, s14
	v_readfirstlane_b32 s14, v1
	s_mul_f32 s14, s14, 0x4f7ffffe
	s_wait_alu 0xfffe
	s_delay_alu instid0(SALU_CYCLE_2) | instskip(SKIP_1) | instid1(SALU_CYCLE_2)
	s_cvt_u32_f32 s14, s14
	s_wait_alu 0xfffe
	s_mul_i32 s15, s15, s14
	s_wait_alu 0xfffe
	s_mul_hi_u32 s15, s14, s15
	s_wait_alu 0xfffe
	s_add_co_i32 s14, s14, s15
	s_wait_alu 0xfffe
	s_mul_hi_u32 s2, s2, s14
	s_delay_alu instid0(SALU_CYCLE_1)
	s_mul_i32 s14, s2, s12
	s_add_co_i32 s15, s2, 1
	s_wait_alu 0xfffe
	s_sub_co_i32 s14, s16, s14
	s_wait_alu 0xfffe
	s_sub_co_i32 s17, s14, s12
	s_cmp_ge_u32 s14, s12
	s_cselect_b32 s2, s15, s2
	s_cselect_b32 s14, s17, s14
	s_add_co_i32 s15, s2, 1
	s_wait_alu 0xfffe
	s_cmp_ge_u32 s14, s12
	s_cselect_b32 s2, s15, s2
	s_add_co_i32 s8, s8, -1
	s_mul_i32 s12, s2, s12
	s_delay_alu instid0(SALU_CYCLE_1) | instskip(NEXT) | instid1(SALU_CYCLE_1)
	s_sub_co_i32 s12, s16, s12
	s_mul_i32 s12, s13, s12
	s_delay_alu instid0(SALU_CYCLE_1)
	s_add_co_i32 s3, s12, s3
	s_cmp_gt_u32 s8, 2
	s_cbranch_scc1 .LBB224_3
.LBB224_4:
	s_clause 0x2
	s_load_b64 s[6:7], s[0:1], 0x0
	s_load_b32 s8, s[0:1], 0x6c
	s_load_b64 s[12:13], s[0:1], 0x1c0
	s_mov_b32 s0, 0xffff
	v_mul_lo_u32 v20, s10, v0
	s_mov_b32 s15, 0
	s_wait_kmcnt 0x0
	s_mul_i32 s14, s8, s11
	s_bitcmp1_b32 s13, 0
	s_cselect_b32 s11, -1, 0
	s_wait_alu 0xfffe
	s_and_b32 s1, s11, exec_lo
	s_cselect_b32 s8, s0, 0x7fff
	v_cmp_gt_u32_e64 s0, s9, v0
	v_mov_b32_e32 v1, s8
	s_lshl_b64 s[14:15], s[14:15], 1
	s_wait_alu 0xfffe
	s_add_nc_u64 s[14:15], s[6:7], s[14:15]
	s_and_saveexec_b32 s1, s0
	s_cbranch_execz .LBB224_6
; %bb.5:
	v_mov_b32_e32 v21, 0
	s_delay_alu instid0(VALU_DEP_1) | instskip(SKIP_1) | instid1(VALU_DEP_1)
	v_lshlrev_b64_e32 v[1:2], 1, v[20:21]
	s_wait_alu 0xfffe
	v_add_co_u32 v1, vcc_lo, s14, v1
	s_delay_alu instid0(VALU_DEP_1)
	v_add_co_ci_u32_e64 v2, null, s15, v2, vcc_lo
	global_load_u16 v1, v[1:2], off
.LBB224_6:
	s_or_b32 exec_lo, exec_lo, s1
	s_clause 0x1
	s_load_b32 s6, s[4:5], 0x6c
	s_load_b64 s[4:5], s[4:5], 0x0
	v_or_b32_e32 v3, 16, v0
	v_mov_b32_e32 v2, s8
	s_delay_alu instid0(VALU_DEP_2)
	v_cmp_gt_u32_e64 s1, s9, v3
	s_and_saveexec_b32 s7, s1
	s_cbranch_execz .LBB224_8
; %bb.7:
	v_mul_lo_u32 v4, s10, v3
	v_mov_b32_e32 v5, 0
	s_delay_alu instid0(VALU_DEP_1) | instskip(NEXT) | instid1(VALU_DEP_1)
	v_lshlrev_b64_e32 v[4:5], 1, v[4:5]
	v_add_co_u32 v4, vcc_lo, s14, v4
	s_wait_alu 0xfffd
	s_delay_alu instid0(VALU_DEP_2)
	v_add_co_ci_u32_e64 v5, null, s15, v5, vcc_lo
	global_load_u16 v2, v[4:5], off
.LBB224_8:
	s_or_b32 exec_lo, exec_lo, s7
	v_lshlrev_b32_e32 v22, 1, v0
	v_dual_mov_b32 v18, 0 :: v_dual_lshlrev_b32 v21, 2, v0
	s_wait_kmcnt 0x0
	s_mul_i32 s2, s6, s2
	v_mul_lo_u32 v17, s12, v0
	s_wait_loadcnt 0x0
	ds_store_b16 v22, v1
	ds_store_b16 v22, v2 offset:32
	s_wait_dscnt 0x0
	; wave barrier
	global_inv scope:SCOPE_SE
	ds_load_b32 v27, v21
	s_add_co_i32 s2, s2, s3
	s_mov_b32 s3, 0
	v_mov_b32_e32 v1, 0
	v_dual_mov_b32 v2, 0 :: v_dual_mov_b32 v19, v18
	s_lshl_b64 s[2:3], s[2:3], 3
	s_wait_loadcnt_dscnt 0x0
	s_add_nc_u64 s[8:9], s[4:5], s[2:3]
	; wave barrier
	global_inv scope:SCOPE_SE
	s_and_saveexec_b32 s2, s0
	s_cbranch_execz .LBB224_10
; %bb.9:
	v_lshlrev_b64_e32 v[1:2], 3, v[17:18]
	v_mov_b32_e32 v19, v18
	s_wait_alu 0xfffe
	s_delay_alu instid0(VALU_DEP_2) | instskip(SKIP_1) | instid1(VALU_DEP_3)
	v_add_co_u32 v1, vcc_lo, s8, v1
	s_wait_alu 0xfffd
	v_add_co_ci_u32_e64 v2, null, s9, v2, vcc_lo
	global_load_b64 v[1:2], v[1:2], off
.LBB224_10:
	s_or_b32 exec_lo, exec_lo, s2
	s_xor_b32 s16, s11, -1
	s_and_saveexec_b32 s2, s1
	s_cbranch_execz .LBB224_12
; %bb.11:
	v_mul_lo_u32 v3, s12, v3
	v_mov_b32_e32 v4, 0
	s_delay_alu instid0(VALU_DEP_1) | instskip(SKIP_1) | instid1(VALU_DEP_1)
	v_lshlrev_b64_e32 v[3:4], 3, v[3:4]
	s_wait_alu 0xfffe
	v_add_co_u32 v3, vcc_lo, s8, v3
	s_wait_alu 0xfffd
	s_delay_alu instid0(VALU_DEP_2)
	v_add_co_ci_u32_e64 v4, null, s9, v4, vcc_lo
	global_load_b64 v[18:19], v[3:4], off
.LBB224_12:
	s_or_b32 exec_lo, exec_lo, s2
	v_mbcnt_lo_u32_b32 v5, -1, 0
	v_lshlrev_b32_e32 v23, 3, v0
	s_getpc_b64 s[2:3]
	s_sext_i32_i16 s3, s3
	s_add_co_u32 s2, s2, _ZN7rocprim17ROCPRIM_400000_NS16block_radix_sortI6__halfLj16ELj2ElLj1ELj1ELj0ELNS0_26block_radix_rank_algorithmE1ELNS0_18block_padding_hintE2ELNS0_4arch9wavefront6targetE0EE19radix_bits_per_passE@rel32@lo+8
	s_add_co_ci_u32 s3, s3, _ZN7rocprim17ROCPRIM_400000_NS16block_radix_sortI6__halfLj16ELj2ElLj1ELj1ELj0ELNS0_26block_radix_rank_algorithmE1ELNS0_18block_padding_hintE2ELNS0_4arch9wavefront6targetE0EE19radix_bits_per_passE@rel32@hi+16
	v_lshlrev_b32_e32 v25, 5, v0
	s_load_b32 s13, s[2:3], 0x0
	v_sub_co_u32 v7, s11, v5, 1
	v_and_b32_e32 v8, 16, v5
	s_wait_loadcnt 0x0
	ds_store_2addr_b64 v23, v[1:2], v[18:19] offset1:16
	s_wait_dscnt 0x0
	; wave barrier
	global_inv scope:SCOPE_SE
	v_and_b32_e32 v6, 15, v5
	v_cmp_lt_i32_e32 vcc_lo, v7, v8
	v_lshlrev_b32_e32 v24, 3, v22
	v_mad_i32_i24 v19, 0xffffffe4, v0, v25
	v_lshrrev_b32_e32 v28, 16, v27
	v_cmp_gt_u32_e64 s7, 0x80, v0
	s_wait_alu 0xfffd
	v_cndmask_b32_e32 v5, v7, v5, vcc_lo
	ds_load_2addr_b64 v[1:4], v24 offset1:1
	v_cmp_eq_u32_e64 s5, 0, v6
	v_cmp_lt_u32_e64 s3, 1, v6
	v_cmp_lt_u32_e64 s6, 3, v6
	;; [unrolled: 1-line block ×3, first 2 shown]
	v_cmp_eq_u32_e64 s2, 15, v0
	v_lshlrev_b32_e32 v26, 2, v5
	v_mad_u32_u24 v18, v0, 12, v19
	s_and_b32 vcc_lo, exec_lo, s16
	s_mov_b32 s16, -1
	; wave barrier
	s_wait_loadcnt_dscnt 0x0
	global_inv scope:SCOPE_SE
	s_wait_alu 0xfffe
	s_cbranch_vccz .LBB224_58
; %bb.13:
	s_and_saveexec_b32 s16, s7
	s_cbranch_execz .LBB224_22
; %bb.14:
	v_mov_b32_e32 v5, 0
	v_cmp_gt_u32_e32 vcc_lo, 0x70, v0
	ds_store_b32 v21, v5
	s_and_b32 exec_lo, exec_lo, vcc_lo
	s_cbranch_execz .LBB224_22
; %bb.15:
	v_cmp_gt_u32_e32 vcc_lo, 0x60, v0
	ds_store_b32 v21, v5 offset:64
	s_and_b32 exec_lo, exec_lo, vcc_lo
	s_cbranch_execz .LBB224_22
; %bb.16:
	v_mov_b32_e32 v5, 0
	v_cmp_gt_u32_e32 vcc_lo, 0x50, v0
	ds_store_b32 v21, v5 offset:128
	s_and_b32 exec_lo, exec_lo, vcc_lo
	s_cbranch_execz .LBB224_22
; %bb.17:
	v_cmp_gt_u32_e32 vcc_lo, 64, v0
	ds_store_b32 v21, v5 offset:192
	s_and_b32 exec_lo, exec_lo, vcc_lo
	s_cbranch_execz .LBB224_22
; %bb.18:
	v_mov_b32_e32 v5, 0
	v_cmp_gt_u32_e32 vcc_lo, 48, v0
	ds_store_b32 v21, v5 offset:256
	;; [unrolled: 11-line block ×3, first 2 shown]
	s_and_b32 exec_lo, exec_lo, vcc_lo
; %bb.21:
	ds_store_b32 v21, v5 offset:448
.LBB224_22:
	s_or_b32 exec_lo, exec_lo, s16
	v_cmp_lt_i16_e32 vcc_lo, -1, v27
	s_wait_kmcnt 0x0
	s_min_u32 s16, s13, 16
	s_delay_alu instid0(SALU_CYCLE_1) | instskip(NEXT) | instid1(SALU_CYCLE_1)
	s_lshl_b32 s16, -1, s16
	s_not_b32 s16, s16
	s_wait_alu 0xfffd
	v_cndmask_b32_e64 v5, -1, 0xffff8000, vcc_lo
	s_delay_alu instid0(VALU_DEP_1) | instskip(NEXT) | instid1(VALU_DEP_1)
	v_xor_b32_e32 v13, v5, v27
	v_cmp_ne_u16_e32 vcc_lo, 0x7fff, v13
	s_wait_alu 0xfffd
	v_cndmask_b32_e32 v5, 0xffff8000, v13, vcc_lo
	v_cmp_lt_i16_e32 vcc_lo, -1, v28
	s_delay_alu instid0(VALU_DEP_2) | instskip(SKIP_2) | instid1(VALU_DEP_2)
	v_and_b32_e32 v5, 0xffff, v5
	s_wait_alu 0xfffd
	v_cndmask_b32_e64 v7, -1, 0xffff8000, vcc_lo
	v_and_b32_e32 v5, s16, v5
	s_delay_alu instid0(VALU_DEP_2) | instskip(NEXT) | instid1(VALU_DEP_1)
	v_xor_b32_e32 v14, v7, v28
	v_cmp_ne_u16_e32 vcc_lo, 0x7fff, v14
	s_delay_alu instid0(VALU_DEP_3) | instskip(SKIP_1) | instid1(VALU_DEP_2)
	v_lshlrev_b32_e32 v6, 4, v5
	v_lshrrev_b32_e32 v5, 2, v5
	v_and_or_b32 v6, 0x70, v6, v0
	s_delay_alu instid0(VALU_DEP_2) | instskip(NEXT) | instid1(VALU_DEP_1)
	v_and_b32_e32 v5, 0x3ffe, v5
	v_lshl_add_u32 v15, v6, 2, v5
	s_wait_alu 0xfffd
	v_cndmask_b32_e32 v5, 0xffff8000, v14, vcc_lo
	ds_load_u16 v16, v15
	v_and_b32_e32 v5, 0xffff, v5
	s_delay_alu instid0(VALU_DEP_1) | instskip(NEXT) | instid1(VALU_DEP_1)
	v_and_b32_e32 v5, s16, v5
	v_lshlrev_b32_e32 v6, 4, v5
	v_lshrrev_b32_e32 v5, 2, v5
	s_delay_alu instid0(VALU_DEP_2) | instskip(NEXT) | instid1(VALU_DEP_2)
	v_and_or_b32 v6, 0x70, v6, v0
	v_and_b32_e32 v5, 0x3ffe, v5
	s_wait_dscnt 0x0
	v_add_nc_u16 v7, v16, 1
	s_delay_alu instid0(VALU_DEP_2)
	v_lshl_add_u32 v29, v6, 2, v5
	ds_store_b16 v15, v7
	ds_load_u16 v31, v29
	s_wait_dscnt 0x0
	v_add_nc_u16 v5, v31, 1
	ds_store_b16 v29, v5
	; wave barrier
	s_wait_loadcnt_dscnt 0x0
	global_inv scope:SCOPE_SE
	ds_load_b128 v[9:12], v25
	ds_load_b128 v[5:8], v25 offset:16
	s_wait_dscnt 0x1
	v_add_nc_u32_e32 v30, v10, v9
	s_delay_alu instid0(VALU_DEP_1) | instskip(SKIP_1) | instid1(VALU_DEP_1)
	v_add3_u32 v30, v30, v11, v12
	s_wait_dscnt 0x0
	v_add3_u32 v30, v30, v5, v6
	s_delay_alu instid0(VALU_DEP_1) | instskip(NEXT) | instid1(VALU_DEP_1)
	v_add3_u32 v8, v30, v7, v8
	v_mov_b32_dpp v30, v8 row_shr:1 row_mask:0xf bank_mask:0xf
	s_delay_alu instid0(VALU_DEP_1) | instskip(NEXT) | instid1(VALU_DEP_1)
	v_cndmask_b32_e64 v30, v30, 0, s5
	v_add_nc_u32_e32 v8, v30, v8
	s_delay_alu instid0(VALU_DEP_1) | instskip(NEXT) | instid1(VALU_DEP_1)
	v_mov_b32_dpp v30, v8 row_shr:2 row_mask:0xf bank_mask:0xf
	v_cndmask_b32_e64 v30, 0, v30, s3
	s_delay_alu instid0(VALU_DEP_1) | instskip(NEXT) | instid1(VALU_DEP_1)
	v_add_nc_u32_e32 v8, v8, v30
	v_mov_b32_dpp v30, v8 row_shr:4 row_mask:0xf bank_mask:0xf
	s_delay_alu instid0(VALU_DEP_1) | instskip(NEXT) | instid1(VALU_DEP_1)
	v_cndmask_b32_e64 v30, 0, v30, s6
	v_add_nc_u32_e32 v8, v8, v30
	s_delay_alu instid0(VALU_DEP_1) | instskip(NEXT) | instid1(VALU_DEP_1)
	v_mov_b32_dpp v30, v8 row_shr:8 row_mask:0xf bank_mask:0xf
	v_cndmask_b32_e64 v30, 0, v30, s4
	s_delay_alu instid0(VALU_DEP_1)
	v_add_nc_u32_e32 v8, v8, v30
	s_and_saveexec_b32 s16, s2
; %bb.23:
	v_mov_b32_e32 v30, 0
	ds_store_b32 v30, v8 offset:512
; %bb.24:
	s_wait_alu 0xfffe
	s_or_b32 exec_lo, exec_lo, s16
	ds_bpermute_b32 v8, v26, v8
	v_mov_b32_e32 v30, 0
	; wave barrier
	s_wait_loadcnt_dscnt 0x0
	global_inv scope:SCOPE_SE
	ds_load_b32 v32, v30 offset:512
	v_cndmask_b32_e64 v8, v8, 0, s11
	s_wait_dscnt 0x0
	s_delay_alu instid0(VALU_DEP_1) | instskip(NEXT) | instid1(VALU_DEP_1)
	v_lshl_add_u32 v8, v32, 16, v8
	v_add_nc_u32_e32 v9, v8, v9
	s_delay_alu instid0(VALU_DEP_1) | instskip(NEXT) | instid1(VALU_DEP_1)
	v_add_nc_u32_e32 v10, v9, v10
	v_add_nc_u32_e32 v11, v10, v11
	s_delay_alu instid0(VALU_DEP_1) | instskip(NEXT) | instid1(VALU_DEP_1)
	v_add_nc_u32_e32 v32, v11, v12
	v_add_nc_u32_e32 v33, v32, v5
	s_delay_alu instid0(VALU_DEP_1) | instskip(NEXT) | instid1(VALU_DEP_1)
	v_add_nc_u32_e32 v34, v33, v6
	v_add_nc_u32_e32 v35, v34, v7
	v_and_b32_e32 v7, 0xffff, v16
	ds_store_b128 v25, v[8:11]
	ds_store_b128 v25, v[32:35] offset:16
	; wave barrier
	s_wait_loadcnt_dscnt 0x0
	global_inv scope:SCOPE_SE
	ds_load_u16 v5, v15
	ds_load_u16 v6, v29
	v_and_b32_e32 v8, 0xffff, v31
	; wave barrier
	s_wait_loadcnt_dscnt 0x0
	global_inv scope:SCOPE_SE
	v_add_nc_u32_e32 v5, v5, v7
	v_add_nc_u32_e32 v6, v6, v8
	s_delay_alu instid0(VALU_DEP_2) | instskip(NEXT) | instid1(VALU_DEP_2)
	v_lshlrev_b32_e32 v7, 1, v5
	v_lshlrev_b32_e32 v8, 1, v6
	ds_store_b16 v7, v13
	ds_store_b16 v8, v14
	v_mad_u32_u24 v5, v5, 6, v7
	v_mad_u32_u24 v6, v6, 6, v8
	; wave barrier
	s_wait_loadcnt_dscnt 0x0
	global_inv scope:SCOPE_SE
	ds_load_b32 v29, v19
	; wave barrier
	s_wait_loadcnt_dscnt 0x0
	global_inv scope:SCOPE_SE
	ds_store_b64 v5, v[1:2]
	ds_store_b64 v6, v[3:4]
	; wave barrier
	s_wait_loadcnt_dscnt 0x0
	global_inv scope:SCOPE_SE
	ds_load_b128 v[5:8], v18
	; wave barrier
	s_wait_loadcnt_dscnt 0x0
	global_inv scope:SCOPE_SE
	s_and_saveexec_b32 s16, s7
	s_cbranch_execz .LBB224_33
; %bb.25:
	v_cmp_gt_u32_e32 vcc_lo, 0x70, v0
	ds_store_b32 v21, v30
	s_and_b32 exec_lo, exec_lo, vcc_lo
	s_cbranch_execz .LBB224_33
; %bb.26:
	v_mov_b32_e32 v9, 0
	v_cmp_gt_u32_e32 vcc_lo, 0x60, v0
	ds_store_b32 v21, v9 offset:64
	s_and_b32 exec_lo, exec_lo, vcc_lo
	s_cbranch_execz .LBB224_33
; %bb.27:
	v_cmp_gt_u32_e32 vcc_lo, 0x50, v0
	ds_store_b32 v21, v9 offset:128
	s_and_b32 exec_lo, exec_lo, vcc_lo
	s_cbranch_execz .LBB224_33
; %bb.28:
	v_mov_b32_e32 v9, 0
	v_cmp_gt_u32_e32 vcc_lo, 64, v0
	ds_store_b32 v21, v9 offset:192
	s_and_b32 exec_lo, exec_lo, vcc_lo
	s_cbranch_execz .LBB224_33
; %bb.29:
	v_cmp_gt_u32_e32 vcc_lo, 48, v0
	ds_store_b32 v21, v9 offset:256
	;; [unrolled: 11-line block ×3, first 2 shown]
	s_and_b32 exec_lo, exec_lo, vcc_lo
; %bb.32:
	v_mov_b32_e32 v9, 0
	ds_store_b32 v21, v9 offset:448
.LBB224_33:
	s_wait_alu 0xfffe
	s_or_b32 exec_lo, exec_lo, s16
	v_lshrrev_b16 v9, 4, v29
	v_cmp_ne_u16_e32 vcc_lo, 0x7fff, v29
	s_min_u32 s16, s13, 12
	v_lshrrev_b32_e32 v30, 16, v29
	s_wait_alu 0xfffe
	s_lshl_b32 s16, -1, s16
	v_lshrrev_b32_e32 v11, 20, v29
	s_wait_alu 0xfffd
	v_cndmask_b32_e32 v9, 0x800, v9, vcc_lo
	s_wait_alu 0xfffe
	s_not_b32 s16, s16
	v_cmp_ne_u16_e32 vcc_lo, 0x7fff, v30
	s_delay_alu instid0(VALU_DEP_2) | instskip(SKIP_1) | instid1(VALU_DEP_1)
	v_and_b32_e32 v9, 0xffff, v9
	s_wait_alu 0xfffe
	v_and_b32_e32 v9, s16, v9
	s_delay_alu instid0(VALU_DEP_1) | instskip(SKIP_1) | instid1(VALU_DEP_2)
	v_lshlrev_b32_e32 v10, 4, v9
	v_lshrrev_b32_e32 v9, 2, v9
	v_and_or_b32 v10, 0x70, v10, v0
	s_delay_alu instid0(VALU_DEP_2) | instskip(NEXT) | instid1(VALU_DEP_1)
	v_and_b32_e32 v9, 0x3fe, v9
	v_lshl_add_u32 v31, v10, 2, v9
	s_wait_alu 0xfffd
	v_cndmask_b32_e32 v9, 0x800, v11, vcc_lo
	ds_load_u16 v32, v31
	v_and_b32_e32 v9, 0xffff, v9
	s_delay_alu instid0(VALU_DEP_1) | instskip(NEXT) | instid1(VALU_DEP_1)
	v_and_b32_e32 v9, s16, v9
	v_lshlrev_b32_e32 v10, 4, v9
	v_lshrrev_b32_e32 v9, 2, v9
	s_delay_alu instid0(VALU_DEP_2) | instskip(NEXT) | instid1(VALU_DEP_2)
	v_and_or_b32 v10, 0x70, v10, v0
	v_and_b32_e32 v9, 0x3fe, v9
	s_wait_dscnt 0x0
	v_add_nc_u16 v11, v32, 1
	s_delay_alu instid0(VALU_DEP_2)
	v_lshl_add_u32 v33, v10, 2, v9
	ds_store_b16 v31, v11
	ds_load_u16 v34, v33
	s_wait_dscnt 0x0
	v_add_nc_u16 v9, v34, 1
	ds_store_b16 v33, v9
	; wave barrier
	s_wait_loadcnt_dscnt 0x0
	global_inv scope:SCOPE_SE
	ds_load_b128 v[13:16], v25
	ds_load_b128 v[9:12], v25 offset:16
	s_wait_dscnt 0x1
	v_add_nc_u32_e32 v35, v14, v13
	s_delay_alu instid0(VALU_DEP_1) | instskip(SKIP_1) | instid1(VALU_DEP_1)
	v_add3_u32 v35, v35, v15, v16
	s_wait_dscnt 0x0
	v_add3_u32 v35, v35, v9, v10
	s_delay_alu instid0(VALU_DEP_1) | instskip(NEXT) | instid1(VALU_DEP_1)
	v_add3_u32 v12, v35, v11, v12
	v_mov_b32_dpp v35, v12 row_shr:1 row_mask:0xf bank_mask:0xf
	s_delay_alu instid0(VALU_DEP_1) | instskip(NEXT) | instid1(VALU_DEP_1)
	v_cndmask_b32_e64 v35, v35, 0, s5
	v_add_nc_u32_e32 v12, v35, v12
	s_delay_alu instid0(VALU_DEP_1) | instskip(NEXT) | instid1(VALU_DEP_1)
	v_mov_b32_dpp v35, v12 row_shr:2 row_mask:0xf bank_mask:0xf
	v_cndmask_b32_e64 v35, 0, v35, s3
	s_delay_alu instid0(VALU_DEP_1) | instskip(NEXT) | instid1(VALU_DEP_1)
	v_add_nc_u32_e32 v12, v12, v35
	v_mov_b32_dpp v35, v12 row_shr:4 row_mask:0xf bank_mask:0xf
	s_delay_alu instid0(VALU_DEP_1) | instskip(NEXT) | instid1(VALU_DEP_1)
	v_cndmask_b32_e64 v35, 0, v35, s6
	v_add_nc_u32_e32 v12, v12, v35
	s_delay_alu instid0(VALU_DEP_1) | instskip(NEXT) | instid1(VALU_DEP_1)
	v_mov_b32_dpp v35, v12 row_shr:8 row_mask:0xf bank_mask:0xf
	v_cndmask_b32_e64 v35, 0, v35, s4
	s_delay_alu instid0(VALU_DEP_1)
	v_add_nc_u32_e32 v12, v12, v35
	s_and_saveexec_b32 s16, s2
; %bb.34:
	v_mov_b32_e32 v35, 0
	ds_store_b32 v35, v12 offset:512
; %bb.35:
	s_wait_alu 0xfffe
	s_or_b32 exec_lo, exec_lo, s16
	ds_bpermute_b32 v35, v26, v12
	v_mov_b32_e32 v12, 0
	; wave barrier
	s_wait_loadcnt_dscnt 0x0
	global_inv scope:SCOPE_SE
	ds_load_b32 v36, v12 offset:512
	v_cndmask_b32_e64 v35, v35, 0, s11
	s_wait_dscnt 0x0
	s_delay_alu instid0(VALU_DEP_1) | instskip(NEXT) | instid1(VALU_DEP_1)
	v_lshl_add_u32 v35, v36, 16, v35
	v_add_nc_u32_e32 v36, v35, v13
	s_delay_alu instid0(VALU_DEP_1) | instskip(NEXT) | instid1(VALU_DEP_1)
	v_add_nc_u32_e32 v37, v36, v14
	v_add_nc_u32_e32 v38, v37, v15
	s_delay_alu instid0(VALU_DEP_1) | instskip(NEXT) | instid1(VALU_DEP_1)
	v_add_nc_u32_e32 v13, v38, v16
	v_add_nc_u32_e32 v14, v13, v9
	s_delay_alu instid0(VALU_DEP_1) | instskip(NEXT) | instid1(VALU_DEP_1)
	v_add_nc_u32_e32 v15, v14, v10
	v_add_nc_u32_e32 v16, v15, v11
	v_and_b32_e32 v11, 0xffff, v32
	ds_store_b128 v25, v[35:38]
	ds_store_b128 v25, v[13:16] offset:16
	; wave barrier
	s_wait_loadcnt_dscnt 0x0
	global_inv scope:SCOPE_SE
	ds_load_u16 v9, v31
	ds_load_u16 v10, v33
	v_and_b32_e32 v13, 0xffff, v34
	; wave barrier
	s_wait_loadcnt_dscnt 0x0
	global_inv scope:SCOPE_SE
	v_add_nc_u32_e32 v9, v9, v11
	v_add_nc_u32_e32 v10, v10, v13
	s_delay_alu instid0(VALU_DEP_2) | instskip(NEXT) | instid1(VALU_DEP_2)
	v_lshlrev_b32_e32 v11, 1, v9
	v_lshlrev_b32_e32 v13, 1, v10
	ds_store_b16 v11, v29
	ds_store_b16 v13, v30
	v_mad_u32_u24 v9, v9, 6, v11
	v_mad_u32_u24 v10, v10, 6, v13
	; wave barrier
	s_wait_loadcnt_dscnt 0x0
	global_inv scope:SCOPE_SE
	ds_load_b32 v29, v19
	; wave barrier
	s_wait_loadcnt_dscnt 0x0
	global_inv scope:SCOPE_SE
	ds_store_b64 v9, v[5:6]
	ds_store_b64 v10, v[7:8]
	; wave barrier
	s_wait_loadcnt_dscnt 0x0
	global_inv scope:SCOPE_SE
	ds_load_b128 v[5:8], v18
	; wave barrier
	s_wait_loadcnt_dscnt 0x0
	global_inv scope:SCOPE_SE
	s_and_saveexec_b32 s16, s7
	s_cbranch_execz .LBB224_44
; %bb.36:
	v_cmp_gt_u32_e32 vcc_lo, 0x70, v0
	ds_store_b32 v21, v12
	s_and_b32 exec_lo, exec_lo, vcc_lo
	s_cbranch_execz .LBB224_44
; %bb.37:
	v_mov_b32_e32 v9, 0
	v_cmp_gt_u32_e32 vcc_lo, 0x60, v0
	ds_store_b32 v21, v9 offset:64
	s_and_b32 exec_lo, exec_lo, vcc_lo
	s_cbranch_execz .LBB224_44
; %bb.38:
	v_cmp_gt_u32_e32 vcc_lo, 0x50, v0
	ds_store_b32 v21, v9 offset:128
	s_and_b32 exec_lo, exec_lo, vcc_lo
	s_cbranch_execz .LBB224_44
; %bb.39:
	v_mov_b32_e32 v9, 0
	v_cmp_gt_u32_e32 vcc_lo, 64, v0
	ds_store_b32 v21, v9 offset:192
	s_and_b32 exec_lo, exec_lo, vcc_lo
	s_cbranch_execz .LBB224_44
; %bb.40:
	v_cmp_gt_u32_e32 vcc_lo, 48, v0
	ds_store_b32 v21, v9 offset:256
	;; [unrolled: 11-line block ×3, first 2 shown]
	s_and_b32 exec_lo, exec_lo, vcc_lo
; %bb.43:
	v_mov_b32_e32 v9, 0
	ds_store_b32 v21, v9 offset:448
.LBB224_44:
	s_wait_alu 0xfffe
	s_or_b32 exec_lo, exec_lo, s16
	v_lshrrev_b16 v9, 8, v29
	v_cmp_ne_u16_e32 vcc_lo, 0x7fff, v29
	s_min_u32 s16, s13, 8
	v_lshrrev_b32_e32 v30, 16, v29
	s_wait_alu 0xfffe
	s_lshl_b32 s16, -1, s16
	v_lshrrev_b32_e32 v11, 24, v29
	s_wait_alu 0xfffd
	v_cndmask_b32_e32 v9, 0x80, v9, vcc_lo
	s_wait_alu 0xfffe
	s_not_b32 s16, s16
	v_cmp_ne_u16_e32 vcc_lo, 0x7fff, v30
	s_delay_alu instid0(VALU_DEP_2) | instskip(SKIP_1) | instid1(VALU_DEP_1)
	v_and_b32_e32 v9, 0xffff, v9
	s_wait_alu 0xfffe
	v_and_b32_e32 v9, s16, v9
	s_delay_alu instid0(VALU_DEP_1) | instskip(SKIP_1) | instid1(VALU_DEP_2)
	v_lshlrev_b32_e32 v10, 4, v9
	v_lshrrev_b32_e32 v9, 2, v9
	v_and_or_b32 v10, 0x70, v10, v0
	s_delay_alu instid0(VALU_DEP_2) | instskip(NEXT) | instid1(VALU_DEP_1)
	v_and_b32_e32 v9, 62, v9
	v_lshl_add_u32 v31, v10, 2, v9
	s_wait_alu 0xfffd
	v_cndmask_b32_e32 v9, 0x80, v11, vcc_lo
	ds_load_u16 v32, v31
	v_and_b32_e32 v9, 0xffff, v9
	s_delay_alu instid0(VALU_DEP_1) | instskip(NEXT) | instid1(VALU_DEP_1)
	v_and_b32_e32 v9, s16, v9
	v_lshlrev_b32_e32 v10, 4, v9
	v_lshrrev_b32_e32 v9, 2, v9
	s_delay_alu instid0(VALU_DEP_2) | instskip(NEXT) | instid1(VALU_DEP_2)
	v_and_or_b32 v10, 0x70, v10, v0
	v_and_b32_e32 v9, 62, v9
	s_wait_dscnt 0x0
	v_add_nc_u16 v11, v32, 1
	s_delay_alu instid0(VALU_DEP_2)
	v_lshl_add_u32 v33, v10, 2, v9
	ds_store_b16 v31, v11
	ds_load_u16 v34, v33
	s_wait_dscnt 0x0
	v_add_nc_u16 v9, v34, 1
	ds_store_b16 v33, v9
	; wave barrier
	s_wait_loadcnt_dscnt 0x0
	global_inv scope:SCOPE_SE
	ds_load_b128 v[13:16], v25
	ds_load_b128 v[9:12], v25 offset:16
	s_wait_dscnt 0x1
	v_add_nc_u32_e32 v35, v14, v13
	s_delay_alu instid0(VALU_DEP_1) | instskip(SKIP_1) | instid1(VALU_DEP_1)
	v_add3_u32 v35, v35, v15, v16
	s_wait_dscnt 0x0
	v_add3_u32 v35, v35, v9, v10
	s_delay_alu instid0(VALU_DEP_1) | instskip(NEXT) | instid1(VALU_DEP_1)
	v_add3_u32 v12, v35, v11, v12
	v_mov_b32_dpp v35, v12 row_shr:1 row_mask:0xf bank_mask:0xf
	s_delay_alu instid0(VALU_DEP_1) | instskip(NEXT) | instid1(VALU_DEP_1)
	v_cndmask_b32_e64 v35, v35, 0, s5
	v_add_nc_u32_e32 v12, v35, v12
	s_delay_alu instid0(VALU_DEP_1) | instskip(NEXT) | instid1(VALU_DEP_1)
	v_mov_b32_dpp v35, v12 row_shr:2 row_mask:0xf bank_mask:0xf
	v_cndmask_b32_e64 v35, 0, v35, s3
	s_delay_alu instid0(VALU_DEP_1) | instskip(NEXT) | instid1(VALU_DEP_1)
	v_add_nc_u32_e32 v12, v12, v35
	v_mov_b32_dpp v35, v12 row_shr:4 row_mask:0xf bank_mask:0xf
	s_delay_alu instid0(VALU_DEP_1) | instskip(NEXT) | instid1(VALU_DEP_1)
	v_cndmask_b32_e64 v35, 0, v35, s6
	v_add_nc_u32_e32 v12, v12, v35
	s_delay_alu instid0(VALU_DEP_1) | instskip(NEXT) | instid1(VALU_DEP_1)
	v_mov_b32_dpp v35, v12 row_shr:8 row_mask:0xf bank_mask:0xf
	v_cndmask_b32_e64 v35, 0, v35, s4
	s_delay_alu instid0(VALU_DEP_1)
	v_add_nc_u32_e32 v12, v12, v35
	s_and_saveexec_b32 s16, s2
; %bb.45:
	v_mov_b32_e32 v35, 0
	ds_store_b32 v35, v12 offset:512
; %bb.46:
	s_wait_alu 0xfffe
	s_or_b32 exec_lo, exec_lo, s16
	ds_bpermute_b32 v35, v26, v12
	v_mov_b32_e32 v12, 0
	; wave barrier
	s_wait_loadcnt_dscnt 0x0
	global_inv scope:SCOPE_SE
	ds_load_b32 v36, v12 offset:512
	v_cndmask_b32_e64 v35, v35, 0, s11
	s_wait_dscnt 0x0
	s_delay_alu instid0(VALU_DEP_1) | instskip(NEXT) | instid1(VALU_DEP_1)
	v_lshl_add_u32 v35, v36, 16, v35
	v_add_nc_u32_e32 v36, v35, v13
	s_delay_alu instid0(VALU_DEP_1) | instskip(NEXT) | instid1(VALU_DEP_1)
	v_add_nc_u32_e32 v37, v36, v14
	v_add_nc_u32_e32 v38, v37, v15
	s_delay_alu instid0(VALU_DEP_1) | instskip(NEXT) | instid1(VALU_DEP_1)
	v_add_nc_u32_e32 v13, v38, v16
	;; [unrolled: 3-line block ×3, first 2 shown]
	v_add_nc_u32_e32 v16, v15, v11
	v_and_b32_e32 v11, 0xffff, v32
	ds_store_b128 v25, v[35:38]
	ds_store_b128 v25, v[13:16] offset:16
	; wave barrier
	s_wait_loadcnt_dscnt 0x0
	global_inv scope:SCOPE_SE
	ds_load_u16 v9, v31
	ds_load_u16 v10, v33
	v_and_b32_e32 v13, 0xffff, v34
	; wave barrier
	s_wait_loadcnt_dscnt 0x0
	global_inv scope:SCOPE_SE
	v_add_nc_u32_e32 v9, v9, v11
	v_add_nc_u32_e32 v10, v10, v13
	s_delay_alu instid0(VALU_DEP_2) | instskip(NEXT) | instid1(VALU_DEP_2)
	v_lshlrev_b32_e32 v11, 1, v9
	v_lshlrev_b32_e32 v13, 1, v10
	ds_store_b16 v11, v29
	ds_store_b16 v13, v30
	v_mad_u32_u24 v9, v9, 6, v11
	v_mad_u32_u24 v10, v10, 6, v13
	; wave barrier
	s_wait_loadcnt_dscnt 0x0
	global_inv scope:SCOPE_SE
	ds_load_b32 v29, v19
	; wave barrier
	s_wait_loadcnt_dscnt 0x0
	global_inv scope:SCOPE_SE
	ds_store_b64 v9, v[5:6]
	ds_store_b64 v10, v[7:8]
	; wave barrier
	s_wait_loadcnt_dscnt 0x0
	global_inv scope:SCOPE_SE
	ds_load_b128 v[5:8], v18
	; wave barrier
	s_wait_loadcnt_dscnt 0x0
	global_inv scope:SCOPE_SE
	s_and_saveexec_b32 s16, s7
	s_cbranch_execz .LBB224_55
; %bb.47:
	v_cmp_gt_u32_e32 vcc_lo, 0x70, v0
	ds_store_b32 v21, v12
	s_and_b32 exec_lo, exec_lo, vcc_lo
	s_cbranch_execz .LBB224_55
; %bb.48:
	v_mov_b32_e32 v9, 0
	v_cmp_gt_u32_e32 vcc_lo, 0x60, v0
	ds_store_b32 v21, v9 offset:64
	s_and_b32 exec_lo, exec_lo, vcc_lo
	s_cbranch_execz .LBB224_55
; %bb.49:
	v_cmp_gt_u32_e32 vcc_lo, 0x50, v0
	ds_store_b32 v21, v9 offset:128
	s_and_b32 exec_lo, exec_lo, vcc_lo
	s_cbranch_execz .LBB224_55
; %bb.50:
	v_mov_b32_e32 v9, 0
	v_cmp_gt_u32_e32 vcc_lo, 64, v0
	ds_store_b32 v21, v9 offset:192
	s_and_b32 exec_lo, exec_lo, vcc_lo
	s_cbranch_execz .LBB224_55
; %bb.51:
	v_cmp_gt_u32_e32 vcc_lo, 48, v0
	ds_store_b32 v21, v9 offset:256
	;; [unrolled: 11-line block ×3, first 2 shown]
	s_and_b32 exec_lo, exec_lo, vcc_lo
; %bb.54:
	v_mov_b32_e32 v9, 0
	ds_store_b32 v21, v9 offset:448
.LBB224_55:
	s_wait_alu 0xfffe
	s_or_b32 exec_lo, exec_lo, s16
	v_lshrrev_b16 v9, 12, v29
	v_cmp_ne_u16_e32 vcc_lo, 0x7fff, v29
	s_min_u32 s16, s13, 4
	v_lshrrev_b32_e32 v30, 16, v29
	s_wait_alu 0xfffe
	s_lshl_b32 s16, -1, s16
	v_lshrrev_b32_e32 v11, 28, v29
	s_wait_alu 0xfffd
	v_cndmask_b32_e32 v9, 8, v9, vcc_lo
	s_wait_alu 0xfffe
	s_not_b32 s16, s16
	v_cmp_ne_u16_e32 vcc_lo, 0x7fff, v30
	s_delay_alu instid0(VALU_DEP_2) | instskip(SKIP_1) | instid1(VALU_DEP_1)
	v_and_b32_e32 v9, 0xffff, v9
	s_wait_alu 0xfffe
	v_and_b32_e32 v9, s16, v9
	s_delay_alu instid0(VALU_DEP_1) | instskip(SKIP_1) | instid1(VALU_DEP_2)
	v_lshlrev_b32_e32 v10, 4, v9
	v_lshrrev_b32_e32 v9, 2, v9
	v_and_or_b32 v10, 0x70, v10, v0
	s_delay_alu instid0(VALU_DEP_2) | instskip(NEXT) | instid1(VALU_DEP_1)
	v_and_b32_e32 v9, 2, v9
	v_lshl_or_b32 v31, v10, 2, v9
	s_wait_alu 0xfffd
	v_cndmask_b32_e32 v9, 8, v11, vcc_lo
	ds_load_u16 v32, v31
	v_and_b32_e32 v9, 0xffff, v9
	s_delay_alu instid0(VALU_DEP_1) | instskip(SKIP_1) | instid1(VALU_DEP_1)
	v_and_b32_e32 v9, s16, v9
	s_mov_b32 s16, 0
	v_lshlrev_b32_e32 v10, 4, v9
	v_lshrrev_b32_e32 v9, 2, v9
	s_delay_alu instid0(VALU_DEP_2) | instskip(NEXT) | instid1(VALU_DEP_2)
	v_and_or_b32 v10, 0x70, v10, v0
	v_and_b32_e32 v9, 2, v9
	s_wait_dscnt 0x0
	v_add_nc_u16 v11, v32, 1
	s_delay_alu instid0(VALU_DEP_2)
	v_lshl_or_b32 v33, v10, 2, v9
	ds_store_b16 v31, v11
	ds_load_u16 v34, v33
	s_wait_dscnt 0x0
	v_add_nc_u16 v9, v34, 1
	ds_store_b16 v33, v9
	; wave barrier
	s_wait_loadcnt_dscnt 0x0
	global_inv scope:SCOPE_SE
	ds_load_b128 v[13:16], v25
	ds_load_b128 v[9:12], v25 offset:16
	s_wait_dscnt 0x1
	v_add_nc_u32_e32 v35, v14, v13
	s_delay_alu instid0(VALU_DEP_1) | instskip(SKIP_1) | instid1(VALU_DEP_1)
	v_add3_u32 v35, v35, v15, v16
	s_wait_dscnt 0x0
	v_add3_u32 v35, v35, v9, v10
	s_delay_alu instid0(VALU_DEP_1) | instskip(NEXT) | instid1(VALU_DEP_1)
	v_add3_u32 v12, v35, v11, v12
	v_mov_b32_dpp v35, v12 row_shr:1 row_mask:0xf bank_mask:0xf
	s_delay_alu instid0(VALU_DEP_1) | instskip(NEXT) | instid1(VALU_DEP_1)
	v_cndmask_b32_e64 v35, v35, 0, s5
	v_add_nc_u32_e32 v12, v35, v12
	s_delay_alu instid0(VALU_DEP_1) | instskip(NEXT) | instid1(VALU_DEP_1)
	v_mov_b32_dpp v35, v12 row_shr:2 row_mask:0xf bank_mask:0xf
	v_cndmask_b32_e64 v35, 0, v35, s3
	s_delay_alu instid0(VALU_DEP_1) | instskip(NEXT) | instid1(VALU_DEP_1)
	v_add_nc_u32_e32 v12, v12, v35
	v_mov_b32_dpp v35, v12 row_shr:4 row_mask:0xf bank_mask:0xf
	s_delay_alu instid0(VALU_DEP_1) | instskip(NEXT) | instid1(VALU_DEP_1)
	v_cndmask_b32_e64 v35, 0, v35, s6
	v_add_nc_u32_e32 v12, v12, v35
	s_delay_alu instid0(VALU_DEP_1) | instskip(NEXT) | instid1(VALU_DEP_1)
	v_mov_b32_dpp v35, v12 row_shr:8 row_mask:0xf bank_mask:0xf
	v_cndmask_b32_e64 v35, 0, v35, s4
	s_delay_alu instid0(VALU_DEP_1)
	v_add_nc_u32_e32 v12, v12, v35
	s_and_saveexec_b32 s17, s2
; %bb.56:
	v_mov_b32_e32 v35, 0
	ds_store_b32 v35, v12 offset:512
; %bb.57:
	s_wait_alu 0xfffe
	s_or_b32 exec_lo, exec_lo, s17
	ds_bpermute_b32 v12, v26, v12
	v_mov_b32_e32 v35, 0
	; wave barrier
	s_wait_loadcnt_dscnt 0x0
	global_inv scope:SCOPE_SE
	ds_load_b32 v35, v35 offset:512
	v_cndmask_b32_e64 v12, v12, 0, s11
	s_wait_dscnt 0x0
	s_delay_alu instid0(VALU_DEP_1) | instskip(NEXT) | instid1(VALU_DEP_1)
	v_lshl_add_u32 v12, v35, 16, v12
	v_add_nc_u32_e32 v13, v12, v13
	s_delay_alu instid0(VALU_DEP_1) | instskip(NEXT) | instid1(VALU_DEP_1)
	v_add_nc_u32_e32 v14, v13, v14
	v_add_nc_u32_e32 v15, v14, v15
	s_delay_alu instid0(VALU_DEP_1) | instskip(NEXT) | instid1(VALU_DEP_1)
	v_add_nc_u32_e32 v35, v15, v16
	;; [unrolled: 3-line block ×3, first 2 shown]
	v_add_nc_u32_e32 v38, v37, v11
	v_and_b32_e32 v11, 0xffff, v32
	ds_store_b128 v25, v[12:15]
	ds_store_b128 v25, v[35:38] offset:16
	; wave barrier
	s_wait_loadcnt_dscnt 0x0
	global_inv scope:SCOPE_SE
	ds_load_u16 v9, v31
	ds_load_u16 v10, v33
	v_and_b32_e32 v12, 0xffff, v34
	; wave barrier
	s_wait_loadcnt_dscnt 0x0
	global_inv scope:SCOPE_SE
	v_add_nc_u32_e32 v9, v9, v11
	v_add_nc_u32_e32 v10, v10, v12
	s_delay_alu instid0(VALU_DEP_2) | instskip(NEXT) | instid1(VALU_DEP_2)
	v_lshlrev_b32_e32 v11, 1, v9
	v_lshlrev_b32_e32 v12, 1, v10
	ds_store_b16 v11, v29
	ds_store_b16 v12, v30
	; wave barrier
	s_wait_loadcnt_dscnt 0x0
	global_inv scope:SCOPE_SE
	ds_load_b32 v13, v19
	v_mad_u32_u24 v9, v9, 6, v11
	v_mad_u32_u24 v10, v10, 6, v12
	; wave barrier
	s_wait_loadcnt_dscnt 0x0
	global_inv scope:SCOPE_SE
	ds_store_b64 v9, v[5:6]
	ds_store_b64 v10, v[7:8]
	; wave barrier
	s_wait_loadcnt_dscnt 0x0
	global_inv scope:SCOPE_SE
	ds_load_b128 v[5:8], v18
	v_lshrrev_b32_e32 v9, 16, v13
	v_cmp_lt_i16_e32 vcc_lo, -1, v13
	s_wait_alu 0xfffd
	v_cndmask_b32_e64 v10, 0xffff8000, -1, vcc_lo
	s_delay_alu instid0(VALU_DEP_3) | instskip(SKIP_2) | instid1(VALU_DEP_1)
	v_cmp_lt_i16_e32 vcc_lo, -1, v9
	s_wait_alu 0xfffd
	v_cndmask_b32_e64 v9, 0xffff8000, -1, vcc_lo
	v_perm_b32 v9, v9, v10, 0x5040100
	s_delay_alu instid0(VALU_DEP_1)
	v_xor_b32_e32 v9, v9, v13
	s_and_b32 vcc_lo, exec_lo, s16
	s_wait_alu 0xfffe
	s_cbranch_vccnz .LBB224_59
	s_branch .LBB224_104
.LBB224_58:
                                        ; implicit-def: $vgpr7_vgpr8
                                        ; implicit-def: $vgpr9
	s_and_b32 vcc_lo, exec_lo, s16
	s_wait_alu 0xfffe
	s_cbranch_vccz .LBB224_104
.LBB224_59:
	s_and_saveexec_b32 s16, s7
	s_cbranch_execz .LBB224_68
; %bb.60:
	s_wait_dscnt 0x0
	v_mad_i32_i24 v5, v0, -12, v18
	v_mov_b32_e32 v6, 0
	v_cmp_gt_u32_e32 vcc_lo, 0x70, v0
	ds_store_b32 v5, v6
	s_and_b32 exec_lo, exec_lo, vcc_lo
	s_cbranch_execz .LBB224_68
; %bb.61:
	v_mul_i32_i24_e32 v5, -12, v0
	v_cmp_gt_u32_e32 vcc_lo, 0x60, v0
	s_delay_alu instid0(VALU_DEP_2)
	v_add_nc_u32_e32 v5, v18, v5
	ds_store_b32 v5, v6 offset:64
	s_and_b32 exec_lo, exec_lo, vcc_lo
	s_cbranch_execz .LBB224_68
; %bb.62:
	v_mov_b32_e32 v6, 0
	v_cmp_gt_u32_e32 vcc_lo, 0x50, v0
	ds_store_b32 v5, v6 offset:128
	s_and_b32 exec_lo, exec_lo, vcc_lo
	s_cbranch_execz .LBB224_68
; %bb.63:
	v_cmp_gt_u32_e32 vcc_lo, 64, v0
	ds_store_b32 v5, v6 offset:192
	s_and_b32 exec_lo, exec_lo, vcc_lo
	s_cbranch_execz .LBB224_68
; %bb.64:
	v_mov_b32_e32 v6, 0
	v_cmp_gt_u32_e32 vcc_lo, 48, v0
	ds_store_b32 v5, v6 offset:256
	s_and_b32 exec_lo, exec_lo, vcc_lo
	s_cbranch_execz .LBB224_68
; %bb.65:
	v_cmp_gt_u32_e32 vcc_lo, 32, v0
	ds_store_b32 v5, v6 offset:320
	s_and_b32 exec_lo, exec_lo, vcc_lo
	s_cbranch_execz .LBB224_68
; %bb.66:
	v_mov_b32_e32 v6, 0
	v_cmp_gt_u32_e32 vcc_lo, 16, v0
	ds_store_b32 v5, v6 offset:384
	s_and_b32 exec_lo, exec_lo, vcc_lo
; %bb.67:
	ds_store_b32 v5, v6 offset:448
.LBB224_68:
	s_wait_alu 0xfffe
	s_or_b32 exec_lo, exec_lo, s16
	v_cmp_gt_i16_e32 vcc_lo, 0, v27
	s_wait_kmcnt 0x0
	s_min_u32 s16, s13, 16
	s_wait_alu 0xfffe
	s_lshl_b32 s16, -1, s16
	s_wait_alu 0xfffe
	s_not_b32 s16, s16
	s_wait_dscnt 0x0
	s_wait_alu 0xfffd
	v_cndmask_b32_e64 v5, 0x7fff, 0, vcc_lo
	s_delay_alu instid0(VALU_DEP_1) | instskip(NEXT) | instid1(VALU_DEP_1)
	v_xor_b32_e32 v13, v5, v27
	v_cmp_ne_u16_e32 vcc_lo, 0x8000, v13
	s_wait_alu 0xfffd
	v_cndmask_b32_e32 v5, 0x7fff, v13, vcc_lo
	v_cmp_gt_i16_e32 vcc_lo, 0, v28
	s_delay_alu instid0(VALU_DEP_2) | instskip(SKIP_3) | instid1(VALU_DEP_2)
	v_and_b32_e32 v5, 0xffff, v5
	s_wait_alu 0xfffd
	v_cndmask_b32_e64 v7, 0x7fff, 0, vcc_lo
	s_wait_alu 0xfffe
	v_and_b32_e32 v5, s16, v5
	s_delay_alu instid0(VALU_DEP_2) | instskip(NEXT) | instid1(VALU_DEP_1)
	v_xor_b32_e32 v14, v7, v28
	v_cmp_ne_u16_e32 vcc_lo, 0x8000, v14
	s_delay_alu instid0(VALU_DEP_3) | instskip(SKIP_1) | instid1(VALU_DEP_2)
	v_lshlrev_b32_e32 v6, 4, v5
	v_lshrrev_b32_e32 v5, 2, v5
	v_and_or_b32 v6, 0x70, v6, v0
	s_delay_alu instid0(VALU_DEP_2) | instskip(NEXT) | instid1(VALU_DEP_1)
	v_and_b32_e32 v5, 0x3ffe, v5
	v_lshl_add_u32 v15, v6, 2, v5
	s_wait_alu 0xfffd
	v_cndmask_b32_e32 v5, 0x7fff, v14, vcc_lo
	ds_load_u16 v16, v15
	v_and_b32_e32 v5, 0xffff, v5
	s_delay_alu instid0(VALU_DEP_1) | instskip(NEXT) | instid1(VALU_DEP_1)
	v_and_b32_e32 v5, s16, v5
	v_lshlrev_b32_e32 v6, 4, v5
	v_lshrrev_b32_e32 v5, 2, v5
	s_delay_alu instid0(VALU_DEP_2) | instskip(NEXT) | instid1(VALU_DEP_2)
	v_and_or_b32 v6, 0x70, v6, v0
	v_and_b32_e32 v5, 0x3ffe, v5
	s_wait_dscnt 0x0
	v_add_nc_u16 v7, v16, 1
	s_delay_alu instid0(VALU_DEP_2)
	v_lshl_add_u32 v27, v6, 2, v5
	ds_store_b16 v15, v7
	ds_load_u16 v28, v27
	s_wait_dscnt 0x0
	v_add_nc_u16 v5, v28, 1
	ds_store_b16 v27, v5
	; wave barrier
	s_wait_loadcnt_dscnt 0x0
	global_inv scope:SCOPE_SE
	ds_load_b128 v[9:12], v25
	ds_load_b128 v[5:8], v25 offset:16
	s_wait_dscnt 0x1
	v_add_nc_u32_e32 v29, v10, v9
	s_delay_alu instid0(VALU_DEP_1) | instskip(SKIP_1) | instid1(VALU_DEP_1)
	v_add3_u32 v29, v29, v11, v12
	s_wait_dscnt 0x0
	v_add3_u32 v29, v29, v5, v6
	s_delay_alu instid0(VALU_DEP_1) | instskip(NEXT) | instid1(VALU_DEP_1)
	v_add3_u32 v8, v29, v7, v8
	v_mov_b32_dpp v29, v8 row_shr:1 row_mask:0xf bank_mask:0xf
	s_delay_alu instid0(VALU_DEP_1) | instskip(NEXT) | instid1(VALU_DEP_1)
	v_cndmask_b32_e64 v29, v29, 0, s5
	v_add_nc_u32_e32 v8, v29, v8
	s_delay_alu instid0(VALU_DEP_1) | instskip(NEXT) | instid1(VALU_DEP_1)
	v_mov_b32_dpp v29, v8 row_shr:2 row_mask:0xf bank_mask:0xf
	v_cndmask_b32_e64 v29, 0, v29, s3
	s_delay_alu instid0(VALU_DEP_1) | instskip(NEXT) | instid1(VALU_DEP_1)
	v_add_nc_u32_e32 v8, v8, v29
	v_mov_b32_dpp v29, v8 row_shr:4 row_mask:0xf bank_mask:0xf
	s_delay_alu instid0(VALU_DEP_1) | instskip(NEXT) | instid1(VALU_DEP_1)
	v_cndmask_b32_e64 v29, 0, v29, s6
	v_add_nc_u32_e32 v8, v8, v29
	s_delay_alu instid0(VALU_DEP_1) | instskip(NEXT) | instid1(VALU_DEP_1)
	v_mov_b32_dpp v29, v8 row_shr:8 row_mask:0xf bank_mask:0xf
	v_cndmask_b32_e64 v29, 0, v29, s4
	s_delay_alu instid0(VALU_DEP_1)
	v_add_nc_u32_e32 v8, v8, v29
	s_and_saveexec_b32 s16, s2
; %bb.69:
	v_mov_b32_e32 v29, 0
	ds_store_b32 v29, v8 offset:512
; %bb.70:
	s_wait_alu 0xfffe
	s_or_b32 exec_lo, exec_lo, s16
	ds_bpermute_b32 v29, v26, v8
	v_mov_b32_e32 v8, 0
	; wave barrier
	s_wait_loadcnt_dscnt 0x0
	global_inv scope:SCOPE_SE
	ds_load_b32 v30, v8 offset:512
	v_cndmask_b32_e64 v29, v29, 0, s11
	s_wait_dscnt 0x0
	s_delay_alu instid0(VALU_DEP_1) | instskip(NEXT) | instid1(VALU_DEP_1)
	v_lshl_add_u32 v29, v30, 16, v29
	v_add_nc_u32_e32 v30, v29, v9
	s_delay_alu instid0(VALU_DEP_1) | instskip(NEXT) | instid1(VALU_DEP_1)
	v_add_nc_u32_e32 v31, v30, v10
	v_add_nc_u32_e32 v32, v31, v11
	s_delay_alu instid0(VALU_DEP_1) | instskip(NEXT) | instid1(VALU_DEP_1)
	v_add_nc_u32_e32 v9, v32, v12
	v_add_nc_u32_e32 v10, v9, v5
	s_delay_alu instid0(VALU_DEP_1) | instskip(NEXT) | instid1(VALU_DEP_1)
	v_add_nc_u32_e32 v11, v10, v6
	v_add_nc_u32_e32 v12, v11, v7
	v_and_b32_e32 v7, 0xffff, v16
	ds_store_b128 v25, v[29:32]
	ds_store_b128 v25, v[9:12] offset:16
	; wave barrier
	s_wait_loadcnt_dscnt 0x0
	global_inv scope:SCOPE_SE
	ds_load_u16 v5, v15
	ds_load_u16 v6, v27
	v_and_b32_e32 v9, 0xffff, v28
	; wave barrier
	s_wait_loadcnt_dscnt 0x0
	global_inv scope:SCOPE_SE
	v_add_nc_u32_e32 v5, v5, v7
	v_add_nc_u32_e32 v6, v6, v9
	s_delay_alu instid0(VALU_DEP_2) | instskip(NEXT) | instid1(VALU_DEP_2)
	v_lshlrev_b32_e32 v7, 1, v5
	v_lshlrev_b32_e32 v9, 1, v6
	ds_store_b16 v7, v13
	ds_store_b16 v9, v14
	v_mad_u32_u24 v5, v5, 6, v7
	v_mad_u32_u24 v6, v6, 6, v9
	; wave barrier
	s_wait_loadcnt_dscnt 0x0
	global_inv scope:SCOPE_SE
	ds_load_b32 v13, v19
	; wave barrier
	s_wait_loadcnt_dscnt 0x0
	global_inv scope:SCOPE_SE
	ds_store_b64 v5, v[1:2]
	ds_store_b64 v6, v[3:4]
	; wave barrier
	s_wait_loadcnt_dscnt 0x0
	global_inv scope:SCOPE_SE
	ds_load_b128 v[1:4], v18
	; wave barrier
	s_wait_loadcnt_dscnt 0x0
	global_inv scope:SCOPE_SE
	s_and_saveexec_b32 s16, s7
	s_cbranch_execz .LBB224_79
; %bb.71:
	v_cmp_gt_u32_e32 vcc_lo, 0x70, v0
	ds_store_b32 v21, v8
	s_and_b32 exec_lo, exec_lo, vcc_lo
	s_cbranch_execz .LBB224_79
; %bb.72:
	v_mov_b32_e32 v5, 0
	v_cmp_gt_u32_e32 vcc_lo, 0x60, v0
	ds_store_b32 v21, v5 offset:64
	s_and_b32 exec_lo, exec_lo, vcc_lo
	s_cbranch_execz .LBB224_79
; %bb.73:
	v_cmp_gt_u32_e32 vcc_lo, 0x50, v0
	ds_store_b32 v21, v5 offset:128
	s_and_b32 exec_lo, exec_lo, vcc_lo
	s_cbranch_execz .LBB224_79
; %bb.74:
	v_mov_b32_e32 v5, 0
	v_cmp_gt_u32_e32 vcc_lo, 64, v0
	ds_store_b32 v21, v5 offset:192
	s_and_b32 exec_lo, exec_lo, vcc_lo
	s_cbranch_execz .LBB224_79
; %bb.75:
	v_cmp_gt_u32_e32 vcc_lo, 48, v0
	ds_store_b32 v21, v5 offset:256
	;; [unrolled: 11-line block ×3, first 2 shown]
	s_and_b32 exec_lo, exec_lo, vcc_lo
; %bb.78:
	v_mov_b32_e32 v5, 0
	ds_store_b32 v21, v5 offset:448
.LBB224_79:
	s_wait_alu 0xfffe
	s_or_b32 exec_lo, exec_lo, s16
	v_lshrrev_b16 v5, 4, v13
	v_cmp_ne_u16_e32 vcc_lo, 0x8000, v13
	s_min_u32 s16, s13, 12
	v_lshrrev_b32_e32 v14, 16, v13
	s_wait_alu 0xfffe
	s_lshl_b32 s16, -1, s16
	v_lshrrev_b32_e32 v7, 20, v13
	s_wait_alu 0xfffd
	v_cndmask_b32_e32 v5, 0x7ff, v5, vcc_lo
	s_wait_alu 0xfffe
	s_not_b32 s16, s16
	v_cmp_ne_u16_e32 vcc_lo, 0x8000, v14
	s_delay_alu instid0(VALU_DEP_2) | instskip(SKIP_1) | instid1(VALU_DEP_1)
	v_and_b32_e32 v5, 0xffff, v5
	s_wait_alu 0xfffe
	v_and_b32_e32 v5, s16, v5
	s_delay_alu instid0(VALU_DEP_1) | instskip(SKIP_1) | instid1(VALU_DEP_2)
	v_lshlrev_b32_e32 v6, 4, v5
	v_lshrrev_b32_e32 v5, 2, v5
	v_and_or_b32 v6, 0x70, v6, v0
	s_delay_alu instid0(VALU_DEP_2) | instskip(NEXT) | instid1(VALU_DEP_1)
	v_and_b32_e32 v5, 0x3fe, v5
	v_lshl_add_u32 v15, v6, 2, v5
	s_wait_alu 0xfffd
	v_cndmask_b32_e32 v5, 0x7ff, v7, vcc_lo
	ds_load_u16 v16, v15
	v_and_b32_e32 v5, 0xffff, v5
	s_delay_alu instid0(VALU_DEP_1) | instskip(NEXT) | instid1(VALU_DEP_1)
	v_and_b32_e32 v5, s16, v5
	v_lshlrev_b32_e32 v6, 4, v5
	v_lshrrev_b32_e32 v5, 2, v5
	s_delay_alu instid0(VALU_DEP_2) | instskip(NEXT) | instid1(VALU_DEP_2)
	v_and_or_b32 v6, 0x70, v6, v0
	v_and_b32_e32 v5, 0x3fe, v5
	s_wait_dscnt 0x0
	v_add_nc_u16 v7, v16, 1
	s_delay_alu instid0(VALU_DEP_2)
	v_lshl_add_u32 v27, v6, 2, v5
	ds_store_b16 v15, v7
	ds_load_u16 v28, v27
	s_wait_dscnt 0x0
	v_add_nc_u16 v5, v28, 1
	ds_store_b16 v27, v5
	; wave barrier
	s_wait_loadcnt_dscnt 0x0
	global_inv scope:SCOPE_SE
	ds_load_b128 v[9:12], v25
	ds_load_b128 v[5:8], v25 offset:16
	s_wait_dscnt 0x1
	v_add_nc_u32_e32 v29, v10, v9
	s_delay_alu instid0(VALU_DEP_1) | instskip(SKIP_1) | instid1(VALU_DEP_1)
	v_add3_u32 v29, v29, v11, v12
	s_wait_dscnt 0x0
	v_add3_u32 v29, v29, v5, v6
	s_delay_alu instid0(VALU_DEP_1) | instskip(NEXT) | instid1(VALU_DEP_1)
	v_add3_u32 v8, v29, v7, v8
	v_mov_b32_dpp v29, v8 row_shr:1 row_mask:0xf bank_mask:0xf
	s_delay_alu instid0(VALU_DEP_1) | instskip(NEXT) | instid1(VALU_DEP_1)
	v_cndmask_b32_e64 v29, v29, 0, s5
	v_add_nc_u32_e32 v8, v29, v8
	s_delay_alu instid0(VALU_DEP_1) | instskip(NEXT) | instid1(VALU_DEP_1)
	v_mov_b32_dpp v29, v8 row_shr:2 row_mask:0xf bank_mask:0xf
	v_cndmask_b32_e64 v29, 0, v29, s3
	s_delay_alu instid0(VALU_DEP_1) | instskip(NEXT) | instid1(VALU_DEP_1)
	v_add_nc_u32_e32 v8, v8, v29
	v_mov_b32_dpp v29, v8 row_shr:4 row_mask:0xf bank_mask:0xf
	s_delay_alu instid0(VALU_DEP_1) | instskip(NEXT) | instid1(VALU_DEP_1)
	v_cndmask_b32_e64 v29, 0, v29, s6
	v_add_nc_u32_e32 v8, v8, v29
	s_delay_alu instid0(VALU_DEP_1) | instskip(NEXT) | instid1(VALU_DEP_1)
	v_mov_b32_dpp v29, v8 row_shr:8 row_mask:0xf bank_mask:0xf
	v_cndmask_b32_e64 v29, 0, v29, s4
	s_delay_alu instid0(VALU_DEP_1)
	v_add_nc_u32_e32 v8, v8, v29
	s_and_saveexec_b32 s16, s2
; %bb.80:
	v_mov_b32_e32 v29, 0
	ds_store_b32 v29, v8 offset:512
; %bb.81:
	s_wait_alu 0xfffe
	s_or_b32 exec_lo, exec_lo, s16
	ds_bpermute_b32 v29, v26, v8
	v_mov_b32_e32 v8, 0
	; wave barrier
	s_wait_loadcnt_dscnt 0x0
	global_inv scope:SCOPE_SE
	ds_load_b32 v30, v8 offset:512
	v_cndmask_b32_e64 v29, v29, 0, s11
	s_wait_dscnt 0x0
	s_delay_alu instid0(VALU_DEP_1) | instskip(NEXT) | instid1(VALU_DEP_1)
	v_lshl_add_u32 v29, v30, 16, v29
	v_add_nc_u32_e32 v30, v29, v9
	s_delay_alu instid0(VALU_DEP_1) | instskip(NEXT) | instid1(VALU_DEP_1)
	v_add_nc_u32_e32 v31, v30, v10
	v_add_nc_u32_e32 v32, v31, v11
	s_delay_alu instid0(VALU_DEP_1) | instskip(NEXT) | instid1(VALU_DEP_1)
	v_add_nc_u32_e32 v9, v32, v12
	v_add_nc_u32_e32 v10, v9, v5
	s_delay_alu instid0(VALU_DEP_1) | instskip(NEXT) | instid1(VALU_DEP_1)
	v_add_nc_u32_e32 v11, v10, v6
	v_add_nc_u32_e32 v12, v11, v7
	v_and_b32_e32 v7, 0xffff, v16
	ds_store_b128 v25, v[29:32]
	ds_store_b128 v25, v[9:12] offset:16
	; wave barrier
	s_wait_loadcnt_dscnt 0x0
	global_inv scope:SCOPE_SE
	ds_load_u16 v5, v15
	ds_load_u16 v6, v27
	v_and_b32_e32 v9, 0xffff, v28
	; wave barrier
	s_wait_loadcnt_dscnt 0x0
	global_inv scope:SCOPE_SE
	v_add_nc_u32_e32 v5, v5, v7
	v_add_nc_u32_e32 v6, v6, v9
	s_delay_alu instid0(VALU_DEP_2) | instskip(NEXT) | instid1(VALU_DEP_2)
	v_lshlrev_b32_e32 v7, 1, v5
	v_lshlrev_b32_e32 v9, 1, v6
	ds_store_b16 v7, v13
	ds_store_b16 v9, v14
	v_mad_u32_u24 v5, v5, 6, v7
	v_mad_u32_u24 v6, v6, 6, v9
	; wave barrier
	s_wait_loadcnt_dscnt 0x0
	global_inv scope:SCOPE_SE
	ds_load_b32 v13, v19
	; wave barrier
	s_wait_loadcnt_dscnt 0x0
	global_inv scope:SCOPE_SE
	ds_store_b64 v5, v[1:2]
	ds_store_b64 v6, v[3:4]
	; wave barrier
	s_wait_loadcnt_dscnt 0x0
	global_inv scope:SCOPE_SE
	ds_load_b128 v[1:4], v18
	; wave barrier
	s_wait_loadcnt_dscnt 0x0
	global_inv scope:SCOPE_SE
	s_and_saveexec_b32 s16, s7
	s_cbranch_execz .LBB224_90
; %bb.82:
	v_cmp_gt_u32_e32 vcc_lo, 0x70, v0
	ds_store_b32 v21, v8
	s_and_b32 exec_lo, exec_lo, vcc_lo
	s_cbranch_execz .LBB224_90
; %bb.83:
	v_mov_b32_e32 v5, 0
	v_cmp_gt_u32_e32 vcc_lo, 0x60, v0
	ds_store_b32 v21, v5 offset:64
	s_and_b32 exec_lo, exec_lo, vcc_lo
	s_cbranch_execz .LBB224_90
; %bb.84:
	v_cmp_gt_u32_e32 vcc_lo, 0x50, v0
	ds_store_b32 v21, v5 offset:128
	s_and_b32 exec_lo, exec_lo, vcc_lo
	s_cbranch_execz .LBB224_90
; %bb.85:
	v_mov_b32_e32 v5, 0
	v_cmp_gt_u32_e32 vcc_lo, 64, v0
	ds_store_b32 v21, v5 offset:192
	s_and_b32 exec_lo, exec_lo, vcc_lo
	s_cbranch_execz .LBB224_90
; %bb.86:
	v_cmp_gt_u32_e32 vcc_lo, 48, v0
	ds_store_b32 v21, v5 offset:256
	;; [unrolled: 11-line block ×3, first 2 shown]
	s_and_b32 exec_lo, exec_lo, vcc_lo
; %bb.89:
	v_mov_b32_e32 v5, 0
	ds_store_b32 v21, v5 offset:448
.LBB224_90:
	s_wait_alu 0xfffe
	s_or_b32 exec_lo, exec_lo, s16
	v_lshrrev_b16 v5, 8, v13
	v_cmp_ne_u16_e32 vcc_lo, 0x8000, v13
	s_min_u32 s16, s13, 8
	v_lshrrev_b32_e32 v14, 16, v13
	s_wait_alu 0xfffe
	s_lshl_b32 s16, -1, s16
	v_lshrrev_b32_e32 v7, 24, v13
	s_wait_alu 0xfffd
	v_cndmask_b32_e32 v5, 0x7f, v5, vcc_lo
	s_wait_alu 0xfffe
	s_not_b32 s16, s16
	v_cmp_ne_u16_e32 vcc_lo, 0x8000, v14
	s_delay_alu instid0(VALU_DEP_2) | instskip(SKIP_1) | instid1(VALU_DEP_1)
	v_and_b32_e32 v5, 0xffff, v5
	s_wait_alu 0xfffe
	v_and_b32_e32 v5, s16, v5
	s_delay_alu instid0(VALU_DEP_1) | instskip(SKIP_1) | instid1(VALU_DEP_2)
	v_lshlrev_b32_e32 v6, 4, v5
	v_lshrrev_b32_e32 v5, 2, v5
	v_and_or_b32 v6, 0x70, v6, v0
	s_delay_alu instid0(VALU_DEP_2) | instskip(NEXT) | instid1(VALU_DEP_1)
	v_and_b32_e32 v5, 62, v5
	v_lshl_add_u32 v15, v6, 2, v5
	s_wait_alu 0xfffd
	v_cndmask_b32_e32 v5, 0x7f, v7, vcc_lo
	ds_load_u16 v16, v15
	v_and_b32_e32 v5, 0xffff, v5
	s_delay_alu instid0(VALU_DEP_1) | instskip(NEXT) | instid1(VALU_DEP_1)
	v_and_b32_e32 v5, s16, v5
	v_lshlrev_b32_e32 v6, 4, v5
	v_lshrrev_b32_e32 v5, 2, v5
	s_delay_alu instid0(VALU_DEP_2) | instskip(NEXT) | instid1(VALU_DEP_2)
	v_and_or_b32 v6, 0x70, v6, v0
	v_and_b32_e32 v5, 62, v5
	s_wait_dscnt 0x0
	v_add_nc_u16 v7, v16, 1
	s_delay_alu instid0(VALU_DEP_2)
	v_lshl_add_u32 v27, v6, 2, v5
	ds_store_b16 v15, v7
	ds_load_u16 v28, v27
	s_wait_dscnt 0x0
	v_add_nc_u16 v5, v28, 1
	ds_store_b16 v27, v5
	; wave barrier
	s_wait_loadcnt_dscnt 0x0
	global_inv scope:SCOPE_SE
	ds_load_b128 v[9:12], v25
	ds_load_b128 v[5:8], v25 offset:16
	s_wait_dscnt 0x1
	v_add_nc_u32_e32 v29, v10, v9
	s_delay_alu instid0(VALU_DEP_1) | instskip(SKIP_1) | instid1(VALU_DEP_1)
	v_add3_u32 v29, v29, v11, v12
	s_wait_dscnt 0x0
	v_add3_u32 v29, v29, v5, v6
	s_delay_alu instid0(VALU_DEP_1) | instskip(NEXT) | instid1(VALU_DEP_1)
	v_add3_u32 v8, v29, v7, v8
	v_mov_b32_dpp v29, v8 row_shr:1 row_mask:0xf bank_mask:0xf
	s_delay_alu instid0(VALU_DEP_1) | instskip(NEXT) | instid1(VALU_DEP_1)
	v_cndmask_b32_e64 v29, v29, 0, s5
	v_add_nc_u32_e32 v8, v29, v8
	s_delay_alu instid0(VALU_DEP_1) | instskip(NEXT) | instid1(VALU_DEP_1)
	v_mov_b32_dpp v29, v8 row_shr:2 row_mask:0xf bank_mask:0xf
	v_cndmask_b32_e64 v29, 0, v29, s3
	s_delay_alu instid0(VALU_DEP_1) | instskip(NEXT) | instid1(VALU_DEP_1)
	v_add_nc_u32_e32 v8, v8, v29
	v_mov_b32_dpp v29, v8 row_shr:4 row_mask:0xf bank_mask:0xf
	s_delay_alu instid0(VALU_DEP_1) | instskip(NEXT) | instid1(VALU_DEP_1)
	v_cndmask_b32_e64 v29, 0, v29, s6
	v_add_nc_u32_e32 v8, v8, v29
	s_delay_alu instid0(VALU_DEP_1) | instskip(NEXT) | instid1(VALU_DEP_1)
	v_mov_b32_dpp v29, v8 row_shr:8 row_mask:0xf bank_mask:0xf
	v_cndmask_b32_e64 v29, 0, v29, s4
	s_delay_alu instid0(VALU_DEP_1)
	v_add_nc_u32_e32 v8, v8, v29
	s_and_saveexec_b32 s16, s2
; %bb.91:
	v_mov_b32_e32 v29, 0
	ds_store_b32 v29, v8 offset:512
; %bb.92:
	s_wait_alu 0xfffe
	s_or_b32 exec_lo, exec_lo, s16
	ds_bpermute_b32 v29, v26, v8
	v_mov_b32_e32 v8, 0
	; wave barrier
	s_wait_loadcnt_dscnt 0x0
	global_inv scope:SCOPE_SE
	ds_load_b32 v30, v8 offset:512
	v_cndmask_b32_e64 v29, v29, 0, s11
	s_wait_dscnt 0x0
	s_delay_alu instid0(VALU_DEP_1) | instskip(NEXT) | instid1(VALU_DEP_1)
	v_lshl_add_u32 v29, v30, 16, v29
	v_add_nc_u32_e32 v30, v29, v9
	s_delay_alu instid0(VALU_DEP_1) | instskip(NEXT) | instid1(VALU_DEP_1)
	v_add_nc_u32_e32 v31, v30, v10
	v_add_nc_u32_e32 v32, v31, v11
	s_delay_alu instid0(VALU_DEP_1) | instskip(NEXT) | instid1(VALU_DEP_1)
	v_add_nc_u32_e32 v9, v32, v12
	;; [unrolled: 3-line block ×3, first 2 shown]
	v_add_nc_u32_e32 v12, v11, v7
	v_and_b32_e32 v7, 0xffff, v16
	ds_store_b128 v25, v[29:32]
	ds_store_b128 v25, v[9:12] offset:16
	; wave barrier
	s_wait_loadcnt_dscnt 0x0
	global_inv scope:SCOPE_SE
	ds_load_u16 v5, v15
	ds_load_u16 v6, v27
	v_and_b32_e32 v9, 0xffff, v28
	; wave barrier
	s_wait_loadcnt_dscnt 0x0
	global_inv scope:SCOPE_SE
	v_add_nc_u32_e32 v5, v5, v7
	v_add_nc_u32_e32 v6, v6, v9
	s_delay_alu instid0(VALU_DEP_2) | instskip(NEXT) | instid1(VALU_DEP_2)
	v_lshlrev_b32_e32 v7, 1, v5
	v_lshlrev_b32_e32 v9, 1, v6
	ds_store_b16 v7, v13
	ds_store_b16 v9, v14
	v_mad_u32_u24 v5, v5, 6, v7
	v_mad_u32_u24 v6, v6, 6, v9
	; wave barrier
	s_wait_loadcnt_dscnt 0x0
	global_inv scope:SCOPE_SE
	ds_load_b32 v13, v19
	; wave barrier
	s_wait_loadcnt_dscnt 0x0
	global_inv scope:SCOPE_SE
	ds_store_b64 v5, v[1:2]
	ds_store_b64 v6, v[3:4]
	; wave barrier
	s_wait_loadcnt_dscnt 0x0
	global_inv scope:SCOPE_SE
	ds_load_b128 v[1:4], v18
	; wave barrier
	s_wait_loadcnt_dscnt 0x0
	global_inv scope:SCOPE_SE
	s_and_saveexec_b32 s16, s7
	s_cbranch_execz .LBB224_101
; %bb.93:
	v_cmp_gt_u32_e32 vcc_lo, 0x70, v0
	ds_store_b32 v21, v8
	s_and_b32 exec_lo, exec_lo, vcc_lo
	s_cbranch_execz .LBB224_101
; %bb.94:
	v_mov_b32_e32 v5, 0
	v_cmp_gt_u32_e32 vcc_lo, 0x60, v0
	ds_store_b32 v21, v5 offset:64
	s_and_b32 exec_lo, exec_lo, vcc_lo
	s_cbranch_execz .LBB224_101
; %bb.95:
	v_cmp_gt_u32_e32 vcc_lo, 0x50, v0
	ds_store_b32 v21, v5 offset:128
	s_and_b32 exec_lo, exec_lo, vcc_lo
	s_cbranch_execz .LBB224_101
; %bb.96:
	v_mov_b32_e32 v5, 0
	v_cmp_gt_u32_e32 vcc_lo, 64, v0
	ds_store_b32 v21, v5 offset:192
	s_and_b32 exec_lo, exec_lo, vcc_lo
	s_cbranch_execz .LBB224_101
; %bb.97:
	v_cmp_gt_u32_e32 vcc_lo, 48, v0
	ds_store_b32 v21, v5 offset:256
	;; [unrolled: 11-line block ×3, first 2 shown]
	s_and_b32 exec_lo, exec_lo, vcc_lo
; %bb.100:
	v_mov_b32_e32 v5, 0
	ds_store_b32 v21, v5 offset:448
.LBB224_101:
	s_wait_alu 0xfffe
	s_or_b32 exec_lo, exec_lo, s16
	v_lshrrev_b16 v5, 12, v13
	v_cmp_ne_u16_e32 vcc_lo, 0x8000, v13
	s_min_u32 s7, s13, 4
	v_lshrrev_b32_e32 v14, 16, v13
	s_wait_alu 0xfffe
	s_lshl_b32 s7, -1, s7
	v_lshrrev_b32_e32 v7, 28, v13
	s_wait_alu 0xfffd
	v_cndmask_b32_e32 v5, 7, v5, vcc_lo
	s_wait_alu 0xfffe
	s_not_b32 s7, s7
	v_cmp_ne_u16_e32 vcc_lo, 0x8000, v14
	s_delay_alu instid0(VALU_DEP_2) | instskip(SKIP_1) | instid1(VALU_DEP_1)
	v_and_b32_e32 v5, 0xffff, v5
	s_wait_alu 0xfffe
	v_and_b32_e32 v5, s7, v5
	s_delay_alu instid0(VALU_DEP_1) | instskip(SKIP_1) | instid1(VALU_DEP_2)
	v_lshlrev_b32_e32 v6, 4, v5
	v_lshrrev_b32_e32 v5, 2, v5
	v_and_or_b32 v6, 0x70, v6, v0
	s_delay_alu instid0(VALU_DEP_2) | instskip(NEXT) | instid1(VALU_DEP_1)
	v_and_b32_e32 v5, 2, v5
	v_lshl_or_b32 v15, v6, 2, v5
	s_wait_alu 0xfffd
	v_cndmask_b32_e32 v5, 7, v7, vcc_lo
	ds_load_u16 v16, v15
	v_and_b32_e32 v5, 0xffff, v5
	s_delay_alu instid0(VALU_DEP_1) | instskip(NEXT) | instid1(VALU_DEP_1)
	v_and_b32_e32 v5, s7, v5
	v_lshlrev_b32_e32 v6, 4, v5
	v_lshrrev_b32_e32 v5, 2, v5
	s_delay_alu instid0(VALU_DEP_2) | instskip(NEXT) | instid1(VALU_DEP_2)
	v_and_or_b32 v0, 0x70, v6, v0
	v_and_b32_e32 v5, 2, v5
	s_wait_dscnt 0x0
	v_add_nc_u16 v6, v16, 1
	s_delay_alu instid0(VALU_DEP_2)
	v_lshl_or_b32 v0, v0, 2, v5
	ds_store_b16 v15, v6
	ds_load_u16 v27, v0
	s_wait_dscnt 0x0
	v_add_nc_u16 v5, v27, 1
	ds_store_b16 v0, v5
	; wave barrier
	s_wait_loadcnt_dscnt 0x0
	global_inv scope:SCOPE_SE
	ds_load_b128 v[9:12], v25
	ds_load_b128 v[5:8], v25 offset:16
	s_wait_dscnt 0x1
	v_add_nc_u32_e32 v28, v10, v9
	s_delay_alu instid0(VALU_DEP_1) | instskip(SKIP_1) | instid1(VALU_DEP_1)
	v_add3_u32 v28, v28, v11, v12
	s_wait_dscnt 0x0
	v_add3_u32 v28, v28, v5, v6
	s_delay_alu instid0(VALU_DEP_1) | instskip(NEXT) | instid1(VALU_DEP_1)
	v_add3_u32 v8, v28, v7, v8
	v_mov_b32_dpp v28, v8 row_shr:1 row_mask:0xf bank_mask:0xf
	s_delay_alu instid0(VALU_DEP_1) | instskip(NEXT) | instid1(VALU_DEP_1)
	v_cndmask_b32_e64 v28, v28, 0, s5
	v_add_nc_u32_e32 v8, v28, v8
	s_delay_alu instid0(VALU_DEP_1) | instskip(NEXT) | instid1(VALU_DEP_1)
	v_mov_b32_dpp v28, v8 row_shr:2 row_mask:0xf bank_mask:0xf
	v_cndmask_b32_e64 v28, 0, v28, s3
	s_delay_alu instid0(VALU_DEP_1) | instskip(NEXT) | instid1(VALU_DEP_1)
	v_add_nc_u32_e32 v8, v8, v28
	v_mov_b32_dpp v28, v8 row_shr:4 row_mask:0xf bank_mask:0xf
	s_delay_alu instid0(VALU_DEP_1) | instskip(NEXT) | instid1(VALU_DEP_1)
	v_cndmask_b32_e64 v28, 0, v28, s6
	v_add_nc_u32_e32 v8, v8, v28
	s_delay_alu instid0(VALU_DEP_1) | instskip(NEXT) | instid1(VALU_DEP_1)
	v_mov_b32_dpp v28, v8 row_shr:8 row_mask:0xf bank_mask:0xf
	v_cndmask_b32_e64 v28, 0, v28, s4
	s_delay_alu instid0(VALU_DEP_1)
	v_add_nc_u32_e32 v8, v8, v28
	s_and_saveexec_b32 s3, s2
; %bb.102:
	v_mov_b32_e32 v28, 0
	ds_store_b32 v28, v8 offset:512
; %bb.103:
	s_wait_alu 0xfffe
	s_or_b32 exec_lo, exec_lo, s3
	ds_bpermute_b32 v8, v26, v8
	v_mov_b32_e32 v26, 0
	; wave barrier
	s_wait_loadcnt_dscnt 0x0
	global_inv scope:SCOPE_SE
	ds_load_b32 v26, v26 offset:512
	v_cndmask_b32_e64 v8, v8, 0, s11
	s_wait_dscnt 0x0
	s_delay_alu instid0(VALU_DEP_1) | instskip(NEXT) | instid1(VALU_DEP_1)
	v_lshl_add_u32 v8, v26, 16, v8
	v_add_nc_u32_e32 v9, v8, v9
	s_delay_alu instid0(VALU_DEP_1) | instskip(NEXT) | instid1(VALU_DEP_1)
	v_add_nc_u32_e32 v10, v9, v10
	v_add_nc_u32_e32 v11, v10, v11
	s_delay_alu instid0(VALU_DEP_1) | instskip(NEXT) | instid1(VALU_DEP_1)
	v_add_nc_u32_e32 v28, v11, v12
	v_add_nc_u32_e32 v29, v28, v5
	s_delay_alu instid0(VALU_DEP_1) | instskip(SKIP_1) | instid1(VALU_DEP_2)
	v_add_nc_u32_e32 v30, v29, v6
	v_and_b32_e32 v6, 0xffff, v16
	v_add_nc_u32_e32 v31, v30, v7
	v_and_b32_e32 v7, 0xffff, v27
	ds_store_b128 v25, v[8:11]
	ds_store_b128 v25, v[28:31] offset:16
	; wave barrier
	s_wait_loadcnt_dscnt 0x0
	global_inv scope:SCOPE_SE
	ds_load_u16 v5, v15
	ds_load_u16 v0, v0
	; wave barrier
	s_wait_loadcnt_dscnt 0x0
	global_inv scope:SCOPE_SE
	v_add_nc_u32_e32 v5, v5, v6
	v_add_nc_u32_e32 v0, v0, v7
	s_delay_alu instid0(VALU_DEP_2) | instskip(NEXT) | instid1(VALU_DEP_2)
	v_lshlrev_b32_e32 v6, 1, v5
	v_lshlrev_b32_e32 v7, 1, v0
	ds_store_b16 v6, v13
	ds_store_b16 v7, v14
	; wave barrier
	s_wait_loadcnt_dscnt 0x0
	global_inv scope:SCOPE_SE
	ds_load_b32 v9, v19
	v_mad_u32_u24 v5, v5, 6, v6
	v_mad_u32_u24 v0, v0, 6, v7
	; wave barrier
	s_wait_loadcnt_dscnt 0x0
	global_inv scope:SCOPE_SE
	ds_store_b64 v5, v[1:2]
	ds_store_b64 v0, v[3:4]
	; wave barrier
	s_wait_loadcnt_dscnt 0x0
	global_inv scope:SCOPE_SE
	ds_load_b128 v[5:8], v18
	v_lshrrev_b32_e32 v0, 16, v9
	v_cmp_gt_i16_e32 vcc_lo, 0, v9
	s_wait_alu 0xfffd
	v_cndmask_b32_e64 v1, 0x7fff, 0, vcc_lo
	s_delay_alu instid0(VALU_DEP_3) | instskip(SKIP_2) | instid1(VALU_DEP_1)
	v_cmp_gt_i16_e32 vcc_lo, 0, v0
	s_wait_alu 0xfffd
	v_cndmask_b32_e64 v0, 0x7fff, 0, vcc_lo
	v_perm_b32 v0, v0, v1, 0x5040100
	s_delay_alu instid0(VALU_DEP_1)
	v_xor_b32_e32 v9, v0, v9
.LBB224_104:
	; wave barrier
	s_wait_loadcnt_dscnt 0x0
	global_inv scope:SCOPE_SE
	ds_store_b32 v21, v9
	; wave barrier
	s_wait_loadcnt_dscnt 0x0
	global_inv scope:SCOPE_SE
	ds_load_u16 v2, v22 offset:32
	v_mov_b32_e32 v21, 0
	s_delay_alu instid0(VALU_DEP_1) | instskip(NEXT) | instid1(VALU_DEP_1)
	v_lshlrev_b64_e32 v[0:1], 1, v[20:21]
	v_add_co_u32 v0, vcc_lo, s14, v0
	s_wait_alu 0xfffd
	s_delay_alu instid0(VALU_DEP_2)
	v_add_co_ci_u32_e64 v1, null, s15, v1, vcc_lo
	s_and_saveexec_b32 s2, s0
	s_cbranch_execz .LBB224_106
; %bb.105:
	ds_load_u16 v3, v22
	s_wait_dscnt 0x0
	global_store_b16 v[0:1], v3, off
.LBB224_106:
	s_wait_alu 0xfffe
	s_or_b32 exec_lo, exec_lo, s2
	s_and_saveexec_b32 s2, s1
	s_cbranch_execz .LBB224_108
; %bb.107:
	s_lshl_b32 s4, s10, 4
	s_mov_b32 s5, 0
	s_wait_alu 0xfffe
	s_lshl_b64 s[4:5], s[4:5], 1
	s_wait_alu 0xfffe
	v_add_co_u32 v0, vcc_lo, v0, s4
	s_wait_alu 0xfffd
	v_add_co_ci_u32_e64 v1, null, s5, v1, vcc_lo
	s_wait_dscnt 0x0
	global_store_b16 v[0:1], v2, off
.LBB224_108:
	s_wait_alu 0xfffe
	s_or_b32 exec_lo, exec_lo, s2
	s_wait_storecnt 0x0
	; wave barrier
	s_wait_loadcnt_dscnt 0x0
	global_inv scope:SCOPE_SE
	ds_store_2addr_b64 v24, v[5:6], v[7:8] offset1:1
	; wave barrier
	s_wait_loadcnt_dscnt 0x0
	global_inv scope:SCOPE_SE
	ds_load_b64 v[0:1], v23 offset:128
	v_mov_b32_e32 v18, 0
	s_delay_alu instid0(VALU_DEP_1) | instskip(NEXT) | instid1(VALU_DEP_1)
	v_lshlrev_b64_e32 v[2:3], 3, v[17:18]
	v_add_co_u32 v2, vcc_lo, s8, v2
	s_wait_alu 0xfffd
	s_delay_alu instid0(VALU_DEP_2)
	v_add_co_ci_u32_e64 v3, null, s9, v3, vcc_lo
	s_and_saveexec_b32 s2, s0
	s_cbranch_execz .LBB224_110
; %bb.109:
	ds_load_b64 v[4:5], v23
	s_wait_dscnt 0x0
	global_store_b64 v[2:3], v[4:5], off
.LBB224_110:
	s_wait_alu 0xfffe
	s_or_b32 exec_lo, exec_lo, s2
	s_and_saveexec_b32 s0, s1
	s_cbranch_execz .LBB224_112
; %bb.111:
	s_lshl_b32 s0, s12, 4
	s_mov_b32 s1, 0
	s_delay_alu instid0(SALU_CYCLE_1) | instskip(NEXT) | instid1(SALU_CYCLE_1)
	s_lshl_b64 s[0:1], s[0:1], 3
	v_add_co_u32 v2, vcc_lo, v2, s0
	s_wait_alu 0xfffd
	v_add_co_ci_u32_e64 v3, null, s1, v3, vcc_lo
	s_wait_dscnt 0x0
	global_store_b64 v[2:3], v[0:1], off
.LBB224_112:
	s_endpgm
	.section	.rodata,"a",@progbits
	.p2align	6, 0x0
	.amdhsa_kernel _ZN2at6native18radixSortKVInPlaceILin2ELin1ELi16ELi2EN3c104HalfEljEEvNS_4cuda6detail10TensorInfoIT3_T5_EES8_S8_S8_NS6_IT4_S8_EES8_b
		.amdhsa_group_segment_fixed_size 528
		.amdhsa_private_segment_fixed_size 0
		.amdhsa_kernarg_size 712
		.amdhsa_user_sgpr_count 2
		.amdhsa_user_sgpr_dispatch_ptr 0
		.amdhsa_user_sgpr_queue_ptr 0
		.amdhsa_user_sgpr_kernarg_segment_ptr 1
		.amdhsa_user_sgpr_dispatch_id 0
		.amdhsa_user_sgpr_private_segment_size 0
		.amdhsa_wavefront_size32 1
		.amdhsa_uses_dynamic_stack 0
		.amdhsa_enable_private_segment 0
		.amdhsa_system_sgpr_workgroup_id_x 1
		.amdhsa_system_sgpr_workgroup_id_y 1
		.amdhsa_system_sgpr_workgroup_id_z 1
		.amdhsa_system_sgpr_workgroup_info 0
		.amdhsa_system_vgpr_workitem_id 0
		.amdhsa_next_free_vgpr 39
		.amdhsa_next_free_sgpr 18
		.amdhsa_reserve_vcc 1
		.amdhsa_float_round_mode_32 0
		.amdhsa_float_round_mode_16_64 0
		.amdhsa_float_denorm_mode_32 3
		.amdhsa_float_denorm_mode_16_64 3
		.amdhsa_fp16_overflow 0
		.amdhsa_workgroup_processor_mode 1
		.amdhsa_memory_ordered 1
		.amdhsa_forward_progress 1
		.amdhsa_inst_pref_size 74
		.amdhsa_round_robin_scheduling 0
		.amdhsa_exception_fp_ieee_invalid_op 0
		.amdhsa_exception_fp_denorm_src 0
		.amdhsa_exception_fp_ieee_div_zero 0
		.amdhsa_exception_fp_ieee_overflow 0
		.amdhsa_exception_fp_ieee_underflow 0
		.amdhsa_exception_fp_ieee_inexact 0
		.amdhsa_exception_int_div_zero 0
	.end_amdhsa_kernel
	.section	.text._ZN2at6native18radixSortKVInPlaceILin2ELin1ELi16ELi2EN3c104HalfEljEEvNS_4cuda6detail10TensorInfoIT3_T5_EES8_S8_S8_NS6_IT4_S8_EES8_b,"axG",@progbits,_ZN2at6native18radixSortKVInPlaceILin2ELin1ELi16ELi2EN3c104HalfEljEEvNS_4cuda6detail10TensorInfoIT3_T5_EES8_S8_S8_NS6_IT4_S8_EES8_b,comdat
.Lfunc_end224:
	.size	_ZN2at6native18radixSortKVInPlaceILin2ELin1ELi16ELi2EN3c104HalfEljEEvNS_4cuda6detail10TensorInfoIT3_T5_EES8_S8_S8_NS6_IT4_S8_EES8_b, .Lfunc_end224-_ZN2at6native18radixSortKVInPlaceILin2ELin1ELi16ELi2EN3c104HalfEljEEvNS_4cuda6detail10TensorInfoIT3_T5_EES8_S8_S8_NS6_IT4_S8_EES8_b
                                        ; -- End function
	.set _ZN2at6native18radixSortKVInPlaceILin2ELin1ELi16ELi2EN3c104HalfEljEEvNS_4cuda6detail10TensorInfoIT3_T5_EES8_S8_S8_NS6_IT4_S8_EES8_b.num_vgpr, 39
	.set _ZN2at6native18radixSortKVInPlaceILin2ELin1ELi16ELi2EN3c104HalfEljEEvNS_4cuda6detail10TensorInfoIT3_T5_EES8_S8_S8_NS6_IT4_S8_EES8_b.num_agpr, 0
	.set _ZN2at6native18radixSortKVInPlaceILin2ELin1ELi16ELi2EN3c104HalfEljEEvNS_4cuda6detail10TensorInfoIT3_T5_EES8_S8_S8_NS6_IT4_S8_EES8_b.numbered_sgpr, 18
	.set _ZN2at6native18radixSortKVInPlaceILin2ELin1ELi16ELi2EN3c104HalfEljEEvNS_4cuda6detail10TensorInfoIT3_T5_EES8_S8_S8_NS6_IT4_S8_EES8_b.num_named_barrier, 0
	.set _ZN2at6native18radixSortKVInPlaceILin2ELin1ELi16ELi2EN3c104HalfEljEEvNS_4cuda6detail10TensorInfoIT3_T5_EES8_S8_S8_NS6_IT4_S8_EES8_b.private_seg_size, 0
	.set _ZN2at6native18radixSortKVInPlaceILin2ELin1ELi16ELi2EN3c104HalfEljEEvNS_4cuda6detail10TensorInfoIT3_T5_EES8_S8_S8_NS6_IT4_S8_EES8_b.uses_vcc, 1
	.set _ZN2at6native18radixSortKVInPlaceILin2ELin1ELi16ELi2EN3c104HalfEljEEvNS_4cuda6detail10TensorInfoIT3_T5_EES8_S8_S8_NS6_IT4_S8_EES8_b.uses_flat_scratch, 0
	.set _ZN2at6native18radixSortKVInPlaceILin2ELin1ELi16ELi2EN3c104HalfEljEEvNS_4cuda6detail10TensorInfoIT3_T5_EES8_S8_S8_NS6_IT4_S8_EES8_b.has_dyn_sized_stack, 0
	.set _ZN2at6native18radixSortKVInPlaceILin2ELin1ELi16ELi2EN3c104HalfEljEEvNS_4cuda6detail10TensorInfoIT3_T5_EES8_S8_S8_NS6_IT4_S8_EES8_b.has_recursion, 0
	.set _ZN2at6native18radixSortKVInPlaceILin2ELin1ELi16ELi2EN3c104HalfEljEEvNS_4cuda6detail10TensorInfoIT3_T5_EES8_S8_S8_NS6_IT4_S8_EES8_b.has_indirect_call, 0
	.section	.AMDGPU.csdata,"",@progbits
; Kernel info:
; codeLenInByte = 9472
; TotalNumSgprs: 20
; NumVgprs: 39
; ScratchSize: 0
; MemoryBound: 0
; FloatMode: 240
; IeeeMode: 1
; LDSByteSize: 528 bytes/workgroup (compile time only)
; SGPRBlocks: 0
; VGPRBlocks: 4
; NumSGPRsForWavesPerEU: 20
; NumVGPRsForWavesPerEU: 39
; Occupancy: 16
; WaveLimiterHint : 1
; COMPUTE_PGM_RSRC2:SCRATCH_EN: 0
; COMPUTE_PGM_RSRC2:USER_SGPR: 2
; COMPUTE_PGM_RSRC2:TRAP_HANDLER: 0
; COMPUTE_PGM_RSRC2:TGID_X_EN: 1
; COMPUTE_PGM_RSRC2:TGID_Y_EN: 1
; COMPUTE_PGM_RSRC2:TGID_Z_EN: 1
; COMPUTE_PGM_RSRC2:TIDIG_COMP_CNT: 0
	.section	.text._ZN2at6native18radixSortKVInPlaceILi2ELin1ELi512ELi8EN3c104HalfEljEEvNS_4cuda6detail10TensorInfoIT3_T5_EES8_S8_S8_NS6_IT4_S8_EES8_b,"axG",@progbits,_ZN2at6native18radixSortKVInPlaceILi2ELin1ELi512ELi8EN3c104HalfEljEEvNS_4cuda6detail10TensorInfoIT3_T5_EES8_S8_S8_NS6_IT4_S8_EES8_b,comdat
	.protected	_ZN2at6native18radixSortKVInPlaceILi2ELin1ELi512ELi8EN3c104HalfEljEEvNS_4cuda6detail10TensorInfoIT3_T5_EES8_S8_S8_NS6_IT4_S8_EES8_b ; -- Begin function _ZN2at6native18radixSortKVInPlaceILi2ELin1ELi512ELi8EN3c104HalfEljEEvNS_4cuda6detail10TensorInfoIT3_T5_EES8_S8_S8_NS6_IT4_S8_EES8_b
	.globl	_ZN2at6native18radixSortKVInPlaceILi2ELin1ELi512ELi8EN3c104HalfEljEEvNS_4cuda6detail10TensorInfoIT3_T5_EES8_S8_S8_NS6_IT4_S8_EES8_b
	.p2align	8
	.type	_ZN2at6native18radixSortKVInPlaceILi2ELin1ELi512ELi8EN3c104HalfEljEEvNS_4cuda6detail10TensorInfoIT3_T5_EES8_S8_S8_NS6_IT4_S8_EES8_b,@function
_ZN2at6native18radixSortKVInPlaceILi2ELin1ELi512ELi8EN3c104HalfEljEEvNS_4cuda6detail10TensorInfoIT3_T5_EES8_S8_S8_NS6_IT4_S8_EES8_b: ; @_ZN2at6native18radixSortKVInPlaceILi2ELin1ELi512ELi8EN3c104HalfEljEEvNS_4cuda6detail10TensorInfoIT3_T5_EES8_S8_S8_NS6_IT4_S8_EES8_b
; %bb.0:
	s_clause 0x1
	s_load_b64 s[2:3], s[0:1], 0x1c8
	s_load_b96 s[24:26], s[0:1], 0xd8
	s_lshr_b32 s4, ttmp7, 16
	s_wait_kmcnt 0x0
	s_mul_i32 s3, s3, s4
	s_and_b32 s4, ttmp7, 0xffff
	s_delay_alu instid0(SALU_CYCLE_1) | instskip(NEXT) | instid1(SALU_CYCLE_1)
	s_add_co_i32 s3, s3, s4
	s_mul_i32 s2, s3, s2
	s_delay_alu instid0(SALU_CYCLE_1) | instskip(NEXT) | instid1(SALU_CYCLE_1)
	s_add_co_i32 s2, s2, ttmp9
	s_cmp_ge_u32 s2, s24
	s_cbranch_scc1 .LBB225_146
; %bb.1:
	s_clause 0x2
	s_load_b32 s15, s[0:1], 0xc
	s_load_b64 s[4:5], s[0:1], 0x6c
	s_load_b32 s12, s[0:1], 0x1b8
	s_add_nc_u64 s[10:11], s[0:1], 0xe8
	s_mov_b32 s14, s2
	s_wait_kmcnt 0x0
	s_cvt_f32_u32 s3, s15
	s_delay_alu instid0(SALU_CYCLE_3) | instskip(NEXT) | instid1(TRANS32_DEP_1)
	v_rcp_iflag_f32_e32 v1, s3
	v_readfirstlane_b32 s3, v1
	s_mul_f32 s3, s3, 0x4f7ffffe
	s_wait_alu 0xfffe
	s_delay_alu instid0(SALU_CYCLE_2) | instskip(SKIP_2) | instid1(SALU_CYCLE_1)
	s_cvt_u32_f32 s6, s3
	s_sub_co_i32 s3, 0, s15
	s_wait_alu 0xfffe
	s_mul_i32 s7, s3, s6
	s_mov_b32 s3, 0
	s_mul_hi_u32 s8, s6, s7
	s_wait_alu 0xfffe
	s_mov_b32 s7, s3
	s_add_co_i32 s6, s6, s8
	s_cmp_lt_i32 s12, 2
	s_mov_b32 s9, s3
	s_cbranch_scc1 .LBB225_4
; %bb.2:
	s_add_co_i32 s8, s12, -1
	s_mov_b32 s9, 0
	s_mov_b32 s14, s2
	s_lshl_b64 s[16:17], s[8:9], 2
	s_add_co_i32 s8, s12, 1
	s_add_nc_u64 s[16:17], s[10:11], s[16:17]
	s_delay_alu instid0(SALU_CYCLE_1)
	s_add_nc_u64 s[12:13], s[16:17], 8
.LBB225_3:                              ; =>This Inner Loop Header: Depth=1
	s_clause 0x1
	s_load_b32 s16, s[12:13], 0x0
	s_load_b32 s17, s[12:13], 0x64
	s_mov_b32 s20, s14
	s_add_nc_u64 s[12:13], s[12:13], -4
	s_wait_kmcnt 0x0
	s_cvt_f32_u32 s18, s16
	s_sub_co_i32 s19, 0, s16
	s_wait_alu 0xfffe
	s_delay_alu instid0(SALU_CYCLE_1) | instskip(NEXT) | instid1(TRANS32_DEP_1)
	v_rcp_iflag_f32_e32 v1, s18
	v_readfirstlane_b32 s18, v1
	s_mul_f32 s18, s18, 0x4f7ffffe
	s_wait_alu 0xfffe
	s_delay_alu instid0(SALU_CYCLE_2) | instskip(SKIP_1) | instid1(SALU_CYCLE_2)
	s_cvt_u32_f32 s18, s18
	s_wait_alu 0xfffe
	s_mul_i32 s19, s19, s18
	s_wait_alu 0xfffe
	s_mul_hi_u32 s19, s18, s19
	s_wait_alu 0xfffe
	s_add_co_i32 s18, s18, s19
	s_wait_alu 0xfffe
	s_mul_hi_u32 s14, s14, s18
	s_delay_alu instid0(SALU_CYCLE_1)
	s_mul_i32 s18, s14, s16
	s_add_co_i32 s19, s14, 1
	s_wait_alu 0xfffe
	s_sub_co_i32 s18, s20, s18
	s_wait_alu 0xfffe
	s_sub_co_i32 s21, s18, s16
	s_cmp_ge_u32 s18, s16
	s_cselect_b32 s14, s19, s14
	s_cselect_b32 s18, s21, s18
	s_add_co_i32 s19, s14, 1
	s_wait_alu 0xfffe
	s_cmp_ge_u32 s18, s16
	s_cselect_b32 s14, s19, s14
	s_add_co_i32 s8, s8, -1
	s_mul_i32 s16, s14, s16
	s_delay_alu instid0(SALU_CYCLE_1) | instskip(NEXT) | instid1(SALU_CYCLE_1)
	s_sub_co_i32 s16, s20, s16
	s_mul_i32 s16, s17, s16
	s_delay_alu instid0(SALU_CYCLE_1)
	s_add_co_i32 s9, s16, s9
	s_cmp_gt_u32 s8, 2
	s_cbranch_scc1 .LBB225_3
.LBB225_4:
	s_mul_u64 s[6:7], s[2:3], s[6:7]
	s_clause 0x1
	s_load_b64 s[12:13], s[0:1], 0x0
	s_load_b64 s[28:29], s[0:1], 0x1c0
	s_mul_i32 s3, s7, s15
	s_add_nc_u64 s[34:35], s[0:1], 0x1c8
	s_wait_alu 0xfffe
	s_sub_co_i32 s0, s2, s3
	s_add_co_i32 s1, s7, 1
	s_sub_co_i32 s3, s0, s15
	s_cmp_ge_u32 s0, s15
	s_cselect_b32 s1, s1, s7
	s_wait_alu 0xfffe
	s_cselect_b32 s0, s3, s0
	s_add_co_i32 s3, s1, 1
	s_cmp_ge_u32 s0, s15
	s_wait_alu 0xfffe
	s_cselect_b32 s0, s3, s1
	s_mov_b32 s3, 0
	s_mul_i32 s1, s0, s15
	s_mul_i32 s0, s0, s4
	s_sub_co_i32 s1, s2, s1
	s_delay_alu instid0(SALU_CYCLE_1) | instskip(NEXT) | instid1(SALU_CYCLE_1)
	s_mul_i32 s1, s1, s5
	s_add_co_i32 s2, s0, s1
	s_wait_kmcnt 0x0
	s_bitcmp1_b32 s29, 0
	s_mov_b32 s0, 0xffff
	s_cselect_b32 s8, -1, 0
	s_delay_alu instid0(SALU_CYCLE_1) | instskip(SKIP_1) | instid1(SALU_CYCLE_1)
	s_and_b32 s1, s8, exec_lo
	s_cselect_b32 s15, s0, 0x7fff
	v_dual_mov_b32 v1, s15 :: v_dual_and_b32 v46, 0x3ff, v0
	s_wait_alu 0xfffe
	s_lshl_b64 s[2:3], s[2:3], 1
	s_wait_alu 0xfffe
	s_add_nc_u64 s[30:31], s[12:13], s[2:3]
	v_mul_lo_u32 v44, s26, v46
	v_cmp_gt_u32_e64 s0, s25, v46
	s_and_saveexec_b32 s1, s0
	s_cbranch_execz .LBB225_6
; %bb.5:
	v_mov_b32_e32 v45, 0
	s_delay_alu instid0(VALU_DEP_1) | instskip(NEXT) | instid1(VALU_DEP_1)
	v_lshlrev_b64_e32 v[1:2], 1, v[44:45]
	v_add_co_u32 v1, vcc_lo, s30, v1
	s_delay_alu instid0(VALU_DEP_1)
	v_add_co_ci_u32_e64 v2, null, s31, v2, vcc_lo
	global_load_u16 v1, v[1:2], off
.LBB225_6:
	s_or_b32 exec_lo, exec_lo, s1
	v_dual_mov_b32 v2, s15 :: v_dual_add_nc_u32 v15, 0x200, v46
	s_delay_alu instid0(VALU_DEP_1)
	v_cmp_gt_u32_e64 s1, s25, v15
	s_and_saveexec_b32 s2, s1
	s_cbranch_execz .LBB225_8
; %bb.7:
	v_mul_lo_u32 v2, s26, v15
	v_mov_b32_e32 v3, 0
	s_delay_alu instid0(VALU_DEP_1) | instskip(NEXT) | instid1(VALU_DEP_1)
	v_lshlrev_b64_e32 v[2:3], 1, v[2:3]
	v_add_co_u32 v2, vcc_lo, s30, v2
	s_wait_alu 0xfffd
	s_delay_alu instid0(VALU_DEP_2)
	v_add_co_ci_u32_e64 v3, null, s31, v3, vcc_lo
	global_load_u16 v2, v[2:3], off
.LBB225_8:
	s_wait_alu 0xfffe
	s_or_b32 exec_lo, exec_lo, s2
	v_or_b32_e32 v16, 0x400, v46
	v_mov_b32_e32 v3, s15
	s_delay_alu instid0(VALU_DEP_2)
	v_cmp_gt_u32_e64 s2, s25, v16
	s_and_saveexec_b32 s3, s2
	s_cbranch_execz .LBB225_10
; %bb.9:
	v_mul_lo_u32 v3, s26, v16
	v_mov_b32_e32 v4, 0
	s_delay_alu instid0(VALU_DEP_1) | instskip(NEXT) | instid1(VALU_DEP_1)
	v_lshlrev_b64_e32 v[3:4], 1, v[3:4]
	v_add_co_u32 v3, vcc_lo, s30, v3
	s_wait_alu 0xfffd
	s_delay_alu instid0(VALU_DEP_2)
	v_add_co_ci_u32_e64 v4, null, s31, v4, vcc_lo
	global_load_u16 v3, v[3:4], off
.LBB225_10:
	s_wait_alu 0xfffe
	s_or_b32 exec_lo, exec_lo, s3
	v_dual_mov_b32 v4, s15 :: v_dual_add_nc_u32 v17, 0x600, v46
	s_delay_alu instid0(VALU_DEP_1)
	v_cmp_gt_u32_e64 s3, s25, v17
	s_and_saveexec_b32 s4, s3
	s_cbranch_execz .LBB225_12
; %bb.11:
	v_mul_lo_u32 v4, s26, v17
	v_mov_b32_e32 v5, 0
	s_delay_alu instid0(VALU_DEP_1) | instskip(NEXT) | instid1(VALU_DEP_1)
	v_lshlrev_b64_e32 v[4:5], 1, v[4:5]
	v_add_co_u32 v4, vcc_lo, s30, v4
	s_wait_alu 0xfffd
	s_delay_alu instid0(VALU_DEP_2)
	v_add_co_ci_u32_e64 v5, null, s31, v5, vcc_lo
	global_load_u16 v4, v[4:5], off
.LBB225_12:
	s_or_b32 exec_lo, exec_lo, s4
	v_or_b32_e32 v18, 0x800, v46
	v_mov_b32_e32 v5, s15
	s_delay_alu instid0(VALU_DEP_2)
	v_cmp_gt_u32_e64 s4, s25, v18
	s_and_saveexec_b32 s5, s4
	s_cbranch_execz .LBB225_14
; %bb.13:
	v_mul_lo_u32 v5, s26, v18
	v_mov_b32_e32 v6, 0
	s_delay_alu instid0(VALU_DEP_1) | instskip(NEXT) | instid1(VALU_DEP_1)
	v_lshlrev_b64_e32 v[5:6], 1, v[5:6]
	v_add_co_u32 v5, vcc_lo, s30, v5
	s_wait_alu 0xfffd
	s_delay_alu instid0(VALU_DEP_2)
	v_add_co_ci_u32_e64 v6, null, s31, v6, vcc_lo
	global_load_u16 v5, v[5:6], off
.LBB225_14:
	s_or_b32 exec_lo, exec_lo, s5
	v_dual_mov_b32 v6, s15 :: v_dual_add_nc_u32 v19, 0xa00, v46
	s_delay_alu instid0(VALU_DEP_1)
	v_cmp_gt_u32_e64 s5, s25, v19
	s_and_saveexec_b32 s6, s5
	s_cbranch_execz .LBB225_16
; %bb.15:
	v_mul_lo_u32 v6, s26, v19
	v_mov_b32_e32 v7, 0
	s_delay_alu instid0(VALU_DEP_1) | instskip(NEXT) | instid1(VALU_DEP_1)
	v_lshlrev_b64_e32 v[6:7], 1, v[6:7]
	v_add_co_u32 v6, vcc_lo, s30, v6
	s_wait_alu 0xfffd
	s_delay_alu instid0(VALU_DEP_2)
	v_add_co_ci_u32_e64 v7, null, s31, v7, vcc_lo
	global_load_u16 v6, v[6:7], off
.LBB225_16:
	s_or_b32 exec_lo, exec_lo, s6
	v_or_b32_e32 v20, 0xc00, v46
	v_mov_b32_e32 v7, s15
	s_delay_alu instid0(VALU_DEP_2)
	v_cmp_gt_u32_e64 s6, s25, v20
	s_and_saveexec_b32 s7, s6
	s_cbranch_execz .LBB225_18
; %bb.17:
	v_mul_lo_u32 v7, s26, v20
	v_mov_b32_e32 v8, 0
	s_delay_alu instid0(VALU_DEP_1) | instskip(NEXT) | instid1(VALU_DEP_1)
	v_lshlrev_b64_e32 v[7:8], 1, v[7:8]
	v_add_co_u32 v7, vcc_lo, s30, v7
	s_wait_alu 0xfffd
	s_delay_alu instid0(VALU_DEP_2)
	v_add_co_ci_u32_e64 v8, null, s31, v8, vcc_lo
	global_load_u16 v7, v[7:8], off
.LBB225_18:
	s_or_b32 exec_lo, exec_lo, s7
	s_clause 0x1
	s_load_b32 s12, s[10:11], 0x6c
	s_load_b64 s[10:11], s[10:11], 0x0
	v_dual_mov_b32 v8, s15 :: v_dual_add_nc_u32 v21, 0xe00, v46
	s_delay_alu instid0(VALU_DEP_1)
	v_cmp_gt_u32_e64 s7, s25, v21
	s_and_saveexec_b32 s13, s7
	s_cbranch_execz .LBB225_20
; %bb.19:
	v_mul_lo_u32 v8, s26, v21
	v_mov_b32_e32 v9, 0
	s_delay_alu instid0(VALU_DEP_1) | instskip(NEXT) | instid1(VALU_DEP_1)
	v_lshlrev_b64_e32 v[8:9], 1, v[8:9]
	v_add_co_u32 v8, vcc_lo, s30, v8
	s_wait_alu 0xfffd
	s_delay_alu instid0(VALU_DEP_2)
	v_add_co_ci_u32_e64 v9, null, s31, v9, vcc_lo
	global_load_u16 v8, v[8:9], off
.LBB225_20:
	s_or_b32 exec_lo, exec_lo, s13
	v_lshrrev_b32_e32 v9, 4, v46
	v_lshrrev_b32_e32 v10, 4, v15
	;; [unrolled: 1-line block ×5, first 2 shown]
	v_dual_mov_b32 v42, 0 :: v_dual_and_b32 v9, 60, v9
	v_lshlrev_b32_e32 v12, 1, v46
	v_and_b32_e32 v10, 0x7c, v10
	v_and_b32_e32 v11, 0x7c, v11
	s_wait_kmcnt 0x0
	s_mul_i32 s12, s12, s14
	v_mov_b32_e32 v43, v42
	v_add_nc_u32_e32 v51, v9, v12
	v_add_nc_u32_e32 v45, v10, v12
	;; [unrolled: 1-line block ×3, first 2 shown]
	v_and_b32_e32 v9, 0xfc, v13
	v_lshrrev_b32_e32 v10, 4, v18
	v_lshrrev_b32_e32 v11, 4, v19
	;; [unrolled: 1-line block ×3, first 2 shown]
	v_mul_lo_u32 v41, s28, v46
	v_add_nc_u32_e32 v53, v9, v12
	v_and_b32_e32 v9, 0xbc, v10
	v_and_b32_e32 v10, 0xfc, v11
	;; [unrolled: 1-line block ×4, first 2 shown]
	v_lshrrev_b32_e32 v14, 1, v46
	v_add_nc_u32_e32 v54, v9, v12
	v_add_nc_u32_e32 v55, v10, v12
	;; [unrolled: 1-line block ×4, first 2 shown]
	v_and_b32_e32 v9, 0x1fc, v14
	v_mov_b32_e32 v13, 0
	v_dual_mov_b32 v11, v42 :: v_dual_mov_b32 v12, v42
	v_mov_b32_e32 v14, 0
	s_delay_alu instid0(VALU_DEP_4)
	v_lshl_add_u32 v58, v46, 4, v9
	s_wait_loadcnt 0x0
	ds_store_b16 v51, v1
	ds_store_b16 v45, v2 offset:1024
	ds_store_b16 v52, v3 offset:2048
	;; [unrolled: 1-line block ×7, first 2 shown]
	s_wait_dscnt 0x0
	s_barrier_signal -1
	s_barrier_wait -1
	global_inv scope:SCOPE_SE
	ds_load_2addr_b32 v[49:50], v58 offset1:1
	ds_load_2addr_b32 v[47:48], v58 offset0:2 offset1:3
	s_add_co_i32 s12, s12, s9
	s_mov_b32 s13, 0
	v_dual_mov_b32 v9, v42 :: v_dual_mov_b32 v10, v42
	v_dual_mov_b32 v1, v42 :: v_dual_mov_b32 v2, v42
	;; [unrolled: 1-line block ×5, first 2 shown]
	s_lshl_b64 s[12:13], s[12:13], 3
	s_wait_loadcnt_dscnt 0x0
	s_add_nc_u64 s[24:25], s[10:11], s[12:13]
	s_barrier_signal -1
	s_barrier_wait -1
	global_inv scope:SCOPE_SE
	s_and_saveexec_b32 s9, s0
	s_cbranch_execnz .LBB225_76
; %bb.21:
	s_or_b32 exec_lo, exec_lo, s9
	s_and_saveexec_b32 s9, s1
	s_cbranch_execnz .LBB225_77
.LBB225_22:
	s_or_b32 exec_lo, exec_lo, s9
	s_and_saveexec_b32 s9, s2
	s_cbranch_execnz .LBB225_78
.LBB225_23:
	s_or_b32 exec_lo, exec_lo, s9
	s_and_saveexec_b32 s9, s3
	s_cbranch_execnz .LBB225_79
.LBB225_24:
	s_or_b32 exec_lo, exec_lo, s9
	s_and_saveexec_b32 s9, s4
	s_cbranch_execnz .LBB225_80
.LBB225_25:
	s_or_b32 exec_lo, exec_lo, s9
	s_and_saveexec_b32 s9, s5
	s_cbranch_execnz .LBB225_81
.LBB225_26:
	s_or_b32 exec_lo, exec_lo, s9
	s_and_saveexec_b32 s9, s6
	s_cbranch_execz .LBB225_28
.LBB225_27:
	v_mul_lo_u32 v5, s28, v20
	v_mov_b32_e32 v6, 0
	s_delay_alu instid0(VALU_DEP_1) | instskip(SKIP_1) | instid1(VALU_DEP_1)
	v_lshlrev_b64_e32 v[5:6], 3, v[5:6]
	s_wait_alu 0xfffe
	v_add_co_u32 v5, vcc_lo, s24, v5
	s_wait_alu 0xfffd
	s_delay_alu instid0(VALU_DEP_2)
	v_add_co_ci_u32_e64 v6, null, s25, v6, vcc_lo
	global_load_b64 v[5:6], v[5:6], off
.LBB225_28:
	s_or_b32 exec_lo, exec_lo, s9
	v_lshrrev_b32_e32 v68, 5, v46
	v_lshrrev_b32_e32 v25, 5, v15
	;; [unrolled: 1-line block ×8, first 2 shown]
	v_lshlrev_b32_e32 v66, 3, v46
	v_lshrrev_b32_e32 v15, 2, v46
	s_xor_b32 s8, s8, -1
	s_and_saveexec_b32 s9, s7
	s_cbranch_execz .LBB225_30
; %bb.29:
	v_mul_lo_u32 v7, s28, v21
	v_mov_b32_e32 v8, 0
	s_delay_alu instid0(VALU_DEP_1) | instskip(SKIP_1) | instid1(VALU_DEP_1)
	v_lshlrev_b64_e32 v[7:8], 3, v[7:8]
	s_wait_alu 0xfffe
	v_add_co_u32 v7, vcc_lo, s24, v7
	s_wait_alu 0xfffd
	s_delay_alu instid0(VALU_DEP_2)
	v_add_co_ci_u32_e64 v8, null, s25, v8, vcc_lo
	global_load_b64 v[7:8], v[7:8], off
.LBB225_30:
	s_or_b32 exec_lo, exec_lo, s9
	v_lshl_add_u32 v59, v68, 3, v66
	v_lshl_add_u32 v60, v25, 3, v66
	;; [unrolled: 1-line block ×5, first 2 shown]
	s_wait_loadcnt 0x0
	ds_store_b64 v59, v[13:14]
	ds_store_b64 v60, v[42:43] offset:4096
	ds_store_b64 v61, v[9:10] offset:8192
	ds_store_b64 v62, v[11:12] offset:12288
	v_lshlrev_b32_e32 v9, 3, v66
	v_lshl_add_u32 v42, v22, 3, v66
	v_lshl_add_u32 v43, v18, 3, v66
	;; [unrolled: 1-line block ×3, first 2 shown]
	ds_store_b64 v42, v[1:2] offset:16384
	ds_store_b64 v43, v[3:4] offset:20480
	;; [unrolled: 1-line block ×4, first 2 shown]
	v_lshl_add_u32 v65, v15, 3, v9
	s_wait_dscnt 0x0
	s_barrier_signal -1
	s_barrier_wait -1
	global_inv scope:SCOPE_SE
	ds_load_2addr_b64 v[13:16], v65 offset1:1
	ds_load_2addr_b64 v[9:12], v65 offset0:2 offset1:3
	ds_load_2addr_b64 v[5:8], v65 offset0:4 offset1:5
	;; [unrolled: 1-line block ×3, first 2 shown]
	v_bfe_u32 v71, v0, 10, 10
	v_bfe_u32 v72, v0, 20, 10
	v_mbcnt_lo_u32_b32 v69, -1, 0
	v_and_b32_e32 v70, 0x3e0, v46
	v_lshlrev_b32_e32 v67, 2, v66
	s_and_b32 vcc_lo, exec_lo, s8
	s_wait_loadcnt_dscnt 0x0
	s_barrier_signal -1
	s_barrier_wait -1
	global_inv scope:SCOPE_SE
	s_wait_alu 0xfffe
	s_cbranch_vccz .LBB225_82
; %bb.31:
	v_pk_ashrrev_i16 v0, 15, v49 op_sel_hi:[0,1]
	v_pk_ashrrev_i16 v17, 15, v50 op_sel_hi:[0,1]
	;; [unrolled: 1-line block ×4, first 2 shown]
	v_or_b32_e32 v21, v69, v70
	v_or_b32_e32 v0, 0x80008000, v0
	v_or_b32_e32 v20, 0x80008000, v17
	v_or_b32_e32 v22, 0x80008000, v18
	v_or_b32_e32 v24, 0x80008000, v19
	v_and_or_b32 v84, 0x1f00, v66, v69
	s_mov_b32 s12, 0
	v_xor_b32_e32 v17, v0, v49
	v_xor_b32_e32 v18, v20, v50
	;; [unrolled: 1-line block ×4, first 2 shown]
	s_mov_b32 s13, s12
	s_mov_b32 s14, s12
	;; [unrolled: 1-line block ×3, first 2 shown]
	v_lshlrev_b32_e32 v23, 4, v21
	v_lshlrev_b32_e32 v73, 1, v84
	s_getpc_b64 s[8:9]
	s_sext_i32_i16 s9, s9
	s_add_co_u32 s8, s8, _ZN7rocprim17ROCPRIM_400000_NS16block_radix_sortI6__halfLj512ELj8ElLj1ELj1ELj0ELNS0_26block_radix_rank_algorithmE1ELNS0_18block_padding_hintE2ELNS0_4arch9wavefront6targetE0EE19radix_bits_per_passE@rel32@lo+8
	s_add_co_ci_u32 s9, s9, _ZN7rocprim17ROCPRIM_400000_NS16block_radix_sortI6__halfLj512ELj8ElLj1ELj1ELj0ELNS0_26block_radix_rank_algorithmE1ELNS0_18block_padding_hintE2ELNS0_4arch9wavefront6targetE0EE19radix_bits_per_passE@rel32@hi+16
	s_load_b32 s17, s[8:9], 0x0
	ds_store_b128 v23, v[17:20]
	; wave barrier
	ds_load_u16 v74, v73
	v_mad_u32_u24 v0, v21, 48, v23
	ds_load_u16 v75, v73 offset:64
	ds_load_u16 v76, v73 offset:128
	;; [unrolled: 1-line block ×7, first 2 shown]
	s_wait_loadcnt_dscnt 0x0
	s_barrier_signal -1
	s_barrier_wait -1
	global_inv scope:SCOPE_SE
	ds_store_b128 v0, v[13:16]
	ds_store_b128 v0, v[9:12] offset:16
	ds_store_b128 v0, v[5:8] offset:32
	;; [unrolled: 1-line block ×3, first 2 shown]
	v_mad_u32_u24 v29, v84, 6, v73
	; wave barrier
	s_wait_kmcnt 0x0
	s_min_u32 s8, s17, 16
	s_delay_alu instid0(SALU_CYCLE_1) | instskip(SKIP_4) | instid1(VALU_DEP_1)
	s_lshl_b32 s8, -1, s8
	v_cmp_ne_u16_e32 vcc_lo, 0x7fff, v74
	s_not_b32 s9, s8
	s_wait_alu 0xfffd
	v_cndmask_b32_e32 v17, 0xffff8000, v74, vcc_lo
	v_and_b32_e32 v17, 0xffff, v17
	s_delay_alu instid0(VALU_DEP_1)
	v_and_b32_e32 v40, s9, v17
	ds_load_2addr_b64 v[17:20], v29 offset1:32
	ds_load_2addr_b64 v[25:28], v29 offset0:64 offset1:96
	ds_load_2addr_b64 v[21:24], v29 offset0:128 offset1:160
	;; [unrolled: 1-line block ×3, first 2 shown]
	s_wait_loadcnt_dscnt 0x0
	v_and_b32_e32 v0, 1, v40
	v_lshlrev_b32_e32 v33, 30, v40
	v_lshlrev_b32_e32 v36, 28, v40
	s_barrier_signal -1
	s_barrier_wait -1
	v_add_co_u32 v0, s8, v0, -1
	s_wait_alu 0xf1ff
	v_cndmask_b32_e64 v34, 0, 1, s8
	v_not_b32_e32 v35, v33
	v_cmp_gt_i32_e64 s8, 0, v33
	global_inv scope:SCOPE_SE
	v_cmp_ne_u32_e32 vcc_lo, 0, v34
	v_lshlrev_b32_e32 v34, 29, v40
	v_ashrrev_i32_e32 v33, 31, v35
	s_wait_alu 0xfffd
	v_xor_b32_e32 v0, vcc_lo, v0
	s_delay_alu instid0(VALU_DEP_3)
	v_not_b32_e32 v35, v34
	s_wait_alu 0xf1ff
	v_xor_b32_e32 v33, s8, v33
	v_cmp_gt_i32_e32 vcc_lo, 0, v34
	s_load_b32 s8, s[34:35], 0xc
	v_and_b32_e32 v0, exec_lo, v0
	v_ashrrev_i32_e32 v34, 31, v35
	v_not_b32_e32 v35, v36
	s_delay_alu instid0(VALU_DEP_3) | instskip(SKIP_1) | instid1(VALU_DEP_4)
	v_and_b32_e32 v0, v0, v33
	v_lshlrev_b32_e32 v33, 27, v40
	v_xor_b32_e32 v34, vcc_lo, v34
	v_cmp_gt_i32_e32 vcc_lo, 0, v36
	v_ashrrev_i32_e32 v35, 31, v35
	s_delay_alu instid0(VALU_DEP_4) | instskip(NEXT) | instid1(VALU_DEP_4)
	v_not_b32_e32 v36, v33
	v_and_b32_e32 v0, v0, v34
	v_lshlrev_b32_e32 v34, 26, v40
	s_wait_alu 0xfffd
	v_xor_b32_e32 v35, vcc_lo, v35
	v_cmp_gt_i32_e32 vcc_lo, 0, v33
	v_ashrrev_i32_e32 v33, 31, v36
	v_not_b32_e32 v36, v34
	s_delay_alu instid0(VALU_DEP_4)
	v_and_b32_e32 v0, v0, v35
	v_lshlrev_b32_e32 v35, 25, v40
	s_wait_alu 0xfffd
	v_xor_b32_e32 v33, vcc_lo, v33
	v_cmp_gt_i32_e32 vcc_lo, 0, v34
	v_ashrrev_i32_e32 v34, 31, v36
	s_wait_kmcnt 0x0
	s_lshr_b32 s10, s8, 16
	v_not_b32_e32 v36, v35
	v_and_b32_e32 v0, v0, v33
	v_lshlrev_b32_e32 v33, 24, v40
	s_wait_alu 0xfffd
	v_xor_b32_e32 v34, vcc_lo, v34
	v_cmp_gt_i32_e32 vcc_lo, 0, v35
	v_ashrrev_i32_e32 v35, 31, v36
	v_mad_u32_u24 v37, v72, s10, v71
	v_not_b32_e32 v36, v33
	v_and_b32_e32 v0, v0, v34
	s_and_b32 s8, s8, 0xffff
	s_wait_alu 0xfffd
	v_xor_b32_e32 v34, vcc_lo, v35
	v_cmp_gt_i32_e32 vcc_lo, 0, v33
	v_ashrrev_i32_e32 v33, 31, v36
	s_wait_alu 0xfffe
	v_mad_co_u64_u32 v[38:39], null, v37, s8, v[46:47]
	v_dual_mov_b32 v37, s15 :: v_dual_and_b32 v0, v0, v34
	s_wait_alu 0xfffd
	v_xor_b32_e32 v33, vcc_lo, v33
	v_dual_mov_b32 v36, s14 :: v_dual_mov_b32 v35, s13
	v_mov_b32_e32 v34, s12
	ds_store_b128 v67, v[34:37] offset:64
	ds_store_b128 v67, v[34:37] offset:80
	v_and_b32_e32 v33, v0, v33
	v_lshrrev_b32_e32 v0, 5, v38
	v_lshlrev_b32_e32 v34, 6, v40
	s_wait_loadcnt_dscnt 0x0
	s_barrier_signal -1
	v_mbcnt_lo_u32_b32 v86, v33, 0
	v_lshlrev_b32_e32 v0, 2, v0
	v_cmp_ne_u32_e64 s8, 0, v33
	s_barrier_wait -1
	global_inv scope:SCOPE_SE
	v_cmp_eq_u32_e32 vcc_lo, 0, v86
	v_add_nc_u32_e32 v87, v0, v34
	; wave barrier
	s_and_b32 s10, s8, vcc_lo
	s_wait_alu 0xfffe
	s_and_saveexec_b32 s8, s10
; %bb.32:
	v_bcnt_u32_b32 v33, v33, 0
	ds_store_b32 v87, v33 offset:64
; %bb.33:
	s_wait_alu 0xfffe
	s_or_b32 exec_lo, exec_lo, s8
	v_cmp_ne_u16_e32 vcc_lo, 0x7fff, v75
	; wave barrier
	s_wait_alu 0xfffd
	v_cndmask_b32_e32 v33, 0xffff8000, v75, vcc_lo
	s_delay_alu instid0(VALU_DEP_1) | instskip(NEXT) | instid1(VALU_DEP_1)
	v_and_b32_e32 v33, 0xffff, v33
	v_and_b32_e32 v33, s9, v33
	s_delay_alu instid0(VALU_DEP_1)
	v_and_b32_e32 v34, 1, v33
	v_lshlrev_b32_e32 v35, 30, v33
	v_lshlrev_b32_e32 v36, 29, v33
	;; [unrolled: 1-line block ×4, first 2 shown]
	v_add_co_u32 v34, s8, v34, -1
	s_wait_alu 0xf1ff
	v_cndmask_b32_e64 v38, 0, 1, s8
	v_not_b32_e32 v83, v35
	v_cmp_gt_i32_e64 s8, 0, v35
	v_not_b32_e32 v35, v36
	v_lshlrev_b32_e32 v40, 26, v33
	v_cmp_ne_u32_e32 vcc_lo, 0, v38
	v_ashrrev_i32_e32 v83, 31, v83
	v_lshlrev_b32_e32 v82, 25, v33
	v_ashrrev_i32_e32 v35, 31, v35
	v_lshlrev_b32_e32 v38, 24, v33
	s_wait_alu 0xfffd
	v_xor_b32_e32 v34, vcc_lo, v34
	v_cmp_gt_i32_e32 vcc_lo, 0, v36
	v_not_b32_e32 v36, v37
	s_wait_alu 0xf1ff
	v_xor_b32_e32 v83, s8, v83
	v_cmp_gt_i32_e64 s8, 0, v37
	v_and_b32_e32 v34, exec_lo, v34
	v_not_b32_e32 v37, v39
	v_ashrrev_i32_e32 v36, 31, v36
	s_wait_alu 0xfffd
	v_xor_b32_e32 v35, vcc_lo, v35
	v_cmp_gt_i32_e32 vcc_lo, 0, v39
	v_and_b32_e32 v34, v34, v83
	v_not_b32_e32 v39, v40
	v_ashrrev_i32_e32 v37, 31, v37
	s_wait_alu 0xf1ff
	v_xor_b32_e32 v36, s8, v36
	v_cmp_gt_i32_e64 s8, 0, v40
	v_and_b32_e32 v34, v34, v35
	v_not_b32_e32 v35, v82
	v_ashrrev_i32_e32 v39, 31, v39
	s_wait_alu 0xfffd
	v_xor_b32_e32 v37, vcc_lo, v37
	v_cmp_gt_i32_e32 vcc_lo, 0, v82
	v_and_b32_e32 v34, v34, v36
	v_not_b32_e32 v36, v38
	v_ashrrev_i32_e32 v35, 31, v35
	s_wait_alu 0xf1ff
	v_xor_b32_e32 v39, s8, v39
	v_lshlrev_b32_e32 v33, 6, v33
	v_and_b32_e32 v34, v34, v37
	v_cmp_gt_i32_e64 s8, 0, v38
	v_ashrrev_i32_e32 v36, 31, v36
	s_wait_alu 0xfffd
	v_xor_b32_e32 v35, vcc_lo, v35
	v_add_nc_u32_e32 v90, v0, v33
	v_and_b32_e32 v34, v34, v39
	s_wait_alu 0xf1ff
	v_xor_b32_e32 v33, s8, v36
	ds_load_b32 v88, v90 offset:64
	v_and_b32_e32 v34, v34, v35
	; wave barrier
	s_delay_alu instid0(VALU_DEP_1) | instskip(NEXT) | instid1(VALU_DEP_1)
	v_and_b32_e32 v33, v34, v33
	v_mbcnt_lo_u32_b32 v89, v33, 0
	v_cmp_ne_u32_e64 s8, 0, v33
	s_delay_alu instid0(VALU_DEP_2)
	v_cmp_eq_u32_e32 vcc_lo, 0, v89
	s_and_b32 s10, s8, vcc_lo
	s_wait_alu 0xfffe
	s_and_saveexec_b32 s8, s10
	s_cbranch_execz .LBB225_35
; %bb.34:
	s_wait_dscnt 0x0
	v_bcnt_u32_b32 v33, v33, v88
	ds_store_b32 v90, v33 offset:64
.LBB225_35:
	s_wait_alu 0xfffe
	s_or_b32 exec_lo, exec_lo, s8
	v_cmp_ne_u16_e32 vcc_lo, 0x7fff, v76
	; wave barrier
	s_wait_alu 0xfffd
	v_cndmask_b32_e32 v33, 0xffff8000, v76, vcc_lo
	s_delay_alu instid0(VALU_DEP_1) | instskip(NEXT) | instid1(VALU_DEP_1)
	v_and_b32_e32 v33, 0xffff, v33
	v_and_b32_e32 v33, s9, v33
	s_delay_alu instid0(VALU_DEP_1)
	v_and_b32_e32 v34, 1, v33
	v_lshlrev_b32_e32 v35, 30, v33
	v_lshlrev_b32_e32 v36, 29, v33
	v_lshlrev_b32_e32 v37, 28, v33
	v_lshlrev_b32_e32 v39, 27, v33
	v_add_co_u32 v34, s8, v34, -1
	s_wait_alu 0xf1ff
	v_cndmask_b32_e64 v38, 0, 1, s8
	v_not_b32_e32 v83, v35
	v_cmp_gt_i32_e64 s8, 0, v35
	v_not_b32_e32 v35, v36
	v_lshlrev_b32_e32 v40, 26, v33
	v_cmp_ne_u32_e32 vcc_lo, 0, v38
	v_ashrrev_i32_e32 v83, 31, v83
	v_lshlrev_b32_e32 v82, 25, v33
	v_ashrrev_i32_e32 v35, 31, v35
	v_lshlrev_b32_e32 v38, 24, v33
	s_wait_alu 0xfffd
	v_xor_b32_e32 v34, vcc_lo, v34
	v_cmp_gt_i32_e32 vcc_lo, 0, v36
	v_not_b32_e32 v36, v37
	s_wait_alu 0xf1ff
	v_xor_b32_e32 v83, s8, v83
	v_cmp_gt_i32_e64 s8, 0, v37
	v_and_b32_e32 v34, exec_lo, v34
	v_not_b32_e32 v37, v39
	v_ashrrev_i32_e32 v36, 31, v36
	s_wait_alu 0xfffd
	v_xor_b32_e32 v35, vcc_lo, v35
	v_cmp_gt_i32_e32 vcc_lo, 0, v39
	v_and_b32_e32 v34, v34, v83
	v_not_b32_e32 v39, v40
	v_ashrrev_i32_e32 v37, 31, v37
	s_wait_alu 0xf1ff
	v_xor_b32_e32 v36, s8, v36
	v_cmp_gt_i32_e64 s8, 0, v40
	v_and_b32_e32 v34, v34, v35
	v_not_b32_e32 v35, v82
	v_ashrrev_i32_e32 v39, 31, v39
	s_wait_alu 0xfffd
	v_xor_b32_e32 v37, vcc_lo, v37
	v_cmp_gt_i32_e32 vcc_lo, 0, v82
	v_and_b32_e32 v34, v34, v36
	v_not_b32_e32 v36, v38
	v_ashrrev_i32_e32 v35, 31, v35
	s_wait_alu 0xf1ff
	v_xor_b32_e32 v39, s8, v39
	v_lshlrev_b32_e32 v33, 6, v33
	v_and_b32_e32 v34, v34, v37
	v_cmp_gt_i32_e64 s8, 0, v38
	v_ashrrev_i32_e32 v36, 31, v36
	s_wait_alu 0xfffd
	v_xor_b32_e32 v35, vcc_lo, v35
	v_add_nc_u32_e32 v93, v0, v33
	v_and_b32_e32 v34, v34, v39
	s_wait_alu 0xf1ff
	v_xor_b32_e32 v33, s8, v36
	ds_load_b32 v91, v93 offset:64
	v_and_b32_e32 v34, v34, v35
	; wave barrier
	s_delay_alu instid0(VALU_DEP_1) | instskip(NEXT) | instid1(VALU_DEP_1)
	v_and_b32_e32 v33, v34, v33
	v_mbcnt_lo_u32_b32 v92, v33, 0
	v_cmp_ne_u32_e64 s8, 0, v33
	s_delay_alu instid0(VALU_DEP_2)
	v_cmp_eq_u32_e32 vcc_lo, 0, v92
	s_and_b32 s10, s8, vcc_lo
	s_wait_alu 0xfffe
	s_and_saveexec_b32 s8, s10
	s_cbranch_execz .LBB225_37
; %bb.36:
	s_wait_dscnt 0x0
	v_bcnt_u32_b32 v33, v33, v91
	ds_store_b32 v93, v33 offset:64
.LBB225_37:
	s_wait_alu 0xfffe
	s_or_b32 exec_lo, exec_lo, s8
	v_cmp_ne_u16_e32 vcc_lo, 0x7fff, v77
	; wave barrier
	s_wait_alu 0xfffd
	v_cndmask_b32_e32 v33, 0xffff8000, v77, vcc_lo
	s_delay_alu instid0(VALU_DEP_1) | instskip(NEXT) | instid1(VALU_DEP_1)
	v_and_b32_e32 v33, 0xffff, v33
	v_and_b32_e32 v33, s9, v33
	s_delay_alu instid0(VALU_DEP_1)
	v_and_b32_e32 v34, 1, v33
	v_lshlrev_b32_e32 v35, 30, v33
	v_lshlrev_b32_e32 v36, 29, v33
	;; [unrolled: 1-line block ×4, first 2 shown]
	v_add_co_u32 v34, s8, v34, -1
	s_wait_alu 0xf1ff
	v_cndmask_b32_e64 v38, 0, 1, s8
	v_not_b32_e32 v83, v35
	v_cmp_gt_i32_e64 s8, 0, v35
	v_not_b32_e32 v35, v36
	v_lshlrev_b32_e32 v40, 26, v33
	v_cmp_ne_u32_e32 vcc_lo, 0, v38
	v_ashrrev_i32_e32 v83, 31, v83
	v_lshlrev_b32_e32 v82, 25, v33
	v_ashrrev_i32_e32 v35, 31, v35
	v_lshlrev_b32_e32 v38, 24, v33
	s_wait_alu 0xfffd
	v_xor_b32_e32 v34, vcc_lo, v34
	v_cmp_gt_i32_e32 vcc_lo, 0, v36
	v_not_b32_e32 v36, v37
	s_wait_alu 0xf1ff
	v_xor_b32_e32 v83, s8, v83
	v_cmp_gt_i32_e64 s8, 0, v37
	v_and_b32_e32 v34, exec_lo, v34
	v_not_b32_e32 v37, v39
	v_ashrrev_i32_e32 v36, 31, v36
	s_wait_alu 0xfffd
	v_xor_b32_e32 v35, vcc_lo, v35
	v_cmp_gt_i32_e32 vcc_lo, 0, v39
	v_and_b32_e32 v34, v34, v83
	v_not_b32_e32 v39, v40
	v_ashrrev_i32_e32 v37, 31, v37
	s_wait_alu 0xf1ff
	v_xor_b32_e32 v36, s8, v36
	v_cmp_gt_i32_e64 s8, 0, v40
	v_and_b32_e32 v34, v34, v35
	v_not_b32_e32 v35, v82
	v_ashrrev_i32_e32 v39, 31, v39
	s_wait_alu 0xfffd
	v_xor_b32_e32 v37, vcc_lo, v37
	v_cmp_gt_i32_e32 vcc_lo, 0, v82
	v_and_b32_e32 v34, v34, v36
	v_not_b32_e32 v36, v38
	v_ashrrev_i32_e32 v35, 31, v35
	s_wait_alu 0xf1ff
	v_xor_b32_e32 v39, s8, v39
	v_lshlrev_b32_e32 v33, 6, v33
	v_and_b32_e32 v34, v34, v37
	v_cmp_gt_i32_e64 s8, 0, v38
	v_ashrrev_i32_e32 v36, 31, v36
	s_wait_alu 0xfffd
	v_xor_b32_e32 v35, vcc_lo, v35
	v_add_nc_u32_e32 v96, v0, v33
	v_and_b32_e32 v34, v34, v39
	s_wait_alu 0xf1ff
	v_xor_b32_e32 v33, s8, v36
	ds_load_b32 v94, v96 offset:64
	v_and_b32_e32 v34, v34, v35
	; wave barrier
	s_delay_alu instid0(VALU_DEP_1) | instskip(NEXT) | instid1(VALU_DEP_1)
	v_and_b32_e32 v33, v34, v33
	v_mbcnt_lo_u32_b32 v95, v33, 0
	v_cmp_ne_u32_e64 s8, 0, v33
	s_delay_alu instid0(VALU_DEP_2)
	v_cmp_eq_u32_e32 vcc_lo, 0, v95
	s_and_b32 s10, s8, vcc_lo
	s_wait_alu 0xfffe
	s_and_saveexec_b32 s8, s10
	s_cbranch_execz .LBB225_39
; %bb.38:
	s_wait_dscnt 0x0
	v_bcnt_u32_b32 v33, v33, v94
	ds_store_b32 v96, v33 offset:64
.LBB225_39:
	s_wait_alu 0xfffe
	s_or_b32 exec_lo, exec_lo, s8
	v_cmp_ne_u16_e32 vcc_lo, 0x7fff, v78
	; wave barrier
	s_wait_alu 0xfffd
	v_cndmask_b32_e32 v33, 0xffff8000, v78, vcc_lo
	s_delay_alu instid0(VALU_DEP_1) | instskip(NEXT) | instid1(VALU_DEP_1)
	v_and_b32_e32 v33, 0xffff, v33
	v_and_b32_e32 v33, s9, v33
	s_delay_alu instid0(VALU_DEP_1)
	v_and_b32_e32 v34, 1, v33
	v_lshlrev_b32_e32 v35, 30, v33
	v_lshlrev_b32_e32 v36, 29, v33
	;; [unrolled: 1-line block ×4, first 2 shown]
	v_add_co_u32 v34, s8, v34, -1
	s_wait_alu 0xf1ff
	v_cndmask_b32_e64 v38, 0, 1, s8
	v_not_b32_e32 v83, v35
	v_cmp_gt_i32_e64 s8, 0, v35
	v_not_b32_e32 v35, v36
	v_lshlrev_b32_e32 v40, 26, v33
	v_cmp_ne_u32_e32 vcc_lo, 0, v38
	v_ashrrev_i32_e32 v83, 31, v83
	v_lshlrev_b32_e32 v82, 25, v33
	v_ashrrev_i32_e32 v35, 31, v35
	v_lshlrev_b32_e32 v38, 24, v33
	s_wait_alu 0xfffd
	v_xor_b32_e32 v34, vcc_lo, v34
	v_cmp_gt_i32_e32 vcc_lo, 0, v36
	v_not_b32_e32 v36, v37
	s_wait_alu 0xf1ff
	v_xor_b32_e32 v83, s8, v83
	v_cmp_gt_i32_e64 s8, 0, v37
	v_and_b32_e32 v34, exec_lo, v34
	v_not_b32_e32 v37, v39
	v_ashrrev_i32_e32 v36, 31, v36
	s_wait_alu 0xfffd
	v_xor_b32_e32 v35, vcc_lo, v35
	v_cmp_gt_i32_e32 vcc_lo, 0, v39
	v_and_b32_e32 v34, v34, v83
	v_not_b32_e32 v39, v40
	v_ashrrev_i32_e32 v37, 31, v37
	s_wait_alu 0xf1ff
	v_xor_b32_e32 v36, s8, v36
	v_cmp_gt_i32_e64 s8, 0, v40
	v_and_b32_e32 v34, v34, v35
	v_not_b32_e32 v35, v82
	v_ashrrev_i32_e32 v39, 31, v39
	s_wait_alu 0xfffd
	v_xor_b32_e32 v37, vcc_lo, v37
	v_cmp_gt_i32_e32 vcc_lo, 0, v82
	v_and_b32_e32 v34, v34, v36
	v_not_b32_e32 v36, v38
	v_ashrrev_i32_e32 v35, 31, v35
	s_wait_alu 0xf1ff
	v_xor_b32_e32 v39, s8, v39
	v_lshlrev_b32_e32 v33, 6, v33
	v_and_b32_e32 v34, v34, v37
	v_cmp_gt_i32_e64 s8, 0, v38
	v_ashrrev_i32_e32 v36, 31, v36
	s_wait_alu 0xfffd
	v_xor_b32_e32 v35, vcc_lo, v35
	v_add_nc_u32_e32 v99, v0, v33
	v_and_b32_e32 v34, v34, v39
	s_wait_alu 0xf1ff
	v_xor_b32_e32 v33, s8, v36
	ds_load_b32 v97, v99 offset:64
	v_and_b32_e32 v34, v34, v35
	; wave barrier
	s_delay_alu instid0(VALU_DEP_1) | instskip(NEXT) | instid1(VALU_DEP_1)
	v_and_b32_e32 v33, v34, v33
	v_mbcnt_lo_u32_b32 v98, v33, 0
	v_cmp_ne_u32_e64 s8, 0, v33
	s_delay_alu instid0(VALU_DEP_2)
	v_cmp_eq_u32_e32 vcc_lo, 0, v98
	s_and_b32 s10, s8, vcc_lo
	s_wait_alu 0xfffe
	s_and_saveexec_b32 s8, s10
	s_cbranch_execz .LBB225_41
; %bb.40:
	s_wait_dscnt 0x0
	v_bcnt_u32_b32 v33, v33, v97
	ds_store_b32 v99, v33 offset:64
.LBB225_41:
	s_wait_alu 0xfffe
	s_or_b32 exec_lo, exec_lo, s8
	v_cmp_ne_u16_e32 vcc_lo, 0x7fff, v79
	; wave barrier
	s_wait_alu 0xfffd
	v_cndmask_b32_e32 v33, 0xffff8000, v79, vcc_lo
	s_delay_alu instid0(VALU_DEP_1) | instskip(NEXT) | instid1(VALU_DEP_1)
	v_and_b32_e32 v33, 0xffff, v33
	v_and_b32_e32 v33, s9, v33
	s_delay_alu instid0(VALU_DEP_1)
	v_and_b32_e32 v34, 1, v33
	v_lshlrev_b32_e32 v35, 30, v33
	v_lshlrev_b32_e32 v36, 29, v33
	;; [unrolled: 1-line block ×4, first 2 shown]
	v_add_co_u32 v34, s8, v34, -1
	s_wait_alu 0xf1ff
	v_cndmask_b32_e64 v38, 0, 1, s8
	v_not_b32_e32 v83, v35
	v_cmp_gt_i32_e64 s8, 0, v35
	v_not_b32_e32 v35, v36
	v_lshlrev_b32_e32 v40, 26, v33
	v_cmp_ne_u32_e32 vcc_lo, 0, v38
	v_ashrrev_i32_e32 v83, 31, v83
	v_lshlrev_b32_e32 v82, 25, v33
	v_ashrrev_i32_e32 v35, 31, v35
	v_lshlrev_b32_e32 v38, 24, v33
	s_wait_alu 0xfffd
	v_xor_b32_e32 v34, vcc_lo, v34
	v_cmp_gt_i32_e32 vcc_lo, 0, v36
	v_not_b32_e32 v36, v37
	s_wait_alu 0xf1ff
	v_xor_b32_e32 v83, s8, v83
	v_cmp_gt_i32_e64 s8, 0, v37
	v_and_b32_e32 v34, exec_lo, v34
	v_not_b32_e32 v37, v39
	v_ashrrev_i32_e32 v36, 31, v36
	s_wait_alu 0xfffd
	v_xor_b32_e32 v35, vcc_lo, v35
	v_cmp_gt_i32_e32 vcc_lo, 0, v39
	v_and_b32_e32 v34, v34, v83
	v_not_b32_e32 v39, v40
	v_ashrrev_i32_e32 v37, 31, v37
	s_wait_alu 0xf1ff
	v_xor_b32_e32 v36, s8, v36
	v_cmp_gt_i32_e64 s8, 0, v40
	v_and_b32_e32 v34, v34, v35
	v_not_b32_e32 v35, v82
	v_ashrrev_i32_e32 v39, 31, v39
	s_wait_alu 0xfffd
	v_xor_b32_e32 v37, vcc_lo, v37
	v_cmp_gt_i32_e32 vcc_lo, 0, v82
	v_and_b32_e32 v34, v34, v36
	v_not_b32_e32 v36, v38
	v_ashrrev_i32_e32 v35, 31, v35
	s_wait_alu 0xf1ff
	v_xor_b32_e32 v39, s8, v39
	v_lshlrev_b32_e32 v33, 6, v33
	v_and_b32_e32 v34, v34, v37
	v_cmp_gt_i32_e64 s8, 0, v38
	v_ashrrev_i32_e32 v36, 31, v36
	s_wait_alu 0xfffd
	v_xor_b32_e32 v35, vcc_lo, v35
	v_add_nc_u32_e32 v102, v0, v33
	v_and_b32_e32 v34, v34, v39
	s_wait_alu 0xf1ff
	v_xor_b32_e32 v33, s8, v36
	ds_load_b32 v100, v102 offset:64
	v_and_b32_e32 v34, v34, v35
	; wave barrier
	s_delay_alu instid0(VALU_DEP_1) | instskip(NEXT) | instid1(VALU_DEP_1)
	v_and_b32_e32 v33, v34, v33
	v_mbcnt_lo_u32_b32 v101, v33, 0
	v_cmp_ne_u32_e64 s8, 0, v33
	s_delay_alu instid0(VALU_DEP_2)
	v_cmp_eq_u32_e32 vcc_lo, 0, v101
	s_and_b32 s10, s8, vcc_lo
	s_wait_alu 0xfffe
	s_and_saveexec_b32 s8, s10
	s_cbranch_execz .LBB225_43
; %bb.42:
	s_wait_dscnt 0x0
	v_bcnt_u32_b32 v33, v33, v100
	ds_store_b32 v102, v33 offset:64
.LBB225_43:
	s_wait_alu 0xfffe
	s_or_b32 exec_lo, exec_lo, s8
	v_cmp_ne_u16_e32 vcc_lo, 0x7fff, v80
	; wave barrier
	s_wait_alu 0xfffd
	v_cndmask_b32_e32 v33, 0xffff8000, v80, vcc_lo
	s_delay_alu instid0(VALU_DEP_1) | instskip(NEXT) | instid1(VALU_DEP_1)
	v_and_b32_e32 v33, 0xffff, v33
	v_and_b32_e32 v33, s9, v33
	s_delay_alu instid0(VALU_DEP_1)
	v_and_b32_e32 v34, 1, v33
	v_lshlrev_b32_e32 v35, 30, v33
	v_lshlrev_b32_e32 v36, 29, v33
	v_lshlrev_b32_e32 v37, 28, v33
	v_lshlrev_b32_e32 v39, 27, v33
	v_add_co_u32 v34, s8, v34, -1
	s_wait_alu 0xf1ff
	v_cndmask_b32_e64 v38, 0, 1, s8
	v_not_b32_e32 v83, v35
	v_cmp_gt_i32_e64 s8, 0, v35
	v_not_b32_e32 v35, v36
	v_lshlrev_b32_e32 v40, 26, v33
	v_cmp_ne_u32_e32 vcc_lo, 0, v38
	v_ashrrev_i32_e32 v83, 31, v83
	v_lshlrev_b32_e32 v82, 25, v33
	v_ashrrev_i32_e32 v35, 31, v35
	v_lshlrev_b32_e32 v38, 24, v33
	s_wait_alu 0xfffd
	v_xor_b32_e32 v34, vcc_lo, v34
	v_cmp_gt_i32_e32 vcc_lo, 0, v36
	v_not_b32_e32 v36, v37
	s_wait_alu 0xf1ff
	v_xor_b32_e32 v83, s8, v83
	v_cmp_gt_i32_e64 s8, 0, v37
	v_and_b32_e32 v34, exec_lo, v34
	v_not_b32_e32 v37, v39
	v_ashrrev_i32_e32 v36, 31, v36
	s_wait_alu 0xfffd
	v_xor_b32_e32 v35, vcc_lo, v35
	v_cmp_gt_i32_e32 vcc_lo, 0, v39
	v_and_b32_e32 v34, v34, v83
	v_not_b32_e32 v39, v40
	v_ashrrev_i32_e32 v37, 31, v37
	s_wait_alu 0xf1ff
	v_xor_b32_e32 v36, s8, v36
	v_cmp_gt_i32_e64 s8, 0, v40
	v_and_b32_e32 v34, v34, v35
	v_not_b32_e32 v35, v82
	v_ashrrev_i32_e32 v39, 31, v39
	s_wait_alu 0xfffd
	v_xor_b32_e32 v37, vcc_lo, v37
	v_cmp_gt_i32_e32 vcc_lo, 0, v82
	v_and_b32_e32 v34, v34, v36
	v_not_b32_e32 v36, v38
	v_ashrrev_i32_e32 v35, 31, v35
	s_wait_alu 0xf1ff
	v_xor_b32_e32 v39, s8, v39
	v_lshlrev_b32_e32 v33, 6, v33
	v_and_b32_e32 v34, v34, v37
	v_cmp_gt_i32_e64 s8, 0, v38
	v_ashrrev_i32_e32 v36, 31, v36
	s_wait_alu 0xfffd
	v_xor_b32_e32 v35, vcc_lo, v35
	v_add_nc_u32_e32 v105, v0, v33
	v_and_b32_e32 v34, v34, v39
	s_wait_alu 0xf1ff
	v_xor_b32_e32 v33, s8, v36
	ds_load_b32 v103, v105 offset:64
	v_and_b32_e32 v34, v34, v35
	; wave barrier
	s_delay_alu instid0(VALU_DEP_1) | instskip(NEXT) | instid1(VALU_DEP_1)
	v_and_b32_e32 v33, v34, v33
	v_mbcnt_lo_u32_b32 v104, v33, 0
	v_cmp_ne_u32_e64 s8, 0, v33
	s_delay_alu instid0(VALU_DEP_2)
	v_cmp_eq_u32_e32 vcc_lo, 0, v104
	s_and_b32 s10, s8, vcc_lo
	s_wait_alu 0xfffe
	s_and_saveexec_b32 s8, s10
	s_cbranch_execz .LBB225_45
; %bb.44:
	s_wait_dscnt 0x0
	v_bcnt_u32_b32 v33, v33, v103
	ds_store_b32 v105, v33 offset:64
.LBB225_45:
	s_wait_alu 0xfffe
	s_or_b32 exec_lo, exec_lo, s8
	v_cmp_ne_u16_e32 vcc_lo, 0x7fff, v81
	; wave barrier
	s_wait_alu 0xfffd
	v_cndmask_b32_e32 v33, 0xffff8000, v81, vcc_lo
	s_delay_alu instid0(VALU_DEP_1) | instskip(NEXT) | instid1(VALU_DEP_1)
	v_and_b32_e32 v33, 0xffff, v33
	v_and_b32_e32 v33, s9, v33
	s_delay_alu instid0(VALU_DEP_1)
	v_and_b32_e32 v34, 1, v33
	v_lshlrev_b32_e32 v35, 30, v33
	v_lshlrev_b32_e32 v36, 29, v33
	v_lshlrev_b32_e32 v37, 28, v33
	v_lshlrev_b32_e32 v39, 27, v33
	v_add_co_u32 v34, s8, v34, -1
	s_wait_alu 0xf1ff
	v_cndmask_b32_e64 v38, 0, 1, s8
	v_not_b32_e32 v83, v35
	v_cmp_gt_i32_e64 s8, 0, v35
	v_not_b32_e32 v35, v36
	v_lshlrev_b32_e32 v40, 26, v33
	v_cmp_ne_u32_e32 vcc_lo, 0, v38
	v_ashrrev_i32_e32 v83, 31, v83
	v_lshlrev_b32_e32 v82, 25, v33
	v_ashrrev_i32_e32 v35, 31, v35
	v_lshlrev_b32_e32 v38, 24, v33
	s_wait_alu 0xfffd
	v_xor_b32_e32 v34, vcc_lo, v34
	v_cmp_gt_i32_e32 vcc_lo, 0, v36
	v_not_b32_e32 v36, v37
	s_wait_alu 0xf1ff
	v_xor_b32_e32 v83, s8, v83
	v_cmp_gt_i32_e64 s8, 0, v37
	v_and_b32_e32 v34, exec_lo, v34
	v_not_b32_e32 v37, v39
	v_ashrrev_i32_e32 v36, 31, v36
	s_wait_alu 0xfffd
	v_xor_b32_e32 v35, vcc_lo, v35
	v_cmp_gt_i32_e32 vcc_lo, 0, v39
	v_and_b32_e32 v34, v34, v83
	v_not_b32_e32 v39, v40
	v_ashrrev_i32_e32 v37, 31, v37
	s_wait_alu 0xf1ff
	v_xor_b32_e32 v36, s8, v36
	v_cmp_gt_i32_e64 s8, 0, v40
	v_and_b32_e32 v34, v34, v35
	v_not_b32_e32 v35, v82
	v_ashrrev_i32_e32 v39, 31, v39
	s_wait_alu 0xfffd
	v_xor_b32_e32 v37, vcc_lo, v37
	v_cmp_gt_i32_e32 vcc_lo, 0, v82
	v_and_b32_e32 v34, v34, v36
	v_not_b32_e32 v36, v38
	v_ashrrev_i32_e32 v35, 31, v35
	s_wait_alu 0xf1ff
	v_xor_b32_e32 v39, s8, v39
	v_lshlrev_b32_e32 v33, 6, v33
	v_and_b32_e32 v34, v34, v37
	v_cmp_gt_i32_e64 s8, 0, v38
	v_ashrrev_i32_e32 v36, 31, v36
	s_wait_alu 0xfffd
	v_xor_b32_e32 v35, vcc_lo, v35
	v_add_nc_u32_e32 v108, v0, v33
	v_and_b32_e32 v34, v34, v39
	v_min_u32_e32 v82, 0x1e0, v70
	s_wait_alu 0xf1ff
	v_xor_b32_e32 v33, s8, v36
	ds_load_b32 v106, v108 offset:64
	v_and_b32_e32 v34, v34, v35
	; wave barrier
	s_delay_alu instid0(VALU_DEP_1) | instskip(NEXT) | instid1(VALU_DEP_1)
	v_and_b32_e32 v33, v34, v33
	v_mbcnt_lo_u32_b32 v107, v33, 0
	v_cmp_ne_u32_e64 s8, 0, v33
	s_delay_alu instid0(VALU_DEP_2)
	v_cmp_eq_u32_e32 vcc_lo, 0, v107
	s_and_b32 s9, s8, vcc_lo
	s_wait_alu 0xfffe
	s_and_saveexec_b32 s8, s9
	s_cbranch_execz .LBB225_47
; %bb.46:
	s_wait_dscnt 0x0
	v_bcnt_u32_b32 v33, v33, v106
	ds_store_b32 v108, v33 offset:64
.LBB225_47:
	s_wait_alu 0xfffe
	s_or_b32 exec_lo, exec_lo, s8
	; wave barrier
	s_wait_loadcnt_dscnt 0x0
	s_barrier_signal -1
	s_barrier_wait -1
	global_inv scope:SCOPE_SE
	ds_load_b128 v[37:40], v67 offset:64
	ds_load_b128 v[33:36], v67 offset:80
	v_and_b32_e32 v109, 16, v69
	v_or_b32_e32 v82, 31, v82
	s_delay_alu instid0(VALU_DEP_2) | instskip(NEXT) | instid1(VALU_DEP_2)
	v_cmp_eq_u32_e64 s15, 0, v109
	v_cmp_eq_u32_e64 s13, v46, v82
	s_wait_dscnt 0x1
	v_add_nc_u32_e32 v83, v38, v37
	s_delay_alu instid0(VALU_DEP_1) | instskip(SKIP_1) | instid1(VALU_DEP_1)
	v_add3_u32 v83, v83, v39, v40
	s_wait_dscnt 0x0
	v_add3_u32 v83, v83, v33, v34
	s_delay_alu instid0(VALU_DEP_1) | instskip(SKIP_1) | instid1(VALU_DEP_2)
	v_add3_u32 v36, v83, v35, v36
	v_and_b32_e32 v83, 15, v69
	v_mov_b32_dpp v85, v36 row_shr:1 row_mask:0xf bank_mask:0xf
	s_delay_alu instid0(VALU_DEP_2)
	v_cmp_eq_u32_e32 vcc_lo, 0, v83
	v_cmp_lt_u32_e64 s8, 1, v83
	v_cmp_lt_u32_e64 s9, 3, v83
	;; [unrolled: 1-line block ×3, first 2 shown]
	s_wait_alu 0xfffd
	v_cndmask_b32_e64 v85, v85, 0, vcc_lo
	s_delay_alu instid0(VALU_DEP_1) | instskip(NEXT) | instid1(VALU_DEP_1)
	v_add_nc_u32_e32 v36, v85, v36
	v_mov_b32_dpp v85, v36 row_shr:2 row_mask:0xf bank_mask:0xf
	s_wait_alu 0xf1ff
	s_delay_alu instid0(VALU_DEP_1) | instskip(NEXT) | instid1(VALU_DEP_1)
	v_cndmask_b32_e64 v85, 0, v85, s8
	v_add_nc_u32_e32 v36, v36, v85
	s_delay_alu instid0(VALU_DEP_1) | instskip(NEXT) | instid1(VALU_DEP_1)
	v_mov_b32_dpp v85, v36 row_shr:4 row_mask:0xf bank_mask:0xf
	v_cndmask_b32_e64 v85, 0, v85, s9
	s_delay_alu instid0(VALU_DEP_1) | instskip(NEXT) | instid1(VALU_DEP_1)
	v_add_nc_u32_e32 v36, v36, v85
	v_mov_b32_dpp v85, v36 row_shr:8 row_mask:0xf bank_mask:0xf
	s_delay_alu instid0(VALU_DEP_1) | instskip(NEXT) | instid1(VALU_DEP_1)
	v_cndmask_b32_e64 v83, 0, v85, s10
	v_add_nc_u32_e32 v85, v36, v83
	v_bfe_i32 v83, v69, 4, 1
	ds_swizzle_b32 v36, v85 offset:swizzle(BROADCAST,32,15)
	s_wait_dscnt 0x0
	v_and_b32_e32 v110, v83, v36
	v_mul_i32_i24_e32 v36, 0xffffffe4, v46
	v_lshlrev_b32_e32 v83, 2, v68
	s_delay_alu instid0(VALU_DEP_3)
	v_add_nc_u32_e32 v85, v85, v110
	s_and_saveexec_b32 s11, s13
; %bb.48:
	ds_store_b32 v83, v85
; %bb.49:
	s_wait_alu 0xfffe
	s_or_b32 exec_lo, exec_lo, s11
	v_cmp_gt_u32_e64 s12, 16, v46
	v_add_nc_u32_e32 v82, v67, v36
	s_wait_loadcnt_dscnt 0x0
	s_barrier_signal -1
	s_barrier_wait -1
	global_inv scope:SCOPE_SE
	s_and_saveexec_b32 s11, s12
	s_cbranch_execz .LBB225_51
; %bb.50:
	ds_load_b32 v36, v82
	s_wait_dscnt 0x0
	v_mov_b32_dpp v109, v36 row_shr:1 row_mask:0xf bank_mask:0xf
	s_delay_alu instid0(VALU_DEP_1) | instskip(NEXT) | instid1(VALU_DEP_1)
	v_cndmask_b32_e64 v109, v109, 0, vcc_lo
	v_add_nc_u32_e32 v36, v109, v36
	s_delay_alu instid0(VALU_DEP_1) | instskip(NEXT) | instid1(VALU_DEP_1)
	v_mov_b32_dpp v109, v36 row_shr:2 row_mask:0xf bank_mask:0xf
	v_cndmask_b32_e64 v109, 0, v109, s8
	s_delay_alu instid0(VALU_DEP_1) | instskip(NEXT) | instid1(VALU_DEP_1)
	v_add_nc_u32_e32 v36, v36, v109
	v_mov_b32_dpp v109, v36 row_shr:4 row_mask:0xf bank_mask:0xf
	s_delay_alu instid0(VALU_DEP_1) | instskip(NEXT) | instid1(VALU_DEP_1)
	v_cndmask_b32_e64 v109, 0, v109, s9
	v_add_nc_u32_e32 v36, v36, v109
	s_delay_alu instid0(VALU_DEP_1) | instskip(NEXT) | instid1(VALU_DEP_1)
	v_mov_b32_dpp v109, v36 row_shr:8 row_mask:0xf bank_mask:0xf
	v_cndmask_b32_e64 v109, 0, v109, s10
	s_delay_alu instid0(VALU_DEP_1)
	v_add_nc_u32_e32 v36, v36, v109
	ds_store_b32 v82, v36
.LBB225_51:
	s_wait_alu 0xfffe
	s_or_b32 exec_lo, exec_lo, s11
	v_mul_u32_u24_e32 v36, 6, v84
	v_sub_co_u32 v109, s11, v69, 1
	v_cmp_lt_u32_e64 s14, 31, v46
	v_add_nc_u32_e32 v84, -4, v83
	v_mov_b32_e32 v110, 0
	s_wait_loadcnt_dscnt 0x0
	s_barrier_signal -1
	s_barrier_wait -1
	global_inv scope:SCOPE_SE
	s_and_saveexec_b32 s16, s14
; %bb.52:
	ds_load_b32 v110, v84
; %bb.53:
	s_or_b32 exec_lo, exec_lo, s16
	v_cmp_gt_i32_e64 s16, 0, v109
	s_mov_b32 s20, 0
	s_min_u32 s17, s17, 8
	s_mov_b32 s21, s20
	s_mov_b32 s22, s20
	v_cndmask_b32_e64 v109, v109, v69, s16
	s_mov_b32 s23, s20
	s_wait_dscnt 0x0
	v_add_nc_u32_e32 v111, v110, v85
	v_cmp_eq_u32_e64 s16, 0, v46
	s_lshl_b32 s17, -1, s17
	v_lshlrev_b32_e32 v85, 2, v109
	s_wait_alu 0xfffe
	s_not_b32 s19, s17
	ds_bpermute_b32 v109, v85, v111
	s_wait_dscnt 0x0
	v_cndmask_b32_e64 v109, v109, v110, s11
	s_delay_alu instid0(VALU_DEP_1) | instskip(NEXT) | instid1(VALU_DEP_1)
	v_cndmask_b32_e64 v109, v109, 0, s16
	v_add_nc_u32_e32 v110, v109, v37
	s_delay_alu instid0(VALU_DEP_1) | instskip(NEXT) | instid1(VALU_DEP_1)
	v_add_nc_u32_e32 v111, v110, v38
	v_add_nc_u32_e32 v112, v111, v39
	s_delay_alu instid0(VALU_DEP_1) | instskip(NEXT) | instid1(VALU_DEP_1)
	v_add_nc_u32_e32 v37, v112, v40
	;; [unrolled: 3-line block ×3, first 2 shown]
	v_add_nc_u32_e32 v40, v39, v35
	ds_store_b128 v67, v[109:112] offset:64
	ds_store_b128 v67, v[37:40] offset:80
	s_wait_loadcnt_dscnt 0x0
	s_barrier_signal -1
	s_barrier_wait -1
	global_inv scope:SCOPE_SE
	ds_load_b32 v33, v87 offset:64
	ds_load_b32 v34, v90 offset:64
	;; [unrolled: 1-line block ×8, first 2 shown]
	v_add_nc_u32_e32 v90, v73, v36
	s_wait_loadcnt_dscnt 0x0
	s_barrier_signal -1
	s_barrier_wait -1
	global_inv scope:SCOPE_SE
	v_add_nc_u32_e32 v86, v33, v86
	v_add3_u32 v88, v89, v88, v34
	v_add3_u32 v89, v92, v91, v35
	;; [unrolled: 1-line block ×7, first 2 shown]
	v_lshlrev_b32_e32 v33, 1, v86
	v_lshlrev_b32_e32 v34, 1, v88
	;; [unrolled: 1-line block ×8, first 2 shown]
	ds_store_b16 v33, v74
	ds_store_b16 v34, v75
	;; [unrolled: 1-line block ×8, first 2 shown]
	s_wait_loadcnt_dscnt 0x0
	s_barrier_signal -1
	s_barrier_wait -1
	global_inv scope:SCOPE_SE
	ds_load_u16 v74, v73
	ds_load_u16 v75, v73 offset:64
	ds_load_u16 v76, v73 offset:128
	;; [unrolled: 1-line block ×7, first 2 shown]
	v_mad_co_u64_u32 v[86:87], null, v86, 6, v[33:34]
	v_mad_co_u64_u32 v[33:34], null, v88, 6, v[34:35]
	;; [unrolled: 1-line block ×3, first 2 shown]
	s_wait_loadcnt_dscnt 0x0
	s_barrier_signal -1
	s_barrier_wait -1
	global_inv scope:SCOPE_SE
	v_mad_co_u64_u32 v[35:36], null, v91, 6, v[36:37]
	v_lshrrev_b16 v81, 8, v74
	v_cmp_ne_u16_e64 s17, 0x7fff, v74
	ds_store_b64 v86, v[17:18]
	v_mad_co_u64_u32 v[36:37], null, v92, 6, v[37:38]
	v_mad_co_u64_u32 v[37:38], null, v93, 6, v[38:39]
	s_wait_alu 0xf1ff
	v_cndmask_b32_e64 v81, 0x80, v81, s17
	v_mad_co_u64_u32 v[38:39], null, v94, 6, v[39:40]
	v_mad_co_u64_u32 v[39:40], null, v95, 6, v[40:41]
	s_delay_alu instid0(VALU_DEP_3)
	v_and_b32_e32 v17, 0xffff, v81
	ds_store_b64 v33, v[19:20]
	ds_store_b64 v34, v[25:26]
	;; [unrolled: 1-line block ×7, first 2 shown]
	s_wait_alu 0xfffe
	v_and_b32_e32 v40, s19, v17
	s_wait_loadcnt_dscnt 0x0
	s_barrier_signal -1
	s_barrier_wait -1
	global_inv scope:SCOPE_SE
	v_and_b32_e32 v17, 1, v40
	v_lshlrev_b32_e32 v18, 30, v40
	v_lshlrev_b32_e32 v19, 29, v40
	;; [unrolled: 1-line block ×4, first 2 shown]
	v_add_co_u32 v17, s17, v17, -1
	s_wait_alu 0xf1ff
	v_cndmask_b32_e64 v21, 0, 1, s17
	v_not_b32_e32 v25, v18
	v_cmp_gt_i32_e64 s18, 0, v18
	v_not_b32_e32 v18, v19
	v_lshlrev_b32_e32 v23, 26, v40
	v_cmp_ne_u32_e64 s17, 0, v21
	v_ashrrev_i32_e32 v25, 31, v25
	v_lshlrev_b32_e32 v24, 25, v40
	v_ashrrev_i32_e32 v18, 31, v18
	v_lshlrev_b32_e32 v21, 24, v40
	s_wait_alu 0xf1ff
	v_xor_b32_e32 v17, s17, v17
	v_cmp_gt_i32_e64 s17, 0, v19
	v_not_b32_e32 v19, v20
	v_xor_b32_e32 v25, s18, v25
	v_cmp_gt_i32_e64 s18, 0, v20
	v_and_b32_e32 v17, exec_lo, v17
	v_not_b32_e32 v20, v22
	v_ashrrev_i32_e32 v19, 31, v19
	s_wait_alu 0xf1ff
	v_xor_b32_e32 v18, s17, v18
	v_cmp_gt_i32_e64 s17, 0, v22
	v_and_b32_e32 v17, v17, v25
	v_not_b32_e32 v22, v23
	v_ashrrev_i32_e32 v20, 31, v20
	v_xor_b32_e32 v19, s18, v19
	v_cmp_gt_i32_e64 s18, 0, v23
	v_and_b32_e32 v17, v17, v18
	v_not_b32_e32 v18, v24
	v_ashrrev_i32_e32 v22, 31, v22
	s_wait_alu 0xf1ff
	v_xor_b32_e32 v20, s17, v20
	v_cmp_gt_i32_e64 s17, 0, v24
	v_and_b32_e32 v17, v17, v19
	v_not_b32_e32 v19, v21
	v_ashrrev_i32_e32 v18, 31, v18
	v_xor_b32_e32 v22, s18, v22
	v_cmp_gt_i32_e64 s18, 0, v21
	v_and_b32_e32 v17, v17, v20
	v_ashrrev_i32_e32 v19, 31, v19
	s_wait_alu 0xf1ff
	v_xor_b32_e32 v18, s17, v18
	v_dual_mov_b32 v37, s23 :: v_dual_mov_b32 v36, s22
	v_and_b32_e32 v17, v17, v22
	v_xor_b32_e32 v33, s18, v19
	ds_load_2addr_b64 v[21:24], v90 offset1:32
	v_dual_mov_b32 v35, s21 :: v_dual_mov_b32 v34, s20
	v_and_b32_e32 v38, v17, v18
	ds_load_2addr_b64 v[29:32], v90 offset0:64 offset1:96
	ds_load_2addr_b64 v[25:28], v90 offset0:128 offset1:160
	;; [unrolled: 1-line block ×3, first 2 shown]
	v_lshl_add_u32 v86, v40, 6, v0
	s_wait_loadcnt_dscnt 0x0
	s_barrier_signal -1
	v_and_b32_e32 v33, v38, v33
	s_barrier_wait -1
	global_inv scope:SCOPE_SE
	ds_store_b128 v67, v[34:37] offset:64
	ds_store_b128 v67, v[34:37] offset:80
	s_wait_loadcnt_dscnt 0x0
	v_mbcnt_lo_u32_b32 v81, v33, 0
	v_cmp_ne_u32_e64 s18, 0, v33
	s_barrier_signal -1
	s_barrier_wait -1
	global_inv scope:SCOPE_SE
	v_cmp_eq_u32_e64 s17, 0, v81
	; wave barrier
	s_and_b32 s18, s18, s17
	s_wait_alu 0xfffe
	s_and_saveexec_b32 s17, s18
; %bb.54:
	v_bcnt_u32_b32 v33, v33, 0
	ds_store_b32 v86, v33 offset:64
; %bb.55:
	s_wait_alu 0xfffe
	s_or_b32 exec_lo, exec_lo, s17
	v_lshrrev_b16 v33, 8, v75
	v_cmp_ne_u16_e64 s17, 0x7fff, v75
	; wave barrier
	s_wait_alu 0xf1ff
	s_delay_alu instid0(VALU_DEP_1) | instskip(NEXT) | instid1(VALU_DEP_1)
	v_cndmask_b32_e64 v33, 0x80, v33, s17
	v_and_b32_e32 v33, s19, v33
	s_delay_alu instid0(VALU_DEP_1)
	v_and_b32_e32 v34, 1, v33
	v_lshlrev_b32_e32 v35, 30, v33
	v_lshlrev_b32_e32 v36, 29, v33
	;; [unrolled: 1-line block ×4, first 2 shown]
	v_add_co_u32 v34, s17, v34, -1
	s_wait_alu 0xf1ff
	v_cndmask_b32_e64 v38, 0, 1, s17
	v_not_b32_e32 v88, v35
	v_cmp_gt_i32_e64 s18, 0, v35
	v_not_b32_e32 v35, v36
	v_lshlrev_b32_e32 v40, 26, v33
	v_cmp_ne_u32_e64 s17, 0, v38
	v_ashrrev_i32_e32 v88, 31, v88
	v_lshlrev_b32_e32 v87, 25, v33
	v_ashrrev_i32_e32 v35, 31, v35
	v_lshlrev_b32_e32 v38, 24, v33
	s_wait_alu 0xf1ff
	v_xor_b32_e32 v34, s17, v34
	v_cmp_gt_i32_e64 s17, 0, v36
	v_not_b32_e32 v36, v37
	v_xor_b32_e32 v88, s18, v88
	v_cmp_gt_i32_e64 s18, 0, v37
	v_and_b32_e32 v34, exec_lo, v34
	v_not_b32_e32 v37, v39
	v_ashrrev_i32_e32 v36, 31, v36
	s_wait_alu 0xf1ff
	v_xor_b32_e32 v35, s17, v35
	v_cmp_gt_i32_e64 s17, 0, v39
	v_and_b32_e32 v34, v34, v88
	v_not_b32_e32 v39, v40
	v_ashrrev_i32_e32 v37, 31, v37
	v_xor_b32_e32 v36, s18, v36
	v_cmp_gt_i32_e64 s18, 0, v40
	v_and_b32_e32 v34, v34, v35
	v_not_b32_e32 v35, v87
	v_ashrrev_i32_e32 v39, 31, v39
	s_wait_alu 0xf1ff
	v_xor_b32_e32 v37, s17, v37
	v_cmp_gt_i32_e64 s17, 0, v87
	v_and_b32_e32 v34, v34, v36
	v_not_b32_e32 v36, v38
	v_ashrrev_i32_e32 v35, 31, v35
	v_xor_b32_e32 v39, s18, v39
	v_cmp_gt_i32_e64 s18, 0, v38
	v_and_b32_e32 v34, v34, v37
	v_ashrrev_i32_e32 v36, 31, v36
	s_wait_alu 0xf1ff
	v_xor_b32_e32 v35, s17, v35
	v_lshl_add_u32 v89, v33, 6, v0
	v_and_b32_e32 v34, v34, v39
	v_xor_b32_e32 v33, s18, v36
	ds_load_b32 v87, v89 offset:64
	v_and_b32_e32 v34, v34, v35
	; wave barrier
	s_delay_alu instid0(VALU_DEP_1) | instskip(NEXT) | instid1(VALU_DEP_1)
	v_and_b32_e32 v33, v34, v33
	v_mbcnt_lo_u32_b32 v88, v33, 0
	v_cmp_ne_u32_e64 s18, 0, v33
	s_delay_alu instid0(VALU_DEP_2)
	v_cmp_eq_u32_e64 s17, 0, v88
	s_and_b32 s18, s18, s17
	s_wait_alu 0xfffe
	s_and_saveexec_b32 s17, s18
	s_cbranch_execz .LBB225_57
; %bb.56:
	s_wait_dscnt 0x0
	v_bcnt_u32_b32 v33, v33, v87
	ds_store_b32 v89, v33 offset:64
.LBB225_57:
	s_wait_alu 0xfffe
	s_or_b32 exec_lo, exec_lo, s17
	v_lshrrev_b16 v33, 8, v76
	v_cmp_ne_u16_e64 s17, 0x7fff, v76
	; wave barrier
	s_wait_alu 0xf1ff
	s_delay_alu instid0(VALU_DEP_1) | instskip(NEXT) | instid1(VALU_DEP_1)
	v_cndmask_b32_e64 v33, 0x80, v33, s17
	v_and_b32_e32 v33, s19, v33
	s_delay_alu instid0(VALU_DEP_1)
	v_and_b32_e32 v34, 1, v33
	v_lshlrev_b32_e32 v35, 30, v33
	v_lshlrev_b32_e32 v36, 29, v33
	;; [unrolled: 1-line block ×4, first 2 shown]
	v_add_co_u32 v34, s17, v34, -1
	s_wait_alu 0xf1ff
	v_cndmask_b32_e64 v38, 0, 1, s17
	v_not_b32_e32 v91, v35
	v_cmp_gt_i32_e64 s18, 0, v35
	v_not_b32_e32 v35, v36
	v_lshlrev_b32_e32 v40, 26, v33
	v_cmp_ne_u32_e64 s17, 0, v38
	v_ashrrev_i32_e32 v91, 31, v91
	v_lshlrev_b32_e32 v90, 25, v33
	v_ashrrev_i32_e32 v35, 31, v35
	v_lshlrev_b32_e32 v38, 24, v33
	s_wait_alu 0xf1ff
	v_xor_b32_e32 v34, s17, v34
	v_cmp_gt_i32_e64 s17, 0, v36
	v_not_b32_e32 v36, v37
	v_xor_b32_e32 v91, s18, v91
	v_cmp_gt_i32_e64 s18, 0, v37
	v_and_b32_e32 v34, exec_lo, v34
	v_not_b32_e32 v37, v39
	v_ashrrev_i32_e32 v36, 31, v36
	s_wait_alu 0xf1ff
	v_xor_b32_e32 v35, s17, v35
	v_cmp_gt_i32_e64 s17, 0, v39
	v_and_b32_e32 v34, v34, v91
	v_not_b32_e32 v39, v40
	v_ashrrev_i32_e32 v37, 31, v37
	v_xor_b32_e32 v36, s18, v36
	v_cmp_gt_i32_e64 s18, 0, v40
	v_and_b32_e32 v34, v34, v35
	v_not_b32_e32 v35, v90
	v_ashrrev_i32_e32 v39, 31, v39
	s_wait_alu 0xf1ff
	v_xor_b32_e32 v37, s17, v37
	v_cmp_gt_i32_e64 s17, 0, v90
	v_and_b32_e32 v34, v34, v36
	v_not_b32_e32 v36, v38
	v_ashrrev_i32_e32 v35, 31, v35
	v_xor_b32_e32 v39, s18, v39
	v_cmp_gt_i32_e64 s18, 0, v38
	v_and_b32_e32 v34, v34, v37
	v_ashrrev_i32_e32 v36, 31, v36
	s_wait_alu 0xf1ff
	v_xor_b32_e32 v35, s17, v35
	v_lshl_add_u32 v92, v33, 6, v0
	v_and_b32_e32 v34, v34, v39
	v_xor_b32_e32 v33, s18, v36
	ds_load_b32 v90, v92 offset:64
	v_and_b32_e32 v34, v34, v35
	; wave barrier
	s_delay_alu instid0(VALU_DEP_1) | instskip(NEXT) | instid1(VALU_DEP_1)
	v_and_b32_e32 v33, v34, v33
	v_mbcnt_lo_u32_b32 v91, v33, 0
	v_cmp_ne_u32_e64 s18, 0, v33
	s_delay_alu instid0(VALU_DEP_2)
	v_cmp_eq_u32_e64 s17, 0, v91
	s_and_b32 s18, s18, s17
	s_wait_alu 0xfffe
	s_and_saveexec_b32 s17, s18
	s_cbranch_execz .LBB225_59
; %bb.58:
	s_wait_dscnt 0x0
	v_bcnt_u32_b32 v33, v33, v90
	ds_store_b32 v92, v33 offset:64
.LBB225_59:
	s_wait_alu 0xfffe
	s_or_b32 exec_lo, exec_lo, s17
	v_lshrrev_b16 v33, 8, v77
	v_cmp_ne_u16_e64 s17, 0x7fff, v77
	; wave barrier
	s_wait_alu 0xf1ff
	s_delay_alu instid0(VALU_DEP_1) | instskip(NEXT) | instid1(VALU_DEP_1)
	v_cndmask_b32_e64 v33, 0x80, v33, s17
	v_and_b32_e32 v33, s19, v33
	s_delay_alu instid0(VALU_DEP_1)
	v_and_b32_e32 v34, 1, v33
	v_lshlrev_b32_e32 v35, 30, v33
	v_lshlrev_b32_e32 v36, 29, v33
	;; [unrolled: 1-line block ×4, first 2 shown]
	v_add_co_u32 v34, s17, v34, -1
	s_wait_alu 0xf1ff
	v_cndmask_b32_e64 v38, 0, 1, s17
	v_not_b32_e32 v94, v35
	v_cmp_gt_i32_e64 s18, 0, v35
	v_not_b32_e32 v35, v36
	v_lshlrev_b32_e32 v40, 26, v33
	v_cmp_ne_u32_e64 s17, 0, v38
	v_ashrrev_i32_e32 v94, 31, v94
	v_lshlrev_b32_e32 v93, 25, v33
	v_ashrrev_i32_e32 v35, 31, v35
	v_lshlrev_b32_e32 v38, 24, v33
	s_wait_alu 0xf1ff
	v_xor_b32_e32 v34, s17, v34
	v_cmp_gt_i32_e64 s17, 0, v36
	v_not_b32_e32 v36, v37
	v_xor_b32_e32 v94, s18, v94
	v_cmp_gt_i32_e64 s18, 0, v37
	v_and_b32_e32 v34, exec_lo, v34
	v_not_b32_e32 v37, v39
	v_ashrrev_i32_e32 v36, 31, v36
	s_wait_alu 0xf1ff
	v_xor_b32_e32 v35, s17, v35
	v_cmp_gt_i32_e64 s17, 0, v39
	v_and_b32_e32 v34, v34, v94
	v_not_b32_e32 v39, v40
	v_ashrrev_i32_e32 v37, 31, v37
	v_xor_b32_e32 v36, s18, v36
	v_cmp_gt_i32_e64 s18, 0, v40
	v_and_b32_e32 v34, v34, v35
	v_not_b32_e32 v35, v93
	v_ashrrev_i32_e32 v39, 31, v39
	s_wait_alu 0xf1ff
	v_xor_b32_e32 v37, s17, v37
	v_cmp_gt_i32_e64 s17, 0, v93
	v_and_b32_e32 v34, v34, v36
	v_not_b32_e32 v36, v38
	v_ashrrev_i32_e32 v35, 31, v35
	v_xor_b32_e32 v39, s18, v39
	v_cmp_gt_i32_e64 s18, 0, v38
	v_and_b32_e32 v34, v34, v37
	v_ashrrev_i32_e32 v36, 31, v36
	s_wait_alu 0xf1ff
	v_xor_b32_e32 v35, s17, v35
	v_lshl_add_u32 v95, v33, 6, v0
	v_and_b32_e32 v34, v34, v39
	v_xor_b32_e32 v33, s18, v36
	ds_load_b32 v93, v95 offset:64
	v_and_b32_e32 v34, v34, v35
	; wave barrier
	s_delay_alu instid0(VALU_DEP_1) | instskip(NEXT) | instid1(VALU_DEP_1)
	v_and_b32_e32 v33, v34, v33
	v_mbcnt_lo_u32_b32 v94, v33, 0
	v_cmp_ne_u32_e64 s18, 0, v33
	s_delay_alu instid0(VALU_DEP_2)
	v_cmp_eq_u32_e64 s17, 0, v94
	s_and_b32 s18, s18, s17
	s_wait_alu 0xfffe
	s_and_saveexec_b32 s17, s18
	s_cbranch_execz .LBB225_61
; %bb.60:
	s_wait_dscnt 0x0
	v_bcnt_u32_b32 v33, v33, v93
	ds_store_b32 v95, v33 offset:64
.LBB225_61:
	s_wait_alu 0xfffe
	s_or_b32 exec_lo, exec_lo, s17
	v_lshrrev_b16 v33, 8, v78
	v_cmp_ne_u16_e64 s17, 0x7fff, v78
	; wave barrier
	s_wait_alu 0xf1ff
	s_delay_alu instid0(VALU_DEP_1) | instskip(NEXT) | instid1(VALU_DEP_1)
	v_cndmask_b32_e64 v33, 0x80, v33, s17
	v_and_b32_e32 v33, s19, v33
	s_delay_alu instid0(VALU_DEP_1)
	v_and_b32_e32 v34, 1, v33
	v_lshlrev_b32_e32 v35, 30, v33
	v_lshlrev_b32_e32 v36, 29, v33
	;; [unrolled: 1-line block ×4, first 2 shown]
	v_add_co_u32 v34, s17, v34, -1
	s_wait_alu 0xf1ff
	v_cndmask_b32_e64 v38, 0, 1, s17
	v_not_b32_e32 v97, v35
	v_cmp_gt_i32_e64 s18, 0, v35
	v_not_b32_e32 v35, v36
	v_lshlrev_b32_e32 v40, 26, v33
	v_cmp_ne_u32_e64 s17, 0, v38
	v_ashrrev_i32_e32 v97, 31, v97
	v_lshlrev_b32_e32 v96, 25, v33
	v_ashrrev_i32_e32 v35, 31, v35
	v_lshlrev_b32_e32 v38, 24, v33
	s_wait_alu 0xf1ff
	v_xor_b32_e32 v34, s17, v34
	v_cmp_gt_i32_e64 s17, 0, v36
	v_not_b32_e32 v36, v37
	v_xor_b32_e32 v97, s18, v97
	v_cmp_gt_i32_e64 s18, 0, v37
	v_and_b32_e32 v34, exec_lo, v34
	v_not_b32_e32 v37, v39
	v_ashrrev_i32_e32 v36, 31, v36
	s_wait_alu 0xf1ff
	v_xor_b32_e32 v35, s17, v35
	v_cmp_gt_i32_e64 s17, 0, v39
	v_and_b32_e32 v34, v34, v97
	v_not_b32_e32 v39, v40
	v_ashrrev_i32_e32 v37, 31, v37
	v_xor_b32_e32 v36, s18, v36
	v_cmp_gt_i32_e64 s18, 0, v40
	v_and_b32_e32 v34, v34, v35
	v_not_b32_e32 v35, v96
	v_ashrrev_i32_e32 v39, 31, v39
	s_wait_alu 0xf1ff
	v_xor_b32_e32 v37, s17, v37
	v_cmp_gt_i32_e64 s17, 0, v96
	v_and_b32_e32 v34, v34, v36
	v_not_b32_e32 v36, v38
	v_ashrrev_i32_e32 v35, 31, v35
	v_xor_b32_e32 v39, s18, v39
	v_cmp_gt_i32_e64 s18, 0, v38
	v_and_b32_e32 v34, v34, v37
	v_ashrrev_i32_e32 v36, 31, v36
	s_wait_alu 0xf1ff
	v_xor_b32_e32 v35, s17, v35
	v_lshl_add_u32 v98, v33, 6, v0
	v_and_b32_e32 v34, v34, v39
	v_xor_b32_e32 v33, s18, v36
	ds_load_b32 v96, v98 offset:64
	v_and_b32_e32 v34, v34, v35
	; wave barrier
	s_delay_alu instid0(VALU_DEP_1) | instskip(NEXT) | instid1(VALU_DEP_1)
	v_and_b32_e32 v33, v34, v33
	v_mbcnt_lo_u32_b32 v97, v33, 0
	v_cmp_ne_u32_e64 s18, 0, v33
	s_delay_alu instid0(VALU_DEP_2)
	v_cmp_eq_u32_e64 s17, 0, v97
	s_and_b32 s18, s18, s17
	s_wait_alu 0xfffe
	s_and_saveexec_b32 s17, s18
	s_cbranch_execz .LBB225_63
; %bb.62:
	s_wait_dscnt 0x0
	v_bcnt_u32_b32 v33, v33, v96
	ds_store_b32 v98, v33 offset:64
.LBB225_63:
	s_wait_alu 0xfffe
	s_or_b32 exec_lo, exec_lo, s17
	v_lshrrev_b16 v33, 8, v79
	v_cmp_ne_u16_e64 s17, 0x7fff, v79
	; wave barrier
	s_wait_alu 0xf1ff
	s_delay_alu instid0(VALU_DEP_1) | instskip(NEXT) | instid1(VALU_DEP_1)
	v_cndmask_b32_e64 v33, 0x80, v33, s17
	v_and_b32_e32 v33, s19, v33
	s_delay_alu instid0(VALU_DEP_1)
	v_and_b32_e32 v34, 1, v33
	v_lshlrev_b32_e32 v35, 30, v33
	v_lshlrev_b32_e32 v36, 29, v33
	;; [unrolled: 1-line block ×4, first 2 shown]
	v_add_co_u32 v34, s17, v34, -1
	s_wait_alu 0xf1ff
	v_cndmask_b32_e64 v38, 0, 1, s17
	v_not_b32_e32 v100, v35
	v_cmp_gt_i32_e64 s18, 0, v35
	v_not_b32_e32 v35, v36
	v_lshlrev_b32_e32 v40, 26, v33
	v_cmp_ne_u32_e64 s17, 0, v38
	v_ashrrev_i32_e32 v100, 31, v100
	v_lshlrev_b32_e32 v99, 25, v33
	v_ashrrev_i32_e32 v35, 31, v35
	v_lshlrev_b32_e32 v38, 24, v33
	s_wait_alu 0xf1ff
	v_xor_b32_e32 v34, s17, v34
	v_cmp_gt_i32_e64 s17, 0, v36
	v_not_b32_e32 v36, v37
	v_xor_b32_e32 v100, s18, v100
	v_cmp_gt_i32_e64 s18, 0, v37
	v_and_b32_e32 v34, exec_lo, v34
	v_not_b32_e32 v37, v39
	v_ashrrev_i32_e32 v36, 31, v36
	s_wait_alu 0xf1ff
	v_xor_b32_e32 v35, s17, v35
	v_cmp_gt_i32_e64 s17, 0, v39
	v_and_b32_e32 v34, v34, v100
	v_not_b32_e32 v39, v40
	v_ashrrev_i32_e32 v37, 31, v37
	v_xor_b32_e32 v36, s18, v36
	v_cmp_gt_i32_e64 s18, 0, v40
	v_and_b32_e32 v34, v34, v35
	v_not_b32_e32 v35, v99
	v_ashrrev_i32_e32 v39, 31, v39
	s_wait_alu 0xf1ff
	v_xor_b32_e32 v37, s17, v37
	v_cmp_gt_i32_e64 s17, 0, v99
	v_and_b32_e32 v34, v34, v36
	v_not_b32_e32 v36, v38
	v_ashrrev_i32_e32 v35, 31, v35
	v_xor_b32_e32 v39, s18, v39
	v_cmp_gt_i32_e64 s18, 0, v38
	v_and_b32_e32 v34, v34, v37
	v_ashrrev_i32_e32 v36, 31, v36
	s_wait_alu 0xf1ff
	v_xor_b32_e32 v35, s17, v35
	v_lshl_add_u32 v101, v33, 6, v0
	v_and_b32_e32 v34, v34, v39
	v_xor_b32_e32 v33, s18, v36
	ds_load_b32 v99, v101 offset:64
	v_and_b32_e32 v34, v34, v35
	; wave barrier
	s_delay_alu instid0(VALU_DEP_1) | instskip(NEXT) | instid1(VALU_DEP_1)
	v_and_b32_e32 v33, v34, v33
	v_mbcnt_lo_u32_b32 v100, v33, 0
	v_cmp_ne_u32_e64 s18, 0, v33
	s_delay_alu instid0(VALU_DEP_2)
	v_cmp_eq_u32_e64 s17, 0, v100
	s_and_b32 s18, s18, s17
	s_wait_alu 0xfffe
	s_and_saveexec_b32 s17, s18
	s_cbranch_execz .LBB225_65
; %bb.64:
	s_wait_dscnt 0x0
	v_bcnt_u32_b32 v33, v33, v99
	ds_store_b32 v101, v33 offset:64
.LBB225_65:
	s_wait_alu 0xfffe
	s_or_b32 exec_lo, exec_lo, s17
	v_lshrrev_b16 v33, 8, v80
	v_cmp_ne_u16_e64 s17, 0x7fff, v80
	; wave barrier
	s_wait_alu 0xf1ff
	s_delay_alu instid0(VALU_DEP_1) | instskip(NEXT) | instid1(VALU_DEP_1)
	v_cndmask_b32_e64 v33, 0x80, v33, s17
	v_and_b32_e32 v33, s19, v33
	s_delay_alu instid0(VALU_DEP_1)
	v_and_b32_e32 v34, 1, v33
	v_lshlrev_b32_e32 v35, 30, v33
	v_lshlrev_b32_e32 v36, 29, v33
	;; [unrolled: 1-line block ×4, first 2 shown]
	v_add_co_u32 v34, s17, v34, -1
	s_wait_alu 0xf1ff
	v_cndmask_b32_e64 v38, 0, 1, s17
	v_not_b32_e32 v103, v35
	v_cmp_gt_i32_e64 s18, 0, v35
	v_not_b32_e32 v35, v36
	v_lshlrev_b32_e32 v40, 26, v33
	v_cmp_ne_u32_e64 s17, 0, v38
	v_ashrrev_i32_e32 v103, 31, v103
	v_lshlrev_b32_e32 v102, 25, v33
	v_ashrrev_i32_e32 v35, 31, v35
	v_lshlrev_b32_e32 v38, 24, v33
	s_wait_alu 0xf1ff
	v_xor_b32_e32 v34, s17, v34
	v_cmp_gt_i32_e64 s17, 0, v36
	v_not_b32_e32 v36, v37
	v_xor_b32_e32 v103, s18, v103
	v_cmp_gt_i32_e64 s18, 0, v37
	v_and_b32_e32 v34, exec_lo, v34
	v_not_b32_e32 v37, v39
	v_ashrrev_i32_e32 v36, 31, v36
	s_wait_alu 0xf1ff
	v_xor_b32_e32 v35, s17, v35
	v_cmp_gt_i32_e64 s17, 0, v39
	v_and_b32_e32 v34, v34, v103
	v_not_b32_e32 v39, v40
	v_ashrrev_i32_e32 v37, 31, v37
	v_xor_b32_e32 v36, s18, v36
	v_cmp_gt_i32_e64 s18, 0, v40
	v_and_b32_e32 v34, v34, v35
	v_not_b32_e32 v35, v102
	v_ashrrev_i32_e32 v39, 31, v39
	s_wait_alu 0xf1ff
	v_xor_b32_e32 v37, s17, v37
	v_cmp_gt_i32_e64 s17, 0, v102
	v_and_b32_e32 v34, v34, v36
	v_not_b32_e32 v36, v38
	v_ashrrev_i32_e32 v35, 31, v35
	v_xor_b32_e32 v39, s18, v39
	v_cmp_gt_i32_e64 s18, 0, v38
	v_and_b32_e32 v34, v34, v37
	v_ashrrev_i32_e32 v36, 31, v36
	s_wait_alu 0xf1ff
	v_xor_b32_e32 v35, s17, v35
	v_lshl_add_u32 v104, v33, 6, v0
	v_and_b32_e32 v34, v34, v39
	v_xor_b32_e32 v33, s18, v36
	ds_load_b32 v102, v104 offset:64
	v_and_b32_e32 v34, v34, v35
	; wave barrier
	s_delay_alu instid0(VALU_DEP_1) | instskip(NEXT) | instid1(VALU_DEP_1)
	v_and_b32_e32 v33, v34, v33
	v_mbcnt_lo_u32_b32 v103, v33, 0
	v_cmp_ne_u32_e64 s18, 0, v33
	s_delay_alu instid0(VALU_DEP_2)
	v_cmp_eq_u32_e64 s17, 0, v103
	s_and_b32 s18, s18, s17
	s_wait_alu 0xfffe
	s_and_saveexec_b32 s17, s18
	s_cbranch_execz .LBB225_67
; %bb.66:
	s_wait_dscnt 0x0
	v_bcnt_u32_b32 v33, v33, v102
	ds_store_b32 v104, v33 offset:64
.LBB225_67:
	s_wait_alu 0xfffe
	s_or_b32 exec_lo, exec_lo, s17
	v_lshrrev_b16 v33, 8, v73
	v_cmp_ne_u16_e64 s17, 0x7fff, v73
	; wave barrier
	s_wait_alu 0xf1ff
	s_delay_alu instid0(VALU_DEP_1) | instskip(NEXT) | instid1(VALU_DEP_1)
	v_cndmask_b32_e64 v33, 0x80, v33, s17
	v_and_b32_e32 v33, s19, v33
	s_delay_alu instid0(VALU_DEP_1)
	v_and_b32_e32 v34, 1, v33
	v_lshlrev_b32_e32 v35, 30, v33
	v_lshlrev_b32_e32 v36, 29, v33
	;; [unrolled: 1-line block ×4, first 2 shown]
	v_add_co_u32 v34, s17, v34, -1
	s_wait_alu 0xf1ff
	v_cndmask_b32_e64 v38, 0, 1, s17
	v_not_b32_e32 v106, v35
	v_cmp_gt_i32_e64 s18, 0, v35
	v_not_b32_e32 v35, v36
	v_lshlrev_b32_e32 v40, 26, v33
	v_cmp_ne_u32_e64 s17, 0, v38
	v_ashrrev_i32_e32 v106, 31, v106
	v_lshlrev_b32_e32 v105, 25, v33
	v_ashrrev_i32_e32 v35, 31, v35
	v_lshlrev_b32_e32 v38, 24, v33
	s_wait_alu 0xf1ff
	v_xor_b32_e32 v34, s17, v34
	v_cmp_gt_i32_e64 s17, 0, v36
	v_not_b32_e32 v36, v37
	v_xor_b32_e32 v106, s18, v106
	v_cmp_gt_i32_e64 s18, 0, v37
	v_and_b32_e32 v34, exec_lo, v34
	v_not_b32_e32 v37, v39
	v_ashrrev_i32_e32 v36, 31, v36
	s_wait_alu 0xf1ff
	v_xor_b32_e32 v35, s17, v35
	v_cmp_gt_i32_e64 s17, 0, v39
	v_and_b32_e32 v34, v34, v106
	v_not_b32_e32 v39, v40
	v_ashrrev_i32_e32 v37, 31, v37
	v_xor_b32_e32 v36, s18, v36
	v_cmp_gt_i32_e64 s18, 0, v40
	v_and_b32_e32 v34, v34, v35
	v_not_b32_e32 v35, v105
	v_ashrrev_i32_e32 v39, 31, v39
	s_wait_alu 0xf1ff
	v_xor_b32_e32 v37, s17, v37
	v_cmp_gt_i32_e64 s17, 0, v105
	v_and_b32_e32 v34, v34, v36
	v_not_b32_e32 v36, v38
	v_ashrrev_i32_e32 v35, 31, v35
	v_xor_b32_e32 v39, s18, v39
	v_cmp_gt_i32_e64 s18, 0, v38
	v_and_b32_e32 v34, v34, v37
	v_ashrrev_i32_e32 v36, 31, v36
	s_wait_alu 0xf1ff
	v_xor_b32_e32 v35, s17, v35
	v_lshl_add_u32 v106, v33, 6, v0
	v_and_b32_e32 v34, v34, v39
	v_xor_b32_e32 v33, s18, v36
	ds_load_b32 v0, v106 offset:64
	v_and_b32_e32 v34, v34, v35
	; wave barrier
	s_delay_alu instid0(VALU_DEP_1) | instskip(NEXT) | instid1(VALU_DEP_1)
	v_and_b32_e32 v33, v34, v33
	v_mbcnt_lo_u32_b32 v105, v33, 0
	v_cmp_ne_u32_e64 s18, 0, v33
	s_delay_alu instid0(VALU_DEP_2)
	v_cmp_eq_u32_e64 s17, 0, v105
	s_and_b32 s18, s18, s17
	s_wait_alu 0xfffe
	s_and_saveexec_b32 s17, s18
	s_cbranch_execz .LBB225_69
; %bb.68:
	s_wait_dscnt 0x0
	v_bcnt_u32_b32 v33, v33, v0
	ds_store_b32 v106, v33 offset:64
.LBB225_69:
	s_wait_alu 0xfffe
	s_or_b32 exec_lo, exec_lo, s17
	; wave barrier
	s_wait_loadcnt_dscnt 0x0
	s_barrier_signal -1
	s_barrier_wait -1
	global_inv scope:SCOPE_SE
	ds_load_b128 v[37:40], v67 offset:64
	ds_load_b128 v[33:36], v67 offset:80
	s_wait_dscnt 0x1
	v_add_nc_u32_e32 v107, v38, v37
	s_delay_alu instid0(VALU_DEP_1) | instskip(SKIP_1) | instid1(VALU_DEP_1)
	v_add3_u32 v107, v107, v39, v40
	s_wait_dscnt 0x0
	v_add3_u32 v107, v107, v33, v34
	s_delay_alu instid0(VALU_DEP_1) | instskip(NEXT) | instid1(VALU_DEP_1)
	v_add3_u32 v36, v107, v35, v36
	v_mov_b32_dpp v107, v36 row_shr:1 row_mask:0xf bank_mask:0xf
	s_delay_alu instid0(VALU_DEP_1) | instskip(NEXT) | instid1(VALU_DEP_1)
	v_cndmask_b32_e64 v107, v107, 0, vcc_lo
	v_add_nc_u32_e32 v36, v107, v36
	s_delay_alu instid0(VALU_DEP_1) | instskip(NEXT) | instid1(VALU_DEP_1)
	v_mov_b32_dpp v107, v36 row_shr:2 row_mask:0xf bank_mask:0xf
	v_cndmask_b32_e64 v107, 0, v107, s8
	s_delay_alu instid0(VALU_DEP_1) | instskip(NEXT) | instid1(VALU_DEP_1)
	v_add_nc_u32_e32 v36, v36, v107
	v_mov_b32_dpp v107, v36 row_shr:4 row_mask:0xf bank_mask:0xf
	s_delay_alu instid0(VALU_DEP_1) | instskip(NEXT) | instid1(VALU_DEP_1)
	v_cndmask_b32_e64 v107, 0, v107, s9
	v_add_nc_u32_e32 v36, v36, v107
	s_delay_alu instid0(VALU_DEP_1) | instskip(NEXT) | instid1(VALU_DEP_1)
	v_mov_b32_dpp v107, v36 row_shr:8 row_mask:0xf bank_mask:0xf
	v_cndmask_b32_e64 v107, 0, v107, s10
	s_delay_alu instid0(VALU_DEP_1) | instskip(SKIP_3) | instid1(VALU_DEP_1)
	v_add_nc_u32_e32 v36, v36, v107
	ds_swizzle_b32 v107, v36 offset:swizzle(BROADCAST,32,15)
	s_wait_dscnt 0x0
	v_cndmask_b32_e64 v107, v107, 0, s15
	v_add_nc_u32_e32 v36, v36, v107
	s_and_saveexec_b32 s15, s13
; %bb.70:
	ds_store_b32 v83, v36
; %bb.71:
	s_wait_alu 0xfffe
	s_or_b32 exec_lo, exec_lo, s15
	s_wait_loadcnt_dscnt 0x0
	s_barrier_signal -1
	s_barrier_wait -1
	global_inv scope:SCOPE_SE
	s_and_saveexec_b32 s13, s12
	s_cbranch_execz .LBB225_73
; %bb.72:
	ds_load_b32 v83, v82
	s_wait_dscnt 0x0
	v_mov_b32_dpp v107, v83 row_shr:1 row_mask:0xf bank_mask:0xf
	s_delay_alu instid0(VALU_DEP_1) | instskip(NEXT) | instid1(VALU_DEP_1)
	v_cndmask_b32_e64 v107, v107, 0, vcc_lo
	v_add_nc_u32_e32 v83, v107, v83
	s_delay_alu instid0(VALU_DEP_1) | instskip(NEXT) | instid1(VALU_DEP_1)
	v_mov_b32_dpp v107, v83 row_shr:2 row_mask:0xf bank_mask:0xf
	v_cndmask_b32_e64 v107, 0, v107, s8
	s_delay_alu instid0(VALU_DEP_1) | instskip(NEXT) | instid1(VALU_DEP_1)
	v_add_nc_u32_e32 v83, v83, v107
	v_mov_b32_dpp v107, v83 row_shr:4 row_mask:0xf bank_mask:0xf
	s_delay_alu instid0(VALU_DEP_1) | instskip(NEXT) | instid1(VALU_DEP_1)
	v_cndmask_b32_e64 v107, 0, v107, s9
	v_add_nc_u32_e32 v83, v83, v107
	s_delay_alu instid0(VALU_DEP_1) | instskip(NEXT) | instid1(VALU_DEP_1)
	v_mov_b32_dpp v107, v83 row_shr:8 row_mask:0xf bank_mask:0xf
	v_cndmask_b32_e64 v107, 0, v107, s10
	s_delay_alu instid0(VALU_DEP_1)
	v_add_nc_u32_e32 v83, v83, v107
	ds_store_b32 v82, v83
.LBB225_73:
	s_wait_alu 0xfffe
	s_or_b32 exec_lo, exec_lo, s13
	v_mov_b32_e32 v82, 0
	s_wait_loadcnt_dscnt 0x0
	s_barrier_signal -1
	s_barrier_wait -1
	global_inv scope:SCOPE_SE
	s_and_saveexec_b32 s8, s14
; %bb.74:
	ds_load_b32 v82, v84
; %bb.75:
	s_wait_alu 0xfffe
	s_or_b32 exec_lo, exec_lo, s8
	s_wait_dscnt 0x0
	v_add_nc_u32_e32 v36, v82, v36
	ds_bpermute_b32 v36, v85, v36
	s_wait_dscnt 0x0
	v_cndmask_b32_e64 v36, v36, v82, s11
	s_delay_alu instid0(VALU_DEP_1) | instskip(NEXT) | instid1(VALU_DEP_1)
	v_cndmask_b32_e64 v36, v36, 0, s16
	v_add_nc_u32_e32 v37, v36, v37
	s_delay_alu instid0(VALU_DEP_1) | instskip(NEXT) | instid1(VALU_DEP_1)
	v_add_nc_u32_e32 v38, v37, v38
	v_add_nc_u32_e32 v39, v38, v39
	s_delay_alu instid0(VALU_DEP_1) | instskip(NEXT) | instid1(VALU_DEP_1)
	v_add_nc_u32_e32 v82, v39, v40
	;; [unrolled: 3-line block ×3, first 2 shown]
	v_add_nc_u32_e32 v85, v84, v35
	ds_store_b128 v67, v[36:39] offset:64
	ds_store_b128 v67, v[82:85] offset:80
	s_wait_loadcnt_dscnt 0x0
	s_barrier_signal -1
	s_barrier_wait -1
	global_inv scope:SCOPE_SE
	ds_load_b32 v33, v106 offset:64
	ds_load_b32 v34, v104 offset:64
	;; [unrolled: 1-line block ×8, first 2 shown]
	v_lshlrev_b32_e32 v82, 1, v66
	s_wait_loadcnt_dscnt 0x0
	s_barrier_signal -1
	s_barrier_wait -1
	global_inv scope:SCOPE_SE
	v_mad_u32_u24 v83, v46, 48, v82
	v_add3_u32 v84, v105, v0, v33
	v_add3_u32 v85, v103, v102, v34
	;; [unrolled: 1-line block ×3, first 2 shown]
	v_add_nc_u32_e32 v81, v36, v81
	v_add3_u32 v87, v88, v87, v37
	v_add3_u32 v88, v91, v90, v38
	;; [unrolled: 1-line block ×4, first 2 shown]
	v_lshlrev_b32_e32 v0, 1, v81
	v_lshlrev_b32_e32 v33, 1, v87
	v_lshlrev_b32_e32 v34, 1, v88
	v_lshlrev_b32_e32 v35, 1, v89
	v_lshlrev_b32_e32 v36, 1, v40
	v_lshlrev_b32_e32 v37, 1, v86
	v_lshlrev_b32_e32 v38, 1, v85
	v_lshlrev_b32_e32 v39, 1, v84
	ds_store_b16 v0, v74
	ds_store_b16 v33, v75
	;; [unrolled: 1-line block ×8, first 2 shown]
	v_mad_co_u64_u32 v[73:74], null, v81, 6, v[0:1]
	v_mad_co_u64_u32 v[74:75], null, v87, 6, v[33:34]
	;; [unrolled: 1-line block ×4, first 2 shown]
	s_wait_loadcnt_dscnt 0x0
	s_barrier_signal -1
	s_barrier_wait -1
	global_inv scope:SCOPE_SE
	v_mad_co_u64_u32 v[77:78], null, v40, 6, v[36:37]
	ds_load_b128 v[33:36], v82
	v_mad_co_u64_u32 v[78:79], null, v86, 6, v[37:38]
	v_mad_co_u64_u32 v[37:38], null, v85, 6, v[38:39]
	;; [unrolled: 1-line block ×3, first 2 shown]
	s_wait_loadcnt_dscnt 0x0
	s_barrier_signal -1
	s_barrier_wait -1
	global_inv scope:SCOPE_SE
	ds_store_b64 v73, v[21:22]
	ds_store_b64 v74, v[23:24]
	;; [unrolled: 1-line block ×8, first 2 shown]
	s_wait_loadcnt_dscnt 0x0
	s_barrier_signal -1
	s_barrier_wait -1
	global_inv scope:SCOPE_SE
	ds_load_b128 v[29:32], v83
	ds_load_b128 v[25:28], v83 offset:16
	ds_load_b128 v[21:24], v83 offset:32
	;; [unrolled: 1-line block ×3, first 2 shown]
	v_cmp_lt_i16_e32 vcc_lo, -1, v33
	v_lshrrev_b32_e32 v0, 16, v33
	v_lshrrev_b32_e32 v38, 16, v34
	;; [unrolled: 1-line block ×4, first 2 shown]
	s_wait_alu 0xfffd
	v_cndmask_b32_e64 v37, 0xffff8000, -1, vcc_lo
	v_cmp_lt_i16_e32 vcc_lo, -1, v34
	s_wait_alu 0xfffd
	v_cndmask_b32_e64 v39, 0xffff8000, -1, vcc_lo
	v_cmp_lt_i16_e32 vcc_lo, -1, v35
	;; [unrolled: 3-line block ×5, first 2 shown]
	s_delay_alu instid0(VALU_DEP_2) | instskip(SKIP_3) | instid1(VALU_DEP_3)
	v_perm_b32 v0, v0, v37, 0x5040100
	s_wait_alu 0xfffd
	v_cndmask_b32_e64 v38, 0xffff8000, -1, vcc_lo
	v_cmp_lt_i16_e32 vcc_lo, -1, v40
	v_xor_b32_e32 v0, v0, v33
	s_delay_alu instid0(VALU_DEP_3) | instskip(SKIP_3) | instid1(VALU_DEP_3)
	v_perm_b32 v37, v38, v39, 0x5040100
	s_wait_alu 0xfffd
	v_cndmask_b32_e64 v40, 0xffff8000, -1, vcc_lo
	v_cmp_lt_i16_e32 vcc_lo, -1, v74
	v_xor_b32_e32 v34, v37, v34
	s_delay_alu instid0(VALU_DEP_3) | instskip(SKIP_2) | instid1(VALU_DEP_2)
	v_perm_b32 v38, v40, v73, 0x5040100
	s_wait_alu 0xfffd
	v_cndmask_b32_e64 v74, 0xffff8000, -1, vcc_lo
	v_xor_b32_e32 v33, v38, v35
	s_delay_alu instid0(VALU_DEP_2) | instskip(NEXT) | instid1(VALU_DEP_1)
	v_perm_b32 v39, v74, v75, 0x5040100
	v_xor_b32_e32 v35, v39, v36
	s_branch .LBB225_128
.LBB225_76:
	v_lshlrev_b64_e32 v[1:2], 3, v[41:42]
	v_dual_mov_b32 v43, v42 :: v_dual_mov_b32 v10, v42
	v_dual_mov_b32 v9, v42 :: v_dual_mov_b32 v12, v42
	v_mov_b32_e32 v11, v42
	s_wait_alu 0xfffe
	s_delay_alu instid0(VALU_DEP_4)
	v_add_co_u32 v1, vcc_lo, s24, v1
	s_wait_alu 0xfffd
	v_add_co_ci_u32_e64 v2, null, s25, v2, vcc_lo
	v_dual_mov_b32 v3, v42 :: v_dual_mov_b32 v6, v42
	v_dual_mov_b32 v5, v42 :: v_dual_mov_b32 v8, v42
	global_load_b64 v[13:14], v[1:2], off
	v_dual_mov_b32 v1, v42 :: v_dual_mov_b32 v4, v42
	v_dual_mov_b32 v2, v42 :: v_dual_mov_b32 v7, v42
	s_or_b32 exec_lo, exec_lo, s9
	s_and_saveexec_b32 s9, s1
	s_cbranch_execz .LBB225_22
.LBB225_77:
	v_mul_lo_u32 v22, s28, v15
	v_mov_b32_e32 v23, 0
	s_delay_alu instid0(VALU_DEP_1) | instskip(SKIP_1) | instid1(VALU_DEP_1)
	v_lshlrev_b64_e32 v[22:23], 3, v[22:23]
	s_wait_alu 0xfffe
	v_add_co_u32 v22, vcc_lo, s24, v22
	s_wait_alu 0xfffd
	s_delay_alu instid0(VALU_DEP_2)
	v_add_co_ci_u32_e64 v23, null, s25, v23, vcc_lo
	global_load_b64 v[42:43], v[22:23], off
	s_or_b32 exec_lo, exec_lo, s9
	s_and_saveexec_b32 s9, s2
	s_cbranch_execz .LBB225_23
.LBB225_78:
	v_mul_lo_u32 v9, s28, v16
	v_mov_b32_e32 v10, 0
	s_delay_alu instid0(VALU_DEP_1) | instskip(SKIP_1) | instid1(VALU_DEP_1)
	v_lshlrev_b64_e32 v[9:10], 3, v[9:10]
	s_wait_alu 0xfffe
	v_add_co_u32 v9, vcc_lo, s24, v9
	s_wait_alu 0xfffd
	s_delay_alu instid0(VALU_DEP_2)
	v_add_co_ci_u32_e64 v10, null, s25, v10, vcc_lo
	global_load_b64 v[9:10], v[9:10], off
	s_or_b32 exec_lo, exec_lo, s9
	s_and_saveexec_b32 s9, s3
	s_cbranch_execz .LBB225_24
.LBB225_79:
	v_mul_lo_u32 v11, s28, v17
	v_mov_b32_e32 v12, 0
	s_delay_alu instid0(VALU_DEP_1) | instskip(SKIP_1) | instid1(VALU_DEP_1)
	v_lshlrev_b64_e32 v[11:12], 3, v[11:12]
	s_wait_alu 0xfffe
	v_add_co_u32 v11, vcc_lo, s24, v11
	s_wait_alu 0xfffd
	s_delay_alu instid0(VALU_DEP_2)
	v_add_co_ci_u32_e64 v12, null, s25, v12, vcc_lo
	global_load_b64 v[11:12], v[11:12], off
	s_or_b32 exec_lo, exec_lo, s9
	s_and_saveexec_b32 s9, s4
	s_cbranch_execz .LBB225_25
.LBB225_80:
	v_mul_lo_u32 v1, s28, v18
	v_mov_b32_e32 v2, 0
	s_delay_alu instid0(VALU_DEP_1) | instskip(SKIP_1) | instid1(VALU_DEP_1)
	v_lshlrev_b64_e32 v[1:2], 3, v[1:2]
	s_wait_alu 0xfffe
	v_add_co_u32 v1, vcc_lo, s24, v1
	s_wait_alu 0xfffd
	s_delay_alu instid0(VALU_DEP_2)
	v_add_co_ci_u32_e64 v2, null, s25, v2, vcc_lo
	global_load_b64 v[1:2], v[1:2], off
	s_or_b32 exec_lo, exec_lo, s9
	s_and_saveexec_b32 s9, s5
	s_cbranch_execz .LBB225_26
.LBB225_81:
	v_mul_lo_u32 v3, s28, v19
	v_mov_b32_e32 v4, 0
	s_delay_alu instid0(VALU_DEP_1) | instskip(SKIP_1) | instid1(VALU_DEP_1)
	v_lshlrev_b64_e32 v[3:4], 3, v[3:4]
	s_wait_alu 0xfffe
	v_add_co_u32 v3, vcc_lo, s24, v3
	s_wait_alu 0xfffd
	s_delay_alu instid0(VALU_DEP_2)
	v_add_co_ci_u32_e64 v4, null, s25, v4, vcc_lo
	global_load_b64 v[3:4], v[3:4], off
	s_or_b32 exec_lo, exec_lo, s9
	s_and_saveexec_b32 s9, s6
	s_cbranch_execnz .LBB225_27
	s_branch .LBB225_28
.LBB225_82:
                                        ; implicit-def: $vgpr19_vgpr20
                                        ; implicit-def: $vgpr23_vgpr24
                                        ; implicit-def: $vgpr27_vgpr28
                                        ; implicit-def: $vgpr31_vgpr32
                                        ; implicit-def: $vgpr35
                                        ; implicit-def: $vgpr33
                                        ; implicit-def: $vgpr34
                                        ; implicit-def: $vgpr0
	s_cbranch_execz .LBB225_128
; %bb.83:
	v_lshrrev_b32_e32 v0, 16, v49
	v_cmp_gt_i16_e32 vcc_lo, 0, v49
	s_wait_dscnt 0x0
	v_lshrrev_b32_e32 v17, 16, v50
	v_lshrrev_b32_e32 v18, 16, v47
	;; [unrolled: 1-line block ×3, first 2 shown]
	v_or_b32_e32 v21, v69, v70
	s_wait_alu 0xfffd
	v_cndmask_b32_e64 v20, 0x7fff, 0, vcc_lo
	v_cmp_gt_i16_e32 vcc_lo, 0, v0
	v_and_or_b32 v36, 0x1f00, v66, v69
	s_mov_b32 s12, 0
	s_getpc_b64 s[8:9]
	s_sext_i32_i16 s9, s9
	s_add_co_u32 s8, s8, _ZN7rocprim17ROCPRIM_400000_NS16block_radix_sortI6__halfLj512ELj8ElLj1ELj1ELj0ELNS0_26block_radix_rank_algorithmE1ELNS0_18block_padding_hintE2ELNS0_4arch9wavefront6targetE0EE19radix_bits_per_passE@rel32@lo+8
	s_add_co_ci_u32 s9, s9, _ZN7rocprim17ROCPRIM_400000_NS16block_radix_sortI6__halfLj512ELj8ElLj1ELj1ELj0ELNS0_26block_radix_rank_algorithmE1ELNS0_18block_padding_hintE2ELNS0_4arch9wavefront6targetE0EE19radix_bits_per_passE@rel32@hi+16
	s_mov_b32 s13, s12
	s_wait_alu 0xfffd
	v_cndmask_b32_e64 v0, 0x7fff, 0, vcc_lo
	v_cmp_gt_i16_e32 vcc_lo, 0, v50
	s_mov_b32 s14, s12
	s_mov_b32 s15, s12
	v_lshlrev_b32_e32 v25, 1, v36
	v_perm_b32 v0, v0, v20, 0x5040100
	s_wait_alu 0xfffd
	v_cndmask_b32_e64 v22, 0x7fff, 0, vcc_lo
	v_cmp_gt_i16_e32 vcc_lo, 0, v17
	s_load_b32 s17, s[8:9], 0x0
	v_cndmask_b32_e64 v17, 0x7fff, 0, vcc_lo
	v_cmp_gt_i16_e32 vcc_lo, 0, v47
	s_delay_alu instid0(VALU_DEP_2)
	v_perm_b32 v20, v17, v22, 0x5040100
	s_wait_alu 0xfffd
	v_cndmask_b32_e64 v23, 0x7fff, 0, vcc_lo
	v_cmp_gt_i16_e32 vcc_lo, 0, v18
	v_xor_b32_e32 v17, v0, v49
	s_wait_alu 0xfffd
	v_cndmask_b32_e64 v18, 0x7fff, 0, vcc_lo
	v_cmp_gt_i16_e32 vcc_lo, 0, v48
	s_wait_kmcnt 0x0
	s_min_u32 s8, s17, 16
	s_delay_alu instid0(VALU_DEP_2)
	v_perm_b32 v22, v18, v23, 0x5040100
	s_wait_alu 0xfffd
	v_cndmask_b32_e64 v24, 0x7fff, 0, vcc_lo
	v_cmp_gt_i16_e32 vcc_lo, 0, v19
	v_lshlrev_b32_e32 v23, 4, v21
	v_xor_b32_e32 v18, v20, v50
	s_lshl_b32 s8, -1, s8
	s_wait_alu 0xfffd
	v_cndmask_b32_e64 v19, 0x7fff, 0, vcc_lo
	s_not_b32 s9, s8
	s_delay_alu instid0(VALU_DEP_1) | instskip(SKIP_1) | instid1(VALU_DEP_2)
	v_perm_b32 v24, v19, v24, 0x5040100
	v_xor_b32_e32 v19, v22, v47
	v_xor_b32_e32 v20, v24, v48
	ds_store_b128 v23, v[17:20]
	; wave barrier
	ds_load_u16 v26, v25
	ds_load_u16 v27, v25 offset:64
	ds_load_u16 v28, v25 offset:128
	;; [unrolled: 1-line block ×7, first 2 shown]
	s_wait_loadcnt_dscnt 0x0
	s_barrier_signal -1
	s_barrier_wait -1
	global_inv scope:SCOPE_SE
	v_cmp_ne_u16_e32 vcc_lo, 0x8000, v26
	s_wait_alu 0xfffd
	v_cndmask_b32_e32 v0, 0x7fff, v26, vcc_lo
	v_mad_u32_u24 v17, v21, 48, v23
	ds_store_b128 v17, v[13:16]
	ds_store_b128 v17, v[9:12] offset:16
	v_and_b32_e32 v0, 0xffff, v0
	ds_store_b128 v17, v[5:8] offset:32
	ds_store_b128 v17, v[1:4] offset:48
	v_mad_u32_u24 v12, v36, 6, v25
	; wave barrier
	v_and_b32_e32 v23, s9, v0
	ds_load_2addr_b64 v[8:11], v12 offset1:32
	ds_load_2addr_b64 v[0:3], v12 offset0:64 offset1:96
	v_and_b32_e32 v4, 1, v23
	v_lshlrev_b32_e32 v18, 30, v23
	v_lshlrev_b32_e32 v19, 29, v23
	;; [unrolled: 1-line block ×3, first 2 shown]
	s_delay_alu instid0(VALU_DEP_4)
	v_add_co_u32 v16, s8, v4, -1
	s_wait_alu 0xf1ff
	v_cndmask_b32_e64 v17, 0, 1, s8
	ds_load_2addr_b64 v[4:7], v12 offset0:128 offset1:160
	ds_load_2addr_b64 v[12:15], v12 offset0:192 offset1:224
	s_wait_loadcnt_dscnt 0x0
	s_barrier_signal -1
	v_cmp_ne_u32_e32 vcc_lo, 0, v17
	v_not_b32_e32 v17, v18
	s_barrier_wait -1
	global_inv scope:SCOPE_SE
	s_load_b32 s8, s[34:35], 0xc
	v_xor_b32_e32 v16, vcc_lo, v16
	v_cmp_gt_i32_e32 vcc_lo, 0, v18
	v_ashrrev_i32_e32 v17, 31, v17
	v_not_b32_e32 v18, v19
	s_delay_alu instid0(VALU_DEP_4) | instskip(SKIP_1) | instid1(VALU_DEP_3)
	v_and_b32_e32 v16, exec_lo, v16
	s_wait_alu 0xfffd
	v_xor_b32_e32 v17, vcc_lo, v17
	v_cmp_gt_i32_e32 vcc_lo, 0, v19
	v_ashrrev_i32_e32 v18, 31, v18
	v_not_b32_e32 v19, v20
	s_delay_alu instid0(VALU_DEP_4)
	v_and_b32_e32 v16, v16, v17
	v_lshlrev_b32_e32 v17, 27, v23
	s_wait_alu 0xfffd
	v_xor_b32_e32 v18, vcc_lo, v18
	v_cmp_gt_i32_e32 vcc_lo, 0, v20
	v_ashrrev_i32_e32 v19, 31, v19
	v_not_b32_e32 v20, v17
	s_delay_alu instid0(VALU_DEP_4)
	v_and_b32_e32 v16, v16, v18
	v_lshlrev_b32_e32 v18, 26, v23
	s_wait_alu 0xfffd
	v_xor_b32_e32 v19, vcc_lo, v19
	v_cmp_gt_i32_e32 vcc_lo, 0, v17
	v_ashrrev_i32_e32 v17, 31, v20
	s_wait_kmcnt 0x0
	s_lshr_b32 s10, s8, 16
	v_not_b32_e32 v20, v18
	v_and_b32_e32 v16, v16, v19
	v_lshlrev_b32_e32 v19, 25, v23
	s_wait_alu 0xfffd
	v_xor_b32_e32 v17, vcc_lo, v17
	v_cmp_gt_i32_e32 vcc_lo, 0, v18
	v_ashrrev_i32_e32 v18, 31, v20
	v_mad_u32_u24 v21, v72, s10, v71
	v_not_b32_e32 v20, v19
	v_and_b32_e32 v16, v16, v17
	v_lshlrev_b32_e32 v17, 24, v23
	s_wait_alu 0xfffd
	v_xor_b32_e32 v18, vcc_lo, v18
	v_cmp_gt_i32_e32 vcc_lo, 0, v19
	v_ashrrev_i32_e32 v19, 31, v20
	s_and_b32 s8, s8, 0xffff
	v_not_b32_e32 v20, v17
	v_and_b32_e32 v16, v16, v18
	s_wait_alu 0xfffe
	v_mad_co_u64_u32 v[21:22], null, v21, s8, v[46:47]
	s_wait_alu 0xfffd
	v_xor_b32_e32 v18, vcc_lo, v19
	v_cmp_gt_i32_e32 vcc_lo, 0, v17
	v_ashrrev_i32_e32 v17, 31, v20
	s_delay_alu instid0(VALU_DEP_3) | instskip(SKIP_2) | instid1(VALU_DEP_3)
	v_and_b32_e32 v16, v16, v18
	v_lshrrev_b32_e32 v21, 5, v21
	s_wait_alu 0xfffd
	v_xor_b32_e32 v22, vcc_lo, v17
	v_dual_mov_b32 v20, s15 :: v_dual_mov_b32 v19, s14
	v_dual_mov_b32 v18, s13 :: v_dual_mov_b32 v17, s12
	s_delay_alu instid0(VALU_DEP_3)
	v_and_b32_e32 v16, v16, v22
	ds_store_b128 v67, v[17:20] offset:64
	ds_store_b128 v67, v[17:20] offset:80
	v_mbcnt_lo_u32_b32 v38, v16, 0
	v_lshlrev_b32_e32 v24, 2, v21
	v_lshlrev_b32_e32 v17, 6, v23
	v_cmp_ne_u32_e64 s8, 0, v16
	s_wait_loadcnt_dscnt 0x0
	v_cmp_eq_u32_e32 vcc_lo, 0, v38
	s_barrier_signal -1
	v_add_nc_u32_e32 v39, v24, v17
	s_barrier_wait -1
	global_inv scope:SCOPE_SE
	s_and_b32 s10, s8, vcc_lo
	; wave barrier
	s_wait_alu 0xfffe
	s_and_saveexec_b32 s8, s10
; %bb.84:
	v_bcnt_u32_b32 v16, v16, 0
	ds_store_b32 v39, v16 offset:64
; %bb.85:
	s_wait_alu 0xfffe
	s_or_b32 exec_lo, exec_lo, s8
	v_cmp_ne_u16_e32 vcc_lo, 0x8000, v27
	; wave barrier
	s_wait_alu 0xfffd
	v_cndmask_b32_e32 v16, 0x7fff, v27, vcc_lo
	s_delay_alu instid0(VALU_DEP_1) | instskip(NEXT) | instid1(VALU_DEP_1)
	v_and_b32_e32 v16, 0xffff, v16
	v_and_b32_e32 v16, s9, v16
	s_delay_alu instid0(VALU_DEP_1)
	v_and_b32_e32 v17, 1, v16
	v_lshlrev_b32_e32 v18, 30, v16
	v_lshlrev_b32_e32 v19, 29, v16
	;; [unrolled: 1-line block ×4, first 2 shown]
	v_add_co_u32 v17, s8, v17, -1
	s_wait_alu 0xf1ff
	v_cndmask_b32_e64 v21, 0, 1, s8
	v_not_b32_e32 v35, v18
	v_cmp_gt_i32_e64 s8, 0, v18
	v_not_b32_e32 v18, v19
	v_lshlrev_b32_e32 v23, 26, v16
	v_cmp_ne_u32_e32 vcc_lo, 0, v21
	v_ashrrev_i32_e32 v35, 31, v35
	v_lshlrev_b32_e32 v34, 25, v16
	v_ashrrev_i32_e32 v18, 31, v18
	v_lshlrev_b32_e32 v21, 24, v16
	s_wait_alu 0xfffd
	v_xor_b32_e32 v17, vcc_lo, v17
	v_cmp_gt_i32_e32 vcc_lo, 0, v19
	v_not_b32_e32 v19, v20
	s_wait_alu 0xf1ff
	v_xor_b32_e32 v35, s8, v35
	v_cmp_gt_i32_e64 s8, 0, v20
	v_and_b32_e32 v17, exec_lo, v17
	v_not_b32_e32 v20, v22
	v_ashrrev_i32_e32 v19, 31, v19
	s_wait_alu 0xfffd
	v_xor_b32_e32 v18, vcc_lo, v18
	v_cmp_gt_i32_e32 vcc_lo, 0, v22
	v_and_b32_e32 v17, v17, v35
	v_not_b32_e32 v22, v23
	v_ashrrev_i32_e32 v20, 31, v20
	s_wait_alu 0xf1ff
	v_xor_b32_e32 v19, s8, v19
	v_cmp_gt_i32_e64 s8, 0, v23
	v_and_b32_e32 v17, v17, v18
	v_not_b32_e32 v18, v34
	v_ashrrev_i32_e32 v22, 31, v22
	s_wait_alu 0xfffd
	v_xor_b32_e32 v20, vcc_lo, v20
	v_cmp_gt_i32_e32 vcc_lo, 0, v34
	v_and_b32_e32 v17, v17, v19
	v_not_b32_e32 v19, v21
	v_ashrrev_i32_e32 v18, 31, v18
	s_wait_alu 0xf1ff
	v_xor_b32_e32 v22, s8, v22
	v_lshlrev_b32_e32 v16, 6, v16
	v_and_b32_e32 v17, v17, v20
	v_cmp_gt_i32_e64 s8, 0, v21
	v_ashrrev_i32_e32 v19, 31, v19
	s_wait_alu 0xfffd
	v_xor_b32_e32 v18, vcc_lo, v18
	v_add_nc_u32_e32 v48, v24, v16
	v_and_b32_e32 v17, v17, v22
	s_wait_alu 0xf1ff
	v_xor_b32_e32 v16, s8, v19
	ds_load_b32 v40, v48 offset:64
	v_and_b32_e32 v17, v17, v18
	; wave barrier
	s_delay_alu instid0(VALU_DEP_1) | instskip(NEXT) | instid1(VALU_DEP_1)
	v_and_b32_e32 v16, v17, v16
	v_mbcnt_lo_u32_b32 v47, v16, 0
	v_cmp_ne_u32_e64 s8, 0, v16
	s_delay_alu instid0(VALU_DEP_2)
	v_cmp_eq_u32_e32 vcc_lo, 0, v47
	s_and_b32 s10, s8, vcc_lo
	s_wait_alu 0xfffe
	s_and_saveexec_b32 s8, s10
	s_cbranch_execz .LBB225_87
; %bb.86:
	s_wait_dscnt 0x0
	v_bcnt_u32_b32 v16, v16, v40
	ds_store_b32 v48, v16 offset:64
.LBB225_87:
	s_wait_alu 0xfffe
	s_or_b32 exec_lo, exec_lo, s8
	v_cmp_ne_u16_e32 vcc_lo, 0x8000, v28
	; wave barrier
	s_wait_alu 0xfffd
	v_cndmask_b32_e32 v16, 0x7fff, v28, vcc_lo
	s_delay_alu instid0(VALU_DEP_1) | instskip(NEXT) | instid1(VALU_DEP_1)
	v_and_b32_e32 v16, 0xffff, v16
	v_and_b32_e32 v16, s9, v16
	s_delay_alu instid0(VALU_DEP_1)
	v_and_b32_e32 v17, 1, v16
	v_lshlrev_b32_e32 v18, 30, v16
	v_lshlrev_b32_e32 v19, 29, v16
	;; [unrolled: 1-line block ×4, first 2 shown]
	v_add_co_u32 v17, s8, v17, -1
	s_wait_alu 0xf1ff
	v_cndmask_b32_e64 v21, 0, 1, s8
	v_not_b32_e32 v35, v18
	v_cmp_gt_i32_e64 s8, 0, v18
	v_not_b32_e32 v18, v19
	v_lshlrev_b32_e32 v23, 26, v16
	v_cmp_ne_u32_e32 vcc_lo, 0, v21
	v_ashrrev_i32_e32 v35, 31, v35
	v_lshlrev_b32_e32 v34, 25, v16
	v_ashrrev_i32_e32 v18, 31, v18
	v_lshlrev_b32_e32 v21, 24, v16
	s_wait_alu 0xfffd
	v_xor_b32_e32 v17, vcc_lo, v17
	v_cmp_gt_i32_e32 vcc_lo, 0, v19
	v_not_b32_e32 v19, v20
	s_wait_alu 0xf1ff
	v_xor_b32_e32 v35, s8, v35
	v_cmp_gt_i32_e64 s8, 0, v20
	v_and_b32_e32 v17, exec_lo, v17
	v_not_b32_e32 v20, v22
	v_ashrrev_i32_e32 v19, 31, v19
	s_wait_alu 0xfffd
	v_xor_b32_e32 v18, vcc_lo, v18
	v_cmp_gt_i32_e32 vcc_lo, 0, v22
	v_and_b32_e32 v17, v17, v35
	v_not_b32_e32 v22, v23
	v_ashrrev_i32_e32 v20, 31, v20
	s_wait_alu 0xf1ff
	v_xor_b32_e32 v19, s8, v19
	v_cmp_gt_i32_e64 s8, 0, v23
	v_and_b32_e32 v17, v17, v18
	v_not_b32_e32 v18, v34
	v_ashrrev_i32_e32 v22, 31, v22
	s_wait_alu 0xfffd
	v_xor_b32_e32 v20, vcc_lo, v20
	v_cmp_gt_i32_e32 vcc_lo, 0, v34
	v_and_b32_e32 v17, v17, v19
	v_not_b32_e32 v19, v21
	v_ashrrev_i32_e32 v18, 31, v18
	s_wait_alu 0xf1ff
	v_xor_b32_e32 v22, s8, v22
	v_lshlrev_b32_e32 v16, 6, v16
	v_and_b32_e32 v17, v17, v20
	v_cmp_gt_i32_e64 s8, 0, v21
	v_ashrrev_i32_e32 v19, 31, v19
	s_wait_alu 0xfffd
	v_xor_b32_e32 v18, vcc_lo, v18
	v_add_nc_u32_e32 v71, v24, v16
	v_and_b32_e32 v17, v17, v22
	s_wait_alu 0xf1ff
	v_xor_b32_e32 v16, s8, v19
	ds_load_b32 v49, v71 offset:64
	v_and_b32_e32 v17, v17, v18
	; wave barrier
	s_delay_alu instid0(VALU_DEP_1) | instskip(NEXT) | instid1(VALU_DEP_1)
	v_and_b32_e32 v16, v17, v16
	v_mbcnt_lo_u32_b32 v50, v16, 0
	v_cmp_ne_u32_e64 s8, 0, v16
	s_delay_alu instid0(VALU_DEP_2)
	v_cmp_eq_u32_e32 vcc_lo, 0, v50
	s_and_b32 s10, s8, vcc_lo
	s_wait_alu 0xfffe
	s_and_saveexec_b32 s8, s10
	s_cbranch_execz .LBB225_89
; %bb.88:
	s_wait_dscnt 0x0
	v_bcnt_u32_b32 v16, v16, v49
	ds_store_b32 v71, v16 offset:64
.LBB225_89:
	s_wait_alu 0xfffe
	s_or_b32 exec_lo, exec_lo, s8
	v_cmp_ne_u16_e32 vcc_lo, 0x8000, v29
	; wave barrier
	s_wait_alu 0xfffd
	v_cndmask_b32_e32 v16, 0x7fff, v29, vcc_lo
	s_delay_alu instid0(VALU_DEP_1) | instskip(NEXT) | instid1(VALU_DEP_1)
	v_and_b32_e32 v16, 0xffff, v16
	v_and_b32_e32 v16, s9, v16
	s_delay_alu instid0(VALU_DEP_1)
	v_and_b32_e32 v17, 1, v16
	v_lshlrev_b32_e32 v18, 30, v16
	v_lshlrev_b32_e32 v19, 29, v16
	;; [unrolled: 1-line block ×4, first 2 shown]
	v_add_co_u32 v17, s8, v17, -1
	s_wait_alu 0xf1ff
	v_cndmask_b32_e64 v21, 0, 1, s8
	v_not_b32_e32 v35, v18
	v_cmp_gt_i32_e64 s8, 0, v18
	v_not_b32_e32 v18, v19
	v_lshlrev_b32_e32 v23, 26, v16
	v_cmp_ne_u32_e32 vcc_lo, 0, v21
	v_ashrrev_i32_e32 v35, 31, v35
	v_lshlrev_b32_e32 v34, 25, v16
	v_ashrrev_i32_e32 v18, 31, v18
	v_lshlrev_b32_e32 v21, 24, v16
	s_wait_alu 0xfffd
	v_xor_b32_e32 v17, vcc_lo, v17
	v_cmp_gt_i32_e32 vcc_lo, 0, v19
	v_not_b32_e32 v19, v20
	s_wait_alu 0xf1ff
	v_xor_b32_e32 v35, s8, v35
	v_cmp_gt_i32_e64 s8, 0, v20
	v_and_b32_e32 v17, exec_lo, v17
	v_not_b32_e32 v20, v22
	v_ashrrev_i32_e32 v19, 31, v19
	s_wait_alu 0xfffd
	v_xor_b32_e32 v18, vcc_lo, v18
	v_cmp_gt_i32_e32 vcc_lo, 0, v22
	v_and_b32_e32 v17, v17, v35
	v_not_b32_e32 v22, v23
	v_ashrrev_i32_e32 v20, 31, v20
	s_wait_alu 0xf1ff
	v_xor_b32_e32 v19, s8, v19
	v_cmp_gt_i32_e64 s8, 0, v23
	v_and_b32_e32 v17, v17, v18
	v_not_b32_e32 v18, v34
	v_ashrrev_i32_e32 v22, 31, v22
	s_wait_alu 0xfffd
	v_xor_b32_e32 v20, vcc_lo, v20
	v_cmp_gt_i32_e32 vcc_lo, 0, v34
	v_and_b32_e32 v17, v17, v19
	v_not_b32_e32 v19, v21
	v_ashrrev_i32_e32 v18, 31, v18
	s_wait_alu 0xf1ff
	v_xor_b32_e32 v22, s8, v22
	v_lshlrev_b32_e32 v16, 6, v16
	v_and_b32_e32 v17, v17, v20
	v_cmp_gt_i32_e64 s8, 0, v21
	v_ashrrev_i32_e32 v19, 31, v19
	s_wait_alu 0xfffd
	v_xor_b32_e32 v18, vcc_lo, v18
	v_add_nc_u32_e32 v74, v24, v16
	v_and_b32_e32 v17, v17, v22
	s_wait_alu 0xf1ff
	v_xor_b32_e32 v16, s8, v19
	ds_load_b32 v72, v74 offset:64
	v_and_b32_e32 v17, v17, v18
	; wave barrier
	s_delay_alu instid0(VALU_DEP_1) | instskip(NEXT) | instid1(VALU_DEP_1)
	v_and_b32_e32 v16, v17, v16
	v_mbcnt_lo_u32_b32 v73, v16, 0
	v_cmp_ne_u32_e64 s8, 0, v16
	s_delay_alu instid0(VALU_DEP_2)
	v_cmp_eq_u32_e32 vcc_lo, 0, v73
	s_and_b32 s10, s8, vcc_lo
	s_wait_alu 0xfffe
	s_and_saveexec_b32 s8, s10
	s_cbranch_execz .LBB225_91
; %bb.90:
	s_wait_dscnt 0x0
	v_bcnt_u32_b32 v16, v16, v72
	ds_store_b32 v74, v16 offset:64
.LBB225_91:
	s_wait_alu 0xfffe
	s_or_b32 exec_lo, exec_lo, s8
	v_cmp_ne_u16_e32 vcc_lo, 0x8000, v30
	; wave barrier
	s_wait_alu 0xfffd
	v_cndmask_b32_e32 v16, 0x7fff, v30, vcc_lo
	s_delay_alu instid0(VALU_DEP_1) | instskip(NEXT) | instid1(VALU_DEP_1)
	v_and_b32_e32 v16, 0xffff, v16
	v_and_b32_e32 v16, s9, v16
	s_delay_alu instid0(VALU_DEP_1)
	v_and_b32_e32 v17, 1, v16
	v_lshlrev_b32_e32 v18, 30, v16
	v_lshlrev_b32_e32 v19, 29, v16
	;; [unrolled: 1-line block ×4, first 2 shown]
	v_add_co_u32 v17, s8, v17, -1
	s_wait_alu 0xf1ff
	v_cndmask_b32_e64 v21, 0, 1, s8
	v_not_b32_e32 v35, v18
	v_cmp_gt_i32_e64 s8, 0, v18
	v_not_b32_e32 v18, v19
	v_lshlrev_b32_e32 v23, 26, v16
	v_cmp_ne_u32_e32 vcc_lo, 0, v21
	v_ashrrev_i32_e32 v35, 31, v35
	v_lshlrev_b32_e32 v34, 25, v16
	v_ashrrev_i32_e32 v18, 31, v18
	v_lshlrev_b32_e32 v21, 24, v16
	s_wait_alu 0xfffd
	v_xor_b32_e32 v17, vcc_lo, v17
	v_cmp_gt_i32_e32 vcc_lo, 0, v19
	v_not_b32_e32 v19, v20
	s_wait_alu 0xf1ff
	v_xor_b32_e32 v35, s8, v35
	v_cmp_gt_i32_e64 s8, 0, v20
	v_and_b32_e32 v17, exec_lo, v17
	v_not_b32_e32 v20, v22
	v_ashrrev_i32_e32 v19, 31, v19
	s_wait_alu 0xfffd
	v_xor_b32_e32 v18, vcc_lo, v18
	v_cmp_gt_i32_e32 vcc_lo, 0, v22
	v_and_b32_e32 v17, v17, v35
	v_not_b32_e32 v22, v23
	v_ashrrev_i32_e32 v20, 31, v20
	s_wait_alu 0xf1ff
	v_xor_b32_e32 v19, s8, v19
	v_cmp_gt_i32_e64 s8, 0, v23
	v_and_b32_e32 v17, v17, v18
	v_not_b32_e32 v18, v34
	v_ashrrev_i32_e32 v22, 31, v22
	s_wait_alu 0xfffd
	v_xor_b32_e32 v20, vcc_lo, v20
	v_cmp_gt_i32_e32 vcc_lo, 0, v34
	v_and_b32_e32 v17, v17, v19
	v_not_b32_e32 v19, v21
	v_ashrrev_i32_e32 v18, 31, v18
	s_wait_alu 0xf1ff
	v_xor_b32_e32 v22, s8, v22
	v_lshlrev_b32_e32 v16, 6, v16
	v_and_b32_e32 v17, v17, v20
	v_cmp_gt_i32_e64 s8, 0, v21
	v_ashrrev_i32_e32 v19, 31, v19
	s_wait_alu 0xfffd
	v_xor_b32_e32 v18, vcc_lo, v18
	v_add_nc_u32_e32 v77, v24, v16
	v_and_b32_e32 v17, v17, v22
	s_wait_alu 0xf1ff
	v_xor_b32_e32 v16, s8, v19
	ds_load_b32 v75, v77 offset:64
	v_and_b32_e32 v17, v17, v18
	; wave barrier
	s_delay_alu instid0(VALU_DEP_1) | instskip(NEXT) | instid1(VALU_DEP_1)
	v_and_b32_e32 v16, v17, v16
	v_mbcnt_lo_u32_b32 v76, v16, 0
	v_cmp_ne_u32_e64 s8, 0, v16
	s_delay_alu instid0(VALU_DEP_2)
	v_cmp_eq_u32_e32 vcc_lo, 0, v76
	s_and_b32 s10, s8, vcc_lo
	s_wait_alu 0xfffe
	s_and_saveexec_b32 s8, s10
	s_cbranch_execz .LBB225_93
; %bb.92:
	s_wait_dscnt 0x0
	v_bcnt_u32_b32 v16, v16, v75
	ds_store_b32 v77, v16 offset:64
.LBB225_93:
	s_wait_alu 0xfffe
	s_or_b32 exec_lo, exec_lo, s8
	v_cmp_ne_u16_e32 vcc_lo, 0x8000, v31
	; wave barrier
	s_wait_alu 0xfffd
	v_cndmask_b32_e32 v16, 0x7fff, v31, vcc_lo
	s_delay_alu instid0(VALU_DEP_1) | instskip(NEXT) | instid1(VALU_DEP_1)
	v_and_b32_e32 v16, 0xffff, v16
	v_and_b32_e32 v16, s9, v16
	s_delay_alu instid0(VALU_DEP_1)
	v_and_b32_e32 v17, 1, v16
	v_lshlrev_b32_e32 v18, 30, v16
	v_lshlrev_b32_e32 v19, 29, v16
	;; [unrolled: 1-line block ×4, first 2 shown]
	v_add_co_u32 v17, s8, v17, -1
	s_wait_alu 0xf1ff
	v_cndmask_b32_e64 v21, 0, 1, s8
	v_not_b32_e32 v35, v18
	v_cmp_gt_i32_e64 s8, 0, v18
	v_not_b32_e32 v18, v19
	v_lshlrev_b32_e32 v23, 26, v16
	v_cmp_ne_u32_e32 vcc_lo, 0, v21
	v_ashrrev_i32_e32 v35, 31, v35
	v_lshlrev_b32_e32 v34, 25, v16
	v_ashrrev_i32_e32 v18, 31, v18
	v_lshlrev_b32_e32 v21, 24, v16
	s_wait_alu 0xfffd
	v_xor_b32_e32 v17, vcc_lo, v17
	v_cmp_gt_i32_e32 vcc_lo, 0, v19
	v_not_b32_e32 v19, v20
	s_wait_alu 0xf1ff
	v_xor_b32_e32 v35, s8, v35
	v_cmp_gt_i32_e64 s8, 0, v20
	v_and_b32_e32 v17, exec_lo, v17
	v_not_b32_e32 v20, v22
	v_ashrrev_i32_e32 v19, 31, v19
	s_wait_alu 0xfffd
	v_xor_b32_e32 v18, vcc_lo, v18
	v_cmp_gt_i32_e32 vcc_lo, 0, v22
	v_and_b32_e32 v17, v17, v35
	v_not_b32_e32 v22, v23
	v_ashrrev_i32_e32 v20, 31, v20
	s_wait_alu 0xf1ff
	v_xor_b32_e32 v19, s8, v19
	v_cmp_gt_i32_e64 s8, 0, v23
	v_and_b32_e32 v17, v17, v18
	v_not_b32_e32 v18, v34
	v_ashrrev_i32_e32 v22, 31, v22
	s_wait_alu 0xfffd
	v_xor_b32_e32 v20, vcc_lo, v20
	v_cmp_gt_i32_e32 vcc_lo, 0, v34
	v_and_b32_e32 v17, v17, v19
	v_not_b32_e32 v19, v21
	v_ashrrev_i32_e32 v18, 31, v18
	s_wait_alu 0xf1ff
	v_xor_b32_e32 v22, s8, v22
	v_lshlrev_b32_e32 v16, 6, v16
	v_and_b32_e32 v17, v17, v20
	v_cmp_gt_i32_e64 s8, 0, v21
	v_ashrrev_i32_e32 v19, 31, v19
	s_wait_alu 0xfffd
	v_xor_b32_e32 v18, vcc_lo, v18
	v_add_nc_u32_e32 v80, v24, v16
	v_and_b32_e32 v17, v17, v22
	s_wait_alu 0xf1ff
	v_xor_b32_e32 v16, s8, v19
	ds_load_b32 v78, v80 offset:64
	v_and_b32_e32 v17, v17, v18
	; wave barrier
	s_delay_alu instid0(VALU_DEP_1) | instskip(NEXT) | instid1(VALU_DEP_1)
	v_and_b32_e32 v16, v17, v16
	v_mbcnt_lo_u32_b32 v79, v16, 0
	v_cmp_ne_u32_e64 s8, 0, v16
	s_delay_alu instid0(VALU_DEP_2)
	v_cmp_eq_u32_e32 vcc_lo, 0, v79
	s_and_b32 s10, s8, vcc_lo
	s_wait_alu 0xfffe
	s_and_saveexec_b32 s8, s10
	s_cbranch_execz .LBB225_95
; %bb.94:
	s_wait_dscnt 0x0
	v_bcnt_u32_b32 v16, v16, v78
	ds_store_b32 v80, v16 offset:64
.LBB225_95:
	s_wait_alu 0xfffe
	s_or_b32 exec_lo, exec_lo, s8
	v_cmp_ne_u16_e32 vcc_lo, 0x8000, v32
	; wave barrier
	s_wait_alu 0xfffd
	v_cndmask_b32_e32 v16, 0x7fff, v32, vcc_lo
	s_delay_alu instid0(VALU_DEP_1) | instskip(NEXT) | instid1(VALU_DEP_1)
	v_and_b32_e32 v16, 0xffff, v16
	v_and_b32_e32 v16, s9, v16
	s_delay_alu instid0(VALU_DEP_1)
	v_and_b32_e32 v17, 1, v16
	v_lshlrev_b32_e32 v18, 30, v16
	v_lshlrev_b32_e32 v19, 29, v16
	;; [unrolled: 1-line block ×4, first 2 shown]
	v_add_co_u32 v17, s8, v17, -1
	s_wait_alu 0xf1ff
	v_cndmask_b32_e64 v21, 0, 1, s8
	v_not_b32_e32 v35, v18
	v_cmp_gt_i32_e64 s8, 0, v18
	v_not_b32_e32 v18, v19
	v_lshlrev_b32_e32 v23, 26, v16
	v_cmp_ne_u32_e32 vcc_lo, 0, v21
	v_ashrrev_i32_e32 v35, 31, v35
	v_lshlrev_b32_e32 v34, 25, v16
	v_ashrrev_i32_e32 v18, 31, v18
	v_lshlrev_b32_e32 v21, 24, v16
	s_wait_alu 0xfffd
	v_xor_b32_e32 v17, vcc_lo, v17
	v_cmp_gt_i32_e32 vcc_lo, 0, v19
	v_not_b32_e32 v19, v20
	s_wait_alu 0xf1ff
	v_xor_b32_e32 v35, s8, v35
	v_cmp_gt_i32_e64 s8, 0, v20
	v_and_b32_e32 v17, exec_lo, v17
	v_not_b32_e32 v20, v22
	v_ashrrev_i32_e32 v19, 31, v19
	s_wait_alu 0xfffd
	v_xor_b32_e32 v18, vcc_lo, v18
	v_cmp_gt_i32_e32 vcc_lo, 0, v22
	v_and_b32_e32 v17, v17, v35
	v_not_b32_e32 v22, v23
	v_ashrrev_i32_e32 v20, 31, v20
	s_wait_alu 0xf1ff
	v_xor_b32_e32 v19, s8, v19
	v_cmp_gt_i32_e64 s8, 0, v23
	v_and_b32_e32 v17, v17, v18
	v_not_b32_e32 v18, v34
	v_ashrrev_i32_e32 v22, 31, v22
	s_wait_alu 0xfffd
	v_xor_b32_e32 v20, vcc_lo, v20
	v_cmp_gt_i32_e32 vcc_lo, 0, v34
	v_and_b32_e32 v17, v17, v19
	v_not_b32_e32 v19, v21
	v_ashrrev_i32_e32 v18, 31, v18
	s_wait_alu 0xf1ff
	v_xor_b32_e32 v22, s8, v22
	v_lshlrev_b32_e32 v16, 6, v16
	v_and_b32_e32 v17, v17, v20
	v_cmp_gt_i32_e64 s8, 0, v21
	v_ashrrev_i32_e32 v19, 31, v19
	s_wait_alu 0xfffd
	v_xor_b32_e32 v18, vcc_lo, v18
	v_add_nc_u32_e32 v83, v24, v16
	v_and_b32_e32 v17, v17, v22
	s_wait_alu 0xf1ff
	v_xor_b32_e32 v16, s8, v19
	ds_load_b32 v81, v83 offset:64
	v_and_b32_e32 v17, v17, v18
	; wave barrier
	s_delay_alu instid0(VALU_DEP_1) | instskip(NEXT) | instid1(VALU_DEP_1)
	v_and_b32_e32 v16, v17, v16
	v_mbcnt_lo_u32_b32 v82, v16, 0
	v_cmp_ne_u32_e64 s8, 0, v16
	s_delay_alu instid0(VALU_DEP_2)
	v_cmp_eq_u32_e32 vcc_lo, 0, v82
	s_and_b32 s10, s8, vcc_lo
	s_wait_alu 0xfffe
	s_and_saveexec_b32 s8, s10
	s_cbranch_execz .LBB225_97
; %bb.96:
	s_wait_dscnt 0x0
	v_bcnt_u32_b32 v16, v16, v81
	ds_store_b32 v83, v16 offset:64
.LBB225_97:
	s_wait_alu 0xfffe
	s_or_b32 exec_lo, exec_lo, s8
	v_cmp_ne_u16_e32 vcc_lo, 0x8000, v33
	; wave barrier
	s_wait_alu 0xfffd
	v_cndmask_b32_e32 v16, 0x7fff, v33, vcc_lo
	s_delay_alu instid0(VALU_DEP_1) | instskip(NEXT) | instid1(VALU_DEP_1)
	v_and_b32_e32 v16, 0xffff, v16
	v_and_b32_e32 v16, s9, v16
	s_delay_alu instid0(VALU_DEP_1)
	v_and_b32_e32 v17, 1, v16
	v_lshlrev_b32_e32 v18, 30, v16
	v_lshlrev_b32_e32 v19, 29, v16
	v_lshlrev_b32_e32 v20, 28, v16
	v_lshlrev_b32_e32 v22, 27, v16
	v_add_co_u32 v17, s8, v17, -1
	s_wait_alu 0xf1ff
	v_cndmask_b32_e64 v21, 0, 1, s8
	v_not_b32_e32 v35, v18
	v_cmp_gt_i32_e64 s8, 0, v18
	v_not_b32_e32 v18, v19
	v_lshlrev_b32_e32 v23, 26, v16
	v_cmp_ne_u32_e32 vcc_lo, 0, v21
	v_ashrrev_i32_e32 v35, 31, v35
	v_lshlrev_b32_e32 v34, 25, v16
	v_ashrrev_i32_e32 v18, 31, v18
	v_lshlrev_b32_e32 v21, 24, v16
	s_wait_alu 0xfffd
	v_xor_b32_e32 v17, vcc_lo, v17
	v_cmp_gt_i32_e32 vcc_lo, 0, v19
	v_not_b32_e32 v19, v20
	s_wait_alu 0xf1ff
	v_xor_b32_e32 v35, s8, v35
	v_cmp_gt_i32_e64 s8, 0, v20
	v_and_b32_e32 v17, exec_lo, v17
	v_not_b32_e32 v20, v22
	v_ashrrev_i32_e32 v19, 31, v19
	s_wait_alu 0xfffd
	v_xor_b32_e32 v18, vcc_lo, v18
	v_cmp_gt_i32_e32 vcc_lo, 0, v22
	v_and_b32_e32 v17, v17, v35
	v_not_b32_e32 v22, v23
	v_ashrrev_i32_e32 v20, 31, v20
	s_wait_alu 0xf1ff
	v_xor_b32_e32 v19, s8, v19
	v_cmp_gt_i32_e64 s8, 0, v23
	v_and_b32_e32 v17, v17, v18
	v_not_b32_e32 v18, v34
	v_ashrrev_i32_e32 v22, 31, v22
	s_wait_alu 0xfffd
	v_xor_b32_e32 v20, vcc_lo, v20
	v_cmp_gt_i32_e32 vcc_lo, 0, v34
	v_and_b32_e32 v17, v17, v19
	v_not_b32_e32 v19, v21
	v_ashrrev_i32_e32 v18, 31, v18
	s_wait_alu 0xf1ff
	v_xor_b32_e32 v22, s8, v22
	v_lshlrev_b32_e32 v16, 6, v16
	v_and_b32_e32 v17, v17, v20
	v_cmp_gt_i32_e64 s8, 0, v21
	v_ashrrev_i32_e32 v19, 31, v19
	s_wait_alu 0xfffd
	v_xor_b32_e32 v18, vcc_lo, v18
	v_add_nc_u32_e32 v86, v24, v16
	v_and_b32_e32 v17, v17, v22
	v_min_u32_e32 v34, 0x1e0, v70
	s_wait_alu 0xf1ff
	v_xor_b32_e32 v16, s8, v19
	ds_load_b32 v84, v86 offset:64
	v_and_b32_e32 v17, v17, v18
	; wave barrier
	s_delay_alu instid0(VALU_DEP_1) | instskip(NEXT) | instid1(VALU_DEP_1)
	v_and_b32_e32 v16, v17, v16
	v_mbcnt_lo_u32_b32 v85, v16, 0
	v_cmp_ne_u32_e64 s8, 0, v16
	s_delay_alu instid0(VALU_DEP_2)
	v_cmp_eq_u32_e32 vcc_lo, 0, v85
	s_and_b32 s9, s8, vcc_lo
	s_wait_alu 0xfffe
	s_and_saveexec_b32 s8, s9
	s_cbranch_execz .LBB225_99
; %bb.98:
	s_wait_dscnt 0x0
	v_bcnt_u32_b32 v16, v16, v84
	ds_store_b32 v86, v16 offset:64
.LBB225_99:
	s_wait_alu 0xfffe
	s_or_b32 exec_lo, exec_lo, s8
	; wave barrier
	s_wait_loadcnt_dscnt 0x0
	s_barrier_signal -1
	s_barrier_wait -1
	global_inv scope:SCOPE_SE
	ds_load_b128 v[20:23], v67 offset:64
	ds_load_b128 v[16:19], v67 offset:80
	v_and_b32_e32 v70, 16, v69
	v_or_b32_e32 v34, 31, v34
	s_delay_alu instid0(VALU_DEP_2) | instskip(NEXT) | instid1(VALU_DEP_2)
	v_cmp_eq_u32_e64 s15, 0, v70
	v_cmp_eq_u32_e64 s13, v46, v34
	s_wait_dscnt 0x1
	v_add_nc_u32_e32 v35, v21, v20
	s_delay_alu instid0(VALU_DEP_1) | instskip(SKIP_1) | instid1(VALU_DEP_1)
	v_add3_u32 v35, v35, v22, v23
	s_wait_dscnt 0x0
	v_add3_u32 v35, v35, v16, v17
	s_delay_alu instid0(VALU_DEP_1) | instskip(SKIP_1) | instid1(VALU_DEP_2)
	v_add3_u32 v19, v35, v18, v19
	v_and_b32_e32 v35, 15, v69
	v_mov_b32_dpp v37, v19 row_shr:1 row_mask:0xf bank_mask:0xf
	s_delay_alu instid0(VALU_DEP_2)
	v_cmp_eq_u32_e32 vcc_lo, 0, v35
	v_cmp_lt_u32_e64 s8, 1, v35
	v_cmp_lt_u32_e64 s9, 3, v35
	;; [unrolled: 1-line block ×3, first 2 shown]
	s_wait_alu 0xfffd
	v_cndmask_b32_e64 v37, v37, 0, vcc_lo
	s_delay_alu instid0(VALU_DEP_1) | instskip(NEXT) | instid1(VALU_DEP_1)
	v_add_nc_u32_e32 v19, v37, v19
	v_mov_b32_dpp v37, v19 row_shr:2 row_mask:0xf bank_mask:0xf
	s_wait_alu 0xf1ff
	s_delay_alu instid0(VALU_DEP_1) | instskip(NEXT) | instid1(VALU_DEP_1)
	v_cndmask_b32_e64 v37, 0, v37, s8
	v_add_nc_u32_e32 v19, v19, v37
	s_delay_alu instid0(VALU_DEP_1) | instskip(NEXT) | instid1(VALU_DEP_1)
	v_mov_b32_dpp v37, v19 row_shr:4 row_mask:0xf bank_mask:0xf
	v_cndmask_b32_e64 v37, 0, v37, s9
	s_delay_alu instid0(VALU_DEP_1) | instskip(NEXT) | instid1(VALU_DEP_1)
	v_add_nc_u32_e32 v19, v19, v37
	v_mov_b32_dpp v37, v19 row_shr:8 row_mask:0xf bank_mask:0xf
	s_delay_alu instid0(VALU_DEP_1) | instskip(NEXT) | instid1(VALU_DEP_1)
	v_cndmask_b32_e64 v35, 0, v37, s10
	v_add_nc_u32_e32 v37, v19, v35
	v_bfe_i32 v35, v69, 4, 1
	ds_swizzle_b32 v19, v37 offset:swizzle(BROADCAST,32,15)
	s_wait_dscnt 0x0
	v_and_b32_e32 v87, v35, v19
	v_mul_i32_i24_e32 v19, 0xffffffe4, v46
	v_lshlrev_b32_e32 v35, 2, v68
	s_delay_alu instid0(VALU_DEP_3)
	v_add_nc_u32_e32 v37, v37, v87
	s_and_saveexec_b32 s11, s13
; %bb.100:
	ds_store_b32 v35, v37
; %bb.101:
	s_wait_alu 0xfffe
	s_or_b32 exec_lo, exec_lo, s11
	v_cmp_gt_u32_e64 s12, 16, v46
	v_add_nc_u32_e32 v34, v67, v19
	s_wait_loadcnt_dscnt 0x0
	s_barrier_signal -1
	s_barrier_wait -1
	global_inv scope:SCOPE_SE
	s_and_saveexec_b32 s11, s12
	s_cbranch_execz .LBB225_103
; %bb.102:
	ds_load_b32 v19, v34
	s_wait_dscnt 0x0
	v_mov_b32_dpp v68, v19 row_shr:1 row_mask:0xf bank_mask:0xf
	s_delay_alu instid0(VALU_DEP_1) | instskip(NEXT) | instid1(VALU_DEP_1)
	v_cndmask_b32_e64 v68, v68, 0, vcc_lo
	v_add_nc_u32_e32 v19, v68, v19
	s_delay_alu instid0(VALU_DEP_1) | instskip(NEXT) | instid1(VALU_DEP_1)
	v_mov_b32_dpp v68, v19 row_shr:2 row_mask:0xf bank_mask:0xf
	v_cndmask_b32_e64 v68, 0, v68, s8
	s_delay_alu instid0(VALU_DEP_1) | instskip(NEXT) | instid1(VALU_DEP_1)
	v_add_nc_u32_e32 v19, v19, v68
	v_mov_b32_dpp v68, v19 row_shr:4 row_mask:0xf bank_mask:0xf
	s_delay_alu instid0(VALU_DEP_1) | instskip(NEXT) | instid1(VALU_DEP_1)
	v_cndmask_b32_e64 v68, 0, v68, s9
	v_add_nc_u32_e32 v19, v19, v68
	s_delay_alu instid0(VALU_DEP_1) | instskip(NEXT) | instid1(VALU_DEP_1)
	v_mov_b32_dpp v68, v19 row_shr:8 row_mask:0xf bank_mask:0xf
	v_cndmask_b32_e64 v68, 0, v68, s10
	s_delay_alu instid0(VALU_DEP_1)
	v_add_nc_u32_e32 v19, v19, v68
	ds_store_b32 v34, v19
.LBB225_103:
	s_wait_alu 0xfffe
	s_or_b32 exec_lo, exec_lo, s11
	v_mul_u32_u24_e32 v19, 6, v36
	v_sub_co_u32 v68, s11, v69, 1
	v_cmp_lt_u32_e64 s14, 31, v46
	v_add_nc_u32_e32 v36, -4, v35
	v_mov_b32_e32 v70, 0
	s_wait_loadcnt_dscnt 0x0
	s_barrier_signal -1
	s_barrier_wait -1
	global_inv scope:SCOPE_SE
	s_and_saveexec_b32 s16, s14
; %bb.104:
	ds_load_b32 v70, v36
; %bb.105:
	s_or_b32 exec_lo, exec_lo, s16
	v_cmp_gt_i32_e64 s16, 0, v68
	s_mov_b32 s20, 0
	s_min_u32 s17, s17, 8
	s_mov_b32 s21, s20
	s_mov_b32 s22, s20
	v_cndmask_b32_e64 v68, v68, v69, s16
	s_mov_b32 s23, s20
	s_wait_dscnt 0x0
	v_add_nc_u32_e32 v69, v70, v37
	v_cmp_eq_u32_e64 s16, 0, v46
	s_lshl_b32 s17, -1, s17
	v_lshlrev_b32_e32 v37, 2, v68
	s_wait_alu 0xfffe
	s_not_b32 s19, s17
	ds_bpermute_b32 v68, v37, v69
	s_wait_dscnt 0x0
	v_cndmask_b32_e64 v68, v68, v70, s11
	s_delay_alu instid0(VALU_DEP_1) | instskip(NEXT) | instid1(VALU_DEP_1)
	v_cndmask_b32_e64 v87, v68, 0, s16
	v_add_nc_u32_e32 v88, v87, v20
	s_delay_alu instid0(VALU_DEP_1) | instskip(NEXT) | instid1(VALU_DEP_1)
	v_add_nc_u32_e32 v89, v88, v21
	v_add_nc_u32_e32 v90, v89, v22
	s_delay_alu instid0(VALU_DEP_1) | instskip(NEXT) | instid1(VALU_DEP_1)
	v_add_nc_u32_e32 v20, v90, v23
	;; [unrolled: 3-line block ×3, first 2 shown]
	v_add_nc_u32_e32 v23, v22, v18
	ds_store_b128 v67, v[87:90] offset:64
	ds_store_b128 v67, v[20:23] offset:80
	s_wait_loadcnt_dscnt 0x0
	s_barrier_signal -1
	s_barrier_wait -1
	global_inv scope:SCOPE_SE
	ds_load_b32 v16, v39 offset:64
	ds_load_b32 v17, v48 offset:64
	ds_load_b32 v18, v71 offset:64
	ds_load_b32 v20, v74 offset:64
	ds_load_b32 v21, v77 offset:64
	ds_load_b32 v22, v80 offset:64
	ds_load_b32 v23, v83 offset:64
	ds_load_b32 v39, v86 offset:64
	v_add_nc_u32_e32 v48, v25, v19
	s_wait_loadcnt_dscnt 0x0
	s_barrier_signal -1
	s_barrier_wait -1
	global_inv scope:SCOPE_SE
	v_add_nc_u32_e32 v38, v16, v38
	v_add3_u32 v40, v47, v40, v17
	v_add3_u32 v47, v50, v49, v18
	;; [unrolled: 1-line block ×7, first 2 shown]
	v_lshlrev_b32_e32 v16, 1, v38
	v_lshlrev_b32_e32 v17, 1, v40
	;; [unrolled: 1-line block ×8, first 2 shown]
	ds_store_b16 v16, v26
	ds_store_b16 v17, v27
	;; [unrolled: 1-line block ×8, first 2 shown]
	s_wait_loadcnt_dscnt 0x0
	s_barrier_signal -1
	s_barrier_wait -1
	global_inv scope:SCOPE_SE
	ds_load_u16 v26, v25
	ds_load_u16 v27, v25 offset:64
	ds_load_u16 v28, v25 offset:128
	ds_load_u16 v29, v25 offset:192
	ds_load_u16 v30, v25 offset:256
	ds_load_u16 v31, v25 offset:320
	ds_load_u16 v32, v25 offset:384
	ds_load_u16 v25, v25 offset:448
	v_mad_co_u64_u32 v[38:39], null, v38, 6, v[16:17]
	v_mad_co_u64_u32 v[16:17], null, v40, 6, v[17:18]
	;; [unrolled: 1-line block ×3, first 2 shown]
	s_wait_loadcnt_dscnt 0x0
	s_barrier_signal -1
	s_barrier_wait -1
	global_inv scope:SCOPE_SE
	v_mad_co_u64_u32 v[18:19], null, v49, 6, v[19:20]
	v_lshrrev_b16 v33, 8, v26
	v_cmp_ne_u16_e64 s17, 0x8000, v26
	ds_store_b64 v38, v[8:9]
	v_mad_co_u64_u32 v[19:20], null, v50, 6, v[20:21]
	v_mad_co_u64_u32 v[20:21], null, v68, 6, v[21:22]
	s_wait_alu 0xf1ff
	v_cndmask_b32_e64 v33, 0x7f, v33, s17
	v_mad_co_u64_u32 v[21:22], null, v69, 6, v[22:23]
	v_mad_co_u64_u32 v[22:23], null, v70, 6, v[23:24]
	s_delay_alu instid0(VALU_DEP_3)
	v_and_b32_e32 v8, 0xffff, v33
	ds_store_b64 v16, v[10:11]
	ds_store_b64 v17, v[0:1]
	;; [unrolled: 1-line block ×7, first 2 shown]
	s_wait_alu 0xfffe
	v_and_b32_e32 v23, s19, v8
	s_wait_loadcnt_dscnt 0x0
	s_barrier_signal -1
	s_barrier_wait -1
	global_inv scope:SCOPE_SE
	v_and_b32_e32 v0, 1, v23
	v_lshlrev_b32_e32 v1, 30, v23
	v_lshlrev_b32_e32 v2, 29, v23
	;; [unrolled: 1-line block ×4, first 2 shown]
	v_add_co_u32 v0, s17, v0, -1
	s_wait_alu 0xf1ff
	v_cndmask_b32_e64 v4, 0, 1, s17
	v_not_b32_e32 v8, v1
	v_cmp_gt_i32_e64 s18, 0, v1
	v_not_b32_e32 v1, v2
	v_lshlrev_b32_e32 v6, 26, v23
	v_cmp_ne_u32_e64 s17, 0, v4
	v_ashrrev_i32_e32 v8, 31, v8
	v_lshlrev_b32_e32 v7, 25, v23
	v_ashrrev_i32_e32 v1, 31, v1
	v_lshlrev_b32_e32 v4, 24, v23
	s_wait_alu 0xf1ff
	v_xor_b32_e32 v0, s17, v0
	v_cmp_gt_i32_e64 s17, 0, v2
	v_not_b32_e32 v2, v3
	v_xor_b32_e32 v8, s18, v8
	v_cmp_gt_i32_e64 s18, 0, v3
	v_and_b32_e32 v0, exec_lo, v0
	v_not_b32_e32 v3, v5
	v_ashrrev_i32_e32 v2, 31, v2
	s_wait_alu 0xf1ff
	v_xor_b32_e32 v1, s17, v1
	v_cmp_gt_i32_e64 s17, 0, v5
	v_and_b32_e32 v0, v0, v8
	v_not_b32_e32 v5, v6
	v_ashrrev_i32_e32 v3, 31, v3
	v_xor_b32_e32 v2, s18, v2
	v_cmp_gt_i32_e64 s18, 0, v6
	v_and_b32_e32 v0, v0, v1
	v_not_b32_e32 v1, v7
	v_ashrrev_i32_e32 v5, 31, v5
	s_wait_alu 0xf1ff
	v_xor_b32_e32 v3, s17, v3
	v_cmp_gt_i32_e64 s17, 0, v7
	v_and_b32_e32 v0, v0, v2
	v_not_b32_e32 v2, v4
	v_ashrrev_i32_e32 v1, 31, v1
	v_xor_b32_e32 v5, s18, v5
	v_cmp_gt_i32_e64 s18, 0, v4
	v_and_b32_e32 v0, v0, v3
	v_ashrrev_i32_e32 v2, 31, v2
	s_wait_alu 0xf1ff
	v_xor_b32_e32 v1, s17, v1
	v_dual_mov_b32 v17, s20 :: v_dual_mov_b32 v18, s21
	v_and_b32_e32 v0, v0, v5
	v_xor_b32_e32 v16, s18, v2
	ds_load_2addr_b64 v[4:7], v48 offset1:32
	v_dual_mov_b32 v19, s22 :: v_dual_mov_b32 v20, s23
	v_and_b32_e32 v21, v0, v1
	ds_load_2addr_b64 v[12:15], v48 offset0:64 offset1:96
	ds_load_2addr_b64 v[8:11], v48 offset0:128 offset1:160
	;; [unrolled: 1-line block ×3, first 2 shown]
	v_lshl_add_u32 v38, v23, 6, v24
	s_wait_loadcnt_dscnt 0x0
	s_barrier_signal -1
	v_and_b32_e32 v16, v21, v16
	s_barrier_wait -1
	global_inv scope:SCOPE_SE
	ds_store_b128 v67, v[17:20] offset:64
	ds_store_b128 v67, v[17:20] offset:80
	s_wait_loadcnt_dscnt 0x0
	v_mbcnt_lo_u32_b32 v33, v16, 0
	v_cmp_ne_u32_e64 s18, 0, v16
	s_barrier_signal -1
	s_barrier_wait -1
	global_inv scope:SCOPE_SE
	v_cmp_eq_u32_e64 s17, 0, v33
	; wave barrier
	s_and_b32 s18, s18, s17
	s_wait_alu 0xfffe
	s_and_saveexec_b32 s17, s18
; %bb.106:
	v_bcnt_u32_b32 v16, v16, 0
	ds_store_b32 v38, v16 offset:64
; %bb.107:
	s_wait_alu 0xfffe
	s_or_b32 exec_lo, exec_lo, s17
	v_lshrrev_b16 v16, 8, v27
	v_cmp_ne_u16_e64 s17, 0x8000, v27
	; wave barrier
	s_wait_alu 0xf1ff
	s_delay_alu instid0(VALU_DEP_1) | instskip(NEXT) | instid1(VALU_DEP_1)
	v_cndmask_b32_e64 v16, 0x7f, v16, s17
	v_and_b32_e32 v16, s19, v16
	s_delay_alu instid0(VALU_DEP_1)
	v_and_b32_e32 v17, 1, v16
	v_lshlrev_b32_e32 v18, 30, v16
	v_lshlrev_b32_e32 v19, 29, v16
	;; [unrolled: 1-line block ×4, first 2 shown]
	v_add_co_u32 v17, s17, v17, -1
	s_wait_alu 0xf1ff
	v_cndmask_b32_e64 v21, 0, 1, s17
	v_not_b32_e32 v40, v18
	v_cmp_gt_i32_e64 s18, 0, v18
	v_not_b32_e32 v18, v19
	v_lshlrev_b32_e32 v23, 26, v16
	v_cmp_ne_u32_e64 s17, 0, v21
	v_ashrrev_i32_e32 v40, 31, v40
	v_lshlrev_b32_e32 v39, 25, v16
	v_ashrrev_i32_e32 v18, 31, v18
	v_lshlrev_b32_e32 v21, 24, v16
	s_wait_alu 0xf1ff
	v_xor_b32_e32 v17, s17, v17
	v_cmp_gt_i32_e64 s17, 0, v19
	v_not_b32_e32 v19, v20
	v_xor_b32_e32 v40, s18, v40
	v_cmp_gt_i32_e64 s18, 0, v20
	v_and_b32_e32 v17, exec_lo, v17
	v_not_b32_e32 v20, v22
	v_ashrrev_i32_e32 v19, 31, v19
	s_wait_alu 0xf1ff
	v_xor_b32_e32 v18, s17, v18
	v_cmp_gt_i32_e64 s17, 0, v22
	v_and_b32_e32 v17, v17, v40
	v_not_b32_e32 v22, v23
	v_ashrrev_i32_e32 v20, 31, v20
	v_xor_b32_e32 v19, s18, v19
	v_cmp_gt_i32_e64 s18, 0, v23
	v_and_b32_e32 v17, v17, v18
	v_not_b32_e32 v18, v39
	v_ashrrev_i32_e32 v22, 31, v22
	s_wait_alu 0xf1ff
	v_xor_b32_e32 v20, s17, v20
	v_cmp_gt_i32_e64 s17, 0, v39
	v_and_b32_e32 v17, v17, v19
	v_not_b32_e32 v19, v21
	v_ashrrev_i32_e32 v18, 31, v18
	v_xor_b32_e32 v22, s18, v22
	v_cmp_gt_i32_e64 s18, 0, v21
	v_and_b32_e32 v17, v17, v20
	v_ashrrev_i32_e32 v19, 31, v19
	s_wait_alu 0xf1ff
	v_xor_b32_e32 v18, s17, v18
	v_lshl_add_u32 v47, v16, 6, v24
	v_and_b32_e32 v17, v17, v22
	v_xor_b32_e32 v16, s18, v19
	ds_load_b32 v39, v47 offset:64
	v_and_b32_e32 v17, v17, v18
	; wave barrier
	s_delay_alu instid0(VALU_DEP_1) | instskip(NEXT) | instid1(VALU_DEP_1)
	v_and_b32_e32 v16, v17, v16
	v_mbcnt_lo_u32_b32 v40, v16, 0
	v_cmp_ne_u32_e64 s18, 0, v16
	s_delay_alu instid0(VALU_DEP_2)
	v_cmp_eq_u32_e64 s17, 0, v40
	s_and_b32 s18, s18, s17
	s_wait_alu 0xfffe
	s_and_saveexec_b32 s17, s18
	s_cbranch_execz .LBB225_109
; %bb.108:
	s_wait_dscnt 0x0
	v_bcnt_u32_b32 v16, v16, v39
	ds_store_b32 v47, v16 offset:64
.LBB225_109:
	s_wait_alu 0xfffe
	s_or_b32 exec_lo, exec_lo, s17
	v_lshrrev_b16 v16, 8, v28
	v_cmp_ne_u16_e64 s17, 0x8000, v28
	; wave barrier
	s_wait_alu 0xf1ff
	s_delay_alu instid0(VALU_DEP_1) | instskip(NEXT) | instid1(VALU_DEP_1)
	v_cndmask_b32_e64 v16, 0x7f, v16, s17
	v_and_b32_e32 v16, s19, v16
	s_delay_alu instid0(VALU_DEP_1)
	v_and_b32_e32 v17, 1, v16
	v_lshlrev_b32_e32 v18, 30, v16
	v_lshlrev_b32_e32 v19, 29, v16
	v_lshlrev_b32_e32 v20, 28, v16
	v_lshlrev_b32_e32 v22, 27, v16
	v_add_co_u32 v17, s17, v17, -1
	s_wait_alu 0xf1ff
	v_cndmask_b32_e64 v21, 0, 1, s17
	v_not_b32_e32 v49, v18
	v_cmp_gt_i32_e64 s18, 0, v18
	v_not_b32_e32 v18, v19
	v_lshlrev_b32_e32 v23, 26, v16
	v_cmp_ne_u32_e64 s17, 0, v21
	v_ashrrev_i32_e32 v49, 31, v49
	v_lshlrev_b32_e32 v48, 25, v16
	v_ashrrev_i32_e32 v18, 31, v18
	v_lshlrev_b32_e32 v21, 24, v16
	s_wait_alu 0xf1ff
	v_xor_b32_e32 v17, s17, v17
	v_cmp_gt_i32_e64 s17, 0, v19
	v_not_b32_e32 v19, v20
	v_xor_b32_e32 v49, s18, v49
	v_cmp_gt_i32_e64 s18, 0, v20
	v_and_b32_e32 v17, exec_lo, v17
	v_not_b32_e32 v20, v22
	v_ashrrev_i32_e32 v19, 31, v19
	s_wait_alu 0xf1ff
	v_xor_b32_e32 v18, s17, v18
	v_cmp_gt_i32_e64 s17, 0, v22
	v_and_b32_e32 v17, v17, v49
	v_not_b32_e32 v22, v23
	v_ashrrev_i32_e32 v20, 31, v20
	v_xor_b32_e32 v19, s18, v19
	v_cmp_gt_i32_e64 s18, 0, v23
	v_and_b32_e32 v17, v17, v18
	v_not_b32_e32 v18, v48
	v_ashrrev_i32_e32 v22, 31, v22
	s_wait_alu 0xf1ff
	v_xor_b32_e32 v20, s17, v20
	v_cmp_gt_i32_e64 s17, 0, v48
	v_and_b32_e32 v17, v17, v19
	v_not_b32_e32 v19, v21
	v_ashrrev_i32_e32 v18, 31, v18
	v_xor_b32_e32 v22, s18, v22
	v_cmp_gt_i32_e64 s18, 0, v21
	v_and_b32_e32 v17, v17, v20
	v_ashrrev_i32_e32 v19, 31, v19
	s_wait_alu 0xf1ff
	v_xor_b32_e32 v18, s17, v18
	v_lshl_add_u32 v50, v16, 6, v24
	v_and_b32_e32 v17, v17, v22
	v_xor_b32_e32 v16, s18, v19
	ds_load_b32 v48, v50 offset:64
	v_and_b32_e32 v17, v17, v18
	; wave barrier
	s_delay_alu instid0(VALU_DEP_1) | instskip(NEXT) | instid1(VALU_DEP_1)
	v_and_b32_e32 v16, v17, v16
	v_mbcnt_lo_u32_b32 v49, v16, 0
	v_cmp_ne_u32_e64 s18, 0, v16
	s_delay_alu instid0(VALU_DEP_2)
	v_cmp_eq_u32_e64 s17, 0, v49
	s_and_b32 s18, s18, s17
	s_wait_alu 0xfffe
	s_and_saveexec_b32 s17, s18
	s_cbranch_execz .LBB225_111
; %bb.110:
	s_wait_dscnt 0x0
	v_bcnt_u32_b32 v16, v16, v48
	ds_store_b32 v50, v16 offset:64
.LBB225_111:
	s_wait_alu 0xfffe
	s_or_b32 exec_lo, exec_lo, s17
	v_lshrrev_b16 v16, 8, v29
	v_cmp_ne_u16_e64 s17, 0x8000, v29
	; wave barrier
	s_wait_alu 0xf1ff
	s_delay_alu instid0(VALU_DEP_1) | instskip(NEXT) | instid1(VALU_DEP_1)
	v_cndmask_b32_e64 v16, 0x7f, v16, s17
	v_and_b32_e32 v16, s19, v16
	s_delay_alu instid0(VALU_DEP_1)
	v_and_b32_e32 v17, 1, v16
	v_lshlrev_b32_e32 v18, 30, v16
	v_lshlrev_b32_e32 v19, 29, v16
	;; [unrolled: 1-line block ×4, first 2 shown]
	v_add_co_u32 v17, s17, v17, -1
	s_wait_alu 0xf1ff
	v_cndmask_b32_e64 v21, 0, 1, s17
	v_not_b32_e32 v69, v18
	v_cmp_gt_i32_e64 s18, 0, v18
	v_not_b32_e32 v18, v19
	v_lshlrev_b32_e32 v23, 26, v16
	v_cmp_ne_u32_e64 s17, 0, v21
	v_ashrrev_i32_e32 v69, 31, v69
	v_lshlrev_b32_e32 v68, 25, v16
	v_ashrrev_i32_e32 v18, 31, v18
	v_lshlrev_b32_e32 v21, 24, v16
	s_wait_alu 0xf1ff
	v_xor_b32_e32 v17, s17, v17
	v_cmp_gt_i32_e64 s17, 0, v19
	v_not_b32_e32 v19, v20
	v_xor_b32_e32 v69, s18, v69
	v_cmp_gt_i32_e64 s18, 0, v20
	v_and_b32_e32 v17, exec_lo, v17
	v_not_b32_e32 v20, v22
	v_ashrrev_i32_e32 v19, 31, v19
	s_wait_alu 0xf1ff
	v_xor_b32_e32 v18, s17, v18
	v_cmp_gt_i32_e64 s17, 0, v22
	v_and_b32_e32 v17, v17, v69
	v_not_b32_e32 v22, v23
	v_ashrrev_i32_e32 v20, 31, v20
	v_xor_b32_e32 v19, s18, v19
	v_cmp_gt_i32_e64 s18, 0, v23
	v_and_b32_e32 v17, v17, v18
	v_not_b32_e32 v18, v68
	v_ashrrev_i32_e32 v22, 31, v22
	s_wait_alu 0xf1ff
	v_xor_b32_e32 v20, s17, v20
	v_cmp_gt_i32_e64 s17, 0, v68
	v_and_b32_e32 v17, v17, v19
	v_not_b32_e32 v19, v21
	v_ashrrev_i32_e32 v18, 31, v18
	v_xor_b32_e32 v22, s18, v22
	v_cmp_gt_i32_e64 s18, 0, v21
	v_and_b32_e32 v17, v17, v20
	v_ashrrev_i32_e32 v19, 31, v19
	s_wait_alu 0xf1ff
	v_xor_b32_e32 v18, s17, v18
	v_lshl_add_u32 v70, v16, 6, v24
	v_and_b32_e32 v17, v17, v22
	v_xor_b32_e32 v16, s18, v19
	ds_load_b32 v68, v70 offset:64
	v_and_b32_e32 v17, v17, v18
	; wave barrier
	s_delay_alu instid0(VALU_DEP_1) | instskip(NEXT) | instid1(VALU_DEP_1)
	v_and_b32_e32 v16, v17, v16
	v_mbcnt_lo_u32_b32 v69, v16, 0
	v_cmp_ne_u32_e64 s18, 0, v16
	s_delay_alu instid0(VALU_DEP_2)
	v_cmp_eq_u32_e64 s17, 0, v69
	s_and_b32 s18, s18, s17
	s_wait_alu 0xfffe
	s_and_saveexec_b32 s17, s18
	s_cbranch_execz .LBB225_113
; %bb.112:
	s_wait_dscnt 0x0
	v_bcnt_u32_b32 v16, v16, v68
	ds_store_b32 v70, v16 offset:64
.LBB225_113:
	s_wait_alu 0xfffe
	s_or_b32 exec_lo, exec_lo, s17
	v_lshrrev_b16 v16, 8, v30
	v_cmp_ne_u16_e64 s17, 0x8000, v30
	; wave barrier
	s_wait_alu 0xf1ff
	s_delay_alu instid0(VALU_DEP_1) | instskip(NEXT) | instid1(VALU_DEP_1)
	v_cndmask_b32_e64 v16, 0x7f, v16, s17
	v_and_b32_e32 v16, s19, v16
	s_delay_alu instid0(VALU_DEP_1)
	v_and_b32_e32 v17, 1, v16
	v_lshlrev_b32_e32 v18, 30, v16
	v_lshlrev_b32_e32 v19, 29, v16
	;; [unrolled: 1-line block ×4, first 2 shown]
	v_add_co_u32 v17, s17, v17, -1
	s_wait_alu 0xf1ff
	v_cndmask_b32_e64 v21, 0, 1, s17
	v_not_b32_e32 v72, v18
	v_cmp_gt_i32_e64 s18, 0, v18
	v_not_b32_e32 v18, v19
	v_lshlrev_b32_e32 v23, 26, v16
	v_cmp_ne_u32_e64 s17, 0, v21
	v_ashrrev_i32_e32 v72, 31, v72
	v_lshlrev_b32_e32 v71, 25, v16
	v_ashrrev_i32_e32 v18, 31, v18
	v_lshlrev_b32_e32 v21, 24, v16
	s_wait_alu 0xf1ff
	v_xor_b32_e32 v17, s17, v17
	v_cmp_gt_i32_e64 s17, 0, v19
	v_not_b32_e32 v19, v20
	v_xor_b32_e32 v72, s18, v72
	v_cmp_gt_i32_e64 s18, 0, v20
	v_and_b32_e32 v17, exec_lo, v17
	v_not_b32_e32 v20, v22
	v_ashrrev_i32_e32 v19, 31, v19
	s_wait_alu 0xf1ff
	v_xor_b32_e32 v18, s17, v18
	v_cmp_gt_i32_e64 s17, 0, v22
	v_and_b32_e32 v17, v17, v72
	v_not_b32_e32 v22, v23
	v_ashrrev_i32_e32 v20, 31, v20
	v_xor_b32_e32 v19, s18, v19
	v_cmp_gt_i32_e64 s18, 0, v23
	v_and_b32_e32 v17, v17, v18
	v_not_b32_e32 v18, v71
	v_ashrrev_i32_e32 v22, 31, v22
	s_wait_alu 0xf1ff
	v_xor_b32_e32 v20, s17, v20
	v_cmp_gt_i32_e64 s17, 0, v71
	v_and_b32_e32 v17, v17, v19
	v_not_b32_e32 v19, v21
	v_ashrrev_i32_e32 v18, 31, v18
	v_xor_b32_e32 v22, s18, v22
	v_cmp_gt_i32_e64 s18, 0, v21
	v_and_b32_e32 v17, v17, v20
	v_ashrrev_i32_e32 v19, 31, v19
	s_wait_alu 0xf1ff
	v_xor_b32_e32 v18, s17, v18
	v_lshl_add_u32 v73, v16, 6, v24
	v_and_b32_e32 v17, v17, v22
	v_xor_b32_e32 v16, s18, v19
	ds_load_b32 v71, v73 offset:64
	v_and_b32_e32 v17, v17, v18
	; wave barrier
	s_delay_alu instid0(VALU_DEP_1) | instskip(NEXT) | instid1(VALU_DEP_1)
	v_and_b32_e32 v16, v17, v16
	v_mbcnt_lo_u32_b32 v72, v16, 0
	v_cmp_ne_u32_e64 s18, 0, v16
	s_delay_alu instid0(VALU_DEP_2)
	v_cmp_eq_u32_e64 s17, 0, v72
	s_and_b32 s18, s18, s17
	s_wait_alu 0xfffe
	s_and_saveexec_b32 s17, s18
	s_cbranch_execz .LBB225_115
; %bb.114:
	s_wait_dscnt 0x0
	v_bcnt_u32_b32 v16, v16, v71
	ds_store_b32 v73, v16 offset:64
.LBB225_115:
	s_wait_alu 0xfffe
	s_or_b32 exec_lo, exec_lo, s17
	v_lshrrev_b16 v16, 8, v31
	v_cmp_ne_u16_e64 s17, 0x8000, v31
	; wave barrier
	s_wait_alu 0xf1ff
	s_delay_alu instid0(VALU_DEP_1) | instskip(NEXT) | instid1(VALU_DEP_1)
	v_cndmask_b32_e64 v16, 0x7f, v16, s17
	v_and_b32_e32 v16, s19, v16
	s_delay_alu instid0(VALU_DEP_1)
	v_and_b32_e32 v17, 1, v16
	v_lshlrev_b32_e32 v18, 30, v16
	v_lshlrev_b32_e32 v19, 29, v16
	;; [unrolled: 1-line block ×4, first 2 shown]
	v_add_co_u32 v17, s17, v17, -1
	s_wait_alu 0xf1ff
	v_cndmask_b32_e64 v21, 0, 1, s17
	v_not_b32_e32 v75, v18
	v_cmp_gt_i32_e64 s18, 0, v18
	v_not_b32_e32 v18, v19
	v_lshlrev_b32_e32 v23, 26, v16
	v_cmp_ne_u32_e64 s17, 0, v21
	v_ashrrev_i32_e32 v75, 31, v75
	v_lshlrev_b32_e32 v74, 25, v16
	v_ashrrev_i32_e32 v18, 31, v18
	v_lshlrev_b32_e32 v21, 24, v16
	s_wait_alu 0xf1ff
	v_xor_b32_e32 v17, s17, v17
	v_cmp_gt_i32_e64 s17, 0, v19
	v_not_b32_e32 v19, v20
	v_xor_b32_e32 v75, s18, v75
	v_cmp_gt_i32_e64 s18, 0, v20
	v_and_b32_e32 v17, exec_lo, v17
	v_not_b32_e32 v20, v22
	v_ashrrev_i32_e32 v19, 31, v19
	s_wait_alu 0xf1ff
	v_xor_b32_e32 v18, s17, v18
	v_cmp_gt_i32_e64 s17, 0, v22
	v_and_b32_e32 v17, v17, v75
	v_not_b32_e32 v22, v23
	v_ashrrev_i32_e32 v20, 31, v20
	v_xor_b32_e32 v19, s18, v19
	v_cmp_gt_i32_e64 s18, 0, v23
	v_and_b32_e32 v17, v17, v18
	v_not_b32_e32 v18, v74
	v_ashrrev_i32_e32 v22, 31, v22
	s_wait_alu 0xf1ff
	v_xor_b32_e32 v20, s17, v20
	v_cmp_gt_i32_e64 s17, 0, v74
	v_and_b32_e32 v17, v17, v19
	v_not_b32_e32 v19, v21
	v_ashrrev_i32_e32 v18, 31, v18
	v_xor_b32_e32 v22, s18, v22
	v_cmp_gt_i32_e64 s18, 0, v21
	v_and_b32_e32 v17, v17, v20
	v_ashrrev_i32_e32 v19, 31, v19
	s_wait_alu 0xf1ff
	v_xor_b32_e32 v18, s17, v18
	v_lshl_add_u32 v76, v16, 6, v24
	v_and_b32_e32 v17, v17, v22
	v_xor_b32_e32 v16, s18, v19
	ds_load_b32 v74, v76 offset:64
	v_and_b32_e32 v17, v17, v18
	; wave barrier
	s_delay_alu instid0(VALU_DEP_1) | instskip(NEXT) | instid1(VALU_DEP_1)
	v_and_b32_e32 v16, v17, v16
	v_mbcnt_lo_u32_b32 v75, v16, 0
	v_cmp_ne_u32_e64 s18, 0, v16
	s_delay_alu instid0(VALU_DEP_2)
	v_cmp_eq_u32_e64 s17, 0, v75
	s_and_b32 s18, s18, s17
	s_wait_alu 0xfffe
	s_and_saveexec_b32 s17, s18
	s_cbranch_execz .LBB225_117
; %bb.116:
	s_wait_dscnt 0x0
	v_bcnt_u32_b32 v16, v16, v74
	ds_store_b32 v76, v16 offset:64
.LBB225_117:
	s_wait_alu 0xfffe
	s_or_b32 exec_lo, exec_lo, s17
	v_lshrrev_b16 v16, 8, v32
	v_cmp_ne_u16_e64 s17, 0x8000, v32
	; wave barrier
	s_wait_alu 0xf1ff
	s_delay_alu instid0(VALU_DEP_1) | instskip(NEXT) | instid1(VALU_DEP_1)
	v_cndmask_b32_e64 v16, 0x7f, v16, s17
	v_and_b32_e32 v16, s19, v16
	s_delay_alu instid0(VALU_DEP_1)
	v_and_b32_e32 v17, 1, v16
	v_lshlrev_b32_e32 v18, 30, v16
	v_lshlrev_b32_e32 v19, 29, v16
	;; [unrolled: 1-line block ×4, first 2 shown]
	v_add_co_u32 v17, s17, v17, -1
	s_wait_alu 0xf1ff
	v_cndmask_b32_e64 v21, 0, 1, s17
	v_not_b32_e32 v78, v18
	v_cmp_gt_i32_e64 s18, 0, v18
	v_not_b32_e32 v18, v19
	v_lshlrev_b32_e32 v23, 26, v16
	v_cmp_ne_u32_e64 s17, 0, v21
	v_ashrrev_i32_e32 v78, 31, v78
	v_lshlrev_b32_e32 v77, 25, v16
	v_ashrrev_i32_e32 v18, 31, v18
	v_lshlrev_b32_e32 v21, 24, v16
	s_wait_alu 0xf1ff
	v_xor_b32_e32 v17, s17, v17
	v_cmp_gt_i32_e64 s17, 0, v19
	v_not_b32_e32 v19, v20
	v_xor_b32_e32 v78, s18, v78
	v_cmp_gt_i32_e64 s18, 0, v20
	v_and_b32_e32 v17, exec_lo, v17
	v_not_b32_e32 v20, v22
	v_ashrrev_i32_e32 v19, 31, v19
	s_wait_alu 0xf1ff
	v_xor_b32_e32 v18, s17, v18
	v_cmp_gt_i32_e64 s17, 0, v22
	v_and_b32_e32 v17, v17, v78
	v_not_b32_e32 v22, v23
	v_ashrrev_i32_e32 v20, 31, v20
	v_xor_b32_e32 v19, s18, v19
	v_cmp_gt_i32_e64 s18, 0, v23
	v_and_b32_e32 v17, v17, v18
	v_not_b32_e32 v18, v77
	v_ashrrev_i32_e32 v22, 31, v22
	s_wait_alu 0xf1ff
	v_xor_b32_e32 v20, s17, v20
	v_cmp_gt_i32_e64 s17, 0, v77
	v_and_b32_e32 v17, v17, v19
	v_not_b32_e32 v19, v21
	v_ashrrev_i32_e32 v18, 31, v18
	v_xor_b32_e32 v22, s18, v22
	v_cmp_gt_i32_e64 s18, 0, v21
	v_and_b32_e32 v17, v17, v20
	v_ashrrev_i32_e32 v19, 31, v19
	s_wait_alu 0xf1ff
	v_xor_b32_e32 v18, s17, v18
	v_lshl_add_u32 v79, v16, 6, v24
	v_and_b32_e32 v17, v17, v22
	v_xor_b32_e32 v16, s18, v19
	ds_load_b32 v77, v79 offset:64
	v_and_b32_e32 v17, v17, v18
	; wave barrier
	s_delay_alu instid0(VALU_DEP_1) | instskip(NEXT) | instid1(VALU_DEP_1)
	v_and_b32_e32 v16, v17, v16
	v_mbcnt_lo_u32_b32 v78, v16, 0
	v_cmp_ne_u32_e64 s18, 0, v16
	s_delay_alu instid0(VALU_DEP_2)
	v_cmp_eq_u32_e64 s17, 0, v78
	s_and_b32 s18, s18, s17
	s_wait_alu 0xfffe
	s_and_saveexec_b32 s17, s18
	s_cbranch_execz .LBB225_119
; %bb.118:
	s_wait_dscnt 0x0
	v_bcnt_u32_b32 v16, v16, v77
	ds_store_b32 v79, v16 offset:64
.LBB225_119:
	s_wait_alu 0xfffe
	s_or_b32 exec_lo, exec_lo, s17
	v_lshrrev_b16 v16, 8, v25
	v_cmp_ne_u16_e64 s17, 0x8000, v25
	; wave barrier
	s_wait_alu 0xf1ff
	s_delay_alu instid0(VALU_DEP_1) | instskip(NEXT) | instid1(VALU_DEP_1)
	v_cndmask_b32_e64 v16, 0x7f, v16, s17
	v_and_b32_e32 v16, s19, v16
	s_delay_alu instid0(VALU_DEP_1)
	v_and_b32_e32 v17, 1, v16
	v_lshlrev_b32_e32 v18, 30, v16
	v_lshlrev_b32_e32 v19, 29, v16
	;; [unrolled: 1-line block ×4, first 2 shown]
	v_add_co_u32 v17, s17, v17, -1
	s_wait_alu 0xf1ff
	v_cndmask_b32_e64 v21, 0, 1, s17
	v_not_b32_e32 v81, v18
	v_cmp_gt_i32_e64 s18, 0, v18
	v_not_b32_e32 v18, v19
	v_lshlrev_b32_e32 v23, 26, v16
	v_cmp_ne_u32_e64 s17, 0, v21
	v_ashrrev_i32_e32 v81, 31, v81
	v_lshlrev_b32_e32 v80, 25, v16
	v_ashrrev_i32_e32 v18, 31, v18
	v_lshlrev_b32_e32 v21, 24, v16
	s_wait_alu 0xf1ff
	v_xor_b32_e32 v17, s17, v17
	v_cmp_gt_i32_e64 s17, 0, v19
	v_not_b32_e32 v19, v20
	v_xor_b32_e32 v81, s18, v81
	v_cmp_gt_i32_e64 s18, 0, v20
	v_and_b32_e32 v17, exec_lo, v17
	v_not_b32_e32 v20, v22
	v_ashrrev_i32_e32 v19, 31, v19
	s_wait_alu 0xf1ff
	v_xor_b32_e32 v18, s17, v18
	v_cmp_gt_i32_e64 s17, 0, v22
	v_and_b32_e32 v17, v17, v81
	v_not_b32_e32 v22, v23
	v_ashrrev_i32_e32 v20, 31, v20
	v_xor_b32_e32 v19, s18, v19
	v_cmp_gt_i32_e64 s18, 0, v23
	v_and_b32_e32 v17, v17, v18
	v_not_b32_e32 v18, v80
	v_ashrrev_i32_e32 v22, 31, v22
	s_wait_alu 0xf1ff
	v_xor_b32_e32 v20, s17, v20
	v_cmp_gt_i32_e64 s17, 0, v80
	v_and_b32_e32 v17, v17, v19
	v_not_b32_e32 v19, v21
	v_ashrrev_i32_e32 v18, 31, v18
	v_xor_b32_e32 v22, s18, v22
	v_cmp_gt_i32_e64 s18, 0, v21
	v_and_b32_e32 v17, v17, v20
	v_ashrrev_i32_e32 v19, 31, v19
	s_wait_alu 0xf1ff
	v_xor_b32_e32 v18, s17, v18
	v_lshl_add_u32 v81, v16, 6, v24
	v_and_b32_e32 v17, v17, v22
	v_xor_b32_e32 v16, s18, v19
	ds_load_b32 v24, v81 offset:64
	v_and_b32_e32 v17, v17, v18
	; wave barrier
	s_delay_alu instid0(VALU_DEP_1) | instskip(NEXT) | instid1(VALU_DEP_1)
	v_and_b32_e32 v16, v17, v16
	v_mbcnt_lo_u32_b32 v80, v16, 0
	v_cmp_ne_u32_e64 s18, 0, v16
	s_delay_alu instid0(VALU_DEP_2)
	v_cmp_eq_u32_e64 s17, 0, v80
	s_and_b32 s18, s18, s17
	s_wait_alu 0xfffe
	s_and_saveexec_b32 s17, s18
	s_cbranch_execz .LBB225_121
; %bb.120:
	s_wait_dscnt 0x0
	v_bcnt_u32_b32 v16, v16, v24
	ds_store_b32 v81, v16 offset:64
.LBB225_121:
	s_wait_alu 0xfffe
	s_or_b32 exec_lo, exec_lo, s17
	; wave barrier
	s_wait_loadcnt_dscnt 0x0
	s_barrier_signal -1
	s_barrier_wait -1
	global_inv scope:SCOPE_SE
	ds_load_b128 v[20:23], v67 offset:64
	ds_load_b128 v[16:19], v67 offset:80
	s_wait_dscnt 0x1
	v_add_nc_u32_e32 v82, v21, v20
	s_delay_alu instid0(VALU_DEP_1) | instskip(SKIP_1) | instid1(VALU_DEP_1)
	v_add3_u32 v82, v82, v22, v23
	s_wait_dscnt 0x0
	v_add3_u32 v82, v82, v16, v17
	s_delay_alu instid0(VALU_DEP_1) | instskip(NEXT) | instid1(VALU_DEP_1)
	v_add3_u32 v19, v82, v18, v19
	v_mov_b32_dpp v82, v19 row_shr:1 row_mask:0xf bank_mask:0xf
	s_delay_alu instid0(VALU_DEP_1) | instskip(NEXT) | instid1(VALU_DEP_1)
	v_cndmask_b32_e64 v82, v82, 0, vcc_lo
	v_add_nc_u32_e32 v19, v82, v19
	s_delay_alu instid0(VALU_DEP_1) | instskip(NEXT) | instid1(VALU_DEP_1)
	v_mov_b32_dpp v82, v19 row_shr:2 row_mask:0xf bank_mask:0xf
	v_cndmask_b32_e64 v82, 0, v82, s8
	s_delay_alu instid0(VALU_DEP_1) | instskip(NEXT) | instid1(VALU_DEP_1)
	v_add_nc_u32_e32 v19, v19, v82
	v_mov_b32_dpp v82, v19 row_shr:4 row_mask:0xf bank_mask:0xf
	s_delay_alu instid0(VALU_DEP_1) | instskip(NEXT) | instid1(VALU_DEP_1)
	v_cndmask_b32_e64 v82, 0, v82, s9
	v_add_nc_u32_e32 v19, v19, v82
	s_delay_alu instid0(VALU_DEP_1) | instskip(NEXT) | instid1(VALU_DEP_1)
	v_mov_b32_dpp v82, v19 row_shr:8 row_mask:0xf bank_mask:0xf
	v_cndmask_b32_e64 v82, 0, v82, s10
	s_delay_alu instid0(VALU_DEP_1) | instskip(SKIP_3) | instid1(VALU_DEP_1)
	v_add_nc_u32_e32 v19, v19, v82
	ds_swizzle_b32 v82, v19 offset:swizzle(BROADCAST,32,15)
	s_wait_dscnt 0x0
	v_cndmask_b32_e64 v82, v82, 0, s15
	v_add_nc_u32_e32 v19, v19, v82
	s_and_saveexec_b32 s15, s13
; %bb.122:
	ds_store_b32 v35, v19
; %bb.123:
	s_wait_alu 0xfffe
	s_or_b32 exec_lo, exec_lo, s15
	s_wait_loadcnt_dscnt 0x0
	s_barrier_signal -1
	s_barrier_wait -1
	global_inv scope:SCOPE_SE
	s_and_saveexec_b32 s13, s12
	s_cbranch_execz .LBB225_125
; %bb.124:
	ds_load_b32 v35, v34
	s_wait_dscnt 0x0
	v_mov_b32_dpp v82, v35 row_shr:1 row_mask:0xf bank_mask:0xf
	s_delay_alu instid0(VALU_DEP_1) | instskip(NEXT) | instid1(VALU_DEP_1)
	v_cndmask_b32_e64 v82, v82, 0, vcc_lo
	v_add_nc_u32_e32 v35, v82, v35
	s_delay_alu instid0(VALU_DEP_1) | instskip(NEXT) | instid1(VALU_DEP_1)
	v_mov_b32_dpp v82, v35 row_shr:2 row_mask:0xf bank_mask:0xf
	v_cndmask_b32_e64 v82, 0, v82, s8
	s_delay_alu instid0(VALU_DEP_1) | instskip(NEXT) | instid1(VALU_DEP_1)
	v_add_nc_u32_e32 v35, v35, v82
	v_mov_b32_dpp v82, v35 row_shr:4 row_mask:0xf bank_mask:0xf
	s_delay_alu instid0(VALU_DEP_1) | instskip(NEXT) | instid1(VALU_DEP_1)
	v_cndmask_b32_e64 v82, 0, v82, s9
	v_add_nc_u32_e32 v35, v35, v82
	s_delay_alu instid0(VALU_DEP_1) | instskip(NEXT) | instid1(VALU_DEP_1)
	v_mov_b32_dpp v82, v35 row_shr:8 row_mask:0xf bank_mask:0xf
	v_cndmask_b32_e64 v82, 0, v82, s10
	s_delay_alu instid0(VALU_DEP_1)
	v_add_nc_u32_e32 v35, v35, v82
	ds_store_b32 v34, v35
.LBB225_125:
	s_wait_alu 0xfffe
	s_or_b32 exec_lo, exec_lo, s13
	v_mov_b32_e32 v34, 0
	s_wait_loadcnt_dscnt 0x0
	s_barrier_signal -1
	s_barrier_wait -1
	global_inv scope:SCOPE_SE
	s_and_saveexec_b32 s8, s14
; %bb.126:
	ds_load_b32 v34, v36
; %bb.127:
	s_wait_alu 0xfffe
	s_or_b32 exec_lo, exec_lo, s8
	s_wait_dscnt 0x0
	v_add_nc_u32_e32 v19, v34, v19
	ds_bpermute_b32 v19, v37, v19
	s_wait_dscnt 0x0
	v_cndmask_b32_e64 v19, v19, v34, s11
	s_delay_alu instid0(VALU_DEP_1) | instskip(NEXT) | instid1(VALU_DEP_1)
	v_cndmask_b32_e64 v19, v19, 0, s16
	v_add_nc_u32_e32 v20, v19, v20
	s_delay_alu instid0(VALU_DEP_1) | instskip(NEXT) | instid1(VALU_DEP_1)
	v_add_nc_u32_e32 v21, v20, v21
	v_add_nc_u32_e32 v22, v21, v22
	s_delay_alu instid0(VALU_DEP_1) | instskip(NEXT) | instid1(VALU_DEP_1)
	v_add_nc_u32_e32 v34, v22, v23
	;; [unrolled: 3-line block ×3, first 2 shown]
	v_add_nc_u32_e32 v37, v36, v18
	ds_store_b128 v67, v[19:22] offset:64
	ds_store_b128 v67, v[34:37] offset:80
	s_wait_loadcnt_dscnt 0x0
	s_barrier_signal -1
	s_barrier_wait -1
	global_inv scope:SCOPE_SE
	ds_load_b32 v16, v81 offset:64
	ds_load_b32 v17, v79 offset:64
	;; [unrolled: 1-line block ×8, first 2 shown]
	v_lshlrev_b32_e32 v34, 1, v66
	s_wait_loadcnt_dscnt 0x0
	s_barrier_signal -1
	s_barrier_wait -1
	global_inv scope:SCOPE_SE
	v_mad_u32_u24 v37, v46, 48, v34
	v_add3_u32 v35, v80, v24, v16
	v_add3_u32 v36, v78, v77, v17
	;; [unrolled: 1-line block ×3, first 2 shown]
	v_add_nc_u32_e32 v24, v19, v33
	v_add3_u32 v33, v40, v39, v20
	v_add3_u32 v39, v49, v48, v21
	;; [unrolled: 1-line block ×4, first 2 shown]
	v_lshlrev_b32_e32 v16, 1, v24
	v_lshlrev_b32_e32 v17, 1, v33
	;; [unrolled: 1-line block ×8, first 2 shown]
	ds_store_b16 v16, v26
	ds_store_b16 v17, v27
	;; [unrolled: 1-line block ×8, first 2 shown]
	v_mad_co_u64_u32 v[24:25], null, v24, 6, v[16:17]
	v_mad_co_u64_u32 v[16:17], null, v33, 6, v[17:18]
	;; [unrolled: 1-line block ×7, first 2 shown]
	s_wait_loadcnt_dscnt 0x0
	s_barrier_signal -1
	s_barrier_wait -1
	global_inv scope:SCOPE_SE
	v_mad_co_u64_u32 v[22:23], null, v35, 6, v[23:24]
	ds_load_b128 v[33:36], v34
	s_wait_loadcnt_dscnt 0x0
	s_barrier_signal -1
	s_barrier_wait -1
	global_inv scope:SCOPE_SE
	ds_store_b64 v24, v[4:5]
	ds_store_b64 v16, v[6:7]
	;; [unrolled: 1-line block ×8, first 2 shown]
	s_wait_loadcnt_dscnt 0x0
	s_barrier_signal -1
	s_barrier_wait -1
	global_inv scope:SCOPE_SE
	ds_load_b128 v[29:32], v37
	ds_load_b128 v[25:28], v37 offset:16
	ds_load_b128 v[21:24], v37 offset:32
	;; [unrolled: 1-line block ×3, first 2 shown]
	v_cmp_gt_i16_e32 vcc_lo, 0, v33
	v_lshrrev_b32_e32 v0, 16, v33
	v_lshrrev_b32_e32 v2, 16, v34
	;; [unrolled: 1-line block ×4, first 2 shown]
	s_wait_alu 0xfffd
	v_cndmask_b32_e64 v1, 0x7fff, 0, vcc_lo
	v_cmp_gt_i16_e32 vcc_lo, 0, v34
	s_wait_alu 0xfffd
	v_cndmask_b32_e64 v3, 0x7fff, 0, vcc_lo
	v_cmp_gt_i16_e32 vcc_lo, 0, v35
	;; [unrolled: 3-line block ×5, first 2 shown]
	s_delay_alu instid0(VALU_DEP_2) | instskip(SKIP_3) | instid1(VALU_DEP_3)
	v_perm_b32 v0, v0, v1, 0x5040100
	s_wait_alu 0xfffd
	v_cndmask_b32_e64 v2, 0x7fff, 0, vcc_lo
	v_cmp_gt_i16_e32 vcc_lo, 0, v4
	v_xor_b32_e32 v0, v0, v33
	s_delay_alu instid0(VALU_DEP_3) | instskip(SKIP_3) | instid1(VALU_DEP_3)
	v_perm_b32 v1, v2, v3, 0x5040100
	s_wait_alu 0xfffd
	v_cndmask_b32_e64 v4, 0x7fff, 0, vcc_lo
	v_cmp_gt_i16_e32 vcc_lo, 0, v6
	v_xor_b32_e32 v34, v1, v34
	s_delay_alu instid0(VALU_DEP_3) | instskip(SKIP_2) | instid1(VALU_DEP_2)
	v_perm_b32 v2, v4, v5, 0x5040100
	s_wait_alu 0xfffd
	v_cndmask_b32_e64 v6, 0x7fff, 0, vcc_lo
	v_xor_b32_e32 v33, v2, v35
	s_delay_alu instid0(VALU_DEP_2) | instskip(NEXT) | instid1(VALU_DEP_1)
	v_perm_b32 v3, v6, v7, 0x5040100
	v_xor_b32_e32 v35, v3, v36
.LBB225_128:
	s_wait_loadcnt_dscnt 0x0
	s_barrier_signal -1
	s_barrier_wait -1
	global_inv scope:SCOPE_SE
	ds_store_2addr_b32 v58, v0, v34 offset1:1
	ds_store_2addr_b32 v58, v33, v35 offset0:2 offset1:3
	s_wait_loadcnt_dscnt 0x0
	s_barrier_signal -1
	s_barrier_wait -1
	global_inv scope:SCOPE_SE
	ds_load_u16 v8, v45 offset:1024
	ds_load_u16 v7, v52 offset:2048
	;; [unrolled: 1-line block ×7, first 2 shown]
	v_mov_b32_e32 v45, 0
	s_delay_alu instid0(VALU_DEP_1) | instskip(NEXT) | instid1(VALU_DEP_1)
	v_lshlrev_b64_e32 v[0:1], 1, v[44:45]
	v_add_co_u32 v0, vcc_lo, s30, v0
	s_wait_alu 0xfffd
	s_delay_alu instid0(VALU_DEP_2)
	v_add_co_ci_u32_e64 v1, null, s31, v1, vcc_lo
	s_and_saveexec_b32 s8, s0
	s_cbranch_execnz .LBB225_147
; %bb.129:
	s_wait_alu 0xfffe
	s_or_b32 exec_lo, exec_lo, s8
	s_and_saveexec_b32 s8, s1
	s_cbranch_execnz .LBB225_148
.LBB225_130:
	s_wait_alu 0xfffe
	s_or_b32 exec_lo, exec_lo, s8
	s_and_saveexec_b32 s8, s2
	s_cbranch_execnz .LBB225_149
.LBB225_131:
	s_wait_alu 0xfffe
	s_or_b32 exec_lo, exec_lo, s8
	s_and_saveexec_b32 s8, s3
	s_cbranch_execnz .LBB225_150
.LBB225_132:
	s_wait_alu 0xfffe
	s_or_b32 exec_lo, exec_lo, s8
	s_and_saveexec_b32 s8, s4
	s_cbranch_execnz .LBB225_151
.LBB225_133:
	s_wait_alu 0xfffe
	s_or_b32 exec_lo, exec_lo, s8
	s_and_saveexec_b32 s8, s5
	s_cbranch_execnz .LBB225_152
.LBB225_134:
	s_wait_alu 0xfffe
	s_or_b32 exec_lo, exec_lo, s8
	s_and_saveexec_b32 s8, s6
	s_cbranch_execnz .LBB225_153
.LBB225_135:
	s_wait_alu 0xfffe
	s_or_b32 exec_lo, exec_lo, s8
	s_and_saveexec_b32 s8, s7
	s_cbranch_execz .LBB225_137
.LBB225_136:
	s_mul_i32 s10, s26, 0xe00
	s_mov_b32 s11, 0
	s_wait_alu 0xfffe
	s_lshl_b64 s[10:11], s[10:11], 1
	s_wait_alu 0xfffe
	v_add_co_u32 v0, vcc_lo, v0, s10
	s_wait_alu 0xfffd
	v_add_co_ci_u32_e64 v1, null, s11, v1, vcc_lo
	s_wait_dscnt 0x0
	global_store_b16 v[0:1], v2, off
.LBB225_137:
	s_wait_alu 0xfffe
	s_or_b32 exec_lo, exec_lo, s8
	s_wait_storecnt 0x0
	s_wait_loadcnt_dscnt 0x0
	s_barrier_signal -1
	s_barrier_wait -1
	global_inv scope:SCOPE_SE
	ds_store_2addr_b64 v65, v[29:30], v[31:32] offset1:1
	ds_store_2addr_b64 v65, v[25:26], v[27:28] offset0:2 offset1:3
	ds_store_2addr_b64 v65, v[21:22], v[23:24] offset0:4 offset1:5
	;; [unrolled: 1-line block ×3, first 2 shown]
	s_wait_loadcnt_dscnt 0x0
	s_barrier_signal -1
	s_barrier_wait -1
	global_inv scope:SCOPE_SE
	ds_load_b64 v[14:15], v60 offset:4096
	ds_load_b64 v[12:13], v61 offset:8192
	;; [unrolled: 1-line block ×7, first 2 shown]
	v_mov_b32_e32 v42, 0
	s_delay_alu instid0(VALU_DEP_1) | instskip(NEXT) | instid1(VALU_DEP_1)
	v_lshlrev_b64_e32 v[2:3], 3, v[41:42]
	v_add_co_u32 v2, vcc_lo, s24, v2
	s_wait_alu 0xfffd
	s_delay_alu instid0(VALU_DEP_2)
	v_add_co_ci_u32_e64 v3, null, s25, v3, vcc_lo
	s_and_saveexec_b32 s8, s0
	s_cbranch_execnz .LBB225_154
; %bb.138:
	s_wait_alu 0xfffe
	s_or_b32 exec_lo, exec_lo, s8
	s_and_saveexec_b32 s0, s1
	s_cbranch_execnz .LBB225_155
.LBB225_139:
	s_or_b32 exec_lo, exec_lo, s0
	s_and_saveexec_b32 s0, s2
	s_cbranch_execnz .LBB225_156
.LBB225_140:
	s_or_b32 exec_lo, exec_lo, s0
	s_and_saveexec_b32 s0, s3
	s_cbranch_execnz .LBB225_157
.LBB225_141:
	s_or_b32 exec_lo, exec_lo, s0
	s_and_saveexec_b32 s0, s4
	s_cbranch_execnz .LBB225_158
.LBB225_142:
	s_or_b32 exec_lo, exec_lo, s0
	s_and_saveexec_b32 s0, s5
	s_cbranch_execnz .LBB225_159
.LBB225_143:
	s_or_b32 exec_lo, exec_lo, s0
	s_and_saveexec_b32 s0, s6
	s_cbranch_execnz .LBB225_160
.LBB225_144:
	s_or_b32 exec_lo, exec_lo, s0
	s_and_saveexec_b32 s0, s7
	s_cbranch_execz .LBB225_146
.LBB225_145:
	s_mul_i32 s0, s28, 0xe00
	s_mov_b32 s1, 0
	s_delay_alu instid0(SALU_CYCLE_1) | instskip(NEXT) | instid1(SALU_CYCLE_1)
	s_lshl_b64 s[0:1], s[0:1], 3
	v_add_co_u32 v2, vcc_lo, v2, s0
	s_wait_alu 0xfffd
	v_add_co_ci_u32_e64 v3, null, s1, v3, vcc_lo
	s_wait_dscnt 0x0
	global_store_b64 v[2:3], v[0:1], off
.LBB225_146:
	s_nop 0
	s_sendmsg sendmsg(MSG_DEALLOC_VGPRS)
	s_endpgm
.LBB225_147:
	ds_load_u16 v9, v51
	s_wait_dscnt 0x0
	global_store_b16 v[0:1], v9, off
	s_wait_alu 0xfffe
	s_or_b32 exec_lo, exec_lo, s8
	s_and_saveexec_b32 s8, s1
	s_cbranch_execz .LBB225_130
.LBB225_148:
	s_lshl_b32 s10, s26, 9
	s_mov_b32 s11, 0
	s_wait_alu 0xfffe
	s_lshl_b64 s[10:11], s[10:11], 1
	s_wait_alu 0xfffe
	v_add_co_u32 v9, vcc_lo, v0, s10
	s_wait_alu 0xfffd
	v_add_co_ci_u32_e64 v10, null, s11, v1, vcc_lo
	s_wait_dscnt 0x6
	global_store_b16 v[9:10], v8, off
	s_or_b32 exec_lo, exec_lo, s8
	s_and_saveexec_b32 s8, s2
	s_cbranch_execz .LBB225_131
.LBB225_149:
	s_lshl_b32 s10, s26, 10
	s_mov_b32 s11, 0
	s_wait_alu 0xfffe
	s_lshl_b64 s[10:11], s[10:11], 1
	s_wait_dscnt 0x6
	s_wait_alu 0xfffe
	v_add_co_u32 v8, vcc_lo, v0, s10
	s_wait_alu 0xfffd
	v_add_co_ci_u32_e64 v9, null, s11, v1, vcc_lo
	s_wait_dscnt 0x5
	global_store_b16 v[8:9], v7, off
	s_or_b32 exec_lo, exec_lo, s8
	s_and_saveexec_b32 s8, s3
	s_cbranch_execz .LBB225_132
.LBB225_150:
	s_mul_i32 s10, s26, 0x600
	s_mov_b32 s11, 0
	s_wait_alu 0xfffe
	s_lshl_b64 s[10:11], s[10:11], 1
	s_wait_dscnt 0x5
	s_wait_alu 0xfffe
	v_add_co_u32 v7, vcc_lo, v0, s10
	s_wait_alu 0xfffd
	v_add_co_ci_u32_e64 v8, null, s11, v1, vcc_lo
	s_wait_dscnt 0x4
	global_store_b16 v[7:8], v6, off
	s_or_b32 exec_lo, exec_lo, s8
	s_and_saveexec_b32 s8, s4
	s_cbranch_execz .LBB225_133
.LBB225_151:
	s_lshl_b32 s10, s26, 11
	s_mov_b32 s11, 0
	s_wait_alu 0xfffe
	s_lshl_b64 s[10:11], s[10:11], 1
	s_wait_dscnt 0x4
	s_wait_alu 0xfffe
	v_add_co_u32 v6, vcc_lo, v0, s10
	s_wait_alu 0xfffd
	v_add_co_ci_u32_e64 v7, null, s11, v1, vcc_lo
	s_wait_dscnt 0x3
	global_store_b16 v[6:7], v5, off
	s_or_b32 exec_lo, exec_lo, s8
	s_and_saveexec_b32 s8, s5
	s_cbranch_execz .LBB225_134
.LBB225_152:
	s_mul_i32 s10, s26, 0xa00
	s_mov_b32 s11, 0
	s_wait_alu 0xfffe
	s_lshl_b64 s[10:11], s[10:11], 1
	s_wait_dscnt 0x3
	s_wait_alu 0xfffe
	v_add_co_u32 v5, vcc_lo, v0, s10
	s_wait_alu 0xfffd
	v_add_co_ci_u32_e64 v6, null, s11, v1, vcc_lo
	s_wait_dscnt 0x2
	global_store_b16 v[5:6], v4, off
	s_or_b32 exec_lo, exec_lo, s8
	s_and_saveexec_b32 s8, s6
	s_cbranch_execz .LBB225_135
.LBB225_153:
	s_mul_i32 s10, s26, 0xc00
	s_mov_b32 s11, 0
	s_wait_alu 0xfffe
	s_lshl_b64 s[10:11], s[10:11], 1
	s_wait_dscnt 0x2
	s_wait_alu 0xfffe
	v_add_co_u32 v4, vcc_lo, v0, s10
	s_wait_alu 0xfffd
	v_add_co_ci_u32_e64 v5, null, s11, v1, vcc_lo
	s_wait_dscnt 0x1
	global_store_b16 v[4:5], v3, off
	s_or_b32 exec_lo, exec_lo, s8
	s_and_saveexec_b32 s8, s7
	s_cbranch_execnz .LBB225_136
	s_branch .LBB225_137
.LBB225_154:
	ds_load_b64 v[16:17], v59
	s_wait_dscnt 0x0
	global_store_b64 v[2:3], v[16:17], off
	s_wait_alu 0xfffe
	s_or_b32 exec_lo, exec_lo, s8
	s_and_saveexec_b32 s0, s1
	s_cbranch_execz .LBB225_139
.LBB225_155:
	s_lshl_b32 s8, s28, 9
	s_mov_b32 s9, 0
	s_wait_alu 0xfffe
	s_lshl_b64 s[8:9], s[8:9], 3
	s_wait_alu 0xfffe
	v_add_co_u32 v16, vcc_lo, v2, s8
	s_wait_alu 0xfffd
	v_add_co_ci_u32_e64 v17, null, s9, v3, vcc_lo
	s_wait_dscnt 0x6
	global_store_b64 v[16:17], v[14:15], off
	s_or_b32 exec_lo, exec_lo, s0
	s_and_saveexec_b32 s0, s2
	s_cbranch_execz .LBB225_140
.LBB225_156:
	s_lshl_b32 s8, s28, 10
	s_mov_b32 s9, 0
	s_wait_alu 0xfffe
	s_lshl_b64 s[8:9], s[8:9], 3
	s_wait_dscnt 0x6
	s_wait_alu 0xfffe
	v_add_co_u32 v14, vcc_lo, v2, s8
	s_wait_alu 0xfffd
	v_add_co_ci_u32_e64 v15, null, s9, v3, vcc_lo
	s_wait_dscnt 0x5
	global_store_b64 v[14:15], v[12:13], off
	s_or_b32 exec_lo, exec_lo, s0
	s_and_saveexec_b32 s0, s3
	s_cbranch_execz .LBB225_141
.LBB225_157:
	s_mul_i32 s2, s28, 0x600
	s_mov_b32 s3, 0
	s_wait_alu 0xfffe
	s_lshl_b64 s[2:3], s[2:3], 3
	s_wait_dscnt 0x5
	s_wait_alu 0xfffe
	v_add_co_u32 v12, vcc_lo, v2, s2
	s_wait_alu 0xfffd
	v_add_co_ci_u32_e64 v13, null, s3, v3, vcc_lo
	s_wait_dscnt 0x4
	global_store_b64 v[12:13], v[10:11], off
	s_or_b32 exec_lo, exec_lo, s0
	s_and_saveexec_b32 s0, s4
	s_cbranch_execz .LBB225_142
.LBB225_158:
	s_lshl_b32 s2, s28, 11
	s_mov_b32 s3, 0
	s_wait_alu 0xfffe
	s_lshl_b64 s[2:3], s[2:3], 3
	s_wait_dscnt 0x4
	s_wait_alu 0xfffe
	v_add_co_u32 v10, vcc_lo, v2, s2
	s_wait_alu 0xfffd
	v_add_co_ci_u32_e64 v11, null, s3, v3, vcc_lo
	s_wait_dscnt 0x3
	global_store_b64 v[10:11], v[8:9], off
	s_or_b32 exec_lo, exec_lo, s0
	s_and_saveexec_b32 s0, s5
	s_cbranch_execz .LBB225_143
.LBB225_159:
	s_mul_i32 s2, s28, 0xa00
	s_mov_b32 s3, 0
	s_wait_alu 0xfffe
	s_lshl_b64 s[2:3], s[2:3], 3
	s_wait_dscnt 0x3
	s_wait_alu 0xfffe
	v_add_co_u32 v8, vcc_lo, v2, s2
	s_wait_alu 0xfffd
	v_add_co_ci_u32_e64 v9, null, s3, v3, vcc_lo
	s_wait_dscnt 0x2
	global_store_b64 v[8:9], v[6:7], off
	s_or_b32 exec_lo, exec_lo, s0
	s_and_saveexec_b32 s0, s6
	s_cbranch_execz .LBB225_144
.LBB225_160:
	s_mul_i32 s2, s28, 0xc00
	s_mov_b32 s3, 0
	s_wait_alu 0xfffe
	s_lshl_b64 s[2:3], s[2:3], 3
	s_wait_dscnt 0x2
	s_wait_alu 0xfffe
	v_add_co_u32 v6, vcc_lo, v2, s2
	s_wait_alu 0xfffd
	v_add_co_ci_u32_e64 v7, null, s3, v3, vcc_lo
	s_wait_dscnt 0x1
	global_store_b64 v[6:7], v[4:5], off
	s_or_b32 exec_lo, exec_lo, s0
	s_and_saveexec_b32 s0, s7
	s_cbranch_execnz .LBB225_145
	s_branch .LBB225_146
	.section	.rodata,"a",@progbits
	.p2align	6, 0x0
	.amdhsa_kernel _ZN2at6native18radixSortKVInPlaceILi2ELin1ELi512ELi8EN3c104HalfEljEEvNS_4cuda6detail10TensorInfoIT3_T5_EES8_S8_S8_NS6_IT4_S8_EES8_b
		.amdhsa_group_segment_fixed_size 33792
		.amdhsa_private_segment_fixed_size 0
		.amdhsa_kernarg_size 712
		.amdhsa_user_sgpr_count 2
		.amdhsa_user_sgpr_dispatch_ptr 0
		.amdhsa_user_sgpr_queue_ptr 0
		.amdhsa_user_sgpr_kernarg_segment_ptr 1
		.amdhsa_user_sgpr_dispatch_id 0
		.amdhsa_user_sgpr_private_segment_size 0
		.amdhsa_wavefront_size32 1
		.amdhsa_uses_dynamic_stack 0
		.amdhsa_enable_private_segment 0
		.amdhsa_system_sgpr_workgroup_id_x 1
		.amdhsa_system_sgpr_workgroup_id_y 1
		.amdhsa_system_sgpr_workgroup_id_z 1
		.amdhsa_system_sgpr_workgroup_info 0
		.amdhsa_system_vgpr_workitem_id 2
		.amdhsa_next_free_vgpr 113
		.amdhsa_next_free_sgpr 36
		.amdhsa_reserve_vcc 1
		.amdhsa_float_round_mode_32 0
		.amdhsa_float_round_mode_16_64 0
		.amdhsa_float_denorm_mode_32 3
		.amdhsa_float_denorm_mode_16_64 3
		.amdhsa_fp16_overflow 0
		.amdhsa_workgroup_processor_mode 1
		.amdhsa_memory_ordered 1
		.amdhsa_forward_progress 1
		.amdhsa_inst_pref_size 181
		.amdhsa_round_robin_scheduling 0
		.amdhsa_exception_fp_ieee_invalid_op 0
		.amdhsa_exception_fp_denorm_src 0
		.amdhsa_exception_fp_ieee_div_zero 0
		.amdhsa_exception_fp_ieee_overflow 0
		.amdhsa_exception_fp_ieee_underflow 0
		.amdhsa_exception_fp_ieee_inexact 0
		.amdhsa_exception_int_div_zero 0
	.end_amdhsa_kernel
	.section	.text._ZN2at6native18radixSortKVInPlaceILi2ELin1ELi512ELi8EN3c104HalfEljEEvNS_4cuda6detail10TensorInfoIT3_T5_EES8_S8_S8_NS6_IT4_S8_EES8_b,"axG",@progbits,_ZN2at6native18radixSortKVInPlaceILi2ELin1ELi512ELi8EN3c104HalfEljEEvNS_4cuda6detail10TensorInfoIT3_T5_EES8_S8_S8_NS6_IT4_S8_EES8_b,comdat
.Lfunc_end225:
	.size	_ZN2at6native18radixSortKVInPlaceILi2ELin1ELi512ELi8EN3c104HalfEljEEvNS_4cuda6detail10TensorInfoIT3_T5_EES8_S8_S8_NS6_IT4_S8_EES8_b, .Lfunc_end225-_ZN2at6native18radixSortKVInPlaceILi2ELin1ELi512ELi8EN3c104HalfEljEEvNS_4cuda6detail10TensorInfoIT3_T5_EES8_S8_S8_NS6_IT4_S8_EES8_b
                                        ; -- End function
	.set _ZN2at6native18radixSortKVInPlaceILi2ELin1ELi512ELi8EN3c104HalfEljEEvNS_4cuda6detail10TensorInfoIT3_T5_EES8_S8_S8_NS6_IT4_S8_EES8_b.num_vgpr, 113
	.set _ZN2at6native18radixSortKVInPlaceILi2ELin1ELi512ELi8EN3c104HalfEljEEvNS_4cuda6detail10TensorInfoIT3_T5_EES8_S8_S8_NS6_IT4_S8_EES8_b.num_agpr, 0
	.set _ZN2at6native18radixSortKVInPlaceILi2ELin1ELi512ELi8EN3c104HalfEljEEvNS_4cuda6detail10TensorInfoIT3_T5_EES8_S8_S8_NS6_IT4_S8_EES8_b.numbered_sgpr, 36
	.set _ZN2at6native18radixSortKVInPlaceILi2ELin1ELi512ELi8EN3c104HalfEljEEvNS_4cuda6detail10TensorInfoIT3_T5_EES8_S8_S8_NS6_IT4_S8_EES8_b.num_named_barrier, 0
	.set _ZN2at6native18radixSortKVInPlaceILi2ELin1ELi512ELi8EN3c104HalfEljEEvNS_4cuda6detail10TensorInfoIT3_T5_EES8_S8_S8_NS6_IT4_S8_EES8_b.private_seg_size, 0
	.set _ZN2at6native18radixSortKVInPlaceILi2ELin1ELi512ELi8EN3c104HalfEljEEvNS_4cuda6detail10TensorInfoIT3_T5_EES8_S8_S8_NS6_IT4_S8_EES8_b.uses_vcc, 1
	.set _ZN2at6native18radixSortKVInPlaceILi2ELin1ELi512ELi8EN3c104HalfEljEEvNS_4cuda6detail10TensorInfoIT3_T5_EES8_S8_S8_NS6_IT4_S8_EES8_b.uses_flat_scratch, 0
	.set _ZN2at6native18radixSortKVInPlaceILi2ELin1ELi512ELi8EN3c104HalfEljEEvNS_4cuda6detail10TensorInfoIT3_T5_EES8_S8_S8_NS6_IT4_S8_EES8_b.has_dyn_sized_stack, 0
	.set _ZN2at6native18radixSortKVInPlaceILi2ELin1ELi512ELi8EN3c104HalfEljEEvNS_4cuda6detail10TensorInfoIT3_T5_EES8_S8_S8_NS6_IT4_S8_EES8_b.has_recursion, 0
	.set _ZN2at6native18radixSortKVInPlaceILi2ELin1ELi512ELi8EN3c104HalfEljEEvNS_4cuda6detail10TensorInfoIT3_T5_EES8_S8_S8_NS6_IT4_S8_EES8_b.has_indirect_call, 0
	.section	.AMDGPU.csdata,"",@progbits
; Kernel info:
; codeLenInByte = 23164
; TotalNumSgprs: 38
; NumVgprs: 113
; ScratchSize: 0
; MemoryBound: 0
; FloatMode: 240
; IeeeMode: 1
; LDSByteSize: 33792 bytes/workgroup (compile time only)
; SGPRBlocks: 0
; VGPRBlocks: 14
; NumSGPRsForWavesPerEU: 38
; NumVGPRsForWavesPerEU: 113
; Occupancy: 12
; WaveLimiterHint : 1
; COMPUTE_PGM_RSRC2:SCRATCH_EN: 0
; COMPUTE_PGM_RSRC2:USER_SGPR: 2
; COMPUTE_PGM_RSRC2:TRAP_HANDLER: 0
; COMPUTE_PGM_RSRC2:TGID_X_EN: 1
; COMPUTE_PGM_RSRC2:TGID_Y_EN: 1
; COMPUTE_PGM_RSRC2:TGID_Z_EN: 1
; COMPUTE_PGM_RSRC2:TIDIG_COMP_CNT: 2
	.section	.text._ZN2at6native18radixSortKVInPlaceILi2ELin1ELi256ELi8EN3c104HalfEljEEvNS_4cuda6detail10TensorInfoIT3_T5_EES8_S8_S8_NS6_IT4_S8_EES8_b,"axG",@progbits,_ZN2at6native18radixSortKVInPlaceILi2ELin1ELi256ELi8EN3c104HalfEljEEvNS_4cuda6detail10TensorInfoIT3_T5_EES8_S8_S8_NS6_IT4_S8_EES8_b,comdat
	.protected	_ZN2at6native18radixSortKVInPlaceILi2ELin1ELi256ELi8EN3c104HalfEljEEvNS_4cuda6detail10TensorInfoIT3_T5_EES8_S8_S8_NS6_IT4_S8_EES8_b ; -- Begin function _ZN2at6native18radixSortKVInPlaceILi2ELin1ELi256ELi8EN3c104HalfEljEEvNS_4cuda6detail10TensorInfoIT3_T5_EES8_S8_S8_NS6_IT4_S8_EES8_b
	.globl	_ZN2at6native18radixSortKVInPlaceILi2ELin1ELi256ELi8EN3c104HalfEljEEvNS_4cuda6detail10TensorInfoIT3_T5_EES8_S8_S8_NS6_IT4_S8_EES8_b
	.p2align	8
	.type	_ZN2at6native18radixSortKVInPlaceILi2ELin1ELi256ELi8EN3c104HalfEljEEvNS_4cuda6detail10TensorInfoIT3_T5_EES8_S8_S8_NS6_IT4_S8_EES8_b,@function
_ZN2at6native18radixSortKVInPlaceILi2ELin1ELi256ELi8EN3c104HalfEljEEvNS_4cuda6detail10TensorInfoIT3_T5_EES8_S8_S8_NS6_IT4_S8_EES8_b: ; @_ZN2at6native18radixSortKVInPlaceILi2ELin1ELi256ELi8EN3c104HalfEljEEvNS_4cuda6detail10TensorInfoIT3_T5_EES8_S8_S8_NS6_IT4_S8_EES8_b
; %bb.0:
	s_clause 0x1
	s_load_b64 s[2:3], s[0:1], 0x1c8
	s_load_b96 s[20:22], s[0:1], 0xd8
	s_lshr_b32 s4, ttmp7, 16
	s_wait_kmcnt 0x0
	s_mul_i32 s3, s3, s4
	s_and_b32 s4, ttmp7, 0xffff
	s_delay_alu instid0(SALU_CYCLE_1) | instskip(NEXT) | instid1(SALU_CYCLE_1)
	s_add_co_i32 s3, s3, s4
	s_mul_i32 s2, s3, s2
	s_delay_alu instid0(SALU_CYCLE_1) | instskip(NEXT) | instid1(SALU_CYCLE_1)
	s_add_co_i32 s2, s2, ttmp9
	s_cmp_ge_u32 s2, s20
	s_cbranch_scc1 .LBB226_146
; %bb.1:
	s_clause 0x2
	s_load_b32 s15, s[0:1], 0xc
	s_load_b64 s[4:5], s[0:1], 0x6c
	s_load_b32 s12, s[0:1], 0x1b8
	s_add_nc_u64 s[10:11], s[0:1], 0xe8
	s_mov_b32 s14, s2
	s_wait_kmcnt 0x0
	s_cvt_f32_u32 s3, s15
	s_delay_alu instid0(SALU_CYCLE_3) | instskip(NEXT) | instid1(TRANS32_DEP_1)
	v_rcp_iflag_f32_e32 v1, s3
	v_readfirstlane_b32 s3, v1
	s_mul_f32 s3, s3, 0x4f7ffffe
	s_wait_alu 0xfffe
	s_delay_alu instid0(SALU_CYCLE_2) | instskip(SKIP_2) | instid1(SALU_CYCLE_1)
	s_cvt_u32_f32 s6, s3
	s_sub_co_i32 s3, 0, s15
	s_wait_alu 0xfffe
	s_mul_i32 s7, s3, s6
	s_mov_b32 s3, 0
	s_mul_hi_u32 s8, s6, s7
	s_wait_alu 0xfffe
	s_mov_b32 s7, s3
	s_add_co_i32 s6, s6, s8
	s_cmp_lt_i32 s12, 2
	s_mov_b32 s9, s3
	s_cbranch_scc1 .LBB226_4
; %bb.2:
	s_add_co_i32 s8, s12, -1
	s_mov_b32 s9, 0
	s_mov_b32 s14, s2
	s_lshl_b64 s[16:17], s[8:9], 2
	s_add_co_i32 s8, s12, 1
	s_add_nc_u64 s[16:17], s[10:11], s[16:17]
	s_delay_alu instid0(SALU_CYCLE_1)
	s_add_nc_u64 s[12:13], s[16:17], 8
.LBB226_3:                              ; =>This Inner Loop Header: Depth=1
	s_clause 0x1
	s_load_b32 s16, s[12:13], 0x0
	s_load_b32 s17, s[12:13], 0x64
	s_mov_b32 s20, s14
	s_add_nc_u64 s[12:13], s[12:13], -4
	s_wait_kmcnt 0x0
	s_cvt_f32_u32 s18, s16
	s_sub_co_i32 s19, 0, s16
	s_wait_alu 0xfffe
	s_delay_alu instid0(SALU_CYCLE_1) | instskip(NEXT) | instid1(TRANS32_DEP_1)
	v_rcp_iflag_f32_e32 v1, s18
	v_readfirstlane_b32 s18, v1
	s_mul_f32 s18, s18, 0x4f7ffffe
	s_wait_alu 0xfffe
	s_delay_alu instid0(SALU_CYCLE_2) | instskip(SKIP_1) | instid1(SALU_CYCLE_2)
	s_cvt_u32_f32 s18, s18
	s_wait_alu 0xfffe
	s_mul_i32 s19, s19, s18
	s_wait_alu 0xfffe
	s_mul_hi_u32 s19, s18, s19
	s_wait_alu 0xfffe
	s_add_co_i32 s18, s18, s19
	s_wait_alu 0xfffe
	s_mul_hi_u32 s14, s14, s18
	s_delay_alu instid0(SALU_CYCLE_1)
	s_mul_i32 s18, s14, s16
	s_add_co_i32 s19, s14, 1
	s_wait_alu 0xfffe
	s_sub_co_i32 s18, s20, s18
	s_wait_alu 0xfffe
	s_sub_co_i32 s23, s18, s16
	s_cmp_ge_u32 s18, s16
	s_cselect_b32 s14, s19, s14
	s_cselect_b32 s18, s23, s18
	s_add_co_i32 s19, s14, 1
	s_wait_alu 0xfffe
	s_cmp_ge_u32 s18, s16
	s_cselect_b32 s14, s19, s14
	s_add_co_i32 s8, s8, -1
	s_mul_i32 s16, s14, s16
	s_delay_alu instid0(SALU_CYCLE_1) | instskip(NEXT) | instid1(SALU_CYCLE_1)
	s_sub_co_i32 s16, s20, s16
	s_mul_i32 s16, s17, s16
	s_delay_alu instid0(SALU_CYCLE_1)
	s_add_co_i32 s9, s16, s9
	s_cmp_gt_u32 s8, 2
	s_cbranch_scc1 .LBB226_3
.LBB226_4:
	s_mul_u64 s[6:7], s[2:3], s[6:7]
	s_clause 0x1
	s_load_b64 s[12:13], s[0:1], 0x0
	s_load_b64 s[28:29], s[0:1], 0x1c0
	s_mul_i32 s3, s7, s15
	s_add_nc_u64 s[36:37], s[0:1], 0x1c8
	s_wait_alu 0xfffe
	s_sub_co_i32 s0, s2, s3
	s_add_co_i32 s1, s7, 1
	s_sub_co_i32 s3, s0, s15
	s_cmp_ge_u32 s0, s15
	s_cselect_b32 s1, s1, s7
	s_wait_alu 0xfffe
	s_cselect_b32 s0, s3, s0
	s_add_co_i32 s3, s1, 1
	s_cmp_ge_u32 s0, s15
	s_wait_alu 0xfffe
	s_cselect_b32 s0, s3, s1
	s_mov_b32 s3, 0
	s_mul_i32 s1, s0, s15
	s_mul_i32 s0, s0, s4
	s_sub_co_i32 s1, s2, s1
	s_delay_alu instid0(SALU_CYCLE_1) | instskip(NEXT) | instid1(SALU_CYCLE_1)
	s_mul_i32 s1, s1, s5
	s_add_co_i32 s2, s0, s1
	s_wait_kmcnt 0x0
	s_bitcmp1_b32 s29, 0
	s_mov_b32 s0, 0xffff
	s_cselect_b32 s8, -1, 0
	s_delay_alu instid0(SALU_CYCLE_1) | instskip(SKIP_1) | instid1(SALU_CYCLE_1)
	s_and_b32 s1, s8, exec_lo
	s_cselect_b32 s15, s0, 0x7fff
	v_dual_mov_b32 v1, s15 :: v_dual_and_b32 v46, 0x3ff, v0
	s_wait_alu 0xfffe
	s_lshl_b64 s[2:3], s[2:3], 1
	s_wait_alu 0xfffe
	s_add_nc_u64 s[30:31], s[12:13], s[2:3]
	v_mul_lo_u32 v44, s22, v46
	v_cmp_gt_u32_e64 s0, s21, v46
	s_and_saveexec_b32 s1, s0
	s_cbranch_execz .LBB226_6
; %bb.5:
	v_mov_b32_e32 v45, 0
	s_delay_alu instid0(VALU_DEP_1) | instskip(NEXT) | instid1(VALU_DEP_1)
	v_lshlrev_b64_e32 v[1:2], 1, v[44:45]
	v_add_co_u32 v1, vcc_lo, s30, v1
	s_delay_alu instid0(VALU_DEP_1)
	v_add_co_ci_u32_e64 v2, null, s31, v2, vcc_lo
	global_load_u16 v1, v[1:2], off
.LBB226_6:
	s_or_b32 exec_lo, exec_lo, s1
	v_dual_mov_b32 v2, s15 :: v_dual_add_nc_u32 v15, 0x100, v46
	s_delay_alu instid0(VALU_DEP_1)
	v_cmp_gt_u32_e64 s1, s21, v15
	s_and_saveexec_b32 s2, s1
	s_cbranch_execz .LBB226_8
; %bb.7:
	v_mul_lo_u32 v2, s22, v15
	v_mov_b32_e32 v3, 0
	s_delay_alu instid0(VALU_DEP_1) | instskip(NEXT) | instid1(VALU_DEP_1)
	v_lshlrev_b64_e32 v[2:3], 1, v[2:3]
	v_add_co_u32 v2, vcc_lo, s30, v2
	s_wait_alu 0xfffd
	s_delay_alu instid0(VALU_DEP_2)
	v_add_co_ci_u32_e64 v3, null, s31, v3, vcc_lo
	global_load_u16 v2, v[2:3], off
.LBB226_8:
	s_wait_alu 0xfffe
	s_or_b32 exec_lo, exec_lo, s2
	v_dual_mov_b32 v3, s15 :: v_dual_add_nc_u32 v16, 0x200, v46
	s_delay_alu instid0(VALU_DEP_1)
	v_cmp_gt_u32_e64 s2, s21, v16
	s_and_saveexec_b32 s3, s2
	s_cbranch_execz .LBB226_10
; %bb.9:
	v_mul_lo_u32 v3, s22, v16
	v_mov_b32_e32 v4, 0
	s_delay_alu instid0(VALU_DEP_1) | instskip(NEXT) | instid1(VALU_DEP_1)
	v_lshlrev_b64_e32 v[3:4], 1, v[3:4]
	v_add_co_u32 v3, vcc_lo, s30, v3
	s_wait_alu 0xfffd
	s_delay_alu instid0(VALU_DEP_2)
	v_add_co_ci_u32_e64 v4, null, s31, v4, vcc_lo
	global_load_u16 v3, v[3:4], off
.LBB226_10:
	s_wait_alu 0xfffe
	s_or_b32 exec_lo, exec_lo, s3
	v_dual_mov_b32 v4, s15 :: v_dual_add_nc_u32 v17, 0x300, v46
	s_delay_alu instid0(VALU_DEP_1)
	v_cmp_gt_u32_e64 s3, s21, v17
	s_and_saveexec_b32 s4, s3
	s_cbranch_execz .LBB226_12
; %bb.11:
	v_mul_lo_u32 v4, s22, v17
	v_mov_b32_e32 v5, 0
	s_delay_alu instid0(VALU_DEP_1) | instskip(NEXT) | instid1(VALU_DEP_1)
	v_lshlrev_b64_e32 v[4:5], 1, v[4:5]
	v_add_co_u32 v4, vcc_lo, s30, v4
	s_wait_alu 0xfffd
	s_delay_alu instid0(VALU_DEP_2)
	v_add_co_ci_u32_e64 v5, null, s31, v5, vcc_lo
	global_load_u16 v4, v[4:5], off
.LBB226_12:
	s_or_b32 exec_lo, exec_lo, s4
	v_or_b32_e32 v18, 0x400, v46
	v_mov_b32_e32 v5, s15
	s_delay_alu instid0(VALU_DEP_2)
	v_cmp_gt_u32_e64 s4, s21, v18
	s_and_saveexec_b32 s5, s4
	s_cbranch_execz .LBB226_14
; %bb.13:
	v_mul_lo_u32 v5, s22, v18
	v_mov_b32_e32 v6, 0
	s_delay_alu instid0(VALU_DEP_1) | instskip(NEXT) | instid1(VALU_DEP_1)
	v_lshlrev_b64_e32 v[5:6], 1, v[5:6]
	v_add_co_u32 v5, vcc_lo, s30, v5
	s_wait_alu 0xfffd
	s_delay_alu instid0(VALU_DEP_2)
	v_add_co_ci_u32_e64 v6, null, s31, v6, vcc_lo
	global_load_u16 v5, v[5:6], off
.LBB226_14:
	s_or_b32 exec_lo, exec_lo, s5
	v_dual_mov_b32 v6, s15 :: v_dual_add_nc_u32 v19, 0x500, v46
	s_delay_alu instid0(VALU_DEP_1)
	v_cmp_gt_u32_e64 s5, s21, v19
	s_and_saveexec_b32 s6, s5
	s_cbranch_execz .LBB226_16
; %bb.15:
	v_mul_lo_u32 v6, s22, v19
	v_mov_b32_e32 v7, 0
	s_delay_alu instid0(VALU_DEP_1) | instskip(NEXT) | instid1(VALU_DEP_1)
	v_lshlrev_b64_e32 v[6:7], 1, v[6:7]
	v_add_co_u32 v6, vcc_lo, s30, v6
	s_wait_alu 0xfffd
	s_delay_alu instid0(VALU_DEP_2)
	v_add_co_ci_u32_e64 v7, null, s31, v7, vcc_lo
	global_load_u16 v6, v[6:7], off
.LBB226_16:
	s_or_b32 exec_lo, exec_lo, s6
	v_dual_mov_b32 v7, s15 :: v_dual_add_nc_u32 v20, 0x600, v46
	s_delay_alu instid0(VALU_DEP_1)
	v_cmp_gt_u32_e64 s6, s21, v20
	s_and_saveexec_b32 s7, s6
	s_cbranch_execz .LBB226_18
; %bb.17:
	v_mul_lo_u32 v7, s22, v20
	v_mov_b32_e32 v8, 0
	s_delay_alu instid0(VALU_DEP_1) | instskip(NEXT) | instid1(VALU_DEP_1)
	v_lshlrev_b64_e32 v[7:8], 1, v[7:8]
	v_add_co_u32 v7, vcc_lo, s30, v7
	s_wait_alu 0xfffd
	s_delay_alu instid0(VALU_DEP_2)
	v_add_co_ci_u32_e64 v8, null, s31, v8, vcc_lo
	global_load_u16 v7, v[7:8], off
.LBB226_18:
	s_or_b32 exec_lo, exec_lo, s7
	s_clause 0x1
	s_load_b32 s12, s[10:11], 0x6c
	s_load_b64 s[10:11], s[10:11], 0x0
	v_dual_mov_b32 v8, s15 :: v_dual_add_nc_u32 v21, 0x700, v46
	s_delay_alu instid0(VALU_DEP_1)
	v_cmp_gt_u32_e64 s7, s21, v21
	s_and_saveexec_b32 s13, s7
	s_cbranch_execz .LBB226_20
; %bb.19:
	v_mul_lo_u32 v8, s22, v21
	v_mov_b32_e32 v9, 0
	s_delay_alu instid0(VALU_DEP_1) | instskip(NEXT) | instid1(VALU_DEP_1)
	v_lshlrev_b64_e32 v[8:9], 1, v[8:9]
	v_add_co_u32 v8, vcc_lo, s30, v8
	s_wait_alu 0xfffd
	s_delay_alu instid0(VALU_DEP_2)
	v_add_co_ci_u32_e64 v9, null, s31, v9, vcc_lo
	global_load_u16 v8, v[8:9], off
.LBB226_20:
	s_or_b32 exec_lo, exec_lo, s13
	v_lshrrev_b32_e32 v9, 4, v46
	v_lshrrev_b32_e32 v10, 4, v15
	;; [unrolled: 1-line block ×5, first 2 shown]
	v_dual_mov_b32 v42, 0 :: v_dual_and_b32 v9, 60, v9
	v_lshlrev_b32_e32 v12, 1, v46
	v_and_b32_e32 v10, 0x7c, v10
	v_and_b32_e32 v11, 0x7c, v11
	s_wait_kmcnt 0x0
	s_mul_i32 s12, s12, s14
	v_mov_b32_e32 v43, v42
	v_add_nc_u32_e32 v51, v9, v12
	v_add_nc_u32_e32 v45, v10, v12
	;; [unrolled: 1-line block ×3, first 2 shown]
	v_and_b32_e32 v9, 0x7c, v13
	v_lshrrev_b32_e32 v10, 4, v18
	v_lshrrev_b32_e32 v11, 4, v19
	;; [unrolled: 1-line block ×3, first 2 shown]
	v_mul_lo_u32 v41, s28, v46
	v_add_nc_u32_e32 v53, v9, v12
	v_and_b32_e32 v9, 0x7c, v10
	v_and_b32_e32 v10, 0xfc, v11
	;; [unrolled: 1-line block ×4, first 2 shown]
	v_lshrrev_b32_e32 v14, 1, v46
	v_add_nc_u32_e32 v54, v9, v12
	v_add_nc_u32_e32 v55, v10, v12
	v_add_nc_u32_e32 v56, v11, v12
	v_add_nc_u32_e32 v57, v13, v12
	v_and_b32_e32 v9, 0x1fc, v14
	v_mov_b32_e32 v13, 0
	v_dual_mov_b32 v11, v42 :: v_dual_mov_b32 v12, v42
	v_mov_b32_e32 v14, 0
	s_delay_alu instid0(VALU_DEP_4)
	v_lshl_add_u32 v58, v46, 4, v9
	s_wait_loadcnt 0x0
	ds_store_b16 v51, v1
	ds_store_b16 v45, v2 offset:512
	ds_store_b16 v52, v3 offset:1024
	;; [unrolled: 1-line block ×7, first 2 shown]
	s_wait_dscnt 0x0
	s_barrier_signal -1
	s_barrier_wait -1
	global_inv scope:SCOPE_SE
	ds_load_2addr_b32 v[49:50], v58 offset1:1
	ds_load_2addr_b32 v[47:48], v58 offset0:2 offset1:3
	s_add_co_i32 s12, s12, s9
	s_mov_b32 s13, 0
	v_dual_mov_b32 v9, v42 :: v_dual_mov_b32 v10, v42
	v_dual_mov_b32 v1, v42 :: v_dual_mov_b32 v2, v42
	;; [unrolled: 1-line block ×5, first 2 shown]
	s_lshl_b64 s[12:13], s[12:13], 3
	s_wait_loadcnt_dscnt 0x0
	s_add_nc_u64 s[34:35], s[10:11], s[12:13]
	s_barrier_signal -1
	s_barrier_wait -1
	global_inv scope:SCOPE_SE
	s_and_saveexec_b32 s9, s0
	s_cbranch_execnz .LBB226_76
; %bb.21:
	s_or_b32 exec_lo, exec_lo, s9
	s_and_saveexec_b32 s9, s1
	s_cbranch_execnz .LBB226_77
.LBB226_22:
	s_or_b32 exec_lo, exec_lo, s9
	s_and_saveexec_b32 s9, s2
	s_cbranch_execnz .LBB226_78
.LBB226_23:
	s_or_b32 exec_lo, exec_lo, s9
	s_and_saveexec_b32 s9, s3
	s_cbranch_execnz .LBB226_79
.LBB226_24:
	s_or_b32 exec_lo, exec_lo, s9
	s_and_saveexec_b32 s9, s4
	s_cbranch_execnz .LBB226_80
.LBB226_25:
	s_or_b32 exec_lo, exec_lo, s9
	s_and_saveexec_b32 s9, s5
	s_cbranch_execnz .LBB226_81
.LBB226_26:
	s_or_b32 exec_lo, exec_lo, s9
	s_and_saveexec_b32 s9, s6
	s_cbranch_execz .LBB226_28
.LBB226_27:
	v_mul_lo_u32 v5, s28, v20
	v_mov_b32_e32 v6, 0
	s_delay_alu instid0(VALU_DEP_1) | instskip(NEXT) | instid1(VALU_DEP_1)
	v_lshlrev_b64_e32 v[5:6], 3, v[5:6]
	v_add_co_u32 v5, vcc_lo, s34, v5
	s_wait_alu 0xfffd
	s_delay_alu instid0(VALU_DEP_2)
	v_add_co_ci_u32_e64 v6, null, s35, v6, vcc_lo
	global_load_b64 v[5:6], v[5:6], off
.LBB226_28:
	s_or_b32 exec_lo, exec_lo, s9
	v_lshrrev_b32_e32 v68, 5, v46
	v_lshrrev_b32_e32 v25, 5, v15
	;; [unrolled: 1-line block ×8, first 2 shown]
	v_lshlrev_b32_e32 v66, 3, v46
	v_lshrrev_b32_e32 v15, 2, v46
	s_xor_b32 s8, s8, -1
	s_and_saveexec_b32 s9, s7
	s_cbranch_execz .LBB226_30
; %bb.29:
	v_mul_lo_u32 v7, s28, v21
	v_mov_b32_e32 v8, 0
	s_delay_alu instid0(VALU_DEP_1) | instskip(NEXT) | instid1(VALU_DEP_1)
	v_lshlrev_b64_e32 v[7:8], 3, v[7:8]
	v_add_co_u32 v7, vcc_lo, s34, v7
	s_wait_alu 0xfffd
	s_delay_alu instid0(VALU_DEP_2)
	v_add_co_ci_u32_e64 v8, null, s35, v8, vcc_lo
	global_load_b64 v[7:8], v[7:8], off
.LBB226_30:
	s_or_b32 exec_lo, exec_lo, s9
	v_lshl_add_u32 v59, v68, 3, v66
	v_lshl_add_u32 v60, v25, 3, v66
	;; [unrolled: 1-line block ×5, first 2 shown]
	s_wait_loadcnt 0x0
	ds_store_b64 v59, v[13:14]
	ds_store_b64 v60, v[42:43] offset:2048
	ds_store_b64 v61, v[9:10] offset:4096
	;; [unrolled: 1-line block ×3, first 2 shown]
	v_lshlrev_b32_e32 v9, 3, v66
	v_lshl_add_u32 v42, v22, 3, v66
	v_lshl_add_u32 v43, v18, 3, v66
	;; [unrolled: 1-line block ×3, first 2 shown]
	ds_store_b64 v42, v[1:2] offset:8192
	ds_store_b64 v43, v[3:4] offset:10240
	;; [unrolled: 1-line block ×4, first 2 shown]
	v_lshl_add_u32 v65, v15, 3, v9
	s_wait_dscnt 0x0
	s_barrier_signal -1
	s_barrier_wait -1
	global_inv scope:SCOPE_SE
	ds_load_2addr_b64 v[13:16], v65 offset1:1
	ds_load_2addr_b64 v[9:12], v65 offset0:2 offset1:3
	ds_load_2addr_b64 v[5:8], v65 offset0:4 offset1:5
	;; [unrolled: 1-line block ×3, first 2 shown]
	v_bfe_u32 v71, v0, 10, 10
	v_bfe_u32 v72, v0, 20, 10
	v_mbcnt_lo_u32_b32 v69, -1, 0
	v_and_b32_e32 v70, 0x3e0, v46
	v_lshlrev_b32_e32 v67, 2, v66
	s_and_b32 vcc_lo, exec_lo, s8
	s_wait_loadcnt_dscnt 0x0
	s_barrier_signal -1
	s_barrier_wait -1
	global_inv scope:SCOPE_SE
	s_wait_alu 0xfffe
	s_cbranch_vccz .LBB226_82
; %bb.31:
	v_pk_ashrrev_i16 v0, 15, v49 op_sel_hi:[0,1]
	v_pk_ashrrev_i16 v17, 15, v50 op_sel_hi:[0,1]
	;; [unrolled: 1-line block ×4, first 2 shown]
	v_or_b32_e32 v21, v69, v70
	v_or_b32_e32 v0, 0x80008000, v0
	;; [unrolled: 1-line block ×5, first 2 shown]
	v_and_or_b32 v84, 0x1f00, v66, v69
	s_mov_b32 s12, 0
	v_xor_b32_e32 v17, v0, v49
	v_xor_b32_e32 v18, v20, v50
	;; [unrolled: 1-line block ×4, first 2 shown]
	s_mov_b32 s13, s12
	s_mov_b32 s14, s12
	;; [unrolled: 1-line block ×3, first 2 shown]
	v_lshlrev_b32_e32 v23, 4, v21
	v_lshlrev_b32_e32 v73, 1, v84
	s_getpc_b64 s[8:9]
	s_sext_i32_i16 s9, s9
	s_add_co_u32 s8, s8, _ZN7rocprim17ROCPRIM_400000_NS16block_radix_sortI6__halfLj256ELj8ElLj1ELj1ELj0ELNS0_26block_radix_rank_algorithmE1ELNS0_18block_padding_hintE2ELNS0_4arch9wavefront6targetE0EE19radix_bits_per_passE@rel32@lo+8
	s_add_co_ci_u32 s9, s9, _ZN7rocprim17ROCPRIM_400000_NS16block_radix_sortI6__halfLj256ELj8ElLj1ELj1ELj0ELNS0_26block_radix_rank_algorithmE1ELNS0_18block_padding_hintE2ELNS0_4arch9wavefront6targetE0EE19radix_bits_per_passE@rel32@hi+16
	s_load_b32 s20, s[8:9], 0x0
	ds_store_b128 v23, v[17:20]
	; wave barrier
	ds_load_u16 v74, v73
	v_mad_u32_u24 v0, v21, 48, v23
	ds_load_u16 v75, v73 offset:64
	ds_load_u16 v76, v73 offset:128
	;; [unrolled: 1-line block ×7, first 2 shown]
	s_wait_loadcnt_dscnt 0x0
	s_barrier_signal -1
	s_barrier_wait -1
	global_inv scope:SCOPE_SE
	ds_store_b128 v0, v[13:16]
	ds_store_b128 v0, v[9:12] offset:16
	ds_store_b128 v0, v[5:8] offset:32
	;; [unrolled: 1-line block ×3, first 2 shown]
	v_mad_u32_u24 v29, v84, 6, v73
	; wave barrier
	s_wait_kmcnt 0x0
	s_min_u32 s8, s20, 16
	s_delay_alu instid0(SALU_CYCLE_1) | instskip(SKIP_4) | instid1(VALU_DEP_1)
	s_lshl_b32 s8, -1, s8
	v_cmp_ne_u16_e32 vcc_lo, 0x7fff, v74
	s_not_b32 s9, s8
	s_wait_alu 0xfffd
	v_cndmask_b32_e32 v17, 0xffff8000, v74, vcc_lo
	v_and_b32_e32 v17, 0xffff, v17
	s_delay_alu instid0(VALU_DEP_1)
	v_and_b32_e32 v40, s9, v17
	ds_load_2addr_b64 v[17:20], v29 offset1:32
	ds_load_2addr_b64 v[25:28], v29 offset0:64 offset1:96
	ds_load_2addr_b64 v[21:24], v29 offset0:128 offset1:160
	;; [unrolled: 1-line block ×3, first 2 shown]
	s_wait_loadcnt_dscnt 0x0
	v_and_b32_e32 v0, 1, v40
	v_lshlrev_b32_e32 v33, 30, v40
	v_lshlrev_b32_e32 v36, 28, v40
	s_barrier_signal -1
	s_barrier_wait -1
	v_add_co_u32 v0, s8, v0, -1
	s_wait_alu 0xf1ff
	v_cndmask_b32_e64 v34, 0, 1, s8
	v_not_b32_e32 v35, v33
	v_cmp_gt_i32_e64 s8, 0, v33
	global_inv scope:SCOPE_SE
	v_cmp_ne_u32_e32 vcc_lo, 0, v34
	v_lshlrev_b32_e32 v34, 29, v40
	v_ashrrev_i32_e32 v33, 31, v35
	s_wait_alu 0xfffd
	v_xor_b32_e32 v0, vcc_lo, v0
	s_delay_alu instid0(VALU_DEP_3)
	v_not_b32_e32 v35, v34
	s_wait_alu 0xf1ff
	v_xor_b32_e32 v33, s8, v33
	v_cmp_gt_i32_e32 vcc_lo, 0, v34
	s_load_b32 s8, s[36:37], 0xc
	v_and_b32_e32 v0, exec_lo, v0
	v_ashrrev_i32_e32 v34, 31, v35
	v_not_b32_e32 v35, v36
	s_delay_alu instid0(VALU_DEP_3) | instskip(SKIP_1) | instid1(VALU_DEP_4)
	v_and_b32_e32 v0, v0, v33
	v_lshlrev_b32_e32 v33, 27, v40
	v_xor_b32_e32 v34, vcc_lo, v34
	v_cmp_gt_i32_e32 vcc_lo, 0, v36
	v_ashrrev_i32_e32 v35, 31, v35
	s_delay_alu instid0(VALU_DEP_4) | instskip(NEXT) | instid1(VALU_DEP_4)
	v_not_b32_e32 v36, v33
	v_and_b32_e32 v0, v0, v34
	v_lshlrev_b32_e32 v34, 26, v40
	s_wait_alu 0xfffd
	v_xor_b32_e32 v35, vcc_lo, v35
	v_cmp_gt_i32_e32 vcc_lo, 0, v33
	v_ashrrev_i32_e32 v33, 31, v36
	v_not_b32_e32 v36, v34
	s_delay_alu instid0(VALU_DEP_4)
	v_and_b32_e32 v0, v0, v35
	v_lshlrev_b32_e32 v35, 25, v40
	s_wait_alu 0xfffd
	v_xor_b32_e32 v33, vcc_lo, v33
	v_cmp_gt_i32_e32 vcc_lo, 0, v34
	v_ashrrev_i32_e32 v34, 31, v36
	s_wait_kmcnt 0x0
	s_lshr_b32 s10, s8, 16
	v_not_b32_e32 v36, v35
	v_and_b32_e32 v0, v0, v33
	v_lshlrev_b32_e32 v33, 24, v40
	s_wait_alu 0xfffd
	v_xor_b32_e32 v34, vcc_lo, v34
	v_cmp_gt_i32_e32 vcc_lo, 0, v35
	v_ashrrev_i32_e32 v35, 31, v36
	v_mad_u32_u24 v37, v72, s10, v71
	v_not_b32_e32 v36, v33
	v_and_b32_e32 v0, v0, v34
	s_and_b32 s8, s8, 0xffff
	s_wait_alu 0xfffd
	v_xor_b32_e32 v34, vcc_lo, v35
	v_cmp_gt_i32_e32 vcc_lo, 0, v33
	v_ashrrev_i32_e32 v33, 31, v36
	s_wait_alu 0xfffe
	v_mad_co_u64_u32 v[38:39], null, v37, s8, v[46:47]
	v_dual_mov_b32 v37, s15 :: v_dual_and_b32 v0, v0, v34
	s_wait_alu 0xfffd
	v_xor_b32_e32 v33, vcc_lo, v33
	v_dual_mov_b32 v36, s14 :: v_dual_mov_b32 v35, s13
	v_mov_b32_e32 v34, s12
	ds_store_b128 v67, v[34:37] offset:32
	ds_store_b128 v67, v[34:37] offset:48
	v_and_b32_e32 v33, v0, v33
	v_lshrrev_b32_e32 v0, 5, v38
	v_lshlrev_b32_e32 v34, 5, v40
	s_wait_loadcnt_dscnt 0x0
	s_barrier_signal -1
	v_mbcnt_lo_u32_b32 v86, v33, 0
	v_lshlrev_b32_e32 v0, 2, v0
	v_cmp_ne_u32_e64 s8, 0, v33
	s_barrier_wait -1
	global_inv scope:SCOPE_SE
	v_cmp_eq_u32_e32 vcc_lo, 0, v86
	v_add_nc_u32_e32 v87, v0, v34
	; wave barrier
	s_and_b32 s10, s8, vcc_lo
	s_wait_alu 0xfffe
	s_and_saveexec_b32 s8, s10
; %bb.32:
	v_bcnt_u32_b32 v33, v33, 0
	ds_store_b32 v87, v33 offset:32
; %bb.33:
	s_wait_alu 0xfffe
	s_or_b32 exec_lo, exec_lo, s8
	v_cmp_ne_u16_e32 vcc_lo, 0x7fff, v75
	; wave barrier
	s_wait_alu 0xfffd
	v_cndmask_b32_e32 v33, 0xffff8000, v75, vcc_lo
	s_delay_alu instid0(VALU_DEP_1) | instskip(NEXT) | instid1(VALU_DEP_1)
	v_and_b32_e32 v33, 0xffff, v33
	v_and_b32_e32 v33, s9, v33
	s_delay_alu instid0(VALU_DEP_1)
	v_and_b32_e32 v34, 1, v33
	v_lshlrev_b32_e32 v35, 30, v33
	v_lshlrev_b32_e32 v36, 29, v33
	;; [unrolled: 1-line block ×4, first 2 shown]
	v_add_co_u32 v34, s8, v34, -1
	s_wait_alu 0xf1ff
	v_cndmask_b32_e64 v38, 0, 1, s8
	v_not_b32_e32 v83, v35
	v_cmp_gt_i32_e64 s8, 0, v35
	v_not_b32_e32 v35, v36
	v_lshlrev_b32_e32 v40, 26, v33
	v_cmp_ne_u32_e32 vcc_lo, 0, v38
	v_ashrrev_i32_e32 v83, 31, v83
	v_lshlrev_b32_e32 v82, 25, v33
	v_ashrrev_i32_e32 v35, 31, v35
	v_lshlrev_b32_e32 v38, 24, v33
	s_wait_alu 0xfffd
	v_xor_b32_e32 v34, vcc_lo, v34
	v_cmp_gt_i32_e32 vcc_lo, 0, v36
	v_not_b32_e32 v36, v37
	s_wait_alu 0xf1ff
	v_xor_b32_e32 v83, s8, v83
	v_cmp_gt_i32_e64 s8, 0, v37
	v_and_b32_e32 v34, exec_lo, v34
	v_not_b32_e32 v37, v39
	v_ashrrev_i32_e32 v36, 31, v36
	s_wait_alu 0xfffd
	v_xor_b32_e32 v35, vcc_lo, v35
	v_cmp_gt_i32_e32 vcc_lo, 0, v39
	v_and_b32_e32 v34, v34, v83
	v_not_b32_e32 v39, v40
	v_ashrrev_i32_e32 v37, 31, v37
	s_wait_alu 0xf1ff
	v_xor_b32_e32 v36, s8, v36
	v_cmp_gt_i32_e64 s8, 0, v40
	v_and_b32_e32 v34, v34, v35
	v_not_b32_e32 v35, v82
	v_ashrrev_i32_e32 v39, 31, v39
	s_wait_alu 0xfffd
	v_xor_b32_e32 v37, vcc_lo, v37
	v_cmp_gt_i32_e32 vcc_lo, 0, v82
	v_and_b32_e32 v34, v34, v36
	v_not_b32_e32 v36, v38
	v_ashrrev_i32_e32 v35, 31, v35
	s_wait_alu 0xf1ff
	v_xor_b32_e32 v39, s8, v39
	v_lshlrev_b32_e32 v33, 5, v33
	v_and_b32_e32 v34, v34, v37
	v_cmp_gt_i32_e64 s8, 0, v38
	v_ashrrev_i32_e32 v36, 31, v36
	s_wait_alu 0xfffd
	v_xor_b32_e32 v35, vcc_lo, v35
	v_add_nc_u32_e32 v90, v0, v33
	v_and_b32_e32 v34, v34, v39
	s_wait_alu 0xf1ff
	v_xor_b32_e32 v33, s8, v36
	ds_load_b32 v88, v90 offset:32
	v_and_b32_e32 v34, v34, v35
	; wave barrier
	s_delay_alu instid0(VALU_DEP_1) | instskip(NEXT) | instid1(VALU_DEP_1)
	v_and_b32_e32 v33, v34, v33
	v_mbcnt_lo_u32_b32 v89, v33, 0
	v_cmp_ne_u32_e64 s8, 0, v33
	s_delay_alu instid0(VALU_DEP_2)
	v_cmp_eq_u32_e32 vcc_lo, 0, v89
	s_and_b32 s10, s8, vcc_lo
	s_wait_alu 0xfffe
	s_and_saveexec_b32 s8, s10
	s_cbranch_execz .LBB226_35
; %bb.34:
	s_wait_dscnt 0x0
	v_bcnt_u32_b32 v33, v33, v88
	ds_store_b32 v90, v33 offset:32
.LBB226_35:
	s_wait_alu 0xfffe
	s_or_b32 exec_lo, exec_lo, s8
	v_cmp_ne_u16_e32 vcc_lo, 0x7fff, v76
	; wave barrier
	s_wait_alu 0xfffd
	v_cndmask_b32_e32 v33, 0xffff8000, v76, vcc_lo
	s_delay_alu instid0(VALU_DEP_1) | instskip(NEXT) | instid1(VALU_DEP_1)
	v_and_b32_e32 v33, 0xffff, v33
	v_and_b32_e32 v33, s9, v33
	s_delay_alu instid0(VALU_DEP_1)
	v_and_b32_e32 v34, 1, v33
	v_lshlrev_b32_e32 v35, 30, v33
	v_lshlrev_b32_e32 v36, 29, v33
	;; [unrolled: 1-line block ×4, first 2 shown]
	v_add_co_u32 v34, s8, v34, -1
	s_wait_alu 0xf1ff
	v_cndmask_b32_e64 v38, 0, 1, s8
	v_not_b32_e32 v83, v35
	v_cmp_gt_i32_e64 s8, 0, v35
	v_not_b32_e32 v35, v36
	v_lshlrev_b32_e32 v40, 26, v33
	v_cmp_ne_u32_e32 vcc_lo, 0, v38
	v_ashrrev_i32_e32 v83, 31, v83
	v_lshlrev_b32_e32 v82, 25, v33
	v_ashrrev_i32_e32 v35, 31, v35
	v_lshlrev_b32_e32 v38, 24, v33
	s_wait_alu 0xfffd
	v_xor_b32_e32 v34, vcc_lo, v34
	v_cmp_gt_i32_e32 vcc_lo, 0, v36
	v_not_b32_e32 v36, v37
	s_wait_alu 0xf1ff
	v_xor_b32_e32 v83, s8, v83
	v_cmp_gt_i32_e64 s8, 0, v37
	v_and_b32_e32 v34, exec_lo, v34
	v_not_b32_e32 v37, v39
	v_ashrrev_i32_e32 v36, 31, v36
	s_wait_alu 0xfffd
	v_xor_b32_e32 v35, vcc_lo, v35
	v_cmp_gt_i32_e32 vcc_lo, 0, v39
	v_and_b32_e32 v34, v34, v83
	v_not_b32_e32 v39, v40
	v_ashrrev_i32_e32 v37, 31, v37
	s_wait_alu 0xf1ff
	v_xor_b32_e32 v36, s8, v36
	v_cmp_gt_i32_e64 s8, 0, v40
	v_and_b32_e32 v34, v34, v35
	v_not_b32_e32 v35, v82
	v_ashrrev_i32_e32 v39, 31, v39
	s_wait_alu 0xfffd
	v_xor_b32_e32 v37, vcc_lo, v37
	v_cmp_gt_i32_e32 vcc_lo, 0, v82
	v_and_b32_e32 v34, v34, v36
	v_not_b32_e32 v36, v38
	v_ashrrev_i32_e32 v35, 31, v35
	s_wait_alu 0xf1ff
	v_xor_b32_e32 v39, s8, v39
	v_lshlrev_b32_e32 v33, 5, v33
	v_and_b32_e32 v34, v34, v37
	v_cmp_gt_i32_e64 s8, 0, v38
	v_ashrrev_i32_e32 v36, 31, v36
	s_wait_alu 0xfffd
	v_xor_b32_e32 v35, vcc_lo, v35
	v_add_nc_u32_e32 v93, v0, v33
	v_and_b32_e32 v34, v34, v39
	s_wait_alu 0xf1ff
	v_xor_b32_e32 v33, s8, v36
	ds_load_b32 v91, v93 offset:32
	v_and_b32_e32 v34, v34, v35
	; wave barrier
	s_delay_alu instid0(VALU_DEP_1) | instskip(NEXT) | instid1(VALU_DEP_1)
	v_and_b32_e32 v33, v34, v33
	v_mbcnt_lo_u32_b32 v92, v33, 0
	v_cmp_ne_u32_e64 s8, 0, v33
	s_delay_alu instid0(VALU_DEP_2)
	v_cmp_eq_u32_e32 vcc_lo, 0, v92
	s_and_b32 s10, s8, vcc_lo
	s_wait_alu 0xfffe
	s_and_saveexec_b32 s8, s10
	s_cbranch_execz .LBB226_37
; %bb.36:
	s_wait_dscnt 0x0
	v_bcnt_u32_b32 v33, v33, v91
	ds_store_b32 v93, v33 offset:32
.LBB226_37:
	s_wait_alu 0xfffe
	s_or_b32 exec_lo, exec_lo, s8
	v_cmp_ne_u16_e32 vcc_lo, 0x7fff, v77
	; wave barrier
	s_wait_alu 0xfffd
	v_cndmask_b32_e32 v33, 0xffff8000, v77, vcc_lo
	s_delay_alu instid0(VALU_DEP_1) | instskip(NEXT) | instid1(VALU_DEP_1)
	v_and_b32_e32 v33, 0xffff, v33
	v_and_b32_e32 v33, s9, v33
	s_delay_alu instid0(VALU_DEP_1)
	v_and_b32_e32 v34, 1, v33
	v_lshlrev_b32_e32 v35, 30, v33
	v_lshlrev_b32_e32 v36, 29, v33
	;; [unrolled: 1-line block ×4, first 2 shown]
	v_add_co_u32 v34, s8, v34, -1
	s_wait_alu 0xf1ff
	v_cndmask_b32_e64 v38, 0, 1, s8
	v_not_b32_e32 v83, v35
	v_cmp_gt_i32_e64 s8, 0, v35
	v_not_b32_e32 v35, v36
	v_lshlrev_b32_e32 v40, 26, v33
	v_cmp_ne_u32_e32 vcc_lo, 0, v38
	v_ashrrev_i32_e32 v83, 31, v83
	v_lshlrev_b32_e32 v82, 25, v33
	v_ashrrev_i32_e32 v35, 31, v35
	v_lshlrev_b32_e32 v38, 24, v33
	s_wait_alu 0xfffd
	v_xor_b32_e32 v34, vcc_lo, v34
	v_cmp_gt_i32_e32 vcc_lo, 0, v36
	v_not_b32_e32 v36, v37
	s_wait_alu 0xf1ff
	v_xor_b32_e32 v83, s8, v83
	v_cmp_gt_i32_e64 s8, 0, v37
	v_and_b32_e32 v34, exec_lo, v34
	v_not_b32_e32 v37, v39
	v_ashrrev_i32_e32 v36, 31, v36
	s_wait_alu 0xfffd
	v_xor_b32_e32 v35, vcc_lo, v35
	v_cmp_gt_i32_e32 vcc_lo, 0, v39
	v_and_b32_e32 v34, v34, v83
	v_not_b32_e32 v39, v40
	v_ashrrev_i32_e32 v37, 31, v37
	s_wait_alu 0xf1ff
	v_xor_b32_e32 v36, s8, v36
	v_cmp_gt_i32_e64 s8, 0, v40
	v_and_b32_e32 v34, v34, v35
	v_not_b32_e32 v35, v82
	v_ashrrev_i32_e32 v39, 31, v39
	s_wait_alu 0xfffd
	v_xor_b32_e32 v37, vcc_lo, v37
	v_cmp_gt_i32_e32 vcc_lo, 0, v82
	v_and_b32_e32 v34, v34, v36
	v_not_b32_e32 v36, v38
	v_ashrrev_i32_e32 v35, 31, v35
	s_wait_alu 0xf1ff
	v_xor_b32_e32 v39, s8, v39
	v_lshlrev_b32_e32 v33, 5, v33
	v_and_b32_e32 v34, v34, v37
	v_cmp_gt_i32_e64 s8, 0, v38
	v_ashrrev_i32_e32 v36, 31, v36
	s_wait_alu 0xfffd
	v_xor_b32_e32 v35, vcc_lo, v35
	v_add_nc_u32_e32 v96, v0, v33
	v_and_b32_e32 v34, v34, v39
	s_wait_alu 0xf1ff
	v_xor_b32_e32 v33, s8, v36
	ds_load_b32 v94, v96 offset:32
	v_and_b32_e32 v34, v34, v35
	; wave barrier
	s_delay_alu instid0(VALU_DEP_1) | instskip(NEXT) | instid1(VALU_DEP_1)
	v_and_b32_e32 v33, v34, v33
	v_mbcnt_lo_u32_b32 v95, v33, 0
	v_cmp_ne_u32_e64 s8, 0, v33
	s_delay_alu instid0(VALU_DEP_2)
	v_cmp_eq_u32_e32 vcc_lo, 0, v95
	s_and_b32 s10, s8, vcc_lo
	s_wait_alu 0xfffe
	s_and_saveexec_b32 s8, s10
	s_cbranch_execz .LBB226_39
; %bb.38:
	s_wait_dscnt 0x0
	v_bcnt_u32_b32 v33, v33, v94
	ds_store_b32 v96, v33 offset:32
.LBB226_39:
	s_wait_alu 0xfffe
	s_or_b32 exec_lo, exec_lo, s8
	v_cmp_ne_u16_e32 vcc_lo, 0x7fff, v78
	; wave barrier
	s_wait_alu 0xfffd
	v_cndmask_b32_e32 v33, 0xffff8000, v78, vcc_lo
	s_delay_alu instid0(VALU_DEP_1) | instskip(NEXT) | instid1(VALU_DEP_1)
	v_and_b32_e32 v33, 0xffff, v33
	v_and_b32_e32 v33, s9, v33
	s_delay_alu instid0(VALU_DEP_1)
	v_and_b32_e32 v34, 1, v33
	v_lshlrev_b32_e32 v35, 30, v33
	v_lshlrev_b32_e32 v36, 29, v33
	;; [unrolled: 1-line block ×4, first 2 shown]
	v_add_co_u32 v34, s8, v34, -1
	s_wait_alu 0xf1ff
	v_cndmask_b32_e64 v38, 0, 1, s8
	v_not_b32_e32 v83, v35
	v_cmp_gt_i32_e64 s8, 0, v35
	v_not_b32_e32 v35, v36
	v_lshlrev_b32_e32 v40, 26, v33
	v_cmp_ne_u32_e32 vcc_lo, 0, v38
	v_ashrrev_i32_e32 v83, 31, v83
	v_lshlrev_b32_e32 v82, 25, v33
	v_ashrrev_i32_e32 v35, 31, v35
	v_lshlrev_b32_e32 v38, 24, v33
	s_wait_alu 0xfffd
	v_xor_b32_e32 v34, vcc_lo, v34
	v_cmp_gt_i32_e32 vcc_lo, 0, v36
	v_not_b32_e32 v36, v37
	s_wait_alu 0xf1ff
	v_xor_b32_e32 v83, s8, v83
	v_cmp_gt_i32_e64 s8, 0, v37
	v_and_b32_e32 v34, exec_lo, v34
	v_not_b32_e32 v37, v39
	v_ashrrev_i32_e32 v36, 31, v36
	s_wait_alu 0xfffd
	v_xor_b32_e32 v35, vcc_lo, v35
	v_cmp_gt_i32_e32 vcc_lo, 0, v39
	v_and_b32_e32 v34, v34, v83
	v_not_b32_e32 v39, v40
	v_ashrrev_i32_e32 v37, 31, v37
	s_wait_alu 0xf1ff
	v_xor_b32_e32 v36, s8, v36
	v_cmp_gt_i32_e64 s8, 0, v40
	v_and_b32_e32 v34, v34, v35
	v_not_b32_e32 v35, v82
	v_ashrrev_i32_e32 v39, 31, v39
	s_wait_alu 0xfffd
	v_xor_b32_e32 v37, vcc_lo, v37
	v_cmp_gt_i32_e32 vcc_lo, 0, v82
	v_and_b32_e32 v34, v34, v36
	v_not_b32_e32 v36, v38
	v_ashrrev_i32_e32 v35, 31, v35
	s_wait_alu 0xf1ff
	v_xor_b32_e32 v39, s8, v39
	v_lshlrev_b32_e32 v33, 5, v33
	v_and_b32_e32 v34, v34, v37
	v_cmp_gt_i32_e64 s8, 0, v38
	v_ashrrev_i32_e32 v36, 31, v36
	s_wait_alu 0xfffd
	v_xor_b32_e32 v35, vcc_lo, v35
	v_add_nc_u32_e32 v99, v0, v33
	v_and_b32_e32 v34, v34, v39
	s_wait_alu 0xf1ff
	v_xor_b32_e32 v33, s8, v36
	ds_load_b32 v97, v99 offset:32
	v_and_b32_e32 v34, v34, v35
	; wave barrier
	s_delay_alu instid0(VALU_DEP_1) | instskip(NEXT) | instid1(VALU_DEP_1)
	v_and_b32_e32 v33, v34, v33
	v_mbcnt_lo_u32_b32 v98, v33, 0
	v_cmp_ne_u32_e64 s8, 0, v33
	s_delay_alu instid0(VALU_DEP_2)
	v_cmp_eq_u32_e32 vcc_lo, 0, v98
	s_and_b32 s10, s8, vcc_lo
	s_wait_alu 0xfffe
	s_and_saveexec_b32 s8, s10
	s_cbranch_execz .LBB226_41
; %bb.40:
	s_wait_dscnt 0x0
	v_bcnt_u32_b32 v33, v33, v97
	ds_store_b32 v99, v33 offset:32
.LBB226_41:
	s_wait_alu 0xfffe
	s_or_b32 exec_lo, exec_lo, s8
	v_cmp_ne_u16_e32 vcc_lo, 0x7fff, v79
	; wave barrier
	s_wait_alu 0xfffd
	v_cndmask_b32_e32 v33, 0xffff8000, v79, vcc_lo
	s_delay_alu instid0(VALU_DEP_1) | instskip(NEXT) | instid1(VALU_DEP_1)
	v_and_b32_e32 v33, 0xffff, v33
	v_and_b32_e32 v33, s9, v33
	s_delay_alu instid0(VALU_DEP_1)
	v_and_b32_e32 v34, 1, v33
	v_lshlrev_b32_e32 v35, 30, v33
	v_lshlrev_b32_e32 v36, 29, v33
	v_lshlrev_b32_e32 v37, 28, v33
	v_lshlrev_b32_e32 v39, 27, v33
	v_add_co_u32 v34, s8, v34, -1
	s_wait_alu 0xf1ff
	v_cndmask_b32_e64 v38, 0, 1, s8
	v_not_b32_e32 v83, v35
	v_cmp_gt_i32_e64 s8, 0, v35
	v_not_b32_e32 v35, v36
	v_lshlrev_b32_e32 v40, 26, v33
	v_cmp_ne_u32_e32 vcc_lo, 0, v38
	v_ashrrev_i32_e32 v83, 31, v83
	v_lshlrev_b32_e32 v82, 25, v33
	v_ashrrev_i32_e32 v35, 31, v35
	v_lshlrev_b32_e32 v38, 24, v33
	s_wait_alu 0xfffd
	v_xor_b32_e32 v34, vcc_lo, v34
	v_cmp_gt_i32_e32 vcc_lo, 0, v36
	v_not_b32_e32 v36, v37
	s_wait_alu 0xf1ff
	v_xor_b32_e32 v83, s8, v83
	v_cmp_gt_i32_e64 s8, 0, v37
	v_and_b32_e32 v34, exec_lo, v34
	v_not_b32_e32 v37, v39
	v_ashrrev_i32_e32 v36, 31, v36
	s_wait_alu 0xfffd
	v_xor_b32_e32 v35, vcc_lo, v35
	v_cmp_gt_i32_e32 vcc_lo, 0, v39
	v_and_b32_e32 v34, v34, v83
	v_not_b32_e32 v39, v40
	v_ashrrev_i32_e32 v37, 31, v37
	s_wait_alu 0xf1ff
	v_xor_b32_e32 v36, s8, v36
	v_cmp_gt_i32_e64 s8, 0, v40
	v_and_b32_e32 v34, v34, v35
	v_not_b32_e32 v35, v82
	v_ashrrev_i32_e32 v39, 31, v39
	s_wait_alu 0xfffd
	v_xor_b32_e32 v37, vcc_lo, v37
	v_cmp_gt_i32_e32 vcc_lo, 0, v82
	v_and_b32_e32 v34, v34, v36
	v_not_b32_e32 v36, v38
	v_ashrrev_i32_e32 v35, 31, v35
	s_wait_alu 0xf1ff
	v_xor_b32_e32 v39, s8, v39
	v_lshlrev_b32_e32 v33, 5, v33
	v_and_b32_e32 v34, v34, v37
	v_cmp_gt_i32_e64 s8, 0, v38
	v_ashrrev_i32_e32 v36, 31, v36
	s_wait_alu 0xfffd
	v_xor_b32_e32 v35, vcc_lo, v35
	v_add_nc_u32_e32 v102, v0, v33
	v_and_b32_e32 v34, v34, v39
	s_wait_alu 0xf1ff
	v_xor_b32_e32 v33, s8, v36
	ds_load_b32 v100, v102 offset:32
	v_and_b32_e32 v34, v34, v35
	; wave barrier
	s_delay_alu instid0(VALU_DEP_1) | instskip(NEXT) | instid1(VALU_DEP_1)
	v_and_b32_e32 v33, v34, v33
	v_mbcnt_lo_u32_b32 v101, v33, 0
	v_cmp_ne_u32_e64 s8, 0, v33
	s_delay_alu instid0(VALU_DEP_2)
	v_cmp_eq_u32_e32 vcc_lo, 0, v101
	s_and_b32 s10, s8, vcc_lo
	s_wait_alu 0xfffe
	s_and_saveexec_b32 s8, s10
	s_cbranch_execz .LBB226_43
; %bb.42:
	s_wait_dscnt 0x0
	v_bcnt_u32_b32 v33, v33, v100
	ds_store_b32 v102, v33 offset:32
.LBB226_43:
	s_wait_alu 0xfffe
	s_or_b32 exec_lo, exec_lo, s8
	v_cmp_ne_u16_e32 vcc_lo, 0x7fff, v80
	; wave barrier
	s_wait_alu 0xfffd
	v_cndmask_b32_e32 v33, 0xffff8000, v80, vcc_lo
	s_delay_alu instid0(VALU_DEP_1) | instskip(NEXT) | instid1(VALU_DEP_1)
	v_and_b32_e32 v33, 0xffff, v33
	v_and_b32_e32 v33, s9, v33
	s_delay_alu instid0(VALU_DEP_1)
	v_and_b32_e32 v34, 1, v33
	v_lshlrev_b32_e32 v35, 30, v33
	v_lshlrev_b32_e32 v36, 29, v33
	;; [unrolled: 1-line block ×4, first 2 shown]
	v_add_co_u32 v34, s8, v34, -1
	s_wait_alu 0xf1ff
	v_cndmask_b32_e64 v38, 0, 1, s8
	v_not_b32_e32 v83, v35
	v_cmp_gt_i32_e64 s8, 0, v35
	v_not_b32_e32 v35, v36
	v_lshlrev_b32_e32 v40, 26, v33
	v_cmp_ne_u32_e32 vcc_lo, 0, v38
	v_ashrrev_i32_e32 v83, 31, v83
	v_lshlrev_b32_e32 v82, 25, v33
	v_ashrrev_i32_e32 v35, 31, v35
	v_lshlrev_b32_e32 v38, 24, v33
	s_wait_alu 0xfffd
	v_xor_b32_e32 v34, vcc_lo, v34
	v_cmp_gt_i32_e32 vcc_lo, 0, v36
	v_not_b32_e32 v36, v37
	s_wait_alu 0xf1ff
	v_xor_b32_e32 v83, s8, v83
	v_cmp_gt_i32_e64 s8, 0, v37
	v_and_b32_e32 v34, exec_lo, v34
	v_not_b32_e32 v37, v39
	v_ashrrev_i32_e32 v36, 31, v36
	s_wait_alu 0xfffd
	v_xor_b32_e32 v35, vcc_lo, v35
	v_cmp_gt_i32_e32 vcc_lo, 0, v39
	v_and_b32_e32 v34, v34, v83
	v_not_b32_e32 v39, v40
	v_ashrrev_i32_e32 v37, 31, v37
	s_wait_alu 0xf1ff
	v_xor_b32_e32 v36, s8, v36
	v_cmp_gt_i32_e64 s8, 0, v40
	v_and_b32_e32 v34, v34, v35
	v_not_b32_e32 v35, v82
	v_ashrrev_i32_e32 v39, 31, v39
	s_wait_alu 0xfffd
	v_xor_b32_e32 v37, vcc_lo, v37
	v_cmp_gt_i32_e32 vcc_lo, 0, v82
	v_and_b32_e32 v34, v34, v36
	v_not_b32_e32 v36, v38
	v_ashrrev_i32_e32 v35, 31, v35
	s_wait_alu 0xf1ff
	v_xor_b32_e32 v39, s8, v39
	v_lshlrev_b32_e32 v33, 5, v33
	v_and_b32_e32 v34, v34, v37
	v_cmp_gt_i32_e64 s8, 0, v38
	v_ashrrev_i32_e32 v36, 31, v36
	s_wait_alu 0xfffd
	v_xor_b32_e32 v35, vcc_lo, v35
	v_add_nc_u32_e32 v105, v0, v33
	v_and_b32_e32 v34, v34, v39
	s_wait_alu 0xf1ff
	v_xor_b32_e32 v33, s8, v36
	ds_load_b32 v103, v105 offset:32
	v_and_b32_e32 v34, v34, v35
	; wave barrier
	s_delay_alu instid0(VALU_DEP_1) | instskip(NEXT) | instid1(VALU_DEP_1)
	v_and_b32_e32 v33, v34, v33
	v_mbcnt_lo_u32_b32 v104, v33, 0
	v_cmp_ne_u32_e64 s8, 0, v33
	s_delay_alu instid0(VALU_DEP_2)
	v_cmp_eq_u32_e32 vcc_lo, 0, v104
	s_and_b32 s10, s8, vcc_lo
	s_wait_alu 0xfffe
	s_and_saveexec_b32 s8, s10
	s_cbranch_execz .LBB226_45
; %bb.44:
	s_wait_dscnt 0x0
	v_bcnt_u32_b32 v33, v33, v103
	ds_store_b32 v105, v33 offset:32
.LBB226_45:
	s_wait_alu 0xfffe
	s_or_b32 exec_lo, exec_lo, s8
	v_cmp_ne_u16_e32 vcc_lo, 0x7fff, v81
	; wave barrier
	s_wait_alu 0xfffd
	v_cndmask_b32_e32 v33, 0xffff8000, v81, vcc_lo
	s_delay_alu instid0(VALU_DEP_1) | instskip(NEXT) | instid1(VALU_DEP_1)
	v_and_b32_e32 v33, 0xffff, v33
	v_and_b32_e32 v33, s9, v33
	s_delay_alu instid0(VALU_DEP_1)
	v_and_b32_e32 v34, 1, v33
	v_lshlrev_b32_e32 v35, 30, v33
	v_lshlrev_b32_e32 v36, 29, v33
	;; [unrolled: 1-line block ×4, first 2 shown]
	v_add_co_u32 v34, s8, v34, -1
	s_wait_alu 0xf1ff
	v_cndmask_b32_e64 v38, 0, 1, s8
	v_not_b32_e32 v83, v35
	v_cmp_gt_i32_e64 s8, 0, v35
	v_not_b32_e32 v35, v36
	v_lshlrev_b32_e32 v40, 26, v33
	v_cmp_ne_u32_e32 vcc_lo, 0, v38
	v_ashrrev_i32_e32 v83, 31, v83
	v_lshlrev_b32_e32 v82, 25, v33
	v_ashrrev_i32_e32 v35, 31, v35
	v_lshlrev_b32_e32 v38, 24, v33
	s_wait_alu 0xfffd
	v_xor_b32_e32 v34, vcc_lo, v34
	v_cmp_gt_i32_e32 vcc_lo, 0, v36
	v_not_b32_e32 v36, v37
	s_wait_alu 0xf1ff
	v_xor_b32_e32 v83, s8, v83
	v_cmp_gt_i32_e64 s8, 0, v37
	v_and_b32_e32 v34, exec_lo, v34
	v_not_b32_e32 v37, v39
	v_ashrrev_i32_e32 v36, 31, v36
	s_wait_alu 0xfffd
	v_xor_b32_e32 v35, vcc_lo, v35
	v_cmp_gt_i32_e32 vcc_lo, 0, v39
	v_and_b32_e32 v34, v34, v83
	v_not_b32_e32 v39, v40
	v_ashrrev_i32_e32 v37, 31, v37
	s_wait_alu 0xf1ff
	v_xor_b32_e32 v36, s8, v36
	v_cmp_gt_i32_e64 s8, 0, v40
	v_and_b32_e32 v34, v34, v35
	v_not_b32_e32 v35, v82
	v_ashrrev_i32_e32 v39, 31, v39
	s_wait_alu 0xfffd
	v_xor_b32_e32 v37, vcc_lo, v37
	v_cmp_gt_i32_e32 vcc_lo, 0, v82
	v_and_b32_e32 v34, v34, v36
	v_not_b32_e32 v36, v38
	v_ashrrev_i32_e32 v35, 31, v35
	s_wait_alu 0xf1ff
	v_xor_b32_e32 v39, s8, v39
	v_lshlrev_b32_e32 v33, 5, v33
	v_and_b32_e32 v34, v34, v37
	v_cmp_gt_i32_e64 s8, 0, v38
	v_ashrrev_i32_e32 v36, 31, v36
	s_wait_alu 0xfffd
	v_xor_b32_e32 v35, vcc_lo, v35
	v_add_nc_u32_e32 v108, v0, v33
	v_and_b32_e32 v34, v34, v39
	v_min_u32_e32 v82, 0xe0, v70
	s_wait_alu 0xf1ff
	v_xor_b32_e32 v33, s8, v36
	ds_load_b32 v106, v108 offset:32
	v_and_b32_e32 v34, v34, v35
	; wave barrier
	s_delay_alu instid0(VALU_DEP_1) | instskip(NEXT) | instid1(VALU_DEP_1)
	v_and_b32_e32 v33, v34, v33
	v_mbcnt_lo_u32_b32 v107, v33, 0
	v_cmp_ne_u32_e64 s8, 0, v33
	s_delay_alu instid0(VALU_DEP_2)
	v_cmp_eq_u32_e32 vcc_lo, 0, v107
	s_and_b32 s9, s8, vcc_lo
	s_wait_alu 0xfffe
	s_and_saveexec_b32 s8, s9
	s_cbranch_execz .LBB226_47
; %bb.46:
	s_wait_dscnt 0x0
	v_bcnt_u32_b32 v33, v33, v106
	ds_store_b32 v108, v33 offset:32
.LBB226_47:
	s_wait_alu 0xfffe
	s_or_b32 exec_lo, exec_lo, s8
	; wave barrier
	s_wait_loadcnt_dscnt 0x0
	s_barrier_signal -1
	s_barrier_wait -1
	global_inv scope:SCOPE_SE
	ds_load_b128 v[37:40], v67 offset:32
	ds_load_b128 v[33:36], v67 offset:48
	v_and_b32_e32 v109, 16, v69
	v_or_b32_e32 v82, 31, v82
	s_delay_alu instid0(VALU_DEP_2) | instskip(NEXT) | instid1(VALU_DEP_2)
	v_cmp_eq_u32_e64 s17, 0, v109
	v_cmp_eq_u32_e64 s15, v46, v82
	s_wait_dscnt 0x1
	v_add_nc_u32_e32 v83, v38, v37
	s_delay_alu instid0(VALU_DEP_1) | instskip(SKIP_1) | instid1(VALU_DEP_1)
	v_add3_u32 v83, v83, v39, v40
	s_wait_dscnt 0x0
	v_add3_u32 v83, v83, v33, v34
	s_delay_alu instid0(VALU_DEP_1) | instskip(SKIP_1) | instid1(VALU_DEP_2)
	v_add3_u32 v36, v83, v35, v36
	v_and_b32_e32 v83, 15, v69
	v_mov_b32_dpp v85, v36 row_shr:1 row_mask:0xf bank_mask:0xf
	s_delay_alu instid0(VALU_DEP_2)
	v_cmp_eq_u32_e64 s9, 0, v83
	v_cmp_lt_u32_e64 s11, 1, v83
	v_cmp_lt_u32_e64 s12, 3, v83
	;; [unrolled: 1-line block ×3, first 2 shown]
	s_wait_alu 0xf1ff
	v_cndmask_b32_e64 v85, v85, 0, s9
	s_delay_alu instid0(VALU_DEP_1) | instskip(NEXT) | instid1(VALU_DEP_1)
	v_add_nc_u32_e32 v36, v85, v36
	v_mov_b32_dpp v85, v36 row_shr:2 row_mask:0xf bank_mask:0xf
	s_delay_alu instid0(VALU_DEP_1) | instskip(NEXT) | instid1(VALU_DEP_1)
	v_cndmask_b32_e64 v85, 0, v85, s11
	v_add_nc_u32_e32 v36, v36, v85
	s_delay_alu instid0(VALU_DEP_1) | instskip(NEXT) | instid1(VALU_DEP_1)
	v_mov_b32_dpp v85, v36 row_shr:4 row_mask:0xf bank_mask:0xf
	v_cndmask_b32_e64 v85, 0, v85, s12
	s_delay_alu instid0(VALU_DEP_1) | instskip(NEXT) | instid1(VALU_DEP_1)
	v_add_nc_u32_e32 v36, v36, v85
	v_mov_b32_dpp v85, v36 row_shr:8 row_mask:0xf bank_mask:0xf
	s_delay_alu instid0(VALU_DEP_1) | instskip(NEXT) | instid1(VALU_DEP_1)
	v_cndmask_b32_e64 v83, 0, v85, s14
	v_add_nc_u32_e32 v85, v36, v83
	v_bfe_i32 v83, v69, 4, 1
	ds_swizzle_b32 v36, v85 offset:swizzle(BROADCAST,32,15)
	s_wait_dscnt 0x0
	v_and_b32_e32 v110, v83, v36
	v_mul_i32_i24_e32 v36, 0xffffffe4, v46
	v_lshlrev_b32_e32 v83, 2, v68
	s_delay_alu instid0(VALU_DEP_3)
	v_add_nc_u32_e32 v85, v85, v110
	s_and_saveexec_b32 s8, s15
; %bb.48:
	ds_store_b32 v83, v85
; %bb.49:
	s_wait_alu 0xfffe
	s_or_b32 exec_lo, exec_lo, s8
	v_and_b32_e32 v82, 7, v69
	v_cmp_gt_u32_e64 s16, 8, v46
	s_wait_loadcnt_dscnt 0x0
	s_barrier_signal -1
	s_barrier_wait -1
	v_cmp_eq_u32_e64 s13, 0, v82
	v_cmp_lt_u32_e64 s10, 1, v82
	v_cmp_lt_u32_e32 vcc_lo, 3, v82
	v_add_nc_u32_e32 v82, v67, v36
	global_inv scope:SCOPE_SE
	s_and_saveexec_b32 s8, s16
	s_cbranch_execz .LBB226_51
; %bb.50:
	ds_load_b32 v36, v82
	s_wait_dscnt 0x0
	v_mov_b32_dpp v109, v36 row_shr:1 row_mask:0xf bank_mask:0xf
	s_wait_alu 0xf1ff
	s_delay_alu instid0(VALU_DEP_1) | instskip(NEXT) | instid1(VALU_DEP_1)
	v_cndmask_b32_e64 v109, v109, 0, s13
	v_add_nc_u32_e32 v36, v109, v36
	s_delay_alu instid0(VALU_DEP_1) | instskip(NEXT) | instid1(VALU_DEP_1)
	v_mov_b32_dpp v109, v36 row_shr:2 row_mask:0xf bank_mask:0xf
	v_cndmask_b32_e64 v109, 0, v109, s10
	s_delay_alu instid0(VALU_DEP_1) | instskip(NEXT) | instid1(VALU_DEP_1)
	v_add_nc_u32_e32 v36, v36, v109
	v_mov_b32_dpp v109, v36 row_shr:4 row_mask:0xf bank_mask:0xf
	s_wait_alu 0xfffd
	s_delay_alu instid0(VALU_DEP_1) | instskip(NEXT) | instid1(VALU_DEP_1)
	v_cndmask_b32_e32 v109, 0, v109, vcc_lo
	v_add_nc_u32_e32 v36, v36, v109
	ds_store_b32 v82, v36
.LBB226_51:
	s_wait_alu 0xfffe
	s_or_b32 exec_lo, exec_lo, s8
	v_mul_u32_u24_e32 v36, 6, v84
	v_sub_co_u32 v109, s8, v69, 1
	v_cmp_lt_u32_e64 s18, 31, v46
	v_add_nc_u32_e32 v84, -4, v83
	v_mov_b32_e32 v110, 0
	s_wait_loadcnt_dscnt 0x0
	s_barrier_signal -1
	s_barrier_wait -1
	global_inv scope:SCOPE_SE
	s_and_saveexec_b32 s19, s18
; %bb.52:
	ds_load_b32 v110, v84
; %bb.53:
	s_wait_alu 0xfffe
	s_or_b32 exec_lo, exec_lo, s19
	v_cmp_gt_i32_e64 s19, 0, v109
	s_mov_b32 s24, 0
	s_min_u32 s20, s20, 8
	s_mov_b32 s25, s24
	s_mov_b32 s26, s24
	v_cndmask_b32_e64 v109, v109, v69, s19
	s_mov_b32 s27, s24
	s_wait_dscnt 0x0
	v_add_nc_u32_e32 v111, v110, v85
	v_cmp_eq_u32_e64 s19, 0, v46
	s_wait_alu 0xfffe
	s_lshl_b32 s20, -1, s20
	v_lshlrev_b32_e32 v85, 2, v109
	s_wait_alu 0xfffe
	s_not_b32 s23, s20
	ds_bpermute_b32 v109, v85, v111
	s_wait_dscnt 0x0
	v_cndmask_b32_e64 v109, v109, v110, s8
	s_delay_alu instid0(VALU_DEP_1) | instskip(NEXT) | instid1(VALU_DEP_1)
	v_cndmask_b32_e64 v109, v109, 0, s19
	v_add_nc_u32_e32 v110, v109, v37
	s_delay_alu instid0(VALU_DEP_1) | instskip(NEXT) | instid1(VALU_DEP_1)
	v_add_nc_u32_e32 v111, v110, v38
	v_add_nc_u32_e32 v112, v111, v39
	s_delay_alu instid0(VALU_DEP_1) | instskip(NEXT) | instid1(VALU_DEP_1)
	v_add_nc_u32_e32 v37, v112, v40
	;; [unrolled: 3-line block ×3, first 2 shown]
	v_add_nc_u32_e32 v40, v39, v35
	ds_store_b128 v67, v[109:112] offset:32
	ds_store_b128 v67, v[37:40] offset:48
	s_wait_loadcnt_dscnt 0x0
	s_barrier_signal -1
	s_barrier_wait -1
	global_inv scope:SCOPE_SE
	ds_load_b32 v33, v87 offset:32
	ds_load_b32 v34, v90 offset:32
	;; [unrolled: 1-line block ×8, first 2 shown]
	v_add_nc_u32_e32 v90, v73, v36
	s_wait_loadcnt_dscnt 0x0
	s_barrier_signal -1
	s_barrier_wait -1
	global_inv scope:SCOPE_SE
	v_add_nc_u32_e32 v86, v33, v86
	v_add3_u32 v88, v89, v88, v34
	v_add3_u32 v89, v92, v91, v35
	;; [unrolled: 1-line block ×7, first 2 shown]
	v_lshlrev_b32_e32 v33, 1, v86
	v_lshlrev_b32_e32 v34, 1, v88
	;; [unrolled: 1-line block ×8, first 2 shown]
	ds_store_b16 v33, v74
	ds_store_b16 v34, v75
	;; [unrolled: 1-line block ×8, first 2 shown]
	s_wait_loadcnt_dscnt 0x0
	s_barrier_signal -1
	s_barrier_wait -1
	global_inv scope:SCOPE_SE
	ds_load_u16 v74, v73
	ds_load_u16 v75, v73 offset:64
	ds_load_u16 v76, v73 offset:128
	;; [unrolled: 1-line block ×7, first 2 shown]
	v_mad_co_u64_u32 v[86:87], null, v86, 6, v[33:34]
	v_mad_co_u64_u32 v[33:34], null, v88, 6, v[34:35]
	;; [unrolled: 1-line block ×3, first 2 shown]
	s_wait_loadcnt_dscnt 0x0
	s_barrier_signal -1
	s_barrier_wait -1
	global_inv scope:SCOPE_SE
	v_mad_co_u64_u32 v[35:36], null, v91, 6, v[36:37]
	v_lshrrev_b16 v81, 8, v74
	v_cmp_ne_u16_e64 s20, 0x7fff, v74
	ds_store_b64 v86, v[17:18]
	v_mad_co_u64_u32 v[36:37], null, v92, 6, v[37:38]
	v_mad_co_u64_u32 v[37:38], null, v93, 6, v[38:39]
	s_wait_alu 0xf1ff
	v_cndmask_b32_e64 v81, 0x80, v81, s20
	v_mad_co_u64_u32 v[38:39], null, v94, 6, v[39:40]
	v_mad_co_u64_u32 v[39:40], null, v95, 6, v[40:41]
	s_delay_alu instid0(VALU_DEP_3)
	v_and_b32_e32 v17, 0xffff, v81
	ds_store_b64 v33, v[19:20]
	ds_store_b64 v34, v[25:26]
	;; [unrolled: 1-line block ×7, first 2 shown]
	s_wait_alu 0xfffe
	v_and_b32_e32 v40, s23, v17
	s_wait_loadcnt_dscnt 0x0
	s_barrier_signal -1
	s_barrier_wait -1
	global_inv scope:SCOPE_SE
	v_and_b32_e32 v17, 1, v40
	v_lshlrev_b32_e32 v18, 30, v40
	v_lshlrev_b32_e32 v19, 29, v40
	;; [unrolled: 1-line block ×4, first 2 shown]
	v_add_co_u32 v17, s20, v17, -1
	s_wait_alu 0xf1ff
	v_cndmask_b32_e64 v21, 0, 1, s20
	v_not_b32_e32 v25, v18
	v_cmp_gt_i32_e64 s21, 0, v18
	v_not_b32_e32 v18, v19
	v_lshlrev_b32_e32 v23, 26, v40
	v_cmp_ne_u32_e64 s20, 0, v21
	v_ashrrev_i32_e32 v25, 31, v25
	v_lshlrev_b32_e32 v24, 25, v40
	v_ashrrev_i32_e32 v18, 31, v18
	v_lshlrev_b32_e32 v21, 24, v40
	s_wait_alu 0xf1ff
	v_xor_b32_e32 v17, s20, v17
	v_cmp_gt_i32_e64 s20, 0, v19
	v_not_b32_e32 v19, v20
	v_xor_b32_e32 v25, s21, v25
	v_cmp_gt_i32_e64 s21, 0, v20
	v_and_b32_e32 v17, exec_lo, v17
	v_not_b32_e32 v20, v22
	v_ashrrev_i32_e32 v19, 31, v19
	s_wait_alu 0xf1ff
	v_xor_b32_e32 v18, s20, v18
	v_cmp_gt_i32_e64 s20, 0, v22
	v_and_b32_e32 v17, v17, v25
	v_not_b32_e32 v22, v23
	v_ashrrev_i32_e32 v20, 31, v20
	v_xor_b32_e32 v19, s21, v19
	v_cmp_gt_i32_e64 s21, 0, v23
	v_and_b32_e32 v17, v17, v18
	v_not_b32_e32 v18, v24
	v_ashrrev_i32_e32 v22, 31, v22
	s_wait_alu 0xf1ff
	v_xor_b32_e32 v20, s20, v20
	v_cmp_gt_i32_e64 s20, 0, v24
	v_and_b32_e32 v17, v17, v19
	v_not_b32_e32 v19, v21
	v_ashrrev_i32_e32 v18, 31, v18
	v_xor_b32_e32 v22, s21, v22
	v_cmp_gt_i32_e64 s21, 0, v21
	v_and_b32_e32 v17, v17, v20
	v_ashrrev_i32_e32 v19, 31, v19
	s_wait_alu 0xf1ff
	v_xor_b32_e32 v18, s20, v18
	v_dual_mov_b32 v37, s27 :: v_dual_mov_b32 v36, s26
	v_and_b32_e32 v17, v17, v22
	v_xor_b32_e32 v33, s21, v19
	ds_load_2addr_b64 v[21:24], v90 offset1:32
	v_dual_mov_b32 v35, s25 :: v_dual_mov_b32 v34, s24
	v_and_b32_e32 v38, v17, v18
	ds_load_2addr_b64 v[29:32], v90 offset0:64 offset1:96
	ds_load_2addr_b64 v[25:28], v90 offset0:128 offset1:160
	;; [unrolled: 1-line block ×3, first 2 shown]
	v_lshl_add_u32 v86, v40, 5, v0
	s_wait_loadcnt_dscnt 0x0
	s_barrier_signal -1
	v_and_b32_e32 v33, v38, v33
	s_barrier_wait -1
	global_inv scope:SCOPE_SE
	ds_store_b128 v67, v[34:37] offset:32
	ds_store_b128 v67, v[34:37] offset:48
	s_wait_loadcnt_dscnt 0x0
	v_mbcnt_lo_u32_b32 v81, v33, 0
	v_cmp_ne_u32_e64 s21, 0, v33
	s_barrier_signal -1
	s_barrier_wait -1
	global_inv scope:SCOPE_SE
	v_cmp_eq_u32_e64 s20, 0, v81
	; wave barrier
	s_and_b32 s21, s21, s20
	s_wait_alu 0xfffe
	s_and_saveexec_b32 s20, s21
; %bb.54:
	v_bcnt_u32_b32 v33, v33, 0
	ds_store_b32 v86, v33 offset:32
; %bb.55:
	s_wait_alu 0xfffe
	s_or_b32 exec_lo, exec_lo, s20
	v_lshrrev_b16 v33, 8, v75
	v_cmp_ne_u16_e64 s20, 0x7fff, v75
	; wave barrier
	s_wait_alu 0xf1ff
	s_delay_alu instid0(VALU_DEP_1) | instskip(NEXT) | instid1(VALU_DEP_1)
	v_cndmask_b32_e64 v33, 0x80, v33, s20
	v_and_b32_e32 v33, s23, v33
	s_delay_alu instid0(VALU_DEP_1)
	v_and_b32_e32 v34, 1, v33
	v_lshlrev_b32_e32 v35, 30, v33
	v_lshlrev_b32_e32 v36, 29, v33
	;; [unrolled: 1-line block ×4, first 2 shown]
	v_add_co_u32 v34, s20, v34, -1
	s_wait_alu 0xf1ff
	v_cndmask_b32_e64 v38, 0, 1, s20
	v_not_b32_e32 v88, v35
	v_cmp_gt_i32_e64 s21, 0, v35
	v_not_b32_e32 v35, v36
	v_lshlrev_b32_e32 v40, 26, v33
	v_cmp_ne_u32_e64 s20, 0, v38
	v_ashrrev_i32_e32 v88, 31, v88
	v_lshlrev_b32_e32 v87, 25, v33
	v_ashrrev_i32_e32 v35, 31, v35
	v_lshlrev_b32_e32 v38, 24, v33
	s_wait_alu 0xf1ff
	v_xor_b32_e32 v34, s20, v34
	v_cmp_gt_i32_e64 s20, 0, v36
	v_not_b32_e32 v36, v37
	v_xor_b32_e32 v88, s21, v88
	v_cmp_gt_i32_e64 s21, 0, v37
	v_and_b32_e32 v34, exec_lo, v34
	v_not_b32_e32 v37, v39
	v_ashrrev_i32_e32 v36, 31, v36
	s_wait_alu 0xf1ff
	v_xor_b32_e32 v35, s20, v35
	v_cmp_gt_i32_e64 s20, 0, v39
	v_and_b32_e32 v34, v34, v88
	v_not_b32_e32 v39, v40
	v_ashrrev_i32_e32 v37, 31, v37
	v_xor_b32_e32 v36, s21, v36
	v_cmp_gt_i32_e64 s21, 0, v40
	v_and_b32_e32 v34, v34, v35
	v_not_b32_e32 v35, v87
	v_ashrrev_i32_e32 v39, 31, v39
	s_wait_alu 0xf1ff
	v_xor_b32_e32 v37, s20, v37
	v_cmp_gt_i32_e64 s20, 0, v87
	v_and_b32_e32 v34, v34, v36
	v_not_b32_e32 v36, v38
	v_ashrrev_i32_e32 v35, 31, v35
	v_xor_b32_e32 v39, s21, v39
	v_cmp_gt_i32_e64 s21, 0, v38
	v_and_b32_e32 v34, v34, v37
	v_ashrrev_i32_e32 v36, 31, v36
	s_wait_alu 0xf1ff
	v_xor_b32_e32 v35, s20, v35
	v_lshl_add_u32 v89, v33, 5, v0
	v_and_b32_e32 v34, v34, v39
	v_xor_b32_e32 v33, s21, v36
	ds_load_b32 v87, v89 offset:32
	v_and_b32_e32 v34, v34, v35
	; wave barrier
	s_delay_alu instid0(VALU_DEP_1) | instskip(NEXT) | instid1(VALU_DEP_1)
	v_and_b32_e32 v33, v34, v33
	v_mbcnt_lo_u32_b32 v88, v33, 0
	v_cmp_ne_u32_e64 s21, 0, v33
	s_delay_alu instid0(VALU_DEP_2)
	v_cmp_eq_u32_e64 s20, 0, v88
	s_and_b32 s21, s21, s20
	s_wait_alu 0xfffe
	s_and_saveexec_b32 s20, s21
	s_cbranch_execz .LBB226_57
; %bb.56:
	s_wait_dscnt 0x0
	v_bcnt_u32_b32 v33, v33, v87
	ds_store_b32 v89, v33 offset:32
.LBB226_57:
	s_wait_alu 0xfffe
	s_or_b32 exec_lo, exec_lo, s20
	v_lshrrev_b16 v33, 8, v76
	v_cmp_ne_u16_e64 s20, 0x7fff, v76
	; wave barrier
	s_wait_alu 0xf1ff
	s_delay_alu instid0(VALU_DEP_1) | instskip(NEXT) | instid1(VALU_DEP_1)
	v_cndmask_b32_e64 v33, 0x80, v33, s20
	v_and_b32_e32 v33, s23, v33
	s_delay_alu instid0(VALU_DEP_1)
	v_and_b32_e32 v34, 1, v33
	v_lshlrev_b32_e32 v35, 30, v33
	v_lshlrev_b32_e32 v36, 29, v33
	v_lshlrev_b32_e32 v37, 28, v33
	v_lshlrev_b32_e32 v39, 27, v33
	v_add_co_u32 v34, s20, v34, -1
	s_wait_alu 0xf1ff
	v_cndmask_b32_e64 v38, 0, 1, s20
	v_not_b32_e32 v91, v35
	v_cmp_gt_i32_e64 s21, 0, v35
	v_not_b32_e32 v35, v36
	v_lshlrev_b32_e32 v40, 26, v33
	v_cmp_ne_u32_e64 s20, 0, v38
	v_ashrrev_i32_e32 v91, 31, v91
	v_lshlrev_b32_e32 v90, 25, v33
	v_ashrrev_i32_e32 v35, 31, v35
	v_lshlrev_b32_e32 v38, 24, v33
	s_wait_alu 0xf1ff
	v_xor_b32_e32 v34, s20, v34
	v_cmp_gt_i32_e64 s20, 0, v36
	v_not_b32_e32 v36, v37
	v_xor_b32_e32 v91, s21, v91
	v_cmp_gt_i32_e64 s21, 0, v37
	v_and_b32_e32 v34, exec_lo, v34
	v_not_b32_e32 v37, v39
	v_ashrrev_i32_e32 v36, 31, v36
	s_wait_alu 0xf1ff
	v_xor_b32_e32 v35, s20, v35
	v_cmp_gt_i32_e64 s20, 0, v39
	v_and_b32_e32 v34, v34, v91
	v_not_b32_e32 v39, v40
	v_ashrrev_i32_e32 v37, 31, v37
	v_xor_b32_e32 v36, s21, v36
	v_cmp_gt_i32_e64 s21, 0, v40
	v_and_b32_e32 v34, v34, v35
	v_not_b32_e32 v35, v90
	v_ashrrev_i32_e32 v39, 31, v39
	s_wait_alu 0xf1ff
	v_xor_b32_e32 v37, s20, v37
	v_cmp_gt_i32_e64 s20, 0, v90
	v_and_b32_e32 v34, v34, v36
	v_not_b32_e32 v36, v38
	v_ashrrev_i32_e32 v35, 31, v35
	v_xor_b32_e32 v39, s21, v39
	v_cmp_gt_i32_e64 s21, 0, v38
	v_and_b32_e32 v34, v34, v37
	v_ashrrev_i32_e32 v36, 31, v36
	s_wait_alu 0xf1ff
	v_xor_b32_e32 v35, s20, v35
	v_lshl_add_u32 v92, v33, 5, v0
	v_and_b32_e32 v34, v34, v39
	v_xor_b32_e32 v33, s21, v36
	ds_load_b32 v90, v92 offset:32
	v_and_b32_e32 v34, v34, v35
	; wave barrier
	s_delay_alu instid0(VALU_DEP_1) | instskip(NEXT) | instid1(VALU_DEP_1)
	v_and_b32_e32 v33, v34, v33
	v_mbcnt_lo_u32_b32 v91, v33, 0
	v_cmp_ne_u32_e64 s21, 0, v33
	s_delay_alu instid0(VALU_DEP_2)
	v_cmp_eq_u32_e64 s20, 0, v91
	s_and_b32 s21, s21, s20
	s_wait_alu 0xfffe
	s_and_saveexec_b32 s20, s21
	s_cbranch_execz .LBB226_59
; %bb.58:
	s_wait_dscnt 0x0
	v_bcnt_u32_b32 v33, v33, v90
	ds_store_b32 v92, v33 offset:32
.LBB226_59:
	s_wait_alu 0xfffe
	s_or_b32 exec_lo, exec_lo, s20
	v_lshrrev_b16 v33, 8, v77
	v_cmp_ne_u16_e64 s20, 0x7fff, v77
	; wave barrier
	s_wait_alu 0xf1ff
	s_delay_alu instid0(VALU_DEP_1) | instskip(NEXT) | instid1(VALU_DEP_1)
	v_cndmask_b32_e64 v33, 0x80, v33, s20
	v_and_b32_e32 v33, s23, v33
	s_delay_alu instid0(VALU_DEP_1)
	v_and_b32_e32 v34, 1, v33
	v_lshlrev_b32_e32 v35, 30, v33
	v_lshlrev_b32_e32 v36, 29, v33
	v_lshlrev_b32_e32 v37, 28, v33
	v_lshlrev_b32_e32 v39, 27, v33
	v_add_co_u32 v34, s20, v34, -1
	s_wait_alu 0xf1ff
	v_cndmask_b32_e64 v38, 0, 1, s20
	v_not_b32_e32 v94, v35
	v_cmp_gt_i32_e64 s21, 0, v35
	v_not_b32_e32 v35, v36
	v_lshlrev_b32_e32 v40, 26, v33
	v_cmp_ne_u32_e64 s20, 0, v38
	v_ashrrev_i32_e32 v94, 31, v94
	v_lshlrev_b32_e32 v93, 25, v33
	v_ashrrev_i32_e32 v35, 31, v35
	v_lshlrev_b32_e32 v38, 24, v33
	s_wait_alu 0xf1ff
	v_xor_b32_e32 v34, s20, v34
	v_cmp_gt_i32_e64 s20, 0, v36
	v_not_b32_e32 v36, v37
	v_xor_b32_e32 v94, s21, v94
	v_cmp_gt_i32_e64 s21, 0, v37
	v_and_b32_e32 v34, exec_lo, v34
	v_not_b32_e32 v37, v39
	v_ashrrev_i32_e32 v36, 31, v36
	s_wait_alu 0xf1ff
	v_xor_b32_e32 v35, s20, v35
	v_cmp_gt_i32_e64 s20, 0, v39
	v_and_b32_e32 v34, v34, v94
	v_not_b32_e32 v39, v40
	v_ashrrev_i32_e32 v37, 31, v37
	v_xor_b32_e32 v36, s21, v36
	v_cmp_gt_i32_e64 s21, 0, v40
	v_and_b32_e32 v34, v34, v35
	v_not_b32_e32 v35, v93
	v_ashrrev_i32_e32 v39, 31, v39
	s_wait_alu 0xf1ff
	v_xor_b32_e32 v37, s20, v37
	v_cmp_gt_i32_e64 s20, 0, v93
	v_and_b32_e32 v34, v34, v36
	v_not_b32_e32 v36, v38
	v_ashrrev_i32_e32 v35, 31, v35
	v_xor_b32_e32 v39, s21, v39
	v_cmp_gt_i32_e64 s21, 0, v38
	v_and_b32_e32 v34, v34, v37
	v_ashrrev_i32_e32 v36, 31, v36
	s_wait_alu 0xf1ff
	v_xor_b32_e32 v35, s20, v35
	v_lshl_add_u32 v95, v33, 5, v0
	v_and_b32_e32 v34, v34, v39
	v_xor_b32_e32 v33, s21, v36
	ds_load_b32 v93, v95 offset:32
	v_and_b32_e32 v34, v34, v35
	; wave barrier
	s_delay_alu instid0(VALU_DEP_1) | instskip(NEXT) | instid1(VALU_DEP_1)
	v_and_b32_e32 v33, v34, v33
	v_mbcnt_lo_u32_b32 v94, v33, 0
	v_cmp_ne_u32_e64 s21, 0, v33
	s_delay_alu instid0(VALU_DEP_2)
	v_cmp_eq_u32_e64 s20, 0, v94
	s_and_b32 s21, s21, s20
	s_wait_alu 0xfffe
	s_and_saveexec_b32 s20, s21
	s_cbranch_execz .LBB226_61
; %bb.60:
	s_wait_dscnt 0x0
	v_bcnt_u32_b32 v33, v33, v93
	ds_store_b32 v95, v33 offset:32
.LBB226_61:
	s_wait_alu 0xfffe
	s_or_b32 exec_lo, exec_lo, s20
	v_lshrrev_b16 v33, 8, v78
	v_cmp_ne_u16_e64 s20, 0x7fff, v78
	; wave barrier
	s_wait_alu 0xf1ff
	s_delay_alu instid0(VALU_DEP_1) | instskip(NEXT) | instid1(VALU_DEP_1)
	v_cndmask_b32_e64 v33, 0x80, v33, s20
	v_and_b32_e32 v33, s23, v33
	s_delay_alu instid0(VALU_DEP_1)
	v_and_b32_e32 v34, 1, v33
	v_lshlrev_b32_e32 v35, 30, v33
	v_lshlrev_b32_e32 v36, 29, v33
	;; [unrolled: 1-line block ×4, first 2 shown]
	v_add_co_u32 v34, s20, v34, -1
	s_wait_alu 0xf1ff
	v_cndmask_b32_e64 v38, 0, 1, s20
	v_not_b32_e32 v97, v35
	v_cmp_gt_i32_e64 s21, 0, v35
	v_not_b32_e32 v35, v36
	v_lshlrev_b32_e32 v40, 26, v33
	v_cmp_ne_u32_e64 s20, 0, v38
	v_ashrrev_i32_e32 v97, 31, v97
	v_lshlrev_b32_e32 v96, 25, v33
	v_ashrrev_i32_e32 v35, 31, v35
	v_lshlrev_b32_e32 v38, 24, v33
	s_wait_alu 0xf1ff
	v_xor_b32_e32 v34, s20, v34
	v_cmp_gt_i32_e64 s20, 0, v36
	v_not_b32_e32 v36, v37
	v_xor_b32_e32 v97, s21, v97
	v_cmp_gt_i32_e64 s21, 0, v37
	v_and_b32_e32 v34, exec_lo, v34
	v_not_b32_e32 v37, v39
	v_ashrrev_i32_e32 v36, 31, v36
	s_wait_alu 0xf1ff
	v_xor_b32_e32 v35, s20, v35
	v_cmp_gt_i32_e64 s20, 0, v39
	v_and_b32_e32 v34, v34, v97
	v_not_b32_e32 v39, v40
	v_ashrrev_i32_e32 v37, 31, v37
	v_xor_b32_e32 v36, s21, v36
	v_cmp_gt_i32_e64 s21, 0, v40
	v_and_b32_e32 v34, v34, v35
	v_not_b32_e32 v35, v96
	v_ashrrev_i32_e32 v39, 31, v39
	s_wait_alu 0xf1ff
	v_xor_b32_e32 v37, s20, v37
	v_cmp_gt_i32_e64 s20, 0, v96
	v_and_b32_e32 v34, v34, v36
	v_not_b32_e32 v36, v38
	v_ashrrev_i32_e32 v35, 31, v35
	v_xor_b32_e32 v39, s21, v39
	v_cmp_gt_i32_e64 s21, 0, v38
	v_and_b32_e32 v34, v34, v37
	v_ashrrev_i32_e32 v36, 31, v36
	s_wait_alu 0xf1ff
	v_xor_b32_e32 v35, s20, v35
	v_lshl_add_u32 v98, v33, 5, v0
	v_and_b32_e32 v34, v34, v39
	v_xor_b32_e32 v33, s21, v36
	ds_load_b32 v96, v98 offset:32
	v_and_b32_e32 v34, v34, v35
	; wave barrier
	s_delay_alu instid0(VALU_DEP_1) | instskip(NEXT) | instid1(VALU_DEP_1)
	v_and_b32_e32 v33, v34, v33
	v_mbcnt_lo_u32_b32 v97, v33, 0
	v_cmp_ne_u32_e64 s21, 0, v33
	s_delay_alu instid0(VALU_DEP_2)
	v_cmp_eq_u32_e64 s20, 0, v97
	s_and_b32 s21, s21, s20
	s_wait_alu 0xfffe
	s_and_saveexec_b32 s20, s21
	s_cbranch_execz .LBB226_63
; %bb.62:
	s_wait_dscnt 0x0
	v_bcnt_u32_b32 v33, v33, v96
	ds_store_b32 v98, v33 offset:32
.LBB226_63:
	s_wait_alu 0xfffe
	s_or_b32 exec_lo, exec_lo, s20
	v_lshrrev_b16 v33, 8, v79
	v_cmp_ne_u16_e64 s20, 0x7fff, v79
	; wave barrier
	s_wait_alu 0xf1ff
	s_delay_alu instid0(VALU_DEP_1) | instskip(NEXT) | instid1(VALU_DEP_1)
	v_cndmask_b32_e64 v33, 0x80, v33, s20
	v_and_b32_e32 v33, s23, v33
	s_delay_alu instid0(VALU_DEP_1)
	v_and_b32_e32 v34, 1, v33
	v_lshlrev_b32_e32 v35, 30, v33
	v_lshlrev_b32_e32 v36, 29, v33
	;; [unrolled: 1-line block ×4, first 2 shown]
	v_add_co_u32 v34, s20, v34, -1
	s_wait_alu 0xf1ff
	v_cndmask_b32_e64 v38, 0, 1, s20
	v_not_b32_e32 v100, v35
	v_cmp_gt_i32_e64 s21, 0, v35
	v_not_b32_e32 v35, v36
	v_lshlrev_b32_e32 v40, 26, v33
	v_cmp_ne_u32_e64 s20, 0, v38
	v_ashrrev_i32_e32 v100, 31, v100
	v_lshlrev_b32_e32 v99, 25, v33
	v_ashrrev_i32_e32 v35, 31, v35
	v_lshlrev_b32_e32 v38, 24, v33
	s_wait_alu 0xf1ff
	v_xor_b32_e32 v34, s20, v34
	v_cmp_gt_i32_e64 s20, 0, v36
	v_not_b32_e32 v36, v37
	v_xor_b32_e32 v100, s21, v100
	v_cmp_gt_i32_e64 s21, 0, v37
	v_and_b32_e32 v34, exec_lo, v34
	v_not_b32_e32 v37, v39
	v_ashrrev_i32_e32 v36, 31, v36
	s_wait_alu 0xf1ff
	v_xor_b32_e32 v35, s20, v35
	v_cmp_gt_i32_e64 s20, 0, v39
	v_and_b32_e32 v34, v34, v100
	v_not_b32_e32 v39, v40
	v_ashrrev_i32_e32 v37, 31, v37
	v_xor_b32_e32 v36, s21, v36
	v_cmp_gt_i32_e64 s21, 0, v40
	v_and_b32_e32 v34, v34, v35
	v_not_b32_e32 v35, v99
	v_ashrrev_i32_e32 v39, 31, v39
	s_wait_alu 0xf1ff
	v_xor_b32_e32 v37, s20, v37
	v_cmp_gt_i32_e64 s20, 0, v99
	v_and_b32_e32 v34, v34, v36
	v_not_b32_e32 v36, v38
	v_ashrrev_i32_e32 v35, 31, v35
	v_xor_b32_e32 v39, s21, v39
	v_cmp_gt_i32_e64 s21, 0, v38
	v_and_b32_e32 v34, v34, v37
	v_ashrrev_i32_e32 v36, 31, v36
	s_wait_alu 0xf1ff
	v_xor_b32_e32 v35, s20, v35
	v_lshl_add_u32 v101, v33, 5, v0
	v_and_b32_e32 v34, v34, v39
	v_xor_b32_e32 v33, s21, v36
	ds_load_b32 v99, v101 offset:32
	v_and_b32_e32 v34, v34, v35
	; wave barrier
	s_delay_alu instid0(VALU_DEP_1) | instskip(NEXT) | instid1(VALU_DEP_1)
	v_and_b32_e32 v33, v34, v33
	v_mbcnt_lo_u32_b32 v100, v33, 0
	v_cmp_ne_u32_e64 s21, 0, v33
	s_delay_alu instid0(VALU_DEP_2)
	v_cmp_eq_u32_e64 s20, 0, v100
	s_and_b32 s21, s21, s20
	s_wait_alu 0xfffe
	s_and_saveexec_b32 s20, s21
	s_cbranch_execz .LBB226_65
; %bb.64:
	s_wait_dscnt 0x0
	v_bcnt_u32_b32 v33, v33, v99
	ds_store_b32 v101, v33 offset:32
.LBB226_65:
	s_wait_alu 0xfffe
	s_or_b32 exec_lo, exec_lo, s20
	v_lshrrev_b16 v33, 8, v80
	v_cmp_ne_u16_e64 s20, 0x7fff, v80
	; wave barrier
	s_wait_alu 0xf1ff
	s_delay_alu instid0(VALU_DEP_1) | instskip(NEXT) | instid1(VALU_DEP_1)
	v_cndmask_b32_e64 v33, 0x80, v33, s20
	v_and_b32_e32 v33, s23, v33
	s_delay_alu instid0(VALU_DEP_1)
	v_and_b32_e32 v34, 1, v33
	v_lshlrev_b32_e32 v35, 30, v33
	v_lshlrev_b32_e32 v36, 29, v33
	;; [unrolled: 1-line block ×4, first 2 shown]
	v_add_co_u32 v34, s20, v34, -1
	s_wait_alu 0xf1ff
	v_cndmask_b32_e64 v38, 0, 1, s20
	v_not_b32_e32 v103, v35
	v_cmp_gt_i32_e64 s21, 0, v35
	v_not_b32_e32 v35, v36
	v_lshlrev_b32_e32 v40, 26, v33
	v_cmp_ne_u32_e64 s20, 0, v38
	v_ashrrev_i32_e32 v103, 31, v103
	v_lshlrev_b32_e32 v102, 25, v33
	v_ashrrev_i32_e32 v35, 31, v35
	v_lshlrev_b32_e32 v38, 24, v33
	s_wait_alu 0xf1ff
	v_xor_b32_e32 v34, s20, v34
	v_cmp_gt_i32_e64 s20, 0, v36
	v_not_b32_e32 v36, v37
	v_xor_b32_e32 v103, s21, v103
	v_cmp_gt_i32_e64 s21, 0, v37
	v_and_b32_e32 v34, exec_lo, v34
	v_not_b32_e32 v37, v39
	v_ashrrev_i32_e32 v36, 31, v36
	s_wait_alu 0xf1ff
	v_xor_b32_e32 v35, s20, v35
	v_cmp_gt_i32_e64 s20, 0, v39
	v_and_b32_e32 v34, v34, v103
	v_not_b32_e32 v39, v40
	v_ashrrev_i32_e32 v37, 31, v37
	v_xor_b32_e32 v36, s21, v36
	v_cmp_gt_i32_e64 s21, 0, v40
	v_and_b32_e32 v34, v34, v35
	v_not_b32_e32 v35, v102
	v_ashrrev_i32_e32 v39, 31, v39
	s_wait_alu 0xf1ff
	v_xor_b32_e32 v37, s20, v37
	v_cmp_gt_i32_e64 s20, 0, v102
	v_and_b32_e32 v34, v34, v36
	v_not_b32_e32 v36, v38
	v_ashrrev_i32_e32 v35, 31, v35
	v_xor_b32_e32 v39, s21, v39
	v_cmp_gt_i32_e64 s21, 0, v38
	v_and_b32_e32 v34, v34, v37
	v_ashrrev_i32_e32 v36, 31, v36
	s_wait_alu 0xf1ff
	v_xor_b32_e32 v35, s20, v35
	v_lshl_add_u32 v104, v33, 5, v0
	v_and_b32_e32 v34, v34, v39
	v_xor_b32_e32 v33, s21, v36
	ds_load_b32 v102, v104 offset:32
	v_and_b32_e32 v34, v34, v35
	; wave barrier
	s_delay_alu instid0(VALU_DEP_1) | instskip(NEXT) | instid1(VALU_DEP_1)
	v_and_b32_e32 v33, v34, v33
	v_mbcnt_lo_u32_b32 v103, v33, 0
	v_cmp_ne_u32_e64 s21, 0, v33
	s_delay_alu instid0(VALU_DEP_2)
	v_cmp_eq_u32_e64 s20, 0, v103
	s_and_b32 s21, s21, s20
	s_wait_alu 0xfffe
	s_and_saveexec_b32 s20, s21
	s_cbranch_execz .LBB226_67
; %bb.66:
	s_wait_dscnt 0x0
	v_bcnt_u32_b32 v33, v33, v102
	ds_store_b32 v104, v33 offset:32
.LBB226_67:
	s_wait_alu 0xfffe
	s_or_b32 exec_lo, exec_lo, s20
	v_lshrrev_b16 v33, 8, v73
	v_cmp_ne_u16_e64 s20, 0x7fff, v73
	; wave barrier
	s_wait_alu 0xf1ff
	s_delay_alu instid0(VALU_DEP_1) | instskip(NEXT) | instid1(VALU_DEP_1)
	v_cndmask_b32_e64 v33, 0x80, v33, s20
	v_and_b32_e32 v33, s23, v33
	s_delay_alu instid0(VALU_DEP_1)
	v_and_b32_e32 v34, 1, v33
	v_lshlrev_b32_e32 v35, 30, v33
	v_lshlrev_b32_e32 v36, 29, v33
	;; [unrolled: 1-line block ×4, first 2 shown]
	v_add_co_u32 v34, s20, v34, -1
	s_wait_alu 0xf1ff
	v_cndmask_b32_e64 v38, 0, 1, s20
	v_not_b32_e32 v106, v35
	v_cmp_gt_i32_e64 s21, 0, v35
	v_not_b32_e32 v35, v36
	v_lshlrev_b32_e32 v40, 26, v33
	v_cmp_ne_u32_e64 s20, 0, v38
	v_ashrrev_i32_e32 v106, 31, v106
	v_lshlrev_b32_e32 v105, 25, v33
	v_ashrrev_i32_e32 v35, 31, v35
	v_lshlrev_b32_e32 v38, 24, v33
	s_wait_alu 0xf1ff
	v_xor_b32_e32 v34, s20, v34
	v_cmp_gt_i32_e64 s20, 0, v36
	v_not_b32_e32 v36, v37
	v_xor_b32_e32 v106, s21, v106
	v_cmp_gt_i32_e64 s21, 0, v37
	v_and_b32_e32 v34, exec_lo, v34
	v_not_b32_e32 v37, v39
	v_ashrrev_i32_e32 v36, 31, v36
	s_wait_alu 0xf1ff
	v_xor_b32_e32 v35, s20, v35
	v_cmp_gt_i32_e64 s20, 0, v39
	v_and_b32_e32 v34, v34, v106
	v_not_b32_e32 v39, v40
	v_ashrrev_i32_e32 v37, 31, v37
	v_xor_b32_e32 v36, s21, v36
	v_cmp_gt_i32_e64 s21, 0, v40
	v_and_b32_e32 v34, v34, v35
	v_not_b32_e32 v35, v105
	v_ashrrev_i32_e32 v39, 31, v39
	s_wait_alu 0xf1ff
	v_xor_b32_e32 v37, s20, v37
	v_cmp_gt_i32_e64 s20, 0, v105
	v_and_b32_e32 v34, v34, v36
	v_not_b32_e32 v36, v38
	v_ashrrev_i32_e32 v35, 31, v35
	v_xor_b32_e32 v39, s21, v39
	v_cmp_gt_i32_e64 s21, 0, v38
	v_and_b32_e32 v34, v34, v37
	v_ashrrev_i32_e32 v36, 31, v36
	s_wait_alu 0xf1ff
	v_xor_b32_e32 v35, s20, v35
	v_lshl_add_u32 v106, v33, 5, v0
	v_and_b32_e32 v34, v34, v39
	v_xor_b32_e32 v33, s21, v36
	ds_load_b32 v0, v106 offset:32
	v_and_b32_e32 v34, v34, v35
	; wave barrier
	s_delay_alu instid0(VALU_DEP_1) | instskip(NEXT) | instid1(VALU_DEP_1)
	v_and_b32_e32 v33, v34, v33
	v_mbcnt_lo_u32_b32 v105, v33, 0
	v_cmp_ne_u32_e64 s21, 0, v33
	s_delay_alu instid0(VALU_DEP_2)
	v_cmp_eq_u32_e64 s20, 0, v105
	s_and_b32 s21, s21, s20
	s_wait_alu 0xfffe
	s_and_saveexec_b32 s20, s21
	s_cbranch_execz .LBB226_69
; %bb.68:
	s_wait_dscnt 0x0
	v_bcnt_u32_b32 v33, v33, v0
	ds_store_b32 v106, v33 offset:32
.LBB226_69:
	s_wait_alu 0xfffe
	s_or_b32 exec_lo, exec_lo, s20
	; wave barrier
	s_wait_loadcnt_dscnt 0x0
	s_barrier_signal -1
	s_barrier_wait -1
	global_inv scope:SCOPE_SE
	ds_load_b128 v[37:40], v67 offset:32
	ds_load_b128 v[33:36], v67 offset:48
	s_wait_dscnt 0x1
	v_add_nc_u32_e32 v107, v38, v37
	s_delay_alu instid0(VALU_DEP_1) | instskip(SKIP_1) | instid1(VALU_DEP_1)
	v_add3_u32 v107, v107, v39, v40
	s_wait_dscnt 0x0
	v_add3_u32 v107, v107, v33, v34
	s_delay_alu instid0(VALU_DEP_1) | instskip(NEXT) | instid1(VALU_DEP_1)
	v_add3_u32 v36, v107, v35, v36
	v_mov_b32_dpp v107, v36 row_shr:1 row_mask:0xf bank_mask:0xf
	s_delay_alu instid0(VALU_DEP_1) | instskip(NEXT) | instid1(VALU_DEP_1)
	v_cndmask_b32_e64 v107, v107, 0, s9
	v_add_nc_u32_e32 v36, v107, v36
	s_delay_alu instid0(VALU_DEP_1) | instskip(NEXT) | instid1(VALU_DEP_1)
	v_mov_b32_dpp v107, v36 row_shr:2 row_mask:0xf bank_mask:0xf
	v_cndmask_b32_e64 v107, 0, v107, s11
	s_delay_alu instid0(VALU_DEP_1) | instskip(NEXT) | instid1(VALU_DEP_1)
	v_add_nc_u32_e32 v36, v36, v107
	v_mov_b32_dpp v107, v36 row_shr:4 row_mask:0xf bank_mask:0xf
	s_delay_alu instid0(VALU_DEP_1) | instskip(NEXT) | instid1(VALU_DEP_1)
	v_cndmask_b32_e64 v107, 0, v107, s12
	v_add_nc_u32_e32 v36, v36, v107
	s_delay_alu instid0(VALU_DEP_1) | instskip(NEXT) | instid1(VALU_DEP_1)
	v_mov_b32_dpp v107, v36 row_shr:8 row_mask:0xf bank_mask:0xf
	v_cndmask_b32_e64 v107, 0, v107, s14
	s_delay_alu instid0(VALU_DEP_1) | instskip(SKIP_3) | instid1(VALU_DEP_1)
	v_add_nc_u32_e32 v36, v36, v107
	ds_swizzle_b32 v107, v36 offset:swizzle(BROADCAST,32,15)
	s_wait_dscnt 0x0
	v_cndmask_b32_e64 v107, v107, 0, s17
	v_add_nc_u32_e32 v36, v36, v107
	s_and_saveexec_b32 s9, s15
; %bb.70:
	ds_store_b32 v83, v36
; %bb.71:
	s_wait_alu 0xfffe
	s_or_b32 exec_lo, exec_lo, s9
	s_wait_loadcnt_dscnt 0x0
	s_barrier_signal -1
	s_barrier_wait -1
	global_inv scope:SCOPE_SE
	s_and_saveexec_b32 s9, s16
	s_cbranch_execz .LBB226_73
; %bb.72:
	ds_load_b32 v83, v82
	s_wait_dscnt 0x0
	v_mov_b32_dpp v107, v83 row_shr:1 row_mask:0xf bank_mask:0xf
	s_delay_alu instid0(VALU_DEP_1) | instskip(NEXT) | instid1(VALU_DEP_1)
	v_cndmask_b32_e64 v107, v107, 0, s13
	v_add_nc_u32_e32 v83, v107, v83
	s_delay_alu instid0(VALU_DEP_1) | instskip(NEXT) | instid1(VALU_DEP_1)
	v_mov_b32_dpp v107, v83 row_shr:2 row_mask:0xf bank_mask:0xf
	v_cndmask_b32_e64 v107, 0, v107, s10
	s_delay_alu instid0(VALU_DEP_1) | instskip(NEXT) | instid1(VALU_DEP_1)
	v_add_nc_u32_e32 v83, v83, v107
	v_mov_b32_dpp v107, v83 row_shr:4 row_mask:0xf bank_mask:0xf
	s_wait_alu 0xfffd
	s_delay_alu instid0(VALU_DEP_1) | instskip(NEXT) | instid1(VALU_DEP_1)
	v_cndmask_b32_e32 v107, 0, v107, vcc_lo
	v_add_nc_u32_e32 v83, v83, v107
	ds_store_b32 v82, v83
.LBB226_73:
	s_wait_alu 0xfffe
	s_or_b32 exec_lo, exec_lo, s9
	v_mov_b32_e32 v82, 0
	s_wait_loadcnt_dscnt 0x0
	s_barrier_signal -1
	s_barrier_wait -1
	global_inv scope:SCOPE_SE
	s_and_saveexec_b32 s9, s18
; %bb.74:
	ds_load_b32 v82, v84
; %bb.75:
	s_wait_alu 0xfffe
	s_or_b32 exec_lo, exec_lo, s9
	s_wait_dscnt 0x0
	v_add_nc_u32_e32 v36, v82, v36
	ds_bpermute_b32 v36, v85, v36
	s_wait_dscnt 0x0
	v_cndmask_b32_e64 v36, v36, v82, s8
	s_delay_alu instid0(VALU_DEP_1) | instskip(NEXT) | instid1(VALU_DEP_1)
	v_cndmask_b32_e64 v36, v36, 0, s19
	v_add_nc_u32_e32 v37, v36, v37
	s_delay_alu instid0(VALU_DEP_1) | instskip(NEXT) | instid1(VALU_DEP_1)
	v_add_nc_u32_e32 v38, v37, v38
	v_add_nc_u32_e32 v39, v38, v39
	s_delay_alu instid0(VALU_DEP_1) | instskip(NEXT) | instid1(VALU_DEP_1)
	v_add_nc_u32_e32 v82, v39, v40
	;; [unrolled: 3-line block ×3, first 2 shown]
	v_add_nc_u32_e32 v85, v84, v35
	ds_store_b128 v67, v[36:39] offset:32
	ds_store_b128 v67, v[82:85] offset:48
	s_wait_loadcnt_dscnt 0x0
	s_barrier_signal -1
	s_barrier_wait -1
	global_inv scope:SCOPE_SE
	ds_load_b32 v33, v106 offset:32
	ds_load_b32 v34, v104 offset:32
	;; [unrolled: 1-line block ×8, first 2 shown]
	v_lshlrev_b32_e32 v82, 1, v66
	s_wait_loadcnt_dscnt 0x0
	s_barrier_signal -1
	s_barrier_wait -1
	global_inv scope:SCOPE_SE
	v_mad_u32_u24 v83, v46, 48, v82
	v_add3_u32 v84, v105, v0, v33
	v_add3_u32 v85, v103, v102, v34
	;; [unrolled: 1-line block ×3, first 2 shown]
	v_add_nc_u32_e32 v81, v36, v81
	v_add3_u32 v87, v88, v87, v37
	v_add3_u32 v88, v91, v90, v38
	;; [unrolled: 1-line block ×4, first 2 shown]
	v_lshlrev_b32_e32 v0, 1, v81
	v_lshlrev_b32_e32 v33, 1, v87
	;; [unrolled: 1-line block ×8, first 2 shown]
	ds_store_b16 v0, v74
	ds_store_b16 v33, v75
	;; [unrolled: 1-line block ×8, first 2 shown]
	v_mad_co_u64_u32 v[73:74], null, v81, 6, v[0:1]
	v_mad_co_u64_u32 v[74:75], null, v87, 6, v[33:34]
	;; [unrolled: 1-line block ×4, first 2 shown]
	s_wait_loadcnt_dscnt 0x0
	s_barrier_signal -1
	s_barrier_wait -1
	global_inv scope:SCOPE_SE
	v_mad_co_u64_u32 v[77:78], null, v40, 6, v[36:37]
	ds_load_b128 v[33:36], v82
	v_mad_co_u64_u32 v[78:79], null, v86, 6, v[37:38]
	v_mad_co_u64_u32 v[37:38], null, v85, 6, v[38:39]
	;; [unrolled: 1-line block ×3, first 2 shown]
	s_wait_loadcnt_dscnt 0x0
	s_barrier_signal -1
	s_barrier_wait -1
	global_inv scope:SCOPE_SE
	ds_store_b64 v73, v[21:22]
	ds_store_b64 v74, v[23:24]
	;; [unrolled: 1-line block ×8, first 2 shown]
	s_wait_loadcnt_dscnt 0x0
	s_barrier_signal -1
	s_barrier_wait -1
	global_inv scope:SCOPE_SE
	ds_load_b128 v[29:32], v83
	ds_load_b128 v[25:28], v83 offset:16
	ds_load_b128 v[21:24], v83 offset:32
	ds_load_b128 v[17:20], v83 offset:48
	v_cmp_lt_i16_e32 vcc_lo, -1, v33
	v_lshrrev_b32_e32 v0, 16, v33
	v_lshrrev_b32_e32 v38, 16, v34
	;; [unrolled: 1-line block ×4, first 2 shown]
	s_wait_alu 0xfffd
	v_cndmask_b32_e64 v37, 0xffff8000, -1, vcc_lo
	v_cmp_lt_i16_e32 vcc_lo, -1, v34
	s_wait_alu 0xfffd
	v_cndmask_b32_e64 v39, 0xffff8000, -1, vcc_lo
	v_cmp_lt_i16_e32 vcc_lo, -1, v35
	;; [unrolled: 3-line block ×5, first 2 shown]
	s_delay_alu instid0(VALU_DEP_2) | instskip(SKIP_3) | instid1(VALU_DEP_3)
	v_perm_b32 v0, v0, v37, 0x5040100
	s_wait_alu 0xfffd
	v_cndmask_b32_e64 v38, 0xffff8000, -1, vcc_lo
	v_cmp_lt_i16_e32 vcc_lo, -1, v40
	v_xor_b32_e32 v0, v0, v33
	s_delay_alu instid0(VALU_DEP_3) | instskip(SKIP_3) | instid1(VALU_DEP_3)
	v_perm_b32 v37, v38, v39, 0x5040100
	s_wait_alu 0xfffd
	v_cndmask_b32_e64 v40, 0xffff8000, -1, vcc_lo
	v_cmp_lt_i16_e32 vcc_lo, -1, v74
	v_xor_b32_e32 v34, v37, v34
	s_delay_alu instid0(VALU_DEP_3) | instskip(SKIP_2) | instid1(VALU_DEP_2)
	v_perm_b32 v38, v40, v73, 0x5040100
	s_wait_alu 0xfffd
	v_cndmask_b32_e64 v74, 0xffff8000, -1, vcc_lo
	v_xor_b32_e32 v33, v38, v35
	s_delay_alu instid0(VALU_DEP_2) | instskip(NEXT) | instid1(VALU_DEP_1)
	v_perm_b32 v39, v74, v75, 0x5040100
	v_xor_b32_e32 v35, v39, v36
	s_branch .LBB226_128
.LBB226_76:
	v_lshlrev_b64_e32 v[1:2], 3, v[41:42]
	v_dual_mov_b32 v43, v42 :: v_dual_mov_b32 v10, v42
	v_dual_mov_b32 v9, v42 :: v_dual_mov_b32 v12, v42
	v_mov_b32_e32 v11, v42
	s_delay_alu instid0(VALU_DEP_4)
	v_add_co_u32 v1, vcc_lo, s34, v1
	s_wait_alu 0xfffd
	v_add_co_ci_u32_e64 v2, null, s35, v2, vcc_lo
	v_dual_mov_b32 v3, v42 :: v_dual_mov_b32 v6, v42
	v_dual_mov_b32 v5, v42 :: v_dual_mov_b32 v8, v42
	global_load_b64 v[13:14], v[1:2], off
	v_dual_mov_b32 v1, v42 :: v_dual_mov_b32 v4, v42
	v_dual_mov_b32 v2, v42 :: v_dual_mov_b32 v7, v42
	s_or_b32 exec_lo, exec_lo, s9
	s_and_saveexec_b32 s9, s1
	s_cbranch_execz .LBB226_22
.LBB226_77:
	v_mul_lo_u32 v22, s28, v15
	v_mov_b32_e32 v23, 0
	s_delay_alu instid0(VALU_DEP_1) | instskip(NEXT) | instid1(VALU_DEP_1)
	v_lshlrev_b64_e32 v[22:23], 3, v[22:23]
	v_add_co_u32 v22, vcc_lo, s34, v22
	s_wait_alu 0xfffd
	s_delay_alu instid0(VALU_DEP_2)
	v_add_co_ci_u32_e64 v23, null, s35, v23, vcc_lo
	global_load_b64 v[42:43], v[22:23], off
	s_or_b32 exec_lo, exec_lo, s9
	s_and_saveexec_b32 s9, s2
	s_cbranch_execz .LBB226_23
.LBB226_78:
	v_mul_lo_u32 v9, s28, v16
	v_mov_b32_e32 v10, 0
	s_delay_alu instid0(VALU_DEP_1) | instskip(NEXT) | instid1(VALU_DEP_1)
	v_lshlrev_b64_e32 v[9:10], 3, v[9:10]
	v_add_co_u32 v9, vcc_lo, s34, v9
	s_wait_alu 0xfffd
	s_delay_alu instid0(VALU_DEP_2)
	v_add_co_ci_u32_e64 v10, null, s35, v10, vcc_lo
	global_load_b64 v[9:10], v[9:10], off
	s_or_b32 exec_lo, exec_lo, s9
	s_and_saveexec_b32 s9, s3
	s_cbranch_execz .LBB226_24
.LBB226_79:
	v_mul_lo_u32 v11, s28, v17
	v_mov_b32_e32 v12, 0
	s_delay_alu instid0(VALU_DEP_1) | instskip(NEXT) | instid1(VALU_DEP_1)
	v_lshlrev_b64_e32 v[11:12], 3, v[11:12]
	v_add_co_u32 v11, vcc_lo, s34, v11
	s_wait_alu 0xfffd
	s_delay_alu instid0(VALU_DEP_2)
	v_add_co_ci_u32_e64 v12, null, s35, v12, vcc_lo
	global_load_b64 v[11:12], v[11:12], off
	s_or_b32 exec_lo, exec_lo, s9
	s_and_saveexec_b32 s9, s4
	s_cbranch_execz .LBB226_25
.LBB226_80:
	v_mul_lo_u32 v1, s28, v18
	v_mov_b32_e32 v2, 0
	s_delay_alu instid0(VALU_DEP_1) | instskip(NEXT) | instid1(VALU_DEP_1)
	v_lshlrev_b64_e32 v[1:2], 3, v[1:2]
	v_add_co_u32 v1, vcc_lo, s34, v1
	s_wait_alu 0xfffd
	s_delay_alu instid0(VALU_DEP_2)
	v_add_co_ci_u32_e64 v2, null, s35, v2, vcc_lo
	global_load_b64 v[1:2], v[1:2], off
	s_or_b32 exec_lo, exec_lo, s9
	s_and_saveexec_b32 s9, s5
	s_cbranch_execz .LBB226_26
.LBB226_81:
	v_mul_lo_u32 v3, s28, v19
	v_mov_b32_e32 v4, 0
	s_delay_alu instid0(VALU_DEP_1) | instskip(NEXT) | instid1(VALU_DEP_1)
	v_lshlrev_b64_e32 v[3:4], 3, v[3:4]
	v_add_co_u32 v3, vcc_lo, s34, v3
	s_wait_alu 0xfffd
	s_delay_alu instid0(VALU_DEP_2)
	v_add_co_ci_u32_e64 v4, null, s35, v4, vcc_lo
	global_load_b64 v[3:4], v[3:4], off
	s_or_b32 exec_lo, exec_lo, s9
	s_and_saveexec_b32 s9, s6
	s_cbranch_execnz .LBB226_27
	s_branch .LBB226_28
.LBB226_82:
                                        ; implicit-def: $vgpr19_vgpr20
                                        ; implicit-def: $vgpr23_vgpr24
                                        ; implicit-def: $vgpr27_vgpr28
                                        ; implicit-def: $vgpr31_vgpr32
                                        ; implicit-def: $vgpr35
                                        ; implicit-def: $vgpr33
                                        ; implicit-def: $vgpr34
                                        ; implicit-def: $vgpr0
	s_cbranch_execz .LBB226_128
; %bb.83:
	v_lshrrev_b32_e32 v0, 16, v49
	v_cmp_gt_i16_e32 vcc_lo, 0, v49
	s_wait_dscnt 0x0
	v_lshrrev_b32_e32 v17, 16, v50
	v_lshrrev_b32_e32 v18, 16, v47
	;; [unrolled: 1-line block ×3, first 2 shown]
	v_or_b32_e32 v21, v69, v70
	s_wait_alu 0xfffd
	v_cndmask_b32_e64 v20, 0x7fff, 0, vcc_lo
	v_cmp_gt_i16_e32 vcc_lo, 0, v0
	v_and_or_b32 v36, 0x1f00, v66, v69
	s_mov_b32 s12, 0
	s_getpc_b64 s[8:9]
	s_sext_i32_i16 s9, s9
	s_add_co_u32 s8, s8, _ZN7rocprim17ROCPRIM_400000_NS16block_radix_sortI6__halfLj256ELj8ElLj1ELj1ELj0ELNS0_26block_radix_rank_algorithmE1ELNS0_18block_padding_hintE2ELNS0_4arch9wavefront6targetE0EE19radix_bits_per_passE@rel32@lo+8
	s_add_co_ci_u32 s9, s9, _ZN7rocprim17ROCPRIM_400000_NS16block_radix_sortI6__halfLj256ELj8ElLj1ELj1ELj0ELNS0_26block_radix_rank_algorithmE1ELNS0_18block_padding_hintE2ELNS0_4arch9wavefront6targetE0EE19radix_bits_per_passE@rel32@hi+16
	s_mov_b32 s13, s12
	s_wait_alu 0xfffd
	v_cndmask_b32_e64 v0, 0x7fff, 0, vcc_lo
	v_cmp_gt_i16_e32 vcc_lo, 0, v50
	s_mov_b32 s14, s12
	s_mov_b32 s15, s12
	v_lshlrev_b32_e32 v25, 1, v36
	v_perm_b32 v0, v0, v20, 0x5040100
	s_wait_alu 0xfffd
	v_cndmask_b32_e64 v22, 0x7fff, 0, vcc_lo
	v_cmp_gt_i16_e32 vcc_lo, 0, v17
	s_load_b32 s20, s[8:9], 0x0
	v_cndmask_b32_e64 v17, 0x7fff, 0, vcc_lo
	v_cmp_gt_i16_e32 vcc_lo, 0, v47
	s_delay_alu instid0(VALU_DEP_2)
	v_perm_b32 v20, v17, v22, 0x5040100
	s_wait_alu 0xfffd
	v_cndmask_b32_e64 v23, 0x7fff, 0, vcc_lo
	v_cmp_gt_i16_e32 vcc_lo, 0, v18
	v_xor_b32_e32 v17, v0, v49
	s_wait_alu 0xfffd
	v_cndmask_b32_e64 v18, 0x7fff, 0, vcc_lo
	v_cmp_gt_i16_e32 vcc_lo, 0, v48
	s_wait_kmcnt 0x0
	s_min_u32 s8, s20, 16
	s_delay_alu instid0(VALU_DEP_2)
	v_perm_b32 v22, v18, v23, 0x5040100
	s_wait_alu 0xfffd
	v_cndmask_b32_e64 v24, 0x7fff, 0, vcc_lo
	v_cmp_gt_i16_e32 vcc_lo, 0, v19
	v_lshlrev_b32_e32 v23, 4, v21
	v_xor_b32_e32 v18, v20, v50
	s_lshl_b32 s8, -1, s8
	s_wait_alu 0xfffd
	v_cndmask_b32_e64 v19, 0x7fff, 0, vcc_lo
	s_not_b32 s9, s8
	s_delay_alu instid0(VALU_DEP_1) | instskip(SKIP_1) | instid1(VALU_DEP_2)
	v_perm_b32 v24, v19, v24, 0x5040100
	v_xor_b32_e32 v19, v22, v47
	v_xor_b32_e32 v20, v24, v48
	ds_store_b128 v23, v[17:20]
	; wave barrier
	ds_load_u16 v26, v25
	ds_load_u16 v27, v25 offset:64
	ds_load_u16 v28, v25 offset:128
	;; [unrolled: 1-line block ×7, first 2 shown]
	s_wait_loadcnt_dscnt 0x0
	s_barrier_signal -1
	s_barrier_wait -1
	global_inv scope:SCOPE_SE
	v_cmp_ne_u16_e32 vcc_lo, 0x8000, v26
	s_wait_alu 0xfffd
	v_cndmask_b32_e32 v0, 0x7fff, v26, vcc_lo
	v_mad_u32_u24 v17, v21, 48, v23
	ds_store_b128 v17, v[13:16]
	ds_store_b128 v17, v[9:12] offset:16
	v_and_b32_e32 v0, 0xffff, v0
	ds_store_b128 v17, v[5:8] offset:32
	ds_store_b128 v17, v[1:4] offset:48
	v_mad_u32_u24 v12, v36, 6, v25
	; wave barrier
	v_and_b32_e32 v23, s9, v0
	ds_load_2addr_b64 v[8:11], v12 offset1:32
	ds_load_2addr_b64 v[0:3], v12 offset0:64 offset1:96
	v_and_b32_e32 v4, 1, v23
	v_lshlrev_b32_e32 v18, 30, v23
	v_lshlrev_b32_e32 v19, 29, v23
	;; [unrolled: 1-line block ×3, first 2 shown]
	s_delay_alu instid0(VALU_DEP_4)
	v_add_co_u32 v16, s8, v4, -1
	s_wait_alu 0xf1ff
	v_cndmask_b32_e64 v17, 0, 1, s8
	ds_load_2addr_b64 v[4:7], v12 offset0:128 offset1:160
	ds_load_2addr_b64 v[12:15], v12 offset0:192 offset1:224
	s_wait_loadcnt_dscnt 0x0
	s_barrier_signal -1
	v_cmp_ne_u32_e32 vcc_lo, 0, v17
	v_not_b32_e32 v17, v18
	s_barrier_wait -1
	global_inv scope:SCOPE_SE
	s_load_b32 s8, s[36:37], 0xc
	v_xor_b32_e32 v16, vcc_lo, v16
	v_cmp_gt_i32_e32 vcc_lo, 0, v18
	v_ashrrev_i32_e32 v17, 31, v17
	v_not_b32_e32 v18, v19
	s_delay_alu instid0(VALU_DEP_4) | instskip(SKIP_1) | instid1(VALU_DEP_3)
	v_and_b32_e32 v16, exec_lo, v16
	s_wait_alu 0xfffd
	v_xor_b32_e32 v17, vcc_lo, v17
	v_cmp_gt_i32_e32 vcc_lo, 0, v19
	v_ashrrev_i32_e32 v18, 31, v18
	v_not_b32_e32 v19, v20
	s_delay_alu instid0(VALU_DEP_4)
	v_and_b32_e32 v16, v16, v17
	v_lshlrev_b32_e32 v17, 27, v23
	s_wait_alu 0xfffd
	v_xor_b32_e32 v18, vcc_lo, v18
	v_cmp_gt_i32_e32 vcc_lo, 0, v20
	v_ashrrev_i32_e32 v19, 31, v19
	v_not_b32_e32 v20, v17
	s_delay_alu instid0(VALU_DEP_4)
	v_and_b32_e32 v16, v16, v18
	v_lshlrev_b32_e32 v18, 26, v23
	s_wait_alu 0xfffd
	v_xor_b32_e32 v19, vcc_lo, v19
	v_cmp_gt_i32_e32 vcc_lo, 0, v17
	v_ashrrev_i32_e32 v17, 31, v20
	s_wait_kmcnt 0x0
	s_lshr_b32 s10, s8, 16
	v_not_b32_e32 v20, v18
	v_and_b32_e32 v16, v16, v19
	v_lshlrev_b32_e32 v19, 25, v23
	s_wait_alu 0xfffd
	v_xor_b32_e32 v17, vcc_lo, v17
	v_cmp_gt_i32_e32 vcc_lo, 0, v18
	v_ashrrev_i32_e32 v18, 31, v20
	v_mad_u32_u24 v21, v72, s10, v71
	v_not_b32_e32 v20, v19
	v_and_b32_e32 v16, v16, v17
	v_lshlrev_b32_e32 v17, 24, v23
	s_wait_alu 0xfffd
	v_xor_b32_e32 v18, vcc_lo, v18
	v_cmp_gt_i32_e32 vcc_lo, 0, v19
	v_ashrrev_i32_e32 v19, 31, v20
	s_and_b32 s8, s8, 0xffff
	v_not_b32_e32 v20, v17
	v_and_b32_e32 v16, v16, v18
	s_wait_alu 0xfffe
	v_mad_co_u64_u32 v[21:22], null, v21, s8, v[46:47]
	s_wait_alu 0xfffd
	v_xor_b32_e32 v18, vcc_lo, v19
	v_cmp_gt_i32_e32 vcc_lo, 0, v17
	v_ashrrev_i32_e32 v17, 31, v20
	s_delay_alu instid0(VALU_DEP_3) | instskip(SKIP_2) | instid1(VALU_DEP_3)
	v_and_b32_e32 v16, v16, v18
	v_lshrrev_b32_e32 v21, 5, v21
	s_wait_alu 0xfffd
	v_xor_b32_e32 v22, vcc_lo, v17
	v_dual_mov_b32 v20, s15 :: v_dual_mov_b32 v19, s14
	v_dual_mov_b32 v18, s13 :: v_dual_mov_b32 v17, s12
	s_delay_alu instid0(VALU_DEP_3)
	v_and_b32_e32 v16, v16, v22
	ds_store_b128 v67, v[17:20] offset:32
	ds_store_b128 v67, v[17:20] offset:48
	v_mbcnt_lo_u32_b32 v38, v16, 0
	v_lshlrev_b32_e32 v24, 2, v21
	v_lshlrev_b32_e32 v17, 5, v23
	v_cmp_ne_u32_e64 s8, 0, v16
	s_wait_loadcnt_dscnt 0x0
	v_cmp_eq_u32_e32 vcc_lo, 0, v38
	s_barrier_signal -1
	v_add_nc_u32_e32 v39, v24, v17
	s_barrier_wait -1
	global_inv scope:SCOPE_SE
	s_and_b32 s10, s8, vcc_lo
	; wave barrier
	s_wait_alu 0xfffe
	s_and_saveexec_b32 s8, s10
; %bb.84:
	v_bcnt_u32_b32 v16, v16, 0
	ds_store_b32 v39, v16 offset:32
; %bb.85:
	s_wait_alu 0xfffe
	s_or_b32 exec_lo, exec_lo, s8
	v_cmp_ne_u16_e32 vcc_lo, 0x8000, v27
	; wave barrier
	s_wait_alu 0xfffd
	v_cndmask_b32_e32 v16, 0x7fff, v27, vcc_lo
	s_delay_alu instid0(VALU_DEP_1) | instskip(NEXT) | instid1(VALU_DEP_1)
	v_and_b32_e32 v16, 0xffff, v16
	v_and_b32_e32 v16, s9, v16
	s_delay_alu instid0(VALU_DEP_1)
	v_and_b32_e32 v17, 1, v16
	v_lshlrev_b32_e32 v18, 30, v16
	v_lshlrev_b32_e32 v19, 29, v16
	v_lshlrev_b32_e32 v20, 28, v16
	v_lshlrev_b32_e32 v22, 27, v16
	v_add_co_u32 v17, s8, v17, -1
	s_wait_alu 0xf1ff
	v_cndmask_b32_e64 v21, 0, 1, s8
	v_not_b32_e32 v35, v18
	v_cmp_gt_i32_e64 s8, 0, v18
	v_not_b32_e32 v18, v19
	v_lshlrev_b32_e32 v23, 26, v16
	v_cmp_ne_u32_e32 vcc_lo, 0, v21
	v_ashrrev_i32_e32 v35, 31, v35
	v_lshlrev_b32_e32 v34, 25, v16
	v_ashrrev_i32_e32 v18, 31, v18
	v_lshlrev_b32_e32 v21, 24, v16
	s_wait_alu 0xfffd
	v_xor_b32_e32 v17, vcc_lo, v17
	v_cmp_gt_i32_e32 vcc_lo, 0, v19
	v_not_b32_e32 v19, v20
	s_wait_alu 0xf1ff
	v_xor_b32_e32 v35, s8, v35
	v_cmp_gt_i32_e64 s8, 0, v20
	v_and_b32_e32 v17, exec_lo, v17
	v_not_b32_e32 v20, v22
	v_ashrrev_i32_e32 v19, 31, v19
	s_wait_alu 0xfffd
	v_xor_b32_e32 v18, vcc_lo, v18
	v_cmp_gt_i32_e32 vcc_lo, 0, v22
	v_and_b32_e32 v17, v17, v35
	v_not_b32_e32 v22, v23
	v_ashrrev_i32_e32 v20, 31, v20
	s_wait_alu 0xf1ff
	v_xor_b32_e32 v19, s8, v19
	v_cmp_gt_i32_e64 s8, 0, v23
	v_and_b32_e32 v17, v17, v18
	v_not_b32_e32 v18, v34
	v_ashrrev_i32_e32 v22, 31, v22
	s_wait_alu 0xfffd
	v_xor_b32_e32 v20, vcc_lo, v20
	v_cmp_gt_i32_e32 vcc_lo, 0, v34
	v_and_b32_e32 v17, v17, v19
	v_not_b32_e32 v19, v21
	v_ashrrev_i32_e32 v18, 31, v18
	s_wait_alu 0xf1ff
	v_xor_b32_e32 v22, s8, v22
	v_lshlrev_b32_e32 v16, 5, v16
	v_and_b32_e32 v17, v17, v20
	v_cmp_gt_i32_e64 s8, 0, v21
	v_ashrrev_i32_e32 v19, 31, v19
	s_wait_alu 0xfffd
	v_xor_b32_e32 v18, vcc_lo, v18
	v_add_nc_u32_e32 v48, v24, v16
	v_and_b32_e32 v17, v17, v22
	s_wait_alu 0xf1ff
	v_xor_b32_e32 v16, s8, v19
	ds_load_b32 v40, v48 offset:32
	v_and_b32_e32 v17, v17, v18
	; wave barrier
	s_delay_alu instid0(VALU_DEP_1) | instskip(NEXT) | instid1(VALU_DEP_1)
	v_and_b32_e32 v16, v17, v16
	v_mbcnt_lo_u32_b32 v47, v16, 0
	v_cmp_ne_u32_e64 s8, 0, v16
	s_delay_alu instid0(VALU_DEP_2)
	v_cmp_eq_u32_e32 vcc_lo, 0, v47
	s_and_b32 s10, s8, vcc_lo
	s_wait_alu 0xfffe
	s_and_saveexec_b32 s8, s10
	s_cbranch_execz .LBB226_87
; %bb.86:
	s_wait_dscnt 0x0
	v_bcnt_u32_b32 v16, v16, v40
	ds_store_b32 v48, v16 offset:32
.LBB226_87:
	s_wait_alu 0xfffe
	s_or_b32 exec_lo, exec_lo, s8
	v_cmp_ne_u16_e32 vcc_lo, 0x8000, v28
	; wave barrier
	s_wait_alu 0xfffd
	v_cndmask_b32_e32 v16, 0x7fff, v28, vcc_lo
	s_delay_alu instid0(VALU_DEP_1) | instskip(NEXT) | instid1(VALU_DEP_1)
	v_and_b32_e32 v16, 0xffff, v16
	v_and_b32_e32 v16, s9, v16
	s_delay_alu instid0(VALU_DEP_1)
	v_and_b32_e32 v17, 1, v16
	v_lshlrev_b32_e32 v18, 30, v16
	v_lshlrev_b32_e32 v19, 29, v16
	;; [unrolled: 1-line block ×4, first 2 shown]
	v_add_co_u32 v17, s8, v17, -1
	s_wait_alu 0xf1ff
	v_cndmask_b32_e64 v21, 0, 1, s8
	v_not_b32_e32 v35, v18
	v_cmp_gt_i32_e64 s8, 0, v18
	v_not_b32_e32 v18, v19
	v_lshlrev_b32_e32 v23, 26, v16
	v_cmp_ne_u32_e32 vcc_lo, 0, v21
	v_ashrrev_i32_e32 v35, 31, v35
	v_lshlrev_b32_e32 v34, 25, v16
	v_ashrrev_i32_e32 v18, 31, v18
	v_lshlrev_b32_e32 v21, 24, v16
	s_wait_alu 0xfffd
	v_xor_b32_e32 v17, vcc_lo, v17
	v_cmp_gt_i32_e32 vcc_lo, 0, v19
	v_not_b32_e32 v19, v20
	s_wait_alu 0xf1ff
	v_xor_b32_e32 v35, s8, v35
	v_cmp_gt_i32_e64 s8, 0, v20
	v_and_b32_e32 v17, exec_lo, v17
	v_not_b32_e32 v20, v22
	v_ashrrev_i32_e32 v19, 31, v19
	s_wait_alu 0xfffd
	v_xor_b32_e32 v18, vcc_lo, v18
	v_cmp_gt_i32_e32 vcc_lo, 0, v22
	v_and_b32_e32 v17, v17, v35
	v_not_b32_e32 v22, v23
	v_ashrrev_i32_e32 v20, 31, v20
	s_wait_alu 0xf1ff
	v_xor_b32_e32 v19, s8, v19
	v_cmp_gt_i32_e64 s8, 0, v23
	v_and_b32_e32 v17, v17, v18
	v_not_b32_e32 v18, v34
	v_ashrrev_i32_e32 v22, 31, v22
	s_wait_alu 0xfffd
	v_xor_b32_e32 v20, vcc_lo, v20
	v_cmp_gt_i32_e32 vcc_lo, 0, v34
	v_and_b32_e32 v17, v17, v19
	v_not_b32_e32 v19, v21
	v_ashrrev_i32_e32 v18, 31, v18
	s_wait_alu 0xf1ff
	v_xor_b32_e32 v22, s8, v22
	v_lshlrev_b32_e32 v16, 5, v16
	v_and_b32_e32 v17, v17, v20
	v_cmp_gt_i32_e64 s8, 0, v21
	v_ashrrev_i32_e32 v19, 31, v19
	s_wait_alu 0xfffd
	v_xor_b32_e32 v18, vcc_lo, v18
	v_add_nc_u32_e32 v71, v24, v16
	v_and_b32_e32 v17, v17, v22
	s_wait_alu 0xf1ff
	v_xor_b32_e32 v16, s8, v19
	ds_load_b32 v49, v71 offset:32
	v_and_b32_e32 v17, v17, v18
	; wave barrier
	s_delay_alu instid0(VALU_DEP_1) | instskip(NEXT) | instid1(VALU_DEP_1)
	v_and_b32_e32 v16, v17, v16
	v_mbcnt_lo_u32_b32 v50, v16, 0
	v_cmp_ne_u32_e64 s8, 0, v16
	s_delay_alu instid0(VALU_DEP_2)
	v_cmp_eq_u32_e32 vcc_lo, 0, v50
	s_and_b32 s10, s8, vcc_lo
	s_wait_alu 0xfffe
	s_and_saveexec_b32 s8, s10
	s_cbranch_execz .LBB226_89
; %bb.88:
	s_wait_dscnt 0x0
	v_bcnt_u32_b32 v16, v16, v49
	ds_store_b32 v71, v16 offset:32
.LBB226_89:
	s_wait_alu 0xfffe
	s_or_b32 exec_lo, exec_lo, s8
	v_cmp_ne_u16_e32 vcc_lo, 0x8000, v29
	; wave barrier
	s_wait_alu 0xfffd
	v_cndmask_b32_e32 v16, 0x7fff, v29, vcc_lo
	s_delay_alu instid0(VALU_DEP_1) | instskip(NEXT) | instid1(VALU_DEP_1)
	v_and_b32_e32 v16, 0xffff, v16
	v_and_b32_e32 v16, s9, v16
	s_delay_alu instid0(VALU_DEP_1)
	v_and_b32_e32 v17, 1, v16
	v_lshlrev_b32_e32 v18, 30, v16
	v_lshlrev_b32_e32 v19, 29, v16
	;; [unrolled: 1-line block ×4, first 2 shown]
	v_add_co_u32 v17, s8, v17, -1
	s_wait_alu 0xf1ff
	v_cndmask_b32_e64 v21, 0, 1, s8
	v_not_b32_e32 v35, v18
	v_cmp_gt_i32_e64 s8, 0, v18
	v_not_b32_e32 v18, v19
	v_lshlrev_b32_e32 v23, 26, v16
	v_cmp_ne_u32_e32 vcc_lo, 0, v21
	v_ashrrev_i32_e32 v35, 31, v35
	v_lshlrev_b32_e32 v34, 25, v16
	v_ashrrev_i32_e32 v18, 31, v18
	v_lshlrev_b32_e32 v21, 24, v16
	s_wait_alu 0xfffd
	v_xor_b32_e32 v17, vcc_lo, v17
	v_cmp_gt_i32_e32 vcc_lo, 0, v19
	v_not_b32_e32 v19, v20
	s_wait_alu 0xf1ff
	v_xor_b32_e32 v35, s8, v35
	v_cmp_gt_i32_e64 s8, 0, v20
	v_and_b32_e32 v17, exec_lo, v17
	v_not_b32_e32 v20, v22
	v_ashrrev_i32_e32 v19, 31, v19
	s_wait_alu 0xfffd
	v_xor_b32_e32 v18, vcc_lo, v18
	v_cmp_gt_i32_e32 vcc_lo, 0, v22
	v_and_b32_e32 v17, v17, v35
	v_not_b32_e32 v22, v23
	v_ashrrev_i32_e32 v20, 31, v20
	s_wait_alu 0xf1ff
	v_xor_b32_e32 v19, s8, v19
	v_cmp_gt_i32_e64 s8, 0, v23
	v_and_b32_e32 v17, v17, v18
	v_not_b32_e32 v18, v34
	v_ashrrev_i32_e32 v22, 31, v22
	s_wait_alu 0xfffd
	v_xor_b32_e32 v20, vcc_lo, v20
	v_cmp_gt_i32_e32 vcc_lo, 0, v34
	v_and_b32_e32 v17, v17, v19
	v_not_b32_e32 v19, v21
	v_ashrrev_i32_e32 v18, 31, v18
	s_wait_alu 0xf1ff
	v_xor_b32_e32 v22, s8, v22
	v_lshlrev_b32_e32 v16, 5, v16
	v_and_b32_e32 v17, v17, v20
	v_cmp_gt_i32_e64 s8, 0, v21
	v_ashrrev_i32_e32 v19, 31, v19
	s_wait_alu 0xfffd
	v_xor_b32_e32 v18, vcc_lo, v18
	v_add_nc_u32_e32 v74, v24, v16
	v_and_b32_e32 v17, v17, v22
	s_wait_alu 0xf1ff
	v_xor_b32_e32 v16, s8, v19
	ds_load_b32 v72, v74 offset:32
	v_and_b32_e32 v17, v17, v18
	; wave barrier
	s_delay_alu instid0(VALU_DEP_1) | instskip(NEXT) | instid1(VALU_DEP_1)
	v_and_b32_e32 v16, v17, v16
	v_mbcnt_lo_u32_b32 v73, v16, 0
	v_cmp_ne_u32_e64 s8, 0, v16
	s_delay_alu instid0(VALU_DEP_2)
	v_cmp_eq_u32_e32 vcc_lo, 0, v73
	s_and_b32 s10, s8, vcc_lo
	s_wait_alu 0xfffe
	s_and_saveexec_b32 s8, s10
	s_cbranch_execz .LBB226_91
; %bb.90:
	s_wait_dscnt 0x0
	v_bcnt_u32_b32 v16, v16, v72
	ds_store_b32 v74, v16 offset:32
.LBB226_91:
	s_wait_alu 0xfffe
	s_or_b32 exec_lo, exec_lo, s8
	v_cmp_ne_u16_e32 vcc_lo, 0x8000, v30
	; wave barrier
	s_wait_alu 0xfffd
	v_cndmask_b32_e32 v16, 0x7fff, v30, vcc_lo
	s_delay_alu instid0(VALU_DEP_1) | instskip(NEXT) | instid1(VALU_DEP_1)
	v_and_b32_e32 v16, 0xffff, v16
	v_and_b32_e32 v16, s9, v16
	s_delay_alu instid0(VALU_DEP_1)
	v_and_b32_e32 v17, 1, v16
	v_lshlrev_b32_e32 v18, 30, v16
	v_lshlrev_b32_e32 v19, 29, v16
	;; [unrolled: 1-line block ×4, first 2 shown]
	v_add_co_u32 v17, s8, v17, -1
	s_wait_alu 0xf1ff
	v_cndmask_b32_e64 v21, 0, 1, s8
	v_not_b32_e32 v35, v18
	v_cmp_gt_i32_e64 s8, 0, v18
	v_not_b32_e32 v18, v19
	v_lshlrev_b32_e32 v23, 26, v16
	v_cmp_ne_u32_e32 vcc_lo, 0, v21
	v_ashrrev_i32_e32 v35, 31, v35
	v_lshlrev_b32_e32 v34, 25, v16
	v_ashrrev_i32_e32 v18, 31, v18
	v_lshlrev_b32_e32 v21, 24, v16
	s_wait_alu 0xfffd
	v_xor_b32_e32 v17, vcc_lo, v17
	v_cmp_gt_i32_e32 vcc_lo, 0, v19
	v_not_b32_e32 v19, v20
	s_wait_alu 0xf1ff
	v_xor_b32_e32 v35, s8, v35
	v_cmp_gt_i32_e64 s8, 0, v20
	v_and_b32_e32 v17, exec_lo, v17
	v_not_b32_e32 v20, v22
	v_ashrrev_i32_e32 v19, 31, v19
	s_wait_alu 0xfffd
	v_xor_b32_e32 v18, vcc_lo, v18
	v_cmp_gt_i32_e32 vcc_lo, 0, v22
	v_and_b32_e32 v17, v17, v35
	v_not_b32_e32 v22, v23
	v_ashrrev_i32_e32 v20, 31, v20
	s_wait_alu 0xf1ff
	v_xor_b32_e32 v19, s8, v19
	v_cmp_gt_i32_e64 s8, 0, v23
	v_and_b32_e32 v17, v17, v18
	v_not_b32_e32 v18, v34
	v_ashrrev_i32_e32 v22, 31, v22
	s_wait_alu 0xfffd
	v_xor_b32_e32 v20, vcc_lo, v20
	v_cmp_gt_i32_e32 vcc_lo, 0, v34
	v_and_b32_e32 v17, v17, v19
	v_not_b32_e32 v19, v21
	v_ashrrev_i32_e32 v18, 31, v18
	s_wait_alu 0xf1ff
	v_xor_b32_e32 v22, s8, v22
	v_lshlrev_b32_e32 v16, 5, v16
	v_and_b32_e32 v17, v17, v20
	v_cmp_gt_i32_e64 s8, 0, v21
	v_ashrrev_i32_e32 v19, 31, v19
	s_wait_alu 0xfffd
	v_xor_b32_e32 v18, vcc_lo, v18
	v_add_nc_u32_e32 v77, v24, v16
	v_and_b32_e32 v17, v17, v22
	s_wait_alu 0xf1ff
	v_xor_b32_e32 v16, s8, v19
	ds_load_b32 v75, v77 offset:32
	v_and_b32_e32 v17, v17, v18
	; wave barrier
	s_delay_alu instid0(VALU_DEP_1) | instskip(NEXT) | instid1(VALU_DEP_1)
	v_and_b32_e32 v16, v17, v16
	v_mbcnt_lo_u32_b32 v76, v16, 0
	v_cmp_ne_u32_e64 s8, 0, v16
	s_delay_alu instid0(VALU_DEP_2)
	v_cmp_eq_u32_e32 vcc_lo, 0, v76
	s_and_b32 s10, s8, vcc_lo
	s_wait_alu 0xfffe
	s_and_saveexec_b32 s8, s10
	s_cbranch_execz .LBB226_93
; %bb.92:
	s_wait_dscnt 0x0
	v_bcnt_u32_b32 v16, v16, v75
	ds_store_b32 v77, v16 offset:32
.LBB226_93:
	s_wait_alu 0xfffe
	s_or_b32 exec_lo, exec_lo, s8
	v_cmp_ne_u16_e32 vcc_lo, 0x8000, v31
	; wave barrier
	s_wait_alu 0xfffd
	v_cndmask_b32_e32 v16, 0x7fff, v31, vcc_lo
	s_delay_alu instid0(VALU_DEP_1) | instskip(NEXT) | instid1(VALU_DEP_1)
	v_and_b32_e32 v16, 0xffff, v16
	v_and_b32_e32 v16, s9, v16
	s_delay_alu instid0(VALU_DEP_1)
	v_and_b32_e32 v17, 1, v16
	v_lshlrev_b32_e32 v18, 30, v16
	v_lshlrev_b32_e32 v19, 29, v16
	;; [unrolled: 1-line block ×4, first 2 shown]
	v_add_co_u32 v17, s8, v17, -1
	s_wait_alu 0xf1ff
	v_cndmask_b32_e64 v21, 0, 1, s8
	v_not_b32_e32 v35, v18
	v_cmp_gt_i32_e64 s8, 0, v18
	v_not_b32_e32 v18, v19
	v_lshlrev_b32_e32 v23, 26, v16
	v_cmp_ne_u32_e32 vcc_lo, 0, v21
	v_ashrrev_i32_e32 v35, 31, v35
	v_lshlrev_b32_e32 v34, 25, v16
	v_ashrrev_i32_e32 v18, 31, v18
	v_lshlrev_b32_e32 v21, 24, v16
	s_wait_alu 0xfffd
	v_xor_b32_e32 v17, vcc_lo, v17
	v_cmp_gt_i32_e32 vcc_lo, 0, v19
	v_not_b32_e32 v19, v20
	s_wait_alu 0xf1ff
	v_xor_b32_e32 v35, s8, v35
	v_cmp_gt_i32_e64 s8, 0, v20
	v_and_b32_e32 v17, exec_lo, v17
	v_not_b32_e32 v20, v22
	v_ashrrev_i32_e32 v19, 31, v19
	s_wait_alu 0xfffd
	v_xor_b32_e32 v18, vcc_lo, v18
	v_cmp_gt_i32_e32 vcc_lo, 0, v22
	v_and_b32_e32 v17, v17, v35
	v_not_b32_e32 v22, v23
	v_ashrrev_i32_e32 v20, 31, v20
	s_wait_alu 0xf1ff
	v_xor_b32_e32 v19, s8, v19
	v_cmp_gt_i32_e64 s8, 0, v23
	v_and_b32_e32 v17, v17, v18
	v_not_b32_e32 v18, v34
	v_ashrrev_i32_e32 v22, 31, v22
	s_wait_alu 0xfffd
	v_xor_b32_e32 v20, vcc_lo, v20
	v_cmp_gt_i32_e32 vcc_lo, 0, v34
	v_and_b32_e32 v17, v17, v19
	v_not_b32_e32 v19, v21
	v_ashrrev_i32_e32 v18, 31, v18
	s_wait_alu 0xf1ff
	v_xor_b32_e32 v22, s8, v22
	v_lshlrev_b32_e32 v16, 5, v16
	v_and_b32_e32 v17, v17, v20
	v_cmp_gt_i32_e64 s8, 0, v21
	v_ashrrev_i32_e32 v19, 31, v19
	s_wait_alu 0xfffd
	v_xor_b32_e32 v18, vcc_lo, v18
	v_add_nc_u32_e32 v80, v24, v16
	v_and_b32_e32 v17, v17, v22
	s_wait_alu 0xf1ff
	v_xor_b32_e32 v16, s8, v19
	ds_load_b32 v78, v80 offset:32
	v_and_b32_e32 v17, v17, v18
	; wave barrier
	s_delay_alu instid0(VALU_DEP_1) | instskip(NEXT) | instid1(VALU_DEP_1)
	v_and_b32_e32 v16, v17, v16
	v_mbcnt_lo_u32_b32 v79, v16, 0
	v_cmp_ne_u32_e64 s8, 0, v16
	s_delay_alu instid0(VALU_DEP_2)
	v_cmp_eq_u32_e32 vcc_lo, 0, v79
	s_and_b32 s10, s8, vcc_lo
	s_wait_alu 0xfffe
	s_and_saveexec_b32 s8, s10
	s_cbranch_execz .LBB226_95
; %bb.94:
	s_wait_dscnt 0x0
	v_bcnt_u32_b32 v16, v16, v78
	ds_store_b32 v80, v16 offset:32
.LBB226_95:
	s_wait_alu 0xfffe
	s_or_b32 exec_lo, exec_lo, s8
	v_cmp_ne_u16_e32 vcc_lo, 0x8000, v32
	; wave barrier
	s_wait_alu 0xfffd
	v_cndmask_b32_e32 v16, 0x7fff, v32, vcc_lo
	s_delay_alu instid0(VALU_DEP_1) | instskip(NEXT) | instid1(VALU_DEP_1)
	v_and_b32_e32 v16, 0xffff, v16
	v_and_b32_e32 v16, s9, v16
	s_delay_alu instid0(VALU_DEP_1)
	v_and_b32_e32 v17, 1, v16
	v_lshlrev_b32_e32 v18, 30, v16
	v_lshlrev_b32_e32 v19, 29, v16
	;; [unrolled: 1-line block ×4, first 2 shown]
	v_add_co_u32 v17, s8, v17, -1
	s_wait_alu 0xf1ff
	v_cndmask_b32_e64 v21, 0, 1, s8
	v_not_b32_e32 v35, v18
	v_cmp_gt_i32_e64 s8, 0, v18
	v_not_b32_e32 v18, v19
	v_lshlrev_b32_e32 v23, 26, v16
	v_cmp_ne_u32_e32 vcc_lo, 0, v21
	v_ashrrev_i32_e32 v35, 31, v35
	v_lshlrev_b32_e32 v34, 25, v16
	v_ashrrev_i32_e32 v18, 31, v18
	v_lshlrev_b32_e32 v21, 24, v16
	s_wait_alu 0xfffd
	v_xor_b32_e32 v17, vcc_lo, v17
	v_cmp_gt_i32_e32 vcc_lo, 0, v19
	v_not_b32_e32 v19, v20
	s_wait_alu 0xf1ff
	v_xor_b32_e32 v35, s8, v35
	v_cmp_gt_i32_e64 s8, 0, v20
	v_and_b32_e32 v17, exec_lo, v17
	v_not_b32_e32 v20, v22
	v_ashrrev_i32_e32 v19, 31, v19
	s_wait_alu 0xfffd
	v_xor_b32_e32 v18, vcc_lo, v18
	v_cmp_gt_i32_e32 vcc_lo, 0, v22
	v_and_b32_e32 v17, v17, v35
	v_not_b32_e32 v22, v23
	v_ashrrev_i32_e32 v20, 31, v20
	s_wait_alu 0xf1ff
	v_xor_b32_e32 v19, s8, v19
	v_cmp_gt_i32_e64 s8, 0, v23
	v_and_b32_e32 v17, v17, v18
	v_not_b32_e32 v18, v34
	v_ashrrev_i32_e32 v22, 31, v22
	s_wait_alu 0xfffd
	v_xor_b32_e32 v20, vcc_lo, v20
	v_cmp_gt_i32_e32 vcc_lo, 0, v34
	v_and_b32_e32 v17, v17, v19
	v_not_b32_e32 v19, v21
	v_ashrrev_i32_e32 v18, 31, v18
	s_wait_alu 0xf1ff
	v_xor_b32_e32 v22, s8, v22
	v_lshlrev_b32_e32 v16, 5, v16
	v_and_b32_e32 v17, v17, v20
	v_cmp_gt_i32_e64 s8, 0, v21
	v_ashrrev_i32_e32 v19, 31, v19
	s_wait_alu 0xfffd
	v_xor_b32_e32 v18, vcc_lo, v18
	v_add_nc_u32_e32 v83, v24, v16
	v_and_b32_e32 v17, v17, v22
	s_wait_alu 0xf1ff
	v_xor_b32_e32 v16, s8, v19
	ds_load_b32 v81, v83 offset:32
	v_and_b32_e32 v17, v17, v18
	; wave barrier
	s_delay_alu instid0(VALU_DEP_1) | instskip(NEXT) | instid1(VALU_DEP_1)
	v_and_b32_e32 v16, v17, v16
	v_mbcnt_lo_u32_b32 v82, v16, 0
	v_cmp_ne_u32_e64 s8, 0, v16
	s_delay_alu instid0(VALU_DEP_2)
	v_cmp_eq_u32_e32 vcc_lo, 0, v82
	s_and_b32 s10, s8, vcc_lo
	s_wait_alu 0xfffe
	s_and_saveexec_b32 s8, s10
	s_cbranch_execz .LBB226_97
; %bb.96:
	s_wait_dscnt 0x0
	v_bcnt_u32_b32 v16, v16, v81
	ds_store_b32 v83, v16 offset:32
.LBB226_97:
	s_wait_alu 0xfffe
	s_or_b32 exec_lo, exec_lo, s8
	v_cmp_ne_u16_e32 vcc_lo, 0x8000, v33
	; wave barrier
	s_wait_alu 0xfffd
	v_cndmask_b32_e32 v16, 0x7fff, v33, vcc_lo
	s_delay_alu instid0(VALU_DEP_1) | instskip(NEXT) | instid1(VALU_DEP_1)
	v_and_b32_e32 v16, 0xffff, v16
	v_and_b32_e32 v16, s9, v16
	s_delay_alu instid0(VALU_DEP_1)
	v_and_b32_e32 v17, 1, v16
	v_lshlrev_b32_e32 v18, 30, v16
	v_lshlrev_b32_e32 v19, 29, v16
	;; [unrolled: 1-line block ×4, first 2 shown]
	v_add_co_u32 v17, s8, v17, -1
	s_wait_alu 0xf1ff
	v_cndmask_b32_e64 v21, 0, 1, s8
	v_not_b32_e32 v35, v18
	v_cmp_gt_i32_e64 s8, 0, v18
	v_not_b32_e32 v18, v19
	v_lshlrev_b32_e32 v23, 26, v16
	v_cmp_ne_u32_e32 vcc_lo, 0, v21
	v_ashrrev_i32_e32 v35, 31, v35
	v_lshlrev_b32_e32 v34, 25, v16
	v_ashrrev_i32_e32 v18, 31, v18
	v_lshlrev_b32_e32 v21, 24, v16
	s_wait_alu 0xfffd
	v_xor_b32_e32 v17, vcc_lo, v17
	v_cmp_gt_i32_e32 vcc_lo, 0, v19
	v_not_b32_e32 v19, v20
	s_wait_alu 0xf1ff
	v_xor_b32_e32 v35, s8, v35
	v_cmp_gt_i32_e64 s8, 0, v20
	v_and_b32_e32 v17, exec_lo, v17
	v_not_b32_e32 v20, v22
	v_ashrrev_i32_e32 v19, 31, v19
	s_wait_alu 0xfffd
	v_xor_b32_e32 v18, vcc_lo, v18
	v_cmp_gt_i32_e32 vcc_lo, 0, v22
	v_and_b32_e32 v17, v17, v35
	v_not_b32_e32 v22, v23
	v_ashrrev_i32_e32 v20, 31, v20
	s_wait_alu 0xf1ff
	v_xor_b32_e32 v19, s8, v19
	v_cmp_gt_i32_e64 s8, 0, v23
	v_and_b32_e32 v17, v17, v18
	v_not_b32_e32 v18, v34
	v_ashrrev_i32_e32 v22, 31, v22
	s_wait_alu 0xfffd
	v_xor_b32_e32 v20, vcc_lo, v20
	v_cmp_gt_i32_e32 vcc_lo, 0, v34
	v_and_b32_e32 v17, v17, v19
	v_not_b32_e32 v19, v21
	v_ashrrev_i32_e32 v18, 31, v18
	s_wait_alu 0xf1ff
	v_xor_b32_e32 v22, s8, v22
	v_lshlrev_b32_e32 v16, 5, v16
	v_and_b32_e32 v17, v17, v20
	v_cmp_gt_i32_e64 s8, 0, v21
	v_ashrrev_i32_e32 v19, 31, v19
	s_wait_alu 0xfffd
	v_xor_b32_e32 v18, vcc_lo, v18
	v_add_nc_u32_e32 v86, v24, v16
	v_and_b32_e32 v17, v17, v22
	v_min_u32_e32 v34, 0xe0, v70
	s_wait_alu 0xf1ff
	v_xor_b32_e32 v16, s8, v19
	ds_load_b32 v84, v86 offset:32
	v_and_b32_e32 v17, v17, v18
	; wave barrier
	s_delay_alu instid0(VALU_DEP_1) | instskip(NEXT) | instid1(VALU_DEP_1)
	v_and_b32_e32 v16, v17, v16
	v_mbcnt_lo_u32_b32 v85, v16, 0
	v_cmp_ne_u32_e64 s8, 0, v16
	s_delay_alu instid0(VALU_DEP_2)
	v_cmp_eq_u32_e32 vcc_lo, 0, v85
	s_and_b32 s9, s8, vcc_lo
	s_wait_alu 0xfffe
	s_and_saveexec_b32 s8, s9
	s_cbranch_execz .LBB226_99
; %bb.98:
	s_wait_dscnt 0x0
	v_bcnt_u32_b32 v16, v16, v84
	ds_store_b32 v86, v16 offset:32
.LBB226_99:
	s_wait_alu 0xfffe
	s_or_b32 exec_lo, exec_lo, s8
	; wave barrier
	s_wait_loadcnt_dscnt 0x0
	s_barrier_signal -1
	s_barrier_wait -1
	global_inv scope:SCOPE_SE
	ds_load_b128 v[20:23], v67 offset:32
	ds_load_b128 v[16:19], v67 offset:48
	v_and_b32_e32 v70, 16, v69
	v_or_b32_e32 v34, 31, v34
	s_delay_alu instid0(VALU_DEP_2) | instskip(NEXT) | instid1(VALU_DEP_2)
	v_cmp_eq_u32_e64 s17, 0, v70
	v_cmp_eq_u32_e64 s15, v46, v34
	s_wait_dscnt 0x1
	v_add_nc_u32_e32 v35, v21, v20
	s_delay_alu instid0(VALU_DEP_1) | instskip(SKIP_1) | instid1(VALU_DEP_1)
	v_add3_u32 v35, v35, v22, v23
	s_wait_dscnt 0x0
	v_add3_u32 v35, v35, v16, v17
	s_delay_alu instid0(VALU_DEP_1) | instskip(SKIP_1) | instid1(VALU_DEP_2)
	v_add3_u32 v19, v35, v18, v19
	v_and_b32_e32 v35, 15, v69
	v_mov_b32_dpp v37, v19 row_shr:1 row_mask:0xf bank_mask:0xf
	s_delay_alu instid0(VALU_DEP_2)
	v_cmp_eq_u32_e64 s9, 0, v35
	v_cmp_lt_u32_e64 s11, 1, v35
	v_cmp_lt_u32_e64 s12, 3, v35
	v_cmp_lt_u32_e64 s14, 7, v35
	s_wait_alu 0xf1ff
	v_cndmask_b32_e64 v37, v37, 0, s9
	s_delay_alu instid0(VALU_DEP_1) | instskip(NEXT) | instid1(VALU_DEP_1)
	v_add_nc_u32_e32 v19, v37, v19
	v_mov_b32_dpp v37, v19 row_shr:2 row_mask:0xf bank_mask:0xf
	s_delay_alu instid0(VALU_DEP_1) | instskip(NEXT) | instid1(VALU_DEP_1)
	v_cndmask_b32_e64 v37, 0, v37, s11
	v_add_nc_u32_e32 v19, v19, v37
	s_delay_alu instid0(VALU_DEP_1) | instskip(NEXT) | instid1(VALU_DEP_1)
	v_mov_b32_dpp v37, v19 row_shr:4 row_mask:0xf bank_mask:0xf
	v_cndmask_b32_e64 v37, 0, v37, s12
	s_delay_alu instid0(VALU_DEP_1) | instskip(NEXT) | instid1(VALU_DEP_1)
	v_add_nc_u32_e32 v19, v19, v37
	v_mov_b32_dpp v37, v19 row_shr:8 row_mask:0xf bank_mask:0xf
	s_delay_alu instid0(VALU_DEP_1) | instskip(NEXT) | instid1(VALU_DEP_1)
	v_cndmask_b32_e64 v35, 0, v37, s14
	v_add_nc_u32_e32 v37, v19, v35
	v_bfe_i32 v35, v69, 4, 1
	ds_swizzle_b32 v19, v37 offset:swizzle(BROADCAST,32,15)
	s_wait_dscnt 0x0
	v_and_b32_e32 v87, v35, v19
	v_mul_i32_i24_e32 v19, 0xffffffe4, v46
	v_lshlrev_b32_e32 v35, 2, v68
	s_delay_alu instid0(VALU_DEP_3)
	v_add_nc_u32_e32 v37, v37, v87
	s_and_saveexec_b32 s8, s15
; %bb.100:
	ds_store_b32 v35, v37
; %bb.101:
	s_wait_alu 0xfffe
	s_or_b32 exec_lo, exec_lo, s8
	v_and_b32_e32 v34, 7, v69
	v_cmp_gt_u32_e64 s16, 8, v46
	s_wait_loadcnt_dscnt 0x0
	s_barrier_signal -1
	s_barrier_wait -1
	v_cmp_eq_u32_e64 s13, 0, v34
	v_cmp_lt_u32_e64 s10, 1, v34
	v_cmp_lt_u32_e32 vcc_lo, 3, v34
	v_add_nc_u32_e32 v34, v67, v19
	global_inv scope:SCOPE_SE
	s_and_saveexec_b32 s8, s16
	s_cbranch_execz .LBB226_103
; %bb.102:
	ds_load_b32 v19, v34
	s_wait_dscnt 0x0
	v_mov_b32_dpp v68, v19 row_shr:1 row_mask:0xf bank_mask:0xf
	s_wait_alu 0xf1ff
	s_delay_alu instid0(VALU_DEP_1) | instskip(NEXT) | instid1(VALU_DEP_1)
	v_cndmask_b32_e64 v68, v68, 0, s13
	v_add_nc_u32_e32 v19, v68, v19
	s_delay_alu instid0(VALU_DEP_1) | instskip(NEXT) | instid1(VALU_DEP_1)
	v_mov_b32_dpp v68, v19 row_shr:2 row_mask:0xf bank_mask:0xf
	v_cndmask_b32_e64 v68, 0, v68, s10
	s_delay_alu instid0(VALU_DEP_1) | instskip(NEXT) | instid1(VALU_DEP_1)
	v_add_nc_u32_e32 v19, v19, v68
	v_mov_b32_dpp v68, v19 row_shr:4 row_mask:0xf bank_mask:0xf
	s_wait_alu 0xfffd
	s_delay_alu instid0(VALU_DEP_1) | instskip(NEXT) | instid1(VALU_DEP_1)
	v_cndmask_b32_e32 v68, 0, v68, vcc_lo
	v_add_nc_u32_e32 v19, v19, v68
	ds_store_b32 v34, v19
.LBB226_103:
	s_wait_alu 0xfffe
	s_or_b32 exec_lo, exec_lo, s8
	v_mul_u32_u24_e32 v19, 6, v36
	v_sub_co_u32 v68, s8, v69, 1
	v_cmp_lt_u32_e64 s18, 31, v46
	v_add_nc_u32_e32 v36, -4, v35
	v_mov_b32_e32 v70, 0
	s_wait_loadcnt_dscnt 0x0
	s_barrier_signal -1
	s_barrier_wait -1
	global_inv scope:SCOPE_SE
	s_and_saveexec_b32 s19, s18
; %bb.104:
	ds_load_b32 v70, v36
; %bb.105:
	s_wait_alu 0xfffe
	s_or_b32 exec_lo, exec_lo, s19
	v_cmp_gt_i32_e64 s19, 0, v68
	s_mov_b32 s24, 0
	s_min_u32 s20, s20, 8
	s_mov_b32 s25, s24
	s_mov_b32 s26, s24
	v_cndmask_b32_e64 v68, v68, v69, s19
	s_mov_b32 s27, s24
	s_wait_dscnt 0x0
	v_add_nc_u32_e32 v69, v70, v37
	v_cmp_eq_u32_e64 s19, 0, v46
	s_wait_alu 0xfffe
	s_lshl_b32 s20, -1, s20
	v_lshlrev_b32_e32 v37, 2, v68
	s_wait_alu 0xfffe
	s_not_b32 s23, s20
	ds_bpermute_b32 v68, v37, v69
	s_wait_dscnt 0x0
	v_cndmask_b32_e64 v68, v68, v70, s8
	s_delay_alu instid0(VALU_DEP_1) | instskip(NEXT) | instid1(VALU_DEP_1)
	v_cndmask_b32_e64 v87, v68, 0, s19
	v_add_nc_u32_e32 v88, v87, v20
	s_delay_alu instid0(VALU_DEP_1) | instskip(NEXT) | instid1(VALU_DEP_1)
	v_add_nc_u32_e32 v89, v88, v21
	v_add_nc_u32_e32 v90, v89, v22
	s_delay_alu instid0(VALU_DEP_1) | instskip(NEXT) | instid1(VALU_DEP_1)
	v_add_nc_u32_e32 v20, v90, v23
	;; [unrolled: 3-line block ×3, first 2 shown]
	v_add_nc_u32_e32 v23, v22, v18
	ds_store_b128 v67, v[87:90] offset:32
	ds_store_b128 v67, v[20:23] offset:48
	s_wait_loadcnt_dscnt 0x0
	s_barrier_signal -1
	s_barrier_wait -1
	global_inv scope:SCOPE_SE
	ds_load_b32 v16, v39 offset:32
	ds_load_b32 v17, v48 offset:32
	;; [unrolled: 1-line block ×8, first 2 shown]
	v_add_nc_u32_e32 v48, v25, v19
	s_wait_loadcnt_dscnt 0x0
	s_barrier_signal -1
	s_barrier_wait -1
	global_inv scope:SCOPE_SE
	v_add_nc_u32_e32 v38, v16, v38
	v_add3_u32 v40, v47, v40, v17
	v_add3_u32 v47, v50, v49, v18
	;; [unrolled: 1-line block ×7, first 2 shown]
	v_lshlrev_b32_e32 v16, 1, v38
	v_lshlrev_b32_e32 v17, 1, v40
	;; [unrolled: 1-line block ×8, first 2 shown]
	ds_store_b16 v16, v26
	ds_store_b16 v17, v27
	;; [unrolled: 1-line block ×8, first 2 shown]
	s_wait_loadcnt_dscnt 0x0
	s_barrier_signal -1
	s_barrier_wait -1
	global_inv scope:SCOPE_SE
	ds_load_u16 v26, v25
	ds_load_u16 v27, v25 offset:64
	ds_load_u16 v28, v25 offset:128
	;; [unrolled: 1-line block ×7, first 2 shown]
	v_mad_co_u64_u32 v[38:39], null, v38, 6, v[16:17]
	v_mad_co_u64_u32 v[16:17], null, v40, 6, v[17:18]
	;; [unrolled: 1-line block ×3, first 2 shown]
	s_wait_loadcnt_dscnt 0x0
	s_barrier_signal -1
	s_barrier_wait -1
	global_inv scope:SCOPE_SE
	v_mad_co_u64_u32 v[18:19], null, v49, 6, v[19:20]
	v_lshrrev_b16 v33, 8, v26
	v_cmp_ne_u16_e64 s20, 0x8000, v26
	ds_store_b64 v38, v[8:9]
	v_mad_co_u64_u32 v[19:20], null, v50, 6, v[20:21]
	v_mad_co_u64_u32 v[20:21], null, v68, 6, v[21:22]
	s_wait_alu 0xf1ff
	v_cndmask_b32_e64 v33, 0x7f, v33, s20
	v_mad_co_u64_u32 v[21:22], null, v69, 6, v[22:23]
	v_mad_co_u64_u32 v[22:23], null, v70, 6, v[23:24]
	s_delay_alu instid0(VALU_DEP_3)
	v_and_b32_e32 v8, 0xffff, v33
	ds_store_b64 v16, v[10:11]
	ds_store_b64 v17, v[0:1]
	;; [unrolled: 1-line block ×7, first 2 shown]
	s_wait_alu 0xfffe
	v_and_b32_e32 v23, s23, v8
	s_wait_loadcnt_dscnt 0x0
	s_barrier_signal -1
	s_barrier_wait -1
	global_inv scope:SCOPE_SE
	v_and_b32_e32 v0, 1, v23
	v_lshlrev_b32_e32 v1, 30, v23
	v_lshlrev_b32_e32 v2, 29, v23
	;; [unrolled: 1-line block ×4, first 2 shown]
	v_add_co_u32 v0, s20, v0, -1
	s_wait_alu 0xf1ff
	v_cndmask_b32_e64 v4, 0, 1, s20
	v_not_b32_e32 v8, v1
	v_cmp_gt_i32_e64 s21, 0, v1
	v_not_b32_e32 v1, v2
	v_lshlrev_b32_e32 v6, 26, v23
	v_cmp_ne_u32_e64 s20, 0, v4
	v_ashrrev_i32_e32 v8, 31, v8
	v_lshlrev_b32_e32 v7, 25, v23
	v_ashrrev_i32_e32 v1, 31, v1
	v_lshlrev_b32_e32 v4, 24, v23
	s_wait_alu 0xf1ff
	v_xor_b32_e32 v0, s20, v0
	v_cmp_gt_i32_e64 s20, 0, v2
	v_not_b32_e32 v2, v3
	v_xor_b32_e32 v8, s21, v8
	v_cmp_gt_i32_e64 s21, 0, v3
	v_and_b32_e32 v0, exec_lo, v0
	v_not_b32_e32 v3, v5
	v_ashrrev_i32_e32 v2, 31, v2
	s_wait_alu 0xf1ff
	v_xor_b32_e32 v1, s20, v1
	v_cmp_gt_i32_e64 s20, 0, v5
	v_and_b32_e32 v0, v0, v8
	v_not_b32_e32 v5, v6
	v_ashrrev_i32_e32 v3, 31, v3
	v_xor_b32_e32 v2, s21, v2
	v_cmp_gt_i32_e64 s21, 0, v6
	v_and_b32_e32 v0, v0, v1
	v_not_b32_e32 v1, v7
	v_ashrrev_i32_e32 v5, 31, v5
	s_wait_alu 0xf1ff
	v_xor_b32_e32 v3, s20, v3
	v_cmp_gt_i32_e64 s20, 0, v7
	v_and_b32_e32 v0, v0, v2
	v_not_b32_e32 v2, v4
	v_ashrrev_i32_e32 v1, 31, v1
	v_xor_b32_e32 v5, s21, v5
	v_cmp_gt_i32_e64 s21, 0, v4
	v_and_b32_e32 v0, v0, v3
	v_ashrrev_i32_e32 v2, 31, v2
	s_wait_alu 0xf1ff
	v_xor_b32_e32 v1, s20, v1
	v_dual_mov_b32 v17, s24 :: v_dual_mov_b32 v18, s25
	v_and_b32_e32 v0, v0, v5
	v_xor_b32_e32 v16, s21, v2
	ds_load_2addr_b64 v[4:7], v48 offset1:32
	v_dual_mov_b32 v19, s26 :: v_dual_mov_b32 v20, s27
	v_and_b32_e32 v21, v0, v1
	ds_load_2addr_b64 v[12:15], v48 offset0:64 offset1:96
	ds_load_2addr_b64 v[8:11], v48 offset0:128 offset1:160
	;; [unrolled: 1-line block ×3, first 2 shown]
	v_lshl_add_u32 v38, v23, 5, v24
	s_wait_loadcnt_dscnt 0x0
	s_barrier_signal -1
	v_and_b32_e32 v16, v21, v16
	s_barrier_wait -1
	global_inv scope:SCOPE_SE
	ds_store_b128 v67, v[17:20] offset:32
	ds_store_b128 v67, v[17:20] offset:48
	s_wait_loadcnt_dscnt 0x0
	v_mbcnt_lo_u32_b32 v33, v16, 0
	v_cmp_ne_u32_e64 s21, 0, v16
	s_barrier_signal -1
	s_barrier_wait -1
	global_inv scope:SCOPE_SE
	v_cmp_eq_u32_e64 s20, 0, v33
	; wave barrier
	s_and_b32 s21, s21, s20
	s_wait_alu 0xfffe
	s_and_saveexec_b32 s20, s21
; %bb.106:
	v_bcnt_u32_b32 v16, v16, 0
	ds_store_b32 v38, v16 offset:32
; %bb.107:
	s_wait_alu 0xfffe
	s_or_b32 exec_lo, exec_lo, s20
	v_lshrrev_b16 v16, 8, v27
	v_cmp_ne_u16_e64 s20, 0x8000, v27
	; wave barrier
	s_wait_alu 0xf1ff
	s_delay_alu instid0(VALU_DEP_1) | instskip(NEXT) | instid1(VALU_DEP_1)
	v_cndmask_b32_e64 v16, 0x7f, v16, s20
	v_and_b32_e32 v16, s23, v16
	s_delay_alu instid0(VALU_DEP_1)
	v_and_b32_e32 v17, 1, v16
	v_lshlrev_b32_e32 v18, 30, v16
	v_lshlrev_b32_e32 v19, 29, v16
	;; [unrolled: 1-line block ×4, first 2 shown]
	v_add_co_u32 v17, s20, v17, -1
	s_wait_alu 0xf1ff
	v_cndmask_b32_e64 v21, 0, 1, s20
	v_not_b32_e32 v40, v18
	v_cmp_gt_i32_e64 s21, 0, v18
	v_not_b32_e32 v18, v19
	v_lshlrev_b32_e32 v23, 26, v16
	v_cmp_ne_u32_e64 s20, 0, v21
	v_ashrrev_i32_e32 v40, 31, v40
	v_lshlrev_b32_e32 v39, 25, v16
	v_ashrrev_i32_e32 v18, 31, v18
	v_lshlrev_b32_e32 v21, 24, v16
	s_wait_alu 0xf1ff
	v_xor_b32_e32 v17, s20, v17
	v_cmp_gt_i32_e64 s20, 0, v19
	v_not_b32_e32 v19, v20
	v_xor_b32_e32 v40, s21, v40
	v_cmp_gt_i32_e64 s21, 0, v20
	v_and_b32_e32 v17, exec_lo, v17
	v_not_b32_e32 v20, v22
	v_ashrrev_i32_e32 v19, 31, v19
	s_wait_alu 0xf1ff
	v_xor_b32_e32 v18, s20, v18
	v_cmp_gt_i32_e64 s20, 0, v22
	v_and_b32_e32 v17, v17, v40
	v_not_b32_e32 v22, v23
	v_ashrrev_i32_e32 v20, 31, v20
	v_xor_b32_e32 v19, s21, v19
	v_cmp_gt_i32_e64 s21, 0, v23
	v_and_b32_e32 v17, v17, v18
	v_not_b32_e32 v18, v39
	v_ashrrev_i32_e32 v22, 31, v22
	s_wait_alu 0xf1ff
	v_xor_b32_e32 v20, s20, v20
	v_cmp_gt_i32_e64 s20, 0, v39
	v_and_b32_e32 v17, v17, v19
	v_not_b32_e32 v19, v21
	v_ashrrev_i32_e32 v18, 31, v18
	v_xor_b32_e32 v22, s21, v22
	v_cmp_gt_i32_e64 s21, 0, v21
	v_and_b32_e32 v17, v17, v20
	v_ashrrev_i32_e32 v19, 31, v19
	s_wait_alu 0xf1ff
	v_xor_b32_e32 v18, s20, v18
	v_lshl_add_u32 v47, v16, 5, v24
	v_and_b32_e32 v17, v17, v22
	v_xor_b32_e32 v16, s21, v19
	ds_load_b32 v39, v47 offset:32
	v_and_b32_e32 v17, v17, v18
	; wave barrier
	s_delay_alu instid0(VALU_DEP_1) | instskip(NEXT) | instid1(VALU_DEP_1)
	v_and_b32_e32 v16, v17, v16
	v_mbcnt_lo_u32_b32 v40, v16, 0
	v_cmp_ne_u32_e64 s21, 0, v16
	s_delay_alu instid0(VALU_DEP_2)
	v_cmp_eq_u32_e64 s20, 0, v40
	s_and_b32 s21, s21, s20
	s_wait_alu 0xfffe
	s_and_saveexec_b32 s20, s21
	s_cbranch_execz .LBB226_109
; %bb.108:
	s_wait_dscnt 0x0
	v_bcnt_u32_b32 v16, v16, v39
	ds_store_b32 v47, v16 offset:32
.LBB226_109:
	s_wait_alu 0xfffe
	s_or_b32 exec_lo, exec_lo, s20
	v_lshrrev_b16 v16, 8, v28
	v_cmp_ne_u16_e64 s20, 0x8000, v28
	; wave barrier
	s_wait_alu 0xf1ff
	s_delay_alu instid0(VALU_DEP_1) | instskip(NEXT) | instid1(VALU_DEP_1)
	v_cndmask_b32_e64 v16, 0x7f, v16, s20
	v_and_b32_e32 v16, s23, v16
	s_delay_alu instid0(VALU_DEP_1)
	v_and_b32_e32 v17, 1, v16
	v_lshlrev_b32_e32 v18, 30, v16
	v_lshlrev_b32_e32 v19, 29, v16
	;; [unrolled: 1-line block ×4, first 2 shown]
	v_add_co_u32 v17, s20, v17, -1
	s_wait_alu 0xf1ff
	v_cndmask_b32_e64 v21, 0, 1, s20
	v_not_b32_e32 v49, v18
	v_cmp_gt_i32_e64 s21, 0, v18
	v_not_b32_e32 v18, v19
	v_lshlrev_b32_e32 v23, 26, v16
	v_cmp_ne_u32_e64 s20, 0, v21
	v_ashrrev_i32_e32 v49, 31, v49
	v_lshlrev_b32_e32 v48, 25, v16
	v_ashrrev_i32_e32 v18, 31, v18
	v_lshlrev_b32_e32 v21, 24, v16
	s_wait_alu 0xf1ff
	v_xor_b32_e32 v17, s20, v17
	v_cmp_gt_i32_e64 s20, 0, v19
	v_not_b32_e32 v19, v20
	v_xor_b32_e32 v49, s21, v49
	v_cmp_gt_i32_e64 s21, 0, v20
	v_and_b32_e32 v17, exec_lo, v17
	v_not_b32_e32 v20, v22
	v_ashrrev_i32_e32 v19, 31, v19
	s_wait_alu 0xf1ff
	v_xor_b32_e32 v18, s20, v18
	v_cmp_gt_i32_e64 s20, 0, v22
	v_and_b32_e32 v17, v17, v49
	v_not_b32_e32 v22, v23
	v_ashrrev_i32_e32 v20, 31, v20
	v_xor_b32_e32 v19, s21, v19
	v_cmp_gt_i32_e64 s21, 0, v23
	v_and_b32_e32 v17, v17, v18
	v_not_b32_e32 v18, v48
	v_ashrrev_i32_e32 v22, 31, v22
	s_wait_alu 0xf1ff
	v_xor_b32_e32 v20, s20, v20
	v_cmp_gt_i32_e64 s20, 0, v48
	v_and_b32_e32 v17, v17, v19
	v_not_b32_e32 v19, v21
	v_ashrrev_i32_e32 v18, 31, v18
	v_xor_b32_e32 v22, s21, v22
	v_cmp_gt_i32_e64 s21, 0, v21
	v_and_b32_e32 v17, v17, v20
	v_ashrrev_i32_e32 v19, 31, v19
	s_wait_alu 0xf1ff
	v_xor_b32_e32 v18, s20, v18
	v_lshl_add_u32 v50, v16, 5, v24
	v_and_b32_e32 v17, v17, v22
	v_xor_b32_e32 v16, s21, v19
	ds_load_b32 v48, v50 offset:32
	v_and_b32_e32 v17, v17, v18
	; wave barrier
	s_delay_alu instid0(VALU_DEP_1) | instskip(NEXT) | instid1(VALU_DEP_1)
	v_and_b32_e32 v16, v17, v16
	v_mbcnt_lo_u32_b32 v49, v16, 0
	v_cmp_ne_u32_e64 s21, 0, v16
	s_delay_alu instid0(VALU_DEP_2)
	v_cmp_eq_u32_e64 s20, 0, v49
	s_and_b32 s21, s21, s20
	s_wait_alu 0xfffe
	s_and_saveexec_b32 s20, s21
	s_cbranch_execz .LBB226_111
; %bb.110:
	s_wait_dscnt 0x0
	v_bcnt_u32_b32 v16, v16, v48
	ds_store_b32 v50, v16 offset:32
.LBB226_111:
	s_wait_alu 0xfffe
	s_or_b32 exec_lo, exec_lo, s20
	v_lshrrev_b16 v16, 8, v29
	v_cmp_ne_u16_e64 s20, 0x8000, v29
	; wave barrier
	s_wait_alu 0xf1ff
	s_delay_alu instid0(VALU_DEP_1) | instskip(NEXT) | instid1(VALU_DEP_1)
	v_cndmask_b32_e64 v16, 0x7f, v16, s20
	v_and_b32_e32 v16, s23, v16
	s_delay_alu instid0(VALU_DEP_1)
	v_and_b32_e32 v17, 1, v16
	v_lshlrev_b32_e32 v18, 30, v16
	v_lshlrev_b32_e32 v19, 29, v16
	;; [unrolled: 1-line block ×4, first 2 shown]
	v_add_co_u32 v17, s20, v17, -1
	s_wait_alu 0xf1ff
	v_cndmask_b32_e64 v21, 0, 1, s20
	v_not_b32_e32 v69, v18
	v_cmp_gt_i32_e64 s21, 0, v18
	v_not_b32_e32 v18, v19
	v_lshlrev_b32_e32 v23, 26, v16
	v_cmp_ne_u32_e64 s20, 0, v21
	v_ashrrev_i32_e32 v69, 31, v69
	v_lshlrev_b32_e32 v68, 25, v16
	v_ashrrev_i32_e32 v18, 31, v18
	v_lshlrev_b32_e32 v21, 24, v16
	s_wait_alu 0xf1ff
	v_xor_b32_e32 v17, s20, v17
	v_cmp_gt_i32_e64 s20, 0, v19
	v_not_b32_e32 v19, v20
	v_xor_b32_e32 v69, s21, v69
	v_cmp_gt_i32_e64 s21, 0, v20
	v_and_b32_e32 v17, exec_lo, v17
	v_not_b32_e32 v20, v22
	v_ashrrev_i32_e32 v19, 31, v19
	s_wait_alu 0xf1ff
	v_xor_b32_e32 v18, s20, v18
	v_cmp_gt_i32_e64 s20, 0, v22
	v_and_b32_e32 v17, v17, v69
	v_not_b32_e32 v22, v23
	v_ashrrev_i32_e32 v20, 31, v20
	v_xor_b32_e32 v19, s21, v19
	v_cmp_gt_i32_e64 s21, 0, v23
	v_and_b32_e32 v17, v17, v18
	v_not_b32_e32 v18, v68
	v_ashrrev_i32_e32 v22, 31, v22
	s_wait_alu 0xf1ff
	v_xor_b32_e32 v20, s20, v20
	v_cmp_gt_i32_e64 s20, 0, v68
	v_and_b32_e32 v17, v17, v19
	v_not_b32_e32 v19, v21
	v_ashrrev_i32_e32 v18, 31, v18
	v_xor_b32_e32 v22, s21, v22
	v_cmp_gt_i32_e64 s21, 0, v21
	v_and_b32_e32 v17, v17, v20
	v_ashrrev_i32_e32 v19, 31, v19
	s_wait_alu 0xf1ff
	v_xor_b32_e32 v18, s20, v18
	v_lshl_add_u32 v70, v16, 5, v24
	v_and_b32_e32 v17, v17, v22
	v_xor_b32_e32 v16, s21, v19
	ds_load_b32 v68, v70 offset:32
	v_and_b32_e32 v17, v17, v18
	; wave barrier
	s_delay_alu instid0(VALU_DEP_1) | instskip(NEXT) | instid1(VALU_DEP_1)
	v_and_b32_e32 v16, v17, v16
	v_mbcnt_lo_u32_b32 v69, v16, 0
	v_cmp_ne_u32_e64 s21, 0, v16
	s_delay_alu instid0(VALU_DEP_2)
	v_cmp_eq_u32_e64 s20, 0, v69
	s_and_b32 s21, s21, s20
	s_wait_alu 0xfffe
	s_and_saveexec_b32 s20, s21
	s_cbranch_execz .LBB226_113
; %bb.112:
	s_wait_dscnt 0x0
	v_bcnt_u32_b32 v16, v16, v68
	ds_store_b32 v70, v16 offset:32
.LBB226_113:
	s_wait_alu 0xfffe
	s_or_b32 exec_lo, exec_lo, s20
	v_lshrrev_b16 v16, 8, v30
	v_cmp_ne_u16_e64 s20, 0x8000, v30
	; wave barrier
	s_wait_alu 0xf1ff
	s_delay_alu instid0(VALU_DEP_1) | instskip(NEXT) | instid1(VALU_DEP_1)
	v_cndmask_b32_e64 v16, 0x7f, v16, s20
	v_and_b32_e32 v16, s23, v16
	s_delay_alu instid0(VALU_DEP_1)
	v_and_b32_e32 v17, 1, v16
	v_lshlrev_b32_e32 v18, 30, v16
	v_lshlrev_b32_e32 v19, 29, v16
	;; [unrolled: 1-line block ×4, first 2 shown]
	v_add_co_u32 v17, s20, v17, -1
	s_wait_alu 0xf1ff
	v_cndmask_b32_e64 v21, 0, 1, s20
	v_not_b32_e32 v72, v18
	v_cmp_gt_i32_e64 s21, 0, v18
	v_not_b32_e32 v18, v19
	v_lshlrev_b32_e32 v23, 26, v16
	v_cmp_ne_u32_e64 s20, 0, v21
	v_ashrrev_i32_e32 v72, 31, v72
	v_lshlrev_b32_e32 v71, 25, v16
	v_ashrrev_i32_e32 v18, 31, v18
	v_lshlrev_b32_e32 v21, 24, v16
	s_wait_alu 0xf1ff
	v_xor_b32_e32 v17, s20, v17
	v_cmp_gt_i32_e64 s20, 0, v19
	v_not_b32_e32 v19, v20
	v_xor_b32_e32 v72, s21, v72
	v_cmp_gt_i32_e64 s21, 0, v20
	v_and_b32_e32 v17, exec_lo, v17
	v_not_b32_e32 v20, v22
	v_ashrrev_i32_e32 v19, 31, v19
	s_wait_alu 0xf1ff
	v_xor_b32_e32 v18, s20, v18
	v_cmp_gt_i32_e64 s20, 0, v22
	v_and_b32_e32 v17, v17, v72
	v_not_b32_e32 v22, v23
	v_ashrrev_i32_e32 v20, 31, v20
	v_xor_b32_e32 v19, s21, v19
	v_cmp_gt_i32_e64 s21, 0, v23
	v_and_b32_e32 v17, v17, v18
	v_not_b32_e32 v18, v71
	v_ashrrev_i32_e32 v22, 31, v22
	s_wait_alu 0xf1ff
	v_xor_b32_e32 v20, s20, v20
	v_cmp_gt_i32_e64 s20, 0, v71
	v_and_b32_e32 v17, v17, v19
	v_not_b32_e32 v19, v21
	v_ashrrev_i32_e32 v18, 31, v18
	v_xor_b32_e32 v22, s21, v22
	v_cmp_gt_i32_e64 s21, 0, v21
	v_and_b32_e32 v17, v17, v20
	v_ashrrev_i32_e32 v19, 31, v19
	s_wait_alu 0xf1ff
	v_xor_b32_e32 v18, s20, v18
	v_lshl_add_u32 v73, v16, 5, v24
	v_and_b32_e32 v17, v17, v22
	v_xor_b32_e32 v16, s21, v19
	ds_load_b32 v71, v73 offset:32
	v_and_b32_e32 v17, v17, v18
	; wave barrier
	s_delay_alu instid0(VALU_DEP_1) | instskip(NEXT) | instid1(VALU_DEP_1)
	v_and_b32_e32 v16, v17, v16
	v_mbcnt_lo_u32_b32 v72, v16, 0
	v_cmp_ne_u32_e64 s21, 0, v16
	s_delay_alu instid0(VALU_DEP_2)
	v_cmp_eq_u32_e64 s20, 0, v72
	s_and_b32 s21, s21, s20
	s_wait_alu 0xfffe
	s_and_saveexec_b32 s20, s21
	s_cbranch_execz .LBB226_115
; %bb.114:
	s_wait_dscnt 0x0
	v_bcnt_u32_b32 v16, v16, v71
	ds_store_b32 v73, v16 offset:32
.LBB226_115:
	s_wait_alu 0xfffe
	s_or_b32 exec_lo, exec_lo, s20
	v_lshrrev_b16 v16, 8, v31
	v_cmp_ne_u16_e64 s20, 0x8000, v31
	; wave barrier
	s_wait_alu 0xf1ff
	s_delay_alu instid0(VALU_DEP_1) | instskip(NEXT) | instid1(VALU_DEP_1)
	v_cndmask_b32_e64 v16, 0x7f, v16, s20
	v_and_b32_e32 v16, s23, v16
	s_delay_alu instid0(VALU_DEP_1)
	v_and_b32_e32 v17, 1, v16
	v_lshlrev_b32_e32 v18, 30, v16
	v_lshlrev_b32_e32 v19, 29, v16
	;; [unrolled: 1-line block ×4, first 2 shown]
	v_add_co_u32 v17, s20, v17, -1
	s_wait_alu 0xf1ff
	v_cndmask_b32_e64 v21, 0, 1, s20
	v_not_b32_e32 v75, v18
	v_cmp_gt_i32_e64 s21, 0, v18
	v_not_b32_e32 v18, v19
	v_lshlrev_b32_e32 v23, 26, v16
	v_cmp_ne_u32_e64 s20, 0, v21
	v_ashrrev_i32_e32 v75, 31, v75
	v_lshlrev_b32_e32 v74, 25, v16
	v_ashrrev_i32_e32 v18, 31, v18
	v_lshlrev_b32_e32 v21, 24, v16
	s_wait_alu 0xf1ff
	v_xor_b32_e32 v17, s20, v17
	v_cmp_gt_i32_e64 s20, 0, v19
	v_not_b32_e32 v19, v20
	v_xor_b32_e32 v75, s21, v75
	v_cmp_gt_i32_e64 s21, 0, v20
	v_and_b32_e32 v17, exec_lo, v17
	v_not_b32_e32 v20, v22
	v_ashrrev_i32_e32 v19, 31, v19
	s_wait_alu 0xf1ff
	v_xor_b32_e32 v18, s20, v18
	v_cmp_gt_i32_e64 s20, 0, v22
	v_and_b32_e32 v17, v17, v75
	v_not_b32_e32 v22, v23
	v_ashrrev_i32_e32 v20, 31, v20
	v_xor_b32_e32 v19, s21, v19
	v_cmp_gt_i32_e64 s21, 0, v23
	v_and_b32_e32 v17, v17, v18
	v_not_b32_e32 v18, v74
	v_ashrrev_i32_e32 v22, 31, v22
	s_wait_alu 0xf1ff
	v_xor_b32_e32 v20, s20, v20
	v_cmp_gt_i32_e64 s20, 0, v74
	v_and_b32_e32 v17, v17, v19
	v_not_b32_e32 v19, v21
	v_ashrrev_i32_e32 v18, 31, v18
	v_xor_b32_e32 v22, s21, v22
	v_cmp_gt_i32_e64 s21, 0, v21
	v_and_b32_e32 v17, v17, v20
	v_ashrrev_i32_e32 v19, 31, v19
	s_wait_alu 0xf1ff
	v_xor_b32_e32 v18, s20, v18
	v_lshl_add_u32 v76, v16, 5, v24
	v_and_b32_e32 v17, v17, v22
	v_xor_b32_e32 v16, s21, v19
	ds_load_b32 v74, v76 offset:32
	v_and_b32_e32 v17, v17, v18
	; wave barrier
	s_delay_alu instid0(VALU_DEP_1) | instskip(NEXT) | instid1(VALU_DEP_1)
	v_and_b32_e32 v16, v17, v16
	v_mbcnt_lo_u32_b32 v75, v16, 0
	v_cmp_ne_u32_e64 s21, 0, v16
	s_delay_alu instid0(VALU_DEP_2)
	v_cmp_eq_u32_e64 s20, 0, v75
	s_and_b32 s21, s21, s20
	s_wait_alu 0xfffe
	s_and_saveexec_b32 s20, s21
	s_cbranch_execz .LBB226_117
; %bb.116:
	s_wait_dscnt 0x0
	v_bcnt_u32_b32 v16, v16, v74
	ds_store_b32 v76, v16 offset:32
.LBB226_117:
	s_wait_alu 0xfffe
	s_or_b32 exec_lo, exec_lo, s20
	v_lshrrev_b16 v16, 8, v32
	v_cmp_ne_u16_e64 s20, 0x8000, v32
	; wave barrier
	s_wait_alu 0xf1ff
	s_delay_alu instid0(VALU_DEP_1) | instskip(NEXT) | instid1(VALU_DEP_1)
	v_cndmask_b32_e64 v16, 0x7f, v16, s20
	v_and_b32_e32 v16, s23, v16
	s_delay_alu instid0(VALU_DEP_1)
	v_and_b32_e32 v17, 1, v16
	v_lshlrev_b32_e32 v18, 30, v16
	v_lshlrev_b32_e32 v19, 29, v16
	;; [unrolled: 1-line block ×4, first 2 shown]
	v_add_co_u32 v17, s20, v17, -1
	s_wait_alu 0xf1ff
	v_cndmask_b32_e64 v21, 0, 1, s20
	v_not_b32_e32 v78, v18
	v_cmp_gt_i32_e64 s21, 0, v18
	v_not_b32_e32 v18, v19
	v_lshlrev_b32_e32 v23, 26, v16
	v_cmp_ne_u32_e64 s20, 0, v21
	v_ashrrev_i32_e32 v78, 31, v78
	v_lshlrev_b32_e32 v77, 25, v16
	v_ashrrev_i32_e32 v18, 31, v18
	v_lshlrev_b32_e32 v21, 24, v16
	s_wait_alu 0xf1ff
	v_xor_b32_e32 v17, s20, v17
	v_cmp_gt_i32_e64 s20, 0, v19
	v_not_b32_e32 v19, v20
	v_xor_b32_e32 v78, s21, v78
	v_cmp_gt_i32_e64 s21, 0, v20
	v_and_b32_e32 v17, exec_lo, v17
	v_not_b32_e32 v20, v22
	v_ashrrev_i32_e32 v19, 31, v19
	s_wait_alu 0xf1ff
	v_xor_b32_e32 v18, s20, v18
	v_cmp_gt_i32_e64 s20, 0, v22
	v_and_b32_e32 v17, v17, v78
	v_not_b32_e32 v22, v23
	v_ashrrev_i32_e32 v20, 31, v20
	v_xor_b32_e32 v19, s21, v19
	v_cmp_gt_i32_e64 s21, 0, v23
	v_and_b32_e32 v17, v17, v18
	v_not_b32_e32 v18, v77
	v_ashrrev_i32_e32 v22, 31, v22
	s_wait_alu 0xf1ff
	v_xor_b32_e32 v20, s20, v20
	v_cmp_gt_i32_e64 s20, 0, v77
	v_and_b32_e32 v17, v17, v19
	v_not_b32_e32 v19, v21
	v_ashrrev_i32_e32 v18, 31, v18
	v_xor_b32_e32 v22, s21, v22
	v_cmp_gt_i32_e64 s21, 0, v21
	v_and_b32_e32 v17, v17, v20
	v_ashrrev_i32_e32 v19, 31, v19
	s_wait_alu 0xf1ff
	v_xor_b32_e32 v18, s20, v18
	v_lshl_add_u32 v79, v16, 5, v24
	v_and_b32_e32 v17, v17, v22
	v_xor_b32_e32 v16, s21, v19
	ds_load_b32 v77, v79 offset:32
	v_and_b32_e32 v17, v17, v18
	; wave barrier
	s_delay_alu instid0(VALU_DEP_1) | instskip(NEXT) | instid1(VALU_DEP_1)
	v_and_b32_e32 v16, v17, v16
	v_mbcnt_lo_u32_b32 v78, v16, 0
	v_cmp_ne_u32_e64 s21, 0, v16
	s_delay_alu instid0(VALU_DEP_2)
	v_cmp_eq_u32_e64 s20, 0, v78
	s_and_b32 s21, s21, s20
	s_wait_alu 0xfffe
	s_and_saveexec_b32 s20, s21
	s_cbranch_execz .LBB226_119
; %bb.118:
	s_wait_dscnt 0x0
	v_bcnt_u32_b32 v16, v16, v77
	ds_store_b32 v79, v16 offset:32
.LBB226_119:
	s_wait_alu 0xfffe
	s_or_b32 exec_lo, exec_lo, s20
	v_lshrrev_b16 v16, 8, v25
	v_cmp_ne_u16_e64 s20, 0x8000, v25
	; wave barrier
	s_wait_alu 0xf1ff
	s_delay_alu instid0(VALU_DEP_1) | instskip(NEXT) | instid1(VALU_DEP_1)
	v_cndmask_b32_e64 v16, 0x7f, v16, s20
	v_and_b32_e32 v16, s23, v16
	s_delay_alu instid0(VALU_DEP_1)
	v_and_b32_e32 v17, 1, v16
	v_lshlrev_b32_e32 v18, 30, v16
	v_lshlrev_b32_e32 v19, 29, v16
	;; [unrolled: 1-line block ×4, first 2 shown]
	v_add_co_u32 v17, s20, v17, -1
	s_wait_alu 0xf1ff
	v_cndmask_b32_e64 v21, 0, 1, s20
	v_not_b32_e32 v81, v18
	v_cmp_gt_i32_e64 s21, 0, v18
	v_not_b32_e32 v18, v19
	v_lshlrev_b32_e32 v23, 26, v16
	v_cmp_ne_u32_e64 s20, 0, v21
	v_ashrrev_i32_e32 v81, 31, v81
	v_lshlrev_b32_e32 v80, 25, v16
	v_ashrrev_i32_e32 v18, 31, v18
	v_lshlrev_b32_e32 v21, 24, v16
	s_wait_alu 0xf1ff
	v_xor_b32_e32 v17, s20, v17
	v_cmp_gt_i32_e64 s20, 0, v19
	v_not_b32_e32 v19, v20
	v_xor_b32_e32 v81, s21, v81
	v_cmp_gt_i32_e64 s21, 0, v20
	v_and_b32_e32 v17, exec_lo, v17
	v_not_b32_e32 v20, v22
	v_ashrrev_i32_e32 v19, 31, v19
	s_wait_alu 0xf1ff
	v_xor_b32_e32 v18, s20, v18
	v_cmp_gt_i32_e64 s20, 0, v22
	v_and_b32_e32 v17, v17, v81
	v_not_b32_e32 v22, v23
	v_ashrrev_i32_e32 v20, 31, v20
	v_xor_b32_e32 v19, s21, v19
	v_cmp_gt_i32_e64 s21, 0, v23
	v_and_b32_e32 v17, v17, v18
	v_not_b32_e32 v18, v80
	v_ashrrev_i32_e32 v22, 31, v22
	s_wait_alu 0xf1ff
	v_xor_b32_e32 v20, s20, v20
	v_cmp_gt_i32_e64 s20, 0, v80
	v_and_b32_e32 v17, v17, v19
	v_not_b32_e32 v19, v21
	v_ashrrev_i32_e32 v18, 31, v18
	v_xor_b32_e32 v22, s21, v22
	v_cmp_gt_i32_e64 s21, 0, v21
	v_and_b32_e32 v17, v17, v20
	v_ashrrev_i32_e32 v19, 31, v19
	s_wait_alu 0xf1ff
	v_xor_b32_e32 v18, s20, v18
	v_lshl_add_u32 v81, v16, 5, v24
	v_and_b32_e32 v17, v17, v22
	v_xor_b32_e32 v16, s21, v19
	ds_load_b32 v24, v81 offset:32
	v_and_b32_e32 v17, v17, v18
	; wave barrier
	s_delay_alu instid0(VALU_DEP_1) | instskip(NEXT) | instid1(VALU_DEP_1)
	v_and_b32_e32 v16, v17, v16
	v_mbcnt_lo_u32_b32 v80, v16, 0
	v_cmp_ne_u32_e64 s21, 0, v16
	s_delay_alu instid0(VALU_DEP_2)
	v_cmp_eq_u32_e64 s20, 0, v80
	s_and_b32 s21, s21, s20
	s_wait_alu 0xfffe
	s_and_saveexec_b32 s20, s21
	s_cbranch_execz .LBB226_121
; %bb.120:
	s_wait_dscnt 0x0
	v_bcnt_u32_b32 v16, v16, v24
	ds_store_b32 v81, v16 offset:32
.LBB226_121:
	s_wait_alu 0xfffe
	s_or_b32 exec_lo, exec_lo, s20
	; wave barrier
	s_wait_loadcnt_dscnt 0x0
	s_barrier_signal -1
	s_barrier_wait -1
	global_inv scope:SCOPE_SE
	ds_load_b128 v[20:23], v67 offset:32
	ds_load_b128 v[16:19], v67 offset:48
	s_wait_dscnt 0x1
	v_add_nc_u32_e32 v82, v21, v20
	s_delay_alu instid0(VALU_DEP_1) | instskip(SKIP_1) | instid1(VALU_DEP_1)
	v_add3_u32 v82, v82, v22, v23
	s_wait_dscnt 0x0
	v_add3_u32 v82, v82, v16, v17
	s_delay_alu instid0(VALU_DEP_1) | instskip(NEXT) | instid1(VALU_DEP_1)
	v_add3_u32 v19, v82, v18, v19
	v_mov_b32_dpp v82, v19 row_shr:1 row_mask:0xf bank_mask:0xf
	s_delay_alu instid0(VALU_DEP_1) | instskip(NEXT) | instid1(VALU_DEP_1)
	v_cndmask_b32_e64 v82, v82, 0, s9
	v_add_nc_u32_e32 v19, v82, v19
	s_delay_alu instid0(VALU_DEP_1) | instskip(NEXT) | instid1(VALU_DEP_1)
	v_mov_b32_dpp v82, v19 row_shr:2 row_mask:0xf bank_mask:0xf
	v_cndmask_b32_e64 v82, 0, v82, s11
	s_delay_alu instid0(VALU_DEP_1) | instskip(NEXT) | instid1(VALU_DEP_1)
	v_add_nc_u32_e32 v19, v19, v82
	v_mov_b32_dpp v82, v19 row_shr:4 row_mask:0xf bank_mask:0xf
	s_delay_alu instid0(VALU_DEP_1) | instskip(NEXT) | instid1(VALU_DEP_1)
	v_cndmask_b32_e64 v82, 0, v82, s12
	v_add_nc_u32_e32 v19, v19, v82
	s_delay_alu instid0(VALU_DEP_1) | instskip(NEXT) | instid1(VALU_DEP_1)
	v_mov_b32_dpp v82, v19 row_shr:8 row_mask:0xf bank_mask:0xf
	v_cndmask_b32_e64 v82, 0, v82, s14
	s_delay_alu instid0(VALU_DEP_1) | instskip(SKIP_3) | instid1(VALU_DEP_1)
	v_add_nc_u32_e32 v19, v19, v82
	ds_swizzle_b32 v82, v19 offset:swizzle(BROADCAST,32,15)
	s_wait_dscnt 0x0
	v_cndmask_b32_e64 v82, v82, 0, s17
	v_add_nc_u32_e32 v19, v19, v82
	s_and_saveexec_b32 s9, s15
; %bb.122:
	ds_store_b32 v35, v19
; %bb.123:
	s_wait_alu 0xfffe
	s_or_b32 exec_lo, exec_lo, s9
	s_wait_loadcnt_dscnt 0x0
	s_barrier_signal -1
	s_barrier_wait -1
	global_inv scope:SCOPE_SE
	s_and_saveexec_b32 s9, s16
	s_cbranch_execz .LBB226_125
; %bb.124:
	ds_load_b32 v35, v34
	s_wait_dscnt 0x0
	v_mov_b32_dpp v82, v35 row_shr:1 row_mask:0xf bank_mask:0xf
	s_delay_alu instid0(VALU_DEP_1) | instskip(NEXT) | instid1(VALU_DEP_1)
	v_cndmask_b32_e64 v82, v82, 0, s13
	v_add_nc_u32_e32 v35, v82, v35
	s_delay_alu instid0(VALU_DEP_1) | instskip(NEXT) | instid1(VALU_DEP_1)
	v_mov_b32_dpp v82, v35 row_shr:2 row_mask:0xf bank_mask:0xf
	v_cndmask_b32_e64 v82, 0, v82, s10
	s_delay_alu instid0(VALU_DEP_1) | instskip(NEXT) | instid1(VALU_DEP_1)
	v_add_nc_u32_e32 v35, v35, v82
	v_mov_b32_dpp v82, v35 row_shr:4 row_mask:0xf bank_mask:0xf
	s_wait_alu 0xfffd
	s_delay_alu instid0(VALU_DEP_1) | instskip(NEXT) | instid1(VALU_DEP_1)
	v_cndmask_b32_e32 v82, 0, v82, vcc_lo
	v_add_nc_u32_e32 v35, v35, v82
	ds_store_b32 v34, v35
.LBB226_125:
	s_wait_alu 0xfffe
	s_or_b32 exec_lo, exec_lo, s9
	v_mov_b32_e32 v34, 0
	s_wait_loadcnt_dscnt 0x0
	s_barrier_signal -1
	s_barrier_wait -1
	global_inv scope:SCOPE_SE
	s_and_saveexec_b32 s9, s18
; %bb.126:
	ds_load_b32 v34, v36
; %bb.127:
	s_wait_alu 0xfffe
	s_or_b32 exec_lo, exec_lo, s9
	s_wait_dscnt 0x0
	v_add_nc_u32_e32 v19, v34, v19
	ds_bpermute_b32 v19, v37, v19
	s_wait_dscnt 0x0
	v_cndmask_b32_e64 v19, v19, v34, s8
	s_delay_alu instid0(VALU_DEP_1) | instskip(NEXT) | instid1(VALU_DEP_1)
	v_cndmask_b32_e64 v19, v19, 0, s19
	v_add_nc_u32_e32 v20, v19, v20
	s_delay_alu instid0(VALU_DEP_1) | instskip(NEXT) | instid1(VALU_DEP_1)
	v_add_nc_u32_e32 v21, v20, v21
	v_add_nc_u32_e32 v22, v21, v22
	s_delay_alu instid0(VALU_DEP_1) | instskip(NEXT) | instid1(VALU_DEP_1)
	v_add_nc_u32_e32 v34, v22, v23
	v_add_nc_u32_e32 v35, v34, v16
	s_delay_alu instid0(VALU_DEP_1) | instskip(NEXT) | instid1(VALU_DEP_1)
	v_add_nc_u32_e32 v36, v35, v17
	v_add_nc_u32_e32 v37, v36, v18
	ds_store_b128 v67, v[19:22] offset:32
	ds_store_b128 v67, v[34:37] offset:48
	s_wait_loadcnt_dscnt 0x0
	s_barrier_signal -1
	s_barrier_wait -1
	global_inv scope:SCOPE_SE
	ds_load_b32 v16, v81 offset:32
	ds_load_b32 v17, v79 offset:32
	;; [unrolled: 1-line block ×8, first 2 shown]
	v_lshlrev_b32_e32 v34, 1, v66
	s_wait_loadcnt_dscnt 0x0
	s_barrier_signal -1
	s_barrier_wait -1
	global_inv scope:SCOPE_SE
	v_mad_u32_u24 v37, v46, 48, v34
	v_add3_u32 v35, v80, v24, v16
	v_add3_u32 v36, v78, v77, v17
	;; [unrolled: 1-line block ×3, first 2 shown]
	v_add_nc_u32_e32 v24, v19, v33
	v_add3_u32 v33, v40, v39, v20
	v_add3_u32 v39, v49, v48, v21
	;; [unrolled: 1-line block ×4, first 2 shown]
	v_lshlrev_b32_e32 v16, 1, v24
	v_lshlrev_b32_e32 v17, 1, v33
	;; [unrolled: 1-line block ×8, first 2 shown]
	ds_store_b16 v16, v26
	ds_store_b16 v17, v27
	;; [unrolled: 1-line block ×8, first 2 shown]
	v_mad_co_u64_u32 v[24:25], null, v24, 6, v[16:17]
	v_mad_co_u64_u32 v[16:17], null, v33, 6, v[17:18]
	;; [unrolled: 1-line block ×7, first 2 shown]
	s_wait_loadcnt_dscnt 0x0
	s_barrier_signal -1
	s_barrier_wait -1
	global_inv scope:SCOPE_SE
	v_mad_co_u64_u32 v[22:23], null, v35, 6, v[23:24]
	ds_load_b128 v[33:36], v34
	s_wait_loadcnt_dscnt 0x0
	s_barrier_signal -1
	s_barrier_wait -1
	global_inv scope:SCOPE_SE
	ds_store_b64 v24, v[4:5]
	ds_store_b64 v16, v[6:7]
	;; [unrolled: 1-line block ×8, first 2 shown]
	s_wait_loadcnt_dscnt 0x0
	s_barrier_signal -1
	s_barrier_wait -1
	global_inv scope:SCOPE_SE
	ds_load_b128 v[29:32], v37
	ds_load_b128 v[25:28], v37 offset:16
	ds_load_b128 v[21:24], v37 offset:32
	;; [unrolled: 1-line block ×3, first 2 shown]
	v_cmp_gt_i16_e32 vcc_lo, 0, v33
	v_lshrrev_b32_e32 v0, 16, v33
	v_lshrrev_b32_e32 v2, 16, v34
	;; [unrolled: 1-line block ×4, first 2 shown]
	s_wait_alu 0xfffd
	v_cndmask_b32_e64 v1, 0x7fff, 0, vcc_lo
	v_cmp_gt_i16_e32 vcc_lo, 0, v34
	s_wait_alu 0xfffd
	v_cndmask_b32_e64 v3, 0x7fff, 0, vcc_lo
	v_cmp_gt_i16_e32 vcc_lo, 0, v35
	;; [unrolled: 3-line block ×5, first 2 shown]
	s_delay_alu instid0(VALU_DEP_2) | instskip(SKIP_3) | instid1(VALU_DEP_3)
	v_perm_b32 v0, v0, v1, 0x5040100
	s_wait_alu 0xfffd
	v_cndmask_b32_e64 v2, 0x7fff, 0, vcc_lo
	v_cmp_gt_i16_e32 vcc_lo, 0, v4
	v_xor_b32_e32 v0, v0, v33
	s_delay_alu instid0(VALU_DEP_3) | instskip(SKIP_3) | instid1(VALU_DEP_3)
	v_perm_b32 v1, v2, v3, 0x5040100
	s_wait_alu 0xfffd
	v_cndmask_b32_e64 v4, 0x7fff, 0, vcc_lo
	v_cmp_gt_i16_e32 vcc_lo, 0, v6
	v_xor_b32_e32 v34, v1, v34
	s_delay_alu instid0(VALU_DEP_3) | instskip(SKIP_2) | instid1(VALU_DEP_2)
	v_perm_b32 v2, v4, v5, 0x5040100
	s_wait_alu 0xfffd
	v_cndmask_b32_e64 v6, 0x7fff, 0, vcc_lo
	v_xor_b32_e32 v33, v2, v35
	s_delay_alu instid0(VALU_DEP_2) | instskip(NEXT) | instid1(VALU_DEP_1)
	v_perm_b32 v3, v6, v7, 0x5040100
	v_xor_b32_e32 v35, v3, v36
.LBB226_128:
	s_wait_loadcnt_dscnt 0x0
	s_barrier_signal -1
	s_barrier_wait -1
	global_inv scope:SCOPE_SE
	ds_store_2addr_b32 v58, v0, v34 offset1:1
	ds_store_2addr_b32 v58, v33, v35 offset0:2 offset1:3
	s_wait_loadcnt_dscnt 0x0
	s_barrier_signal -1
	s_barrier_wait -1
	global_inv scope:SCOPE_SE
	ds_load_u16 v8, v45 offset:512
	ds_load_u16 v7, v52 offset:1024
	ds_load_u16 v6, v53 offset:1536
	ds_load_u16 v5, v54 offset:2048
	ds_load_u16 v4, v55 offset:2560
	ds_load_u16 v3, v56 offset:3072
	ds_load_u16 v2, v57 offset:3584
	v_mov_b32_e32 v45, 0
	s_delay_alu instid0(VALU_DEP_1) | instskip(NEXT) | instid1(VALU_DEP_1)
	v_lshlrev_b64_e32 v[0:1], 1, v[44:45]
	v_add_co_u32 v0, vcc_lo, s30, v0
	s_wait_alu 0xfffd
	s_delay_alu instid0(VALU_DEP_2)
	v_add_co_ci_u32_e64 v1, null, s31, v1, vcc_lo
	s_and_saveexec_b32 s8, s0
	s_cbranch_execnz .LBB226_147
; %bb.129:
	s_wait_alu 0xfffe
	s_or_b32 exec_lo, exec_lo, s8
	s_and_saveexec_b32 s8, s1
	s_cbranch_execnz .LBB226_148
.LBB226_130:
	s_wait_alu 0xfffe
	s_or_b32 exec_lo, exec_lo, s8
	s_and_saveexec_b32 s8, s2
	s_cbranch_execnz .LBB226_149
.LBB226_131:
	s_wait_alu 0xfffe
	s_or_b32 exec_lo, exec_lo, s8
	s_and_saveexec_b32 s8, s3
	s_cbranch_execnz .LBB226_150
.LBB226_132:
	s_wait_alu 0xfffe
	s_or_b32 exec_lo, exec_lo, s8
	s_and_saveexec_b32 s8, s4
	s_cbranch_execnz .LBB226_151
.LBB226_133:
	s_wait_alu 0xfffe
	s_or_b32 exec_lo, exec_lo, s8
	s_and_saveexec_b32 s8, s5
	s_cbranch_execnz .LBB226_152
.LBB226_134:
	s_wait_alu 0xfffe
	s_or_b32 exec_lo, exec_lo, s8
	s_and_saveexec_b32 s8, s6
	s_cbranch_execnz .LBB226_153
.LBB226_135:
	s_wait_alu 0xfffe
	s_or_b32 exec_lo, exec_lo, s8
	s_and_saveexec_b32 s8, s7
	s_cbranch_execz .LBB226_137
.LBB226_136:
	s_mul_i32 s10, s22, 0x700
	s_mov_b32 s11, 0
	s_wait_alu 0xfffe
	s_lshl_b64 s[10:11], s[10:11], 1
	s_wait_alu 0xfffe
	v_add_co_u32 v0, vcc_lo, v0, s10
	s_wait_alu 0xfffd
	v_add_co_ci_u32_e64 v1, null, s11, v1, vcc_lo
	s_wait_dscnt 0x0
	global_store_b16 v[0:1], v2, off
.LBB226_137:
	s_wait_alu 0xfffe
	s_or_b32 exec_lo, exec_lo, s8
	s_wait_storecnt 0x0
	s_wait_loadcnt_dscnt 0x0
	s_barrier_signal -1
	s_barrier_wait -1
	global_inv scope:SCOPE_SE
	ds_store_2addr_b64 v65, v[29:30], v[31:32] offset1:1
	ds_store_2addr_b64 v65, v[25:26], v[27:28] offset0:2 offset1:3
	ds_store_2addr_b64 v65, v[21:22], v[23:24] offset0:4 offset1:5
	;; [unrolled: 1-line block ×3, first 2 shown]
	s_wait_loadcnt_dscnt 0x0
	s_barrier_signal -1
	s_barrier_wait -1
	global_inv scope:SCOPE_SE
	ds_load_b64 v[14:15], v60 offset:2048
	ds_load_b64 v[12:13], v61 offset:4096
	;; [unrolled: 1-line block ×7, first 2 shown]
	v_mov_b32_e32 v42, 0
	s_delay_alu instid0(VALU_DEP_1) | instskip(NEXT) | instid1(VALU_DEP_1)
	v_lshlrev_b64_e32 v[2:3], 3, v[41:42]
	v_add_co_u32 v2, vcc_lo, s34, v2
	s_wait_alu 0xfffd
	s_delay_alu instid0(VALU_DEP_2)
	v_add_co_ci_u32_e64 v3, null, s35, v3, vcc_lo
	s_and_saveexec_b32 s8, s0
	s_cbranch_execnz .LBB226_154
; %bb.138:
	s_wait_alu 0xfffe
	s_or_b32 exec_lo, exec_lo, s8
	s_and_saveexec_b32 s0, s1
	s_cbranch_execnz .LBB226_155
.LBB226_139:
	s_or_b32 exec_lo, exec_lo, s0
	s_and_saveexec_b32 s0, s2
	s_cbranch_execnz .LBB226_156
.LBB226_140:
	s_or_b32 exec_lo, exec_lo, s0
	s_and_saveexec_b32 s0, s3
	s_cbranch_execnz .LBB226_157
.LBB226_141:
	s_or_b32 exec_lo, exec_lo, s0
	s_and_saveexec_b32 s0, s4
	s_cbranch_execnz .LBB226_158
.LBB226_142:
	s_or_b32 exec_lo, exec_lo, s0
	s_and_saveexec_b32 s0, s5
	s_cbranch_execnz .LBB226_159
.LBB226_143:
	s_or_b32 exec_lo, exec_lo, s0
	s_and_saveexec_b32 s0, s6
	s_cbranch_execnz .LBB226_160
.LBB226_144:
	s_or_b32 exec_lo, exec_lo, s0
	s_and_saveexec_b32 s0, s7
	s_cbranch_execz .LBB226_146
.LBB226_145:
	s_mul_i32 s0, s28, 0x700
	s_mov_b32 s1, 0
	s_delay_alu instid0(SALU_CYCLE_1) | instskip(NEXT) | instid1(SALU_CYCLE_1)
	s_lshl_b64 s[0:1], s[0:1], 3
	v_add_co_u32 v2, vcc_lo, v2, s0
	s_wait_alu 0xfffd
	v_add_co_ci_u32_e64 v3, null, s1, v3, vcc_lo
	s_wait_dscnt 0x0
	global_store_b64 v[2:3], v[0:1], off
.LBB226_146:
	s_nop 0
	s_sendmsg sendmsg(MSG_DEALLOC_VGPRS)
	s_endpgm
.LBB226_147:
	ds_load_u16 v9, v51
	s_wait_dscnt 0x0
	global_store_b16 v[0:1], v9, off
	s_wait_alu 0xfffe
	s_or_b32 exec_lo, exec_lo, s8
	s_and_saveexec_b32 s8, s1
	s_cbranch_execz .LBB226_130
.LBB226_148:
	s_lshl_b32 s10, s22, 8
	s_mov_b32 s11, 0
	s_wait_alu 0xfffe
	s_lshl_b64 s[10:11], s[10:11], 1
	s_wait_alu 0xfffe
	v_add_co_u32 v9, vcc_lo, v0, s10
	s_wait_alu 0xfffd
	v_add_co_ci_u32_e64 v10, null, s11, v1, vcc_lo
	s_wait_dscnt 0x6
	global_store_b16 v[9:10], v8, off
	s_or_b32 exec_lo, exec_lo, s8
	s_and_saveexec_b32 s8, s2
	s_cbranch_execz .LBB226_131
.LBB226_149:
	s_lshl_b32 s10, s22, 9
	s_mov_b32 s11, 0
	s_wait_alu 0xfffe
	s_lshl_b64 s[10:11], s[10:11], 1
	s_wait_dscnt 0x6
	s_wait_alu 0xfffe
	v_add_co_u32 v8, vcc_lo, v0, s10
	s_wait_alu 0xfffd
	v_add_co_ci_u32_e64 v9, null, s11, v1, vcc_lo
	s_wait_dscnt 0x5
	global_store_b16 v[8:9], v7, off
	s_or_b32 exec_lo, exec_lo, s8
	s_and_saveexec_b32 s8, s3
	s_cbranch_execz .LBB226_132
.LBB226_150:
	s_mul_i32 s10, s22, 0x300
	s_mov_b32 s11, 0
	s_wait_alu 0xfffe
	s_lshl_b64 s[10:11], s[10:11], 1
	s_wait_dscnt 0x5
	s_wait_alu 0xfffe
	v_add_co_u32 v7, vcc_lo, v0, s10
	s_wait_alu 0xfffd
	v_add_co_ci_u32_e64 v8, null, s11, v1, vcc_lo
	s_wait_dscnt 0x4
	global_store_b16 v[7:8], v6, off
	s_or_b32 exec_lo, exec_lo, s8
	s_and_saveexec_b32 s8, s4
	s_cbranch_execz .LBB226_133
.LBB226_151:
	s_lshl_b32 s10, s22, 10
	s_mov_b32 s11, 0
	s_wait_alu 0xfffe
	s_lshl_b64 s[10:11], s[10:11], 1
	s_wait_dscnt 0x4
	s_wait_alu 0xfffe
	v_add_co_u32 v6, vcc_lo, v0, s10
	s_wait_alu 0xfffd
	v_add_co_ci_u32_e64 v7, null, s11, v1, vcc_lo
	s_wait_dscnt 0x3
	global_store_b16 v[6:7], v5, off
	s_or_b32 exec_lo, exec_lo, s8
	s_and_saveexec_b32 s8, s5
	s_cbranch_execz .LBB226_134
.LBB226_152:
	s_mul_i32 s10, s22, 0x500
	s_mov_b32 s11, 0
	s_wait_alu 0xfffe
	s_lshl_b64 s[10:11], s[10:11], 1
	s_wait_dscnt 0x3
	s_wait_alu 0xfffe
	v_add_co_u32 v5, vcc_lo, v0, s10
	s_wait_alu 0xfffd
	v_add_co_ci_u32_e64 v6, null, s11, v1, vcc_lo
	s_wait_dscnt 0x2
	global_store_b16 v[5:6], v4, off
	s_or_b32 exec_lo, exec_lo, s8
	s_and_saveexec_b32 s8, s6
	s_cbranch_execz .LBB226_135
.LBB226_153:
	s_mul_i32 s10, s22, 0x600
	s_mov_b32 s11, 0
	s_wait_alu 0xfffe
	s_lshl_b64 s[10:11], s[10:11], 1
	s_wait_dscnt 0x2
	s_wait_alu 0xfffe
	v_add_co_u32 v4, vcc_lo, v0, s10
	s_wait_alu 0xfffd
	v_add_co_ci_u32_e64 v5, null, s11, v1, vcc_lo
	s_wait_dscnt 0x1
	global_store_b16 v[4:5], v3, off
	s_or_b32 exec_lo, exec_lo, s8
	s_and_saveexec_b32 s8, s7
	s_cbranch_execnz .LBB226_136
	s_branch .LBB226_137
.LBB226_154:
	ds_load_b64 v[16:17], v59
	s_wait_dscnt 0x0
	global_store_b64 v[2:3], v[16:17], off
	s_wait_alu 0xfffe
	s_or_b32 exec_lo, exec_lo, s8
	s_and_saveexec_b32 s0, s1
	s_cbranch_execz .LBB226_139
.LBB226_155:
	s_lshl_b32 s8, s28, 8
	s_mov_b32 s9, 0
	s_wait_alu 0xfffe
	s_lshl_b64 s[8:9], s[8:9], 3
	s_wait_alu 0xfffe
	v_add_co_u32 v16, vcc_lo, v2, s8
	s_wait_alu 0xfffd
	v_add_co_ci_u32_e64 v17, null, s9, v3, vcc_lo
	s_wait_dscnt 0x6
	global_store_b64 v[16:17], v[14:15], off
	s_or_b32 exec_lo, exec_lo, s0
	s_and_saveexec_b32 s0, s2
	s_cbranch_execz .LBB226_140
.LBB226_156:
	s_lshl_b32 s8, s28, 9
	s_mov_b32 s9, 0
	s_wait_alu 0xfffe
	s_lshl_b64 s[8:9], s[8:9], 3
	s_wait_dscnt 0x6
	s_wait_alu 0xfffe
	v_add_co_u32 v14, vcc_lo, v2, s8
	s_wait_alu 0xfffd
	v_add_co_ci_u32_e64 v15, null, s9, v3, vcc_lo
	s_wait_dscnt 0x5
	global_store_b64 v[14:15], v[12:13], off
	s_or_b32 exec_lo, exec_lo, s0
	s_and_saveexec_b32 s0, s3
	s_cbranch_execz .LBB226_141
.LBB226_157:
	s_mul_i32 s2, s28, 0x300
	s_mov_b32 s3, 0
	s_wait_alu 0xfffe
	s_lshl_b64 s[2:3], s[2:3], 3
	s_wait_dscnt 0x5
	s_wait_alu 0xfffe
	v_add_co_u32 v12, vcc_lo, v2, s2
	s_wait_alu 0xfffd
	v_add_co_ci_u32_e64 v13, null, s3, v3, vcc_lo
	s_wait_dscnt 0x4
	global_store_b64 v[12:13], v[10:11], off
	s_or_b32 exec_lo, exec_lo, s0
	s_and_saveexec_b32 s0, s4
	s_cbranch_execz .LBB226_142
.LBB226_158:
	s_lshl_b32 s2, s28, 10
	s_mov_b32 s3, 0
	s_wait_alu 0xfffe
	s_lshl_b64 s[2:3], s[2:3], 3
	s_wait_dscnt 0x4
	s_wait_alu 0xfffe
	v_add_co_u32 v10, vcc_lo, v2, s2
	s_wait_alu 0xfffd
	v_add_co_ci_u32_e64 v11, null, s3, v3, vcc_lo
	s_wait_dscnt 0x3
	global_store_b64 v[10:11], v[8:9], off
	s_or_b32 exec_lo, exec_lo, s0
	s_and_saveexec_b32 s0, s5
	s_cbranch_execz .LBB226_143
.LBB226_159:
	s_mul_i32 s2, s28, 0x500
	s_mov_b32 s3, 0
	s_wait_alu 0xfffe
	s_lshl_b64 s[2:3], s[2:3], 3
	s_wait_dscnt 0x3
	s_wait_alu 0xfffe
	v_add_co_u32 v8, vcc_lo, v2, s2
	s_wait_alu 0xfffd
	v_add_co_ci_u32_e64 v9, null, s3, v3, vcc_lo
	s_wait_dscnt 0x2
	global_store_b64 v[8:9], v[6:7], off
	s_or_b32 exec_lo, exec_lo, s0
	s_and_saveexec_b32 s0, s6
	s_cbranch_execz .LBB226_144
.LBB226_160:
	s_mul_i32 s2, s28, 0x600
	s_mov_b32 s3, 0
	s_wait_alu 0xfffe
	s_lshl_b64 s[2:3], s[2:3], 3
	s_wait_dscnt 0x2
	s_wait_alu 0xfffe
	v_add_co_u32 v6, vcc_lo, v2, s2
	s_wait_alu 0xfffd
	v_add_co_ci_u32_e64 v7, null, s3, v3, vcc_lo
	s_wait_dscnt 0x1
	global_store_b64 v[6:7], v[4:5], off
	s_or_b32 exec_lo, exec_lo, s0
	s_and_saveexec_b32 s0, s7
	s_cbranch_execnz .LBB226_145
	s_branch .LBB226_146
	.section	.rodata,"a",@progbits
	.p2align	6, 0x0
	.amdhsa_kernel _ZN2at6native18radixSortKVInPlaceILi2ELin1ELi256ELi8EN3c104HalfEljEEvNS_4cuda6detail10TensorInfoIT3_T5_EES8_S8_S8_NS6_IT4_S8_EES8_b
		.amdhsa_group_segment_fixed_size 16896
		.amdhsa_private_segment_fixed_size 0
		.amdhsa_kernarg_size 712
		.amdhsa_user_sgpr_count 2
		.amdhsa_user_sgpr_dispatch_ptr 0
		.amdhsa_user_sgpr_queue_ptr 0
		.amdhsa_user_sgpr_kernarg_segment_ptr 1
		.amdhsa_user_sgpr_dispatch_id 0
		.amdhsa_user_sgpr_private_segment_size 0
		.amdhsa_wavefront_size32 1
		.amdhsa_uses_dynamic_stack 0
		.amdhsa_enable_private_segment 0
		.amdhsa_system_sgpr_workgroup_id_x 1
		.amdhsa_system_sgpr_workgroup_id_y 1
		.amdhsa_system_sgpr_workgroup_id_z 1
		.amdhsa_system_sgpr_workgroup_info 0
		.amdhsa_system_vgpr_workitem_id 2
		.amdhsa_next_free_vgpr 113
		.amdhsa_next_free_sgpr 38
		.amdhsa_reserve_vcc 1
		.amdhsa_float_round_mode_32 0
		.amdhsa_float_round_mode_16_64 0
		.amdhsa_float_denorm_mode_32 3
		.amdhsa_float_denorm_mode_16_64 3
		.amdhsa_fp16_overflow 0
		.amdhsa_workgroup_processor_mode 1
		.amdhsa_memory_ordered 1
		.amdhsa_forward_progress 1
		.amdhsa_inst_pref_size 181
		.amdhsa_round_robin_scheduling 0
		.amdhsa_exception_fp_ieee_invalid_op 0
		.amdhsa_exception_fp_denorm_src 0
		.amdhsa_exception_fp_ieee_div_zero 0
		.amdhsa_exception_fp_ieee_overflow 0
		.amdhsa_exception_fp_ieee_underflow 0
		.amdhsa_exception_fp_ieee_inexact 0
		.amdhsa_exception_int_div_zero 0
	.end_amdhsa_kernel
	.section	.text._ZN2at6native18radixSortKVInPlaceILi2ELin1ELi256ELi8EN3c104HalfEljEEvNS_4cuda6detail10TensorInfoIT3_T5_EES8_S8_S8_NS6_IT4_S8_EES8_b,"axG",@progbits,_ZN2at6native18radixSortKVInPlaceILi2ELin1ELi256ELi8EN3c104HalfEljEEvNS_4cuda6detail10TensorInfoIT3_T5_EES8_S8_S8_NS6_IT4_S8_EES8_b,comdat
.Lfunc_end226:
	.size	_ZN2at6native18radixSortKVInPlaceILi2ELin1ELi256ELi8EN3c104HalfEljEEvNS_4cuda6detail10TensorInfoIT3_T5_EES8_S8_S8_NS6_IT4_S8_EES8_b, .Lfunc_end226-_ZN2at6native18radixSortKVInPlaceILi2ELin1ELi256ELi8EN3c104HalfEljEEvNS_4cuda6detail10TensorInfoIT3_T5_EES8_S8_S8_NS6_IT4_S8_EES8_b
                                        ; -- End function
	.set _ZN2at6native18radixSortKVInPlaceILi2ELin1ELi256ELi8EN3c104HalfEljEEvNS_4cuda6detail10TensorInfoIT3_T5_EES8_S8_S8_NS6_IT4_S8_EES8_b.num_vgpr, 113
	.set _ZN2at6native18radixSortKVInPlaceILi2ELin1ELi256ELi8EN3c104HalfEljEEvNS_4cuda6detail10TensorInfoIT3_T5_EES8_S8_S8_NS6_IT4_S8_EES8_b.num_agpr, 0
	.set _ZN2at6native18radixSortKVInPlaceILi2ELin1ELi256ELi8EN3c104HalfEljEEvNS_4cuda6detail10TensorInfoIT3_T5_EES8_S8_S8_NS6_IT4_S8_EES8_b.numbered_sgpr, 38
	.set _ZN2at6native18radixSortKVInPlaceILi2ELin1ELi256ELi8EN3c104HalfEljEEvNS_4cuda6detail10TensorInfoIT3_T5_EES8_S8_S8_NS6_IT4_S8_EES8_b.num_named_barrier, 0
	.set _ZN2at6native18radixSortKVInPlaceILi2ELin1ELi256ELi8EN3c104HalfEljEEvNS_4cuda6detail10TensorInfoIT3_T5_EES8_S8_S8_NS6_IT4_S8_EES8_b.private_seg_size, 0
	.set _ZN2at6native18radixSortKVInPlaceILi2ELin1ELi256ELi8EN3c104HalfEljEEvNS_4cuda6detail10TensorInfoIT3_T5_EES8_S8_S8_NS6_IT4_S8_EES8_b.uses_vcc, 1
	.set _ZN2at6native18radixSortKVInPlaceILi2ELin1ELi256ELi8EN3c104HalfEljEEvNS_4cuda6detail10TensorInfoIT3_T5_EES8_S8_S8_NS6_IT4_S8_EES8_b.uses_flat_scratch, 0
	.set _ZN2at6native18radixSortKVInPlaceILi2ELin1ELi256ELi8EN3c104HalfEljEEvNS_4cuda6detail10TensorInfoIT3_T5_EES8_S8_S8_NS6_IT4_S8_EES8_b.has_dyn_sized_stack, 0
	.set _ZN2at6native18radixSortKVInPlaceILi2ELin1ELi256ELi8EN3c104HalfEljEEvNS_4cuda6detail10TensorInfoIT3_T5_EES8_S8_S8_NS6_IT4_S8_EES8_b.has_recursion, 0
	.set _ZN2at6native18radixSortKVInPlaceILi2ELin1ELi256ELi8EN3c104HalfEljEEvNS_4cuda6detail10TensorInfoIT3_T5_EES8_S8_S8_NS6_IT4_S8_EES8_b.has_indirect_call, 0
	.section	.AMDGPU.csdata,"",@progbits
; Kernel info:
; codeLenInByte = 23092
; TotalNumSgprs: 40
; NumVgprs: 113
; ScratchSize: 0
; MemoryBound: 0
; FloatMode: 240
; IeeeMode: 1
; LDSByteSize: 16896 bytes/workgroup (compile time only)
; SGPRBlocks: 0
; VGPRBlocks: 14
; NumSGPRsForWavesPerEU: 40
; NumVGPRsForWavesPerEU: 113
; Occupancy: 12
; WaveLimiterHint : 1
; COMPUTE_PGM_RSRC2:SCRATCH_EN: 0
; COMPUTE_PGM_RSRC2:USER_SGPR: 2
; COMPUTE_PGM_RSRC2:TRAP_HANDLER: 0
; COMPUTE_PGM_RSRC2:TGID_X_EN: 1
; COMPUTE_PGM_RSRC2:TGID_Y_EN: 1
; COMPUTE_PGM_RSRC2:TGID_Z_EN: 1
; COMPUTE_PGM_RSRC2:TIDIG_COMP_CNT: 2
	.section	.text._ZN2at6native18radixSortKVInPlaceILi2ELin1ELi128ELi8EN3c104HalfEljEEvNS_4cuda6detail10TensorInfoIT3_T5_EES8_S8_S8_NS6_IT4_S8_EES8_b,"axG",@progbits,_ZN2at6native18radixSortKVInPlaceILi2ELin1ELi128ELi8EN3c104HalfEljEEvNS_4cuda6detail10TensorInfoIT3_T5_EES8_S8_S8_NS6_IT4_S8_EES8_b,comdat
	.protected	_ZN2at6native18radixSortKVInPlaceILi2ELin1ELi128ELi8EN3c104HalfEljEEvNS_4cuda6detail10TensorInfoIT3_T5_EES8_S8_S8_NS6_IT4_S8_EES8_b ; -- Begin function _ZN2at6native18radixSortKVInPlaceILi2ELin1ELi128ELi8EN3c104HalfEljEEvNS_4cuda6detail10TensorInfoIT3_T5_EES8_S8_S8_NS6_IT4_S8_EES8_b
	.globl	_ZN2at6native18radixSortKVInPlaceILi2ELin1ELi128ELi8EN3c104HalfEljEEvNS_4cuda6detail10TensorInfoIT3_T5_EES8_S8_S8_NS6_IT4_S8_EES8_b
	.p2align	8
	.type	_ZN2at6native18radixSortKVInPlaceILi2ELin1ELi128ELi8EN3c104HalfEljEEvNS_4cuda6detail10TensorInfoIT3_T5_EES8_S8_S8_NS6_IT4_S8_EES8_b,@function
_ZN2at6native18radixSortKVInPlaceILi2ELin1ELi128ELi8EN3c104HalfEljEEvNS_4cuda6detail10TensorInfoIT3_T5_EES8_S8_S8_NS6_IT4_S8_EES8_b: ; @_ZN2at6native18radixSortKVInPlaceILi2ELin1ELi128ELi8EN3c104HalfEljEEvNS_4cuda6detail10TensorInfoIT3_T5_EES8_S8_S8_NS6_IT4_S8_EES8_b
; %bb.0:
	s_clause 0x1
	s_load_b64 s[2:3], s[0:1], 0x1c8
	s_load_b96 s[20:22], s[0:1], 0xd8
	s_lshr_b32 s4, ttmp7, 16
	s_wait_kmcnt 0x0
	s_mul_i32 s3, s3, s4
	s_and_b32 s4, ttmp7, 0xffff
	s_delay_alu instid0(SALU_CYCLE_1) | instskip(NEXT) | instid1(SALU_CYCLE_1)
	s_add_co_i32 s3, s3, s4
	s_mul_i32 s2, s3, s2
	s_delay_alu instid0(SALU_CYCLE_1) | instskip(NEXT) | instid1(SALU_CYCLE_1)
	s_add_co_i32 s2, s2, ttmp9
	s_cmp_ge_u32 s2, s20
	s_cbranch_scc1 .LBB227_146
; %bb.1:
	s_clause 0x2
	s_load_b32 s15, s[0:1], 0xc
	s_load_b64 s[4:5], s[0:1], 0x6c
	s_load_b32 s12, s[0:1], 0x1b8
	s_add_nc_u64 s[10:11], s[0:1], 0xe8
	s_mov_b32 s14, s2
	s_wait_kmcnt 0x0
	s_cvt_f32_u32 s3, s15
	s_delay_alu instid0(SALU_CYCLE_3) | instskip(NEXT) | instid1(TRANS32_DEP_1)
	v_rcp_iflag_f32_e32 v1, s3
	v_readfirstlane_b32 s3, v1
	s_mul_f32 s3, s3, 0x4f7ffffe
	s_wait_alu 0xfffe
	s_delay_alu instid0(SALU_CYCLE_2) | instskip(SKIP_2) | instid1(SALU_CYCLE_1)
	s_cvt_u32_f32 s6, s3
	s_sub_co_i32 s3, 0, s15
	s_wait_alu 0xfffe
	s_mul_i32 s7, s3, s6
	s_mov_b32 s3, 0
	s_mul_hi_u32 s8, s6, s7
	s_wait_alu 0xfffe
	s_mov_b32 s7, s3
	s_add_co_i32 s6, s6, s8
	s_cmp_lt_i32 s12, 2
	s_mov_b32 s9, s3
	s_cbranch_scc1 .LBB227_4
; %bb.2:
	s_add_co_i32 s8, s12, -1
	s_mov_b32 s9, 0
	s_mov_b32 s14, s2
	s_lshl_b64 s[16:17], s[8:9], 2
	s_add_co_i32 s8, s12, 1
	s_add_nc_u64 s[16:17], s[10:11], s[16:17]
	s_delay_alu instid0(SALU_CYCLE_1)
	s_add_nc_u64 s[12:13], s[16:17], 8
.LBB227_3:                              ; =>This Inner Loop Header: Depth=1
	s_clause 0x1
	s_load_b32 s16, s[12:13], 0x0
	s_load_b32 s17, s[12:13], 0x64
	s_mov_b32 s20, s14
	s_add_nc_u64 s[12:13], s[12:13], -4
	s_wait_kmcnt 0x0
	s_cvt_f32_u32 s18, s16
	s_sub_co_i32 s19, 0, s16
	s_wait_alu 0xfffe
	s_delay_alu instid0(SALU_CYCLE_1) | instskip(NEXT) | instid1(TRANS32_DEP_1)
	v_rcp_iflag_f32_e32 v1, s18
	v_readfirstlane_b32 s18, v1
	s_mul_f32 s18, s18, 0x4f7ffffe
	s_wait_alu 0xfffe
	s_delay_alu instid0(SALU_CYCLE_2) | instskip(SKIP_1) | instid1(SALU_CYCLE_2)
	s_cvt_u32_f32 s18, s18
	s_wait_alu 0xfffe
	s_mul_i32 s19, s19, s18
	s_wait_alu 0xfffe
	s_mul_hi_u32 s19, s18, s19
	s_wait_alu 0xfffe
	s_add_co_i32 s18, s18, s19
	s_wait_alu 0xfffe
	s_mul_hi_u32 s14, s14, s18
	s_delay_alu instid0(SALU_CYCLE_1)
	s_mul_i32 s18, s14, s16
	s_add_co_i32 s19, s14, 1
	s_wait_alu 0xfffe
	s_sub_co_i32 s18, s20, s18
	s_wait_alu 0xfffe
	s_sub_co_i32 s23, s18, s16
	s_cmp_ge_u32 s18, s16
	s_cselect_b32 s14, s19, s14
	s_cselect_b32 s18, s23, s18
	s_add_co_i32 s19, s14, 1
	s_wait_alu 0xfffe
	s_cmp_ge_u32 s18, s16
	s_cselect_b32 s14, s19, s14
	s_add_co_i32 s8, s8, -1
	s_mul_i32 s16, s14, s16
	s_delay_alu instid0(SALU_CYCLE_1) | instskip(NEXT) | instid1(SALU_CYCLE_1)
	s_sub_co_i32 s16, s20, s16
	s_mul_i32 s16, s17, s16
	s_delay_alu instid0(SALU_CYCLE_1)
	s_add_co_i32 s9, s16, s9
	s_cmp_gt_u32 s8, 2
	s_cbranch_scc1 .LBB227_3
.LBB227_4:
	s_mul_u64 s[6:7], s[2:3], s[6:7]
	s_clause 0x1
	s_load_b64 s[12:13], s[0:1], 0x0
	s_load_b64 s[28:29], s[0:1], 0x1c0
	s_mul_i32 s3, s7, s15
	s_add_nc_u64 s[36:37], s[0:1], 0x1c8
	s_wait_alu 0xfffe
	s_sub_co_i32 s0, s2, s3
	s_add_co_i32 s1, s7, 1
	s_sub_co_i32 s3, s0, s15
	s_cmp_ge_u32 s0, s15
	s_cselect_b32 s1, s1, s7
	s_wait_alu 0xfffe
	s_cselect_b32 s0, s3, s0
	s_add_co_i32 s3, s1, 1
	s_cmp_ge_u32 s0, s15
	s_wait_alu 0xfffe
	s_cselect_b32 s0, s3, s1
	s_mov_b32 s3, 0
	s_mul_i32 s1, s0, s15
	s_mul_i32 s0, s0, s4
	s_sub_co_i32 s1, s2, s1
	s_delay_alu instid0(SALU_CYCLE_1) | instskip(NEXT) | instid1(SALU_CYCLE_1)
	s_mul_i32 s1, s1, s5
	s_add_co_i32 s2, s0, s1
	s_wait_kmcnt 0x0
	s_bitcmp1_b32 s29, 0
	s_mov_b32 s0, 0xffff
	s_cselect_b32 s8, -1, 0
	s_delay_alu instid0(SALU_CYCLE_1) | instskip(SKIP_1) | instid1(SALU_CYCLE_1)
	s_and_b32 s1, s8, exec_lo
	s_cselect_b32 s15, s0, 0x7fff
	v_dual_mov_b32 v1, s15 :: v_dual_and_b32 v46, 0x3ff, v0
	s_wait_alu 0xfffe
	s_lshl_b64 s[2:3], s[2:3], 1
	s_wait_alu 0xfffe
	s_add_nc_u64 s[30:31], s[12:13], s[2:3]
	v_mul_lo_u32 v44, s22, v46
	v_cmp_gt_u32_e64 s0, s21, v46
	s_and_saveexec_b32 s1, s0
	s_cbranch_execz .LBB227_6
; %bb.5:
	v_mov_b32_e32 v45, 0
	s_delay_alu instid0(VALU_DEP_1) | instskip(NEXT) | instid1(VALU_DEP_1)
	v_lshlrev_b64_e32 v[1:2], 1, v[44:45]
	v_add_co_u32 v1, vcc_lo, s30, v1
	s_delay_alu instid0(VALU_DEP_1)
	v_add_co_ci_u32_e64 v2, null, s31, v2, vcc_lo
	global_load_u16 v1, v[1:2], off
.LBB227_6:
	s_or_b32 exec_lo, exec_lo, s1
	v_dual_mov_b32 v2, s15 :: v_dual_add_nc_u32 v15, 0x80, v46
	s_delay_alu instid0(VALU_DEP_1)
	v_cmp_gt_u32_e64 s1, s21, v15
	s_and_saveexec_b32 s2, s1
	s_cbranch_execz .LBB227_8
; %bb.7:
	v_mul_lo_u32 v2, s22, v15
	v_mov_b32_e32 v3, 0
	s_delay_alu instid0(VALU_DEP_1) | instskip(NEXT) | instid1(VALU_DEP_1)
	v_lshlrev_b64_e32 v[2:3], 1, v[2:3]
	v_add_co_u32 v2, vcc_lo, s30, v2
	s_wait_alu 0xfffd
	s_delay_alu instid0(VALU_DEP_2)
	v_add_co_ci_u32_e64 v3, null, s31, v3, vcc_lo
	global_load_u16 v2, v[2:3], off
.LBB227_8:
	s_wait_alu 0xfffe
	s_or_b32 exec_lo, exec_lo, s2
	v_dual_mov_b32 v3, s15 :: v_dual_add_nc_u32 v16, 0x100, v46
	s_delay_alu instid0(VALU_DEP_1)
	v_cmp_gt_u32_e64 s2, s21, v16
	s_and_saveexec_b32 s3, s2
	s_cbranch_execz .LBB227_10
; %bb.9:
	v_mul_lo_u32 v3, s22, v16
	v_mov_b32_e32 v4, 0
	s_delay_alu instid0(VALU_DEP_1) | instskip(NEXT) | instid1(VALU_DEP_1)
	v_lshlrev_b64_e32 v[3:4], 1, v[3:4]
	v_add_co_u32 v3, vcc_lo, s30, v3
	s_wait_alu 0xfffd
	s_delay_alu instid0(VALU_DEP_2)
	v_add_co_ci_u32_e64 v4, null, s31, v4, vcc_lo
	global_load_u16 v3, v[3:4], off
.LBB227_10:
	s_wait_alu 0xfffe
	s_or_b32 exec_lo, exec_lo, s3
	v_dual_mov_b32 v4, s15 :: v_dual_add_nc_u32 v17, 0x180, v46
	s_delay_alu instid0(VALU_DEP_1)
	v_cmp_gt_u32_e64 s3, s21, v17
	s_and_saveexec_b32 s4, s3
	s_cbranch_execz .LBB227_12
; %bb.11:
	v_mul_lo_u32 v4, s22, v17
	v_mov_b32_e32 v5, 0
	s_delay_alu instid0(VALU_DEP_1) | instskip(NEXT) | instid1(VALU_DEP_1)
	v_lshlrev_b64_e32 v[4:5], 1, v[4:5]
	v_add_co_u32 v4, vcc_lo, s30, v4
	s_wait_alu 0xfffd
	s_delay_alu instid0(VALU_DEP_2)
	v_add_co_ci_u32_e64 v5, null, s31, v5, vcc_lo
	global_load_u16 v4, v[4:5], off
.LBB227_12:
	s_or_b32 exec_lo, exec_lo, s4
	v_dual_mov_b32 v5, s15 :: v_dual_add_nc_u32 v18, 0x200, v46
	s_delay_alu instid0(VALU_DEP_1)
	v_cmp_gt_u32_e64 s4, s21, v18
	s_and_saveexec_b32 s5, s4
	s_cbranch_execz .LBB227_14
; %bb.13:
	v_mul_lo_u32 v5, s22, v18
	v_mov_b32_e32 v6, 0
	s_delay_alu instid0(VALU_DEP_1) | instskip(NEXT) | instid1(VALU_DEP_1)
	v_lshlrev_b64_e32 v[5:6], 1, v[5:6]
	v_add_co_u32 v5, vcc_lo, s30, v5
	s_wait_alu 0xfffd
	s_delay_alu instid0(VALU_DEP_2)
	v_add_co_ci_u32_e64 v6, null, s31, v6, vcc_lo
	global_load_u16 v5, v[5:6], off
.LBB227_14:
	s_or_b32 exec_lo, exec_lo, s5
	v_dual_mov_b32 v6, s15 :: v_dual_add_nc_u32 v19, 0x280, v46
	s_delay_alu instid0(VALU_DEP_1)
	v_cmp_gt_u32_e64 s5, s21, v19
	s_and_saveexec_b32 s6, s5
	s_cbranch_execz .LBB227_16
; %bb.15:
	v_mul_lo_u32 v6, s22, v19
	v_mov_b32_e32 v7, 0
	s_delay_alu instid0(VALU_DEP_1) | instskip(NEXT) | instid1(VALU_DEP_1)
	v_lshlrev_b64_e32 v[6:7], 1, v[6:7]
	v_add_co_u32 v6, vcc_lo, s30, v6
	s_wait_alu 0xfffd
	s_delay_alu instid0(VALU_DEP_2)
	v_add_co_ci_u32_e64 v7, null, s31, v7, vcc_lo
	global_load_u16 v6, v[6:7], off
.LBB227_16:
	s_or_b32 exec_lo, exec_lo, s6
	v_dual_mov_b32 v7, s15 :: v_dual_add_nc_u32 v20, 0x300, v46
	s_delay_alu instid0(VALU_DEP_1)
	v_cmp_gt_u32_e64 s6, s21, v20
	s_and_saveexec_b32 s7, s6
	s_cbranch_execz .LBB227_18
; %bb.17:
	v_mul_lo_u32 v7, s22, v20
	v_mov_b32_e32 v8, 0
	s_delay_alu instid0(VALU_DEP_1) | instskip(NEXT) | instid1(VALU_DEP_1)
	v_lshlrev_b64_e32 v[7:8], 1, v[7:8]
	v_add_co_u32 v7, vcc_lo, s30, v7
	s_wait_alu 0xfffd
	s_delay_alu instid0(VALU_DEP_2)
	v_add_co_ci_u32_e64 v8, null, s31, v8, vcc_lo
	global_load_u16 v7, v[7:8], off
.LBB227_18:
	s_or_b32 exec_lo, exec_lo, s7
	s_clause 0x1
	s_load_b32 s12, s[10:11], 0x6c
	s_load_b64 s[10:11], s[10:11], 0x0
	v_dual_mov_b32 v8, s15 :: v_dual_add_nc_u32 v21, 0x380, v46
	s_delay_alu instid0(VALU_DEP_1)
	v_cmp_gt_u32_e64 s7, s21, v21
	s_and_saveexec_b32 s13, s7
	s_cbranch_execz .LBB227_20
; %bb.19:
	v_mul_lo_u32 v8, s22, v21
	v_mov_b32_e32 v9, 0
	s_delay_alu instid0(VALU_DEP_1) | instskip(NEXT) | instid1(VALU_DEP_1)
	v_lshlrev_b64_e32 v[8:9], 1, v[8:9]
	v_add_co_u32 v8, vcc_lo, s30, v8
	s_wait_alu 0xfffd
	s_delay_alu instid0(VALU_DEP_2)
	v_add_co_ci_u32_e64 v9, null, s31, v9, vcc_lo
	global_load_u16 v8, v[8:9], off
.LBB227_20:
	s_or_b32 exec_lo, exec_lo, s13
	v_lshrrev_b32_e32 v9, 4, v46
	v_lshrrev_b32_e32 v10, 4, v15
	;; [unrolled: 1-line block ×5, first 2 shown]
	v_dual_mov_b32 v42, 0 :: v_dual_and_b32 v9, 60, v9
	v_lshlrev_b32_e32 v12, 1, v46
	v_and_b32_e32 v10, 0x7c, v10
	v_and_b32_e32 v11, 0x7c, v11
	s_wait_kmcnt 0x0
	s_mul_i32 s12, s12, s14
	v_mov_b32_e32 v43, v42
	v_add_nc_u32_e32 v51, v9, v12
	v_add_nc_u32_e32 v45, v10, v12
	;; [unrolled: 1-line block ×3, first 2 shown]
	v_and_b32_e32 v9, 0x7c, v13
	v_lshrrev_b32_e32 v10, 4, v18
	v_lshrrev_b32_e32 v11, 4, v19
	v_lshrrev_b32_e32 v13, 4, v20
	v_mul_lo_u32 v41, s28, v46
	v_add_nc_u32_e32 v53, v9, v12
	v_and_b32_e32 v9, 0x7c, v10
	v_and_b32_e32 v10, 0x7c, v11
	v_and_b32_e32 v11, 0x7c, v13
	v_and_b32_e32 v13, 0x7c, v14
	v_lshrrev_b32_e32 v14, 1, v46
	v_add_nc_u32_e32 v54, v9, v12
	v_add_nc_u32_e32 v55, v10, v12
	;; [unrolled: 1-line block ×4, first 2 shown]
	v_and_b32_e32 v9, 0x1fc, v14
	v_mov_b32_e32 v13, 0
	v_dual_mov_b32 v11, v42 :: v_dual_mov_b32 v12, v42
	v_mov_b32_e32 v14, 0
	s_delay_alu instid0(VALU_DEP_4)
	v_lshl_add_u32 v58, v46, 4, v9
	s_wait_loadcnt 0x0
	ds_store_b16 v51, v1
	ds_store_b16 v45, v2 offset:256
	ds_store_b16 v52, v3 offset:512
	;; [unrolled: 1-line block ×7, first 2 shown]
	s_wait_dscnt 0x0
	s_barrier_signal -1
	s_barrier_wait -1
	global_inv scope:SCOPE_SE
	ds_load_2addr_b32 v[49:50], v58 offset1:1
	ds_load_2addr_b32 v[47:48], v58 offset0:2 offset1:3
	s_add_co_i32 s12, s12, s9
	s_mov_b32 s13, 0
	v_dual_mov_b32 v9, v42 :: v_dual_mov_b32 v10, v42
	v_dual_mov_b32 v1, v42 :: v_dual_mov_b32 v2, v42
	;; [unrolled: 1-line block ×5, first 2 shown]
	s_lshl_b64 s[12:13], s[12:13], 3
	s_wait_loadcnt_dscnt 0x0
	s_add_nc_u64 s[34:35], s[10:11], s[12:13]
	s_barrier_signal -1
	s_barrier_wait -1
	global_inv scope:SCOPE_SE
	s_and_saveexec_b32 s9, s0
	s_cbranch_execnz .LBB227_76
; %bb.21:
	s_or_b32 exec_lo, exec_lo, s9
	s_and_saveexec_b32 s9, s1
	s_cbranch_execnz .LBB227_77
.LBB227_22:
	s_or_b32 exec_lo, exec_lo, s9
	s_and_saveexec_b32 s9, s2
	s_cbranch_execnz .LBB227_78
.LBB227_23:
	s_or_b32 exec_lo, exec_lo, s9
	s_and_saveexec_b32 s9, s3
	s_cbranch_execnz .LBB227_79
.LBB227_24:
	s_or_b32 exec_lo, exec_lo, s9
	s_and_saveexec_b32 s9, s4
	s_cbranch_execnz .LBB227_80
.LBB227_25:
	s_or_b32 exec_lo, exec_lo, s9
	s_and_saveexec_b32 s9, s5
	s_cbranch_execnz .LBB227_81
.LBB227_26:
	s_or_b32 exec_lo, exec_lo, s9
	s_and_saveexec_b32 s9, s6
	s_cbranch_execz .LBB227_28
.LBB227_27:
	v_mul_lo_u32 v5, s28, v20
	v_mov_b32_e32 v6, 0
	s_delay_alu instid0(VALU_DEP_1) | instskip(NEXT) | instid1(VALU_DEP_1)
	v_lshlrev_b64_e32 v[5:6], 3, v[5:6]
	v_add_co_u32 v5, vcc_lo, s34, v5
	s_wait_alu 0xfffd
	s_delay_alu instid0(VALU_DEP_2)
	v_add_co_ci_u32_e64 v6, null, s35, v6, vcc_lo
	global_load_b64 v[5:6], v[5:6], off
.LBB227_28:
	s_or_b32 exec_lo, exec_lo, s9
	v_lshrrev_b32_e32 v68, 5, v46
	v_lshrrev_b32_e32 v25, 5, v15
	;; [unrolled: 1-line block ×8, first 2 shown]
	v_lshlrev_b32_e32 v66, 3, v46
	v_lshrrev_b32_e32 v15, 2, v46
	s_xor_b32 s8, s8, -1
	s_and_saveexec_b32 s9, s7
	s_cbranch_execz .LBB227_30
; %bb.29:
	v_mul_lo_u32 v7, s28, v21
	v_mov_b32_e32 v8, 0
	s_delay_alu instid0(VALU_DEP_1) | instskip(NEXT) | instid1(VALU_DEP_1)
	v_lshlrev_b64_e32 v[7:8], 3, v[7:8]
	v_add_co_u32 v7, vcc_lo, s34, v7
	s_wait_alu 0xfffd
	s_delay_alu instid0(VALU_DEP_2)
	v_add_co_ci_u32_e64 v8, null, s35, v8, vcc_lo
	global_load_b64 v[7:8], v[7:8], off
.LBB227_30:
	s_or_b32 exec_lo, exec_lo, s9
	v_lshl_add_u32 v59, v68, 3, v66
	v_lshl_add_u32 v60, v25, 3, v66
	;; [unrolled: 1-line block ×5, first 2 shown]
	s_wait_loadcnt 0x0
	ds_store_b64 v59, v[13:14]
	ds_store_b64 v60, v[42:43] offset:1024
	ds_store_b64 v61, v[9:10] offset:2048
	;; [unrolled: 1-line block ×3, first 2 shown]
	v_lshlrev_b32_e32 v9, 3, v66
	v_lshl_add_u32 v42, v22, 3, v66
	v_lshl_add_u32 v43, v18, 3, v66
	v_lshl_add_u32 v64, v16, 3, v66
	ds_store_b64 v42, v[1:2] offset:4096
	ds_store_b64 v43, v[3:4] offset:5120
	;; [unrolled: 1-line block ×4, first 2 shown]
	v_lshl_add_u32 v65, v15, 3, v9
	s_wait_dscnt 0x0
	s_barrier_signal -1
	s_barrier_wait -1
	global_inv scope:SCOPE_SE
	ds_load_2addr_b64 v[13:16], v65 offset1:1
	ds_load_2addr_b64 v[9:12], v65 offset0:2 offset1:3
	ds_load_2addr_b64 v[5:8], v65 offset0:4 offset1:5
	;; [unrolled: 1-line block ×3, first 2 shown]
	v_bfe_u32 v71, v0, 10, 10
	v_bfe_u32 v72, v0, 20, 10
	v_mbcnt_lo_u32_b32 v69, -1, 0
	v_and_b32_e32 v70, 0x3e0, v46
	v_lshlrev_b32_e32 v67, 2, v66
	s_and_b32 vcc_lo, exec_lo, s8
	s_wait_loadcnt_dscnt 0x0
	s_barrier_signal -1
	s_barrier_wait -1
	global_inv scope:SCOPE_SE
	s_wait_alu 0xfffe
	s_cbranch_vccz .LBB227_82
; %bb.31:
	v_pk_ashrrev_i16 v0, 15, v49 op_sel_hi:[0,1]
	v_pk_ashrrev_i16 v17, 15, v50 op_sel_hi:[0,1]
	v_pk_ashrrev_i16 v18, 15, v47 op_sel_hi:[0,1]
	v_pk_ashrrev_i16 v19, 15, v48 op_sel_hi:[0,1]
	v_or_b32_e32 v21, v69, v70
	v_or_b32_e32 v0, 0x80008000, v0
	;; [unrolled: 1-line block ×5, first 2 shown]
	v_and_or_b32 v84, 0x1f00, v66, v69
	s_mov_b32 s12, 0
	v_xor_b32_e32 v17, v0, v49
	v_xor_b32_e32 v18, v20, v50
	;; [unrolled: 1-line block ×4, first 2 shown]
	s_mov_b32 s13, s12
	s_mov_b32 s14, s12
	;; [unrolled: 1-line block ×3, first 2 shown]
	v_lshlrev_b32_e32 v23, 4, v21
	v_lshlrev_b32_e32 v73, 1, v84
	s_getpc_b64 s[8:9]
	s_sext_i32_i16 s9, s9
	s_add_co_u32 s8, s8, _ZN7rocprim17ROCPRIM_400000_NS16block_radix_sortI6__halfLj128ELj8ElLj1ELj1ELj0ELNS0_26block_radix_rank_algorithmE1ELNS0_18block_padding_hintE2ELNS0_4arch9wavefront6targetE0EE19radix_bits_per_passE@rel32@lo+8
	s_add_co_ci_u32 s9, s9, _ZN7rocprim17ROCPRIM_400000_NS16block_radix_sortI6__halfLj128ELj8ElLj1ELj1ELj0ELNS0_26block_radix_rank_algorithmE1ELNS0_18block_padding_hintE2ELNS0_4arch9wavefront6targetE0EE19radix_bits_per_passE@rel32@hi+16
	s_load_b32 s19, s[8:9], 0x0
	ds_store_b128 v23, v[17:20]
	; wave barrier
	ds_load_u16 v74, v73
	v_mad_u32_u24 v0, v21, 48, v23
	ds_load_u16 v75, v73 offset:64
	ds_load_u16 v76, v73 offset:128
	;; [unrolled: 1-line block ×7, first 2 shown]
	s_wait_loadcnt_dscnt 0x0
	s_barrier_signal -1
	s_barrier_wait -1
	global_inv scope:SCOPE_SE
	ds_store_b128 v0, v[13:16]
	ds_store_b128 v0, v[9:12] offset:16
	ds_store_b128 v0, v[5:8] offset:32
	;; [unrolled: 1-line block ×3, first 2 shown]
	v_mad_u32_u24 v29, v84, 6, v73
	; wave barrier
	s_wait_kmcnt 0x0
	s_min_u32 s8, s19, 16
	s_delay_alu instid0(SALU_CYCLE_1) | instskip(SKIP_4) | instid1(VALU_DEP_1)
	s_lshl_b32 s8, -1, s8
	v_cmp_ne_u16_e32 vcc_lo, 0x7fff, v74
	s_not_b32 s9, s8
	s_wait_alu 0xfffd
	v_cndmask_b32_e32 v17, 0xffff8000, v74, vcc_lo
	v_and_b32_e32 v17, 0xffff, v17
	s_delay_alu instid0(VALU_DEP_1)
	v_and_b32_e32 v40, s9, v17
	ds_load_2addr_b64 v[17:20], v29 offset1:32
	ds_load_2addr_b64 v[25:28], v29 offset0:64 offset1:96
	ds_load_2addr_b64 v[21:24], v29 offset0:128 offset1:160
	;; [unrolled: 1-line block ×3, first 2 shown]
	s_wait_loadcnt_dscnt 0x0
	v_and_b32_e32 v0, 1, v40
	v_lshlrev_b32_e32 v33, 30, v40
	v_lshlrev_b32_e32 v36, 28, v40
	s_barrier_signal -1
	s_barrier_wait -1
	v_add_co_u32 v0, s8, v0, -1
	s_wait_alu 0xf1ff
	v_cndmask_b32_e64 v34, 0, 1, s8
	v_not_b32_e32 v35, v33
	v_cmp_gt_i32_e64 s8, 0, v33
	global_inv scope:SCOPE_SE
	v_cmp_ne_u32_e32 vcc_lo, 0, v34
	v_lshlrev_b32_e32 v34, 29, v40
	v_ashrrev_i32_e32 v33, 31, v35
	s_wait_alu 0xfffd
	v_xor_b32_e32 v0, vcc_lo, v0
	s_delay_alu instid0(VALU_DEP_3)
	v_not_b32_e32 v35, v34
	s_wait_alu 0xf1ff
	v_xor_b32_e32 v33, s8, v33
	v_cmp_gt_i32_e32 vcc_lo, 0, v34
	s_load_b32 s8, s[36:37], 0xc
	v_and_b32_e32 v0, exec_lo, v0
	v_ashrrev_i32_e32 v34, 31, v35
	v_not_b32_e32 v35, v36
	s_delay_alu instid0(VALU_DEP_3) | instskip(SKIP_1) | instid1(VALU_DEP_4)
	v_and_b32_e32 v0, v0, v33
	v_lshlrev_b32_e32 v33, 27, v40
	v_xor_b32_e32 v34, vcc_lo, v34
	v_cmp_gt_i32_e32 vcc_lo, 0, v36
	v_ashrrev_i32_e32 v35, 31, v35
	s_delay_alu instid0(VALU_DEP_4) | instskip(NEXT) | instid1(VALU_DEP_4)
	v_not_b32_e32 v36, v33
	v_and_b32_e32 v0, v0, v34
	v_lshlrev_b32_e32 v34, 26, v40
	s_wait_alu 0xfffd
	v_xor_b32_e32 v35, vcc_lo, v35
	v_cmp_gt_i32_e32 vcc_lo, 0, v33
	v_ashrrev_i32_e32 v33, 31, v36
	v_not_b32_e32 v36, v34
	s_delay_alu instid0(VALU_DEP_4)
	v_and_b32_e32 v0, v0, v35
	v_lshlrev_b32_e32 v35, 25, v40
	s_wait_alu 0xfffd
	v_xor_b32_e32 v33, vcc_lo, v33
	v_cmp_gt_i32_e32 vcc_lo, 0, v34
	v_ashrrev_i32_e32 v34, 31, v36
	s_wait_kmcnt 0x0
	s_lshr_b32 s10, s8, 16
	v_not_b32_e32 v36, v35
	v_and_b32_e32 v0, v0, v33
	v_lshlrev_b32_e32 v33, 24, v40
	s_wait_alu 0xfffd
	v_xor_b32_e32 v34, vcc_lo, v34
	v_cmp_gt_i32_e32 vcc_lo, 0, v35
	v_ashrrev_i32_e32 v35, 31, v36
	v_mad_u32_u24 v37, v72, s10, v71
	v_not_b32_e32 v36, v33
	v_and_b32_e32 v0, v0, v34
	s_and_b32 s8, s8, 0xffff
	s_wait_alu 0xfffd
	v_xor_b32_e32 v34, vcc_lo, v35
	v_cmp_gt_i32_e32 vcc_lo, 0, v33
	v_ashrrev_i32_e32 v33, 31, v36
	s_wait_alu 0xfffe
	v_mad_co_u64_u32 v[38:39], null, v37, s8, v[46:47]
	v_dual_mov_b32 v37, s15 :: v_dual_and_b32 v0, v0, v34
	s_wait_alu 0xfffd
	v_xor_b32_e32 v33, vcc_lo, v33
	v_dual_mov_b32 v36, s14 :: v_dual_mov_b32 v35, s13
	v_mov_b32_e32 v34, s12
	ds_store_b128 v67, v[34:37] offset:16
	ds_store_b128 v67, v[34:37] offset:32
	v_and_b32_e32 v33, v0, v33
	v_lshrrev_b32_e32 v0, 5, v38
	v_lshlrev_b32_e32 v34, 4, v40
	s_wait_loadcnt_dscnt 0x0
	s_barrier_signal -1
	v_mbcnt_lo_u32_b32 v86, v33, 0
	v_lshlrev_b32_e32 v0, 2, v0
	v_cmp_ne_u32_e64 s8, 0, v33
	s_barrier_wait -1
	global_inv scope:SCOPE_SE
	v_cmp_eq_u32_e32 vcc_lo, 0, v86
	v_add_nc_u32_e32 v87, v0, v34
	; wave barrier
	s_and_b32 s10, s8, vcc_lo
	s_wait_alu 0xfffe
	s_and_saveexec_b32 s8, s10
; %bb.32:
	v_bcnt_u32_b32 v33, v33, 0
	ds_store_b32 v87, v33 offset:16
; %bb.33:
	s_wait_alu 0xfffe
	s_or_b32 exec_lo, exec_lo, s8
	v_cmp_ne_u16_e32 vcc_lo, 0x7fff, v75
	; wave barrier
	s_wait_alu 0xfffd
	v_cndmask_b32_e32 v33, 0xffff8000, v75, vcc_lo
	s_delay_alu instid0(VALU_DEP_1) | instskip(NEXT) | instid1(VALU_DEP_1)
	v_and_b32_e32 v33, 0xffff, v33
	v_and_b32_e32 v33, s9, v33
	s_delay_alu instid0(VALU_DEP_1)
	v_and_b32_e32 v34, 1, v33
	v_lshlrev_b32_e32 v35, 30, v33
	v_lshlrev_b32_e32 v36, 29, v33
	;; [unrolled: 1-line block ×4, first 2 shown]
	v_add_co_u32 v34, s8, v34, -1
	s_wait_alu 0xf1ff
	v_cndmask_b32_e64 v38, 0, 1, s8
	v_not_b32_e32 v83, v35
	v_cmp_gt_i32_e64 s8, 0, v35
	v_not_b32_e32 v35, v36
	v_lshlrev_b32_e32 v40, 26, v33
	v_cmp_ne_u32_e32 vcc_lo, 0, v38
	v_ashrrev_i32_e32 v83, 31, v83
	v_lshlrev_b32_e32 v82, 25, v33
	v_ashrrev_i32_e32 v35, 31, v35
	v_lshlrev_b32_e32 v38, 24, v33
	s_wait_alu 0xfffd
	v_xor_b32_e32 v34, vcc_lo, v34
	v_cmp_gt_i32_e32 vcc_lo, 0, v36
	v_not_b32_e32 v36, v37
	s_wait_alu 0xf1ff
	v_xor_b32_e32 v83, s8, v83
	v_cmp_gt_i32_e64 s8, 0, v37
	v_and_b32_e32 v34, exec_lo, v34
	v_not_b32_e32 v37, v39
	v_ashrrev_i32_e32 v36, 31, v36
	s_wait_alu 0xfffd
	v_xor_b32_e32 v35, vcc_lo, v35
	v_cmp_gt_i32_e32 vcc_lo, 0, v39
	v_and_b32_e32 v34, v34, v83
	v_not_b32_e32 v39, v40
	v_ashrrev_i32_e32 v37, 31, v37
	s_wait_alu 0xf1ff
	v_xor_b32_e32 v36, s8, v36
	v_cmp_gt_i32_e64 s8, 0, v40
	v_and_b32_e32 v34, v34, v35
	v_not_b32_e32 v35, v82
	v_ashrrev_i32_e32 v39, 31, v39
	s_wait_alu 0xfffd
	v_xor_b32_e32 v37, vcc_lo, v37
	v_cmp_gt_i32_e32 vcc_lo, 0, v82
	v_and_b32_e32 v34, v34, v36
	v_not_b32_e32 v36, v38
	v_ashrrev_i32_e32 v35, 31, v35
	s_wait_alu 0xf1ff
	v_xor_b32_e32 v39, s8, v39
	v_lshlrev_b32_e32 v33, 4, v33
	v_and_b32_e32 v34, v34, v37
	v_cmp_gt_i32_e64 s8, 0, v38
	v_ashrrev_i32_e32 v36, 31, v36
	s_wait_alu 0xfffd
	v_xor_b32_e32 v35, vcc_lo, v35
	v_add_nc_u32_e32 v90, v0, v33
	v_and_b32_e32 v34, v34, v39
	s_wait_alu 0xf1ff
	v_xor_b32_e32 v33, s8, v36
	ds_load_b32 v88, v90 offset:16
	v_and_b32_e32 v34, v34, v35
	; wave barrier
	s_delay_alu instid0(VALU_DEP_1) | instskip(NEXT) | instid1(VALU_DEP_1)
	v_and_b32_e32 v33, v34, v33
	v_mbcnt_lo_u32_b32 v89, v33, 0
	v_cmp_ne_u32_e64 s8, 0, v33
	s_delay_alu instid0(VALU_DEP_2)
	v_cmp_eq_u32_e32 vcc_lo, 0, v89
	s_and_b32 s10, s8, vcc_lo
	s_wait_alu 0xfffe
	s_and_saveexec_b32 s8, s10
	s_cbranch_execz .LBB227_35
; %bb.34:
	s_wait_dscnt 0x0
	v_bcnt_u32_b32 v33, v33, v88
	ds_store_b32 v90, v33 offset:16
.LBB227_35:
	s_wait_alu 0xfffe
	s_or_b32 exec_lo, exec_lo, s8
	v_cmp_ne_u16_e32 vcc_lo, 0x7fff, v76
	; wave barrier
	s_wait_alu 0xfffd
	v_cndmask_b32_e32 v33, 0xffff8000, v76, vcc_lo
	s_delay_alu instid0(VALU_DEP_1) | instskip(NEXT) | instid1(VALU_DEP_1)
	v_and_b32_e32 v33, 0xffff, v33
	v_and_b32_e32 v33, s9, v33
	s_delay_alu instid0(VALU_DEP_1)
	v_and_b32_e32 v34, 1, v33
	v_lshlrev_b32_e32 v35, 30, v33
	v_lshlrev_b32_e32 v36, 29, v33
	;; [unrolled: 1-line block ×4, first 2 shown]
	v_add_co_u32 v34, s8, v34, -1
	s_wait_alu 0xf1ff
	v_cndmask_b32_e64 v38, 0, 1, s8
	v_not_b32_e32 v83, v35
	v_cmp_gt_i32_e64 s8, 0, v35
	v_not_b32_e32 v35, v36
	v_lshlrev_b32_e32 v40, 26, v33
	v_cmp_ne_u32_e32 vcc_lo, 0, v38
	v_ashrrev_i32_e32 v83, 31, v83
	v_lshlrev_b32_e32 v82, 25, v33
	v_ashrrev_i32_e32 v35, 31, v35
	v_lshlrev_b32_e32 v38, 24, v33
	s_wait_alu 0xfffd
	v_xor_b32_e32 v34, vcc_lo, v34
	v_cmp_gt_i32_e32 vcc_lo, 0, v36
	v_not_b32_e32 v36, v37
	s_wait_alu 0xf1ff
	v_xor_b32_e32 v83, s8, v83
	v_cmp_gt_i32_e64 s8, 0, v37
	v_and_b32_e32 v34, exec_lo, v34
	v_not_b32_e32 v37, v39
	v_ashrrev_i32_e32 v36, 31, v36
	s_wait_alu 0xfffd
	v_xor_b32_e32 v35, vcc_lo, v35
	v_cmp_gt_i32_e32 vcc_lo, 0, v39
	v_and_b32_e32 v34, v34, v83
	v_not_b32_e32 v39, v40
	v_ashrrev_i32_e32 v37, 31, v37
	s_wait_alu 0xf1ff
	v_xor_b32_e32 v36, s8, v36
	v_cmp_gt_i32_e64 s8, 0, v40
	v_and_b32_e32 v34, v34, v35
	v_not_b32_e32 v35, v82
	v_ashrrev_i32_e32 v39, 31, v39
	s_wait_alu 0xfffd
	v_xor_b32_e32 v37, vcc_lo, v37
	v_cmp_gt_i32_e32 vcc_lo, 0, v82
	v_and_b32_e32 v34, v34, v36
	v_not_b32_e32 v36, v38
	v_ashrrev_i32_e32 v35, 31, v35
	s_wait_alu 0xf1ff
	v_xor_b32_e32 v39, s8, v39
	v_lshlrev_b32_e32 v33, 4, v33
	v_and_b32_e32 v34, v34, v37
	v_cmp_gt_i32_e64 s8, 0, v38
	v_ashrrev_i32_e32 v36, 31, v36
	s_wait_alu 0xfffd
	v_xor_b32_e32 v35, vcc_lo, v35
	v_add_nc_u32_e32 v93, v0, v33
	v_and_b32_e32 v34, v34, v39
	s_wait_alu 0xf1ff
	v_xor_b32_e32 v33, s8, v36
	ds_load_b32 v91, v93 offset:16
	v_and_b32_e32 v34, v34, v35
	; wave barrier
	s_delay_alu instid0(VALU_DEP_1) | instskip(NEXT) | instid1(VALU_DEP_1)
	v_and_b32_e32 v33, v34, v33
	v_mbcnt_lo_u32_b32 v92, v33, 0
	v_cmp_ne_u32_e64 s8, 0, v33
	s_delay_alu instid0(VALU_DEP_2)
	v_cmp_eq_u32_e32 vcc_lo, 0, v92
	s_and_b32 s10, s8, vcc_lo
	s_wait_alu 0xfffe
	s_and_saveexec_b32 s8, s10
	s_cbranch_execz .LBB227_37
; %bb.36:
	s_wait_dscnt 0x0
	v_bcnt_u32_b32 v33, v33, v91
	ds_store_b32 v93, v33 offset:16
.LBB227_37:
	s_wait_alu 0xfffe
	s_or_b32 exec_lo, exec_lo, s8
	v_cmp_ne_u16_e32 vcc_lo, 0x7fff, v77
	; wave barrier
	s_wait_alu 0xfffd
	v_cndmask_b32_e32 v33, 0xffff8000, v77, vcc_lo
	s_delay_alu instid0(VALU_DEP_1) | instskip(NEXT) | instid1(VALU_DEP_1)
	v_and_b32_e32 v33, 0xffff, v33
	v_and_b32_e32 v33, s9, v33
	s_delay_alu instid0(VALU_DEP_1)
	v_and_b32_e32 v34, 1, v33
	v_lshlrev_b32_e32 v35, 30, v33
	v_lshlrev_b32_e32 v36, 29, v33
	;; [unrolled: 1-line block ×4, first 2 shown]
	v_add_co_u32 v34, s8, v34, -1
	s_wait_alu 0xf1ff
	v_cndmask_b32_e64 v38, 0, 1, s8
	v_not_b32_e32 v83, v35
	v_cmp_gt_i32_e64 s8, 0, v35
	v_not_b32_e32 v35, v36
	v_lshlrev_b32_e32 v40, 26, v33
	v_cmp_ne_u32_e32 vcc_lo, 0, v38
	v_ashrrev_i32_e32 v83, 31, v83
	v_lshlrev_b32_e32 v82, 25, v33
	v_ashrrev_i32_e32 v35, 31, v35
	v_lshlrev_b32_e32 v38, 24, v33
	s_wait_alu 0xfffd
	v_xor_b32_e32 v34, vcc_lo, v34
	v_cmp_gt_i32_e32 vcc_lo, 0, v36
	v_not_b32_e32 v36, v37
	s_wait_alu 0xf1ff
	v_xor_b32_e32 v83, s8, v83
	v_cmp_gt_i32_e64 s8, 0, v37
	v_and_b32_e32 v34, exec_lo, v34
	v_not_b32_e32 v37, v39
	v_ashrrev_i32_e32 v36, 31, v36
	s_wait_alu 0xfffd
	v_xor_b32_e32 v35, vcc_lo, v35
	v_cmp_gt_i32_e32 vcc_lo, 0, v39
	v_and_b32_e32 v34, v34, v83
	v_not_b32_e32 v39, v40
	v_ashrrev_i32_e32 v37, 31, v37
	s_wait_alu 0xf1ff
	v_xor_b32_e32 v36, s8, v36
	v_cmp_gt_i32_e64 s8, 0, v40
	v_and_b32_e32 v34, v34, v35
	v_not_b32_e32 v35, v82
	v_ashrrev_i32_e32 v39, 31, v39
	s_wait_alu 0xfffd
	v_xor_b32_e32 v37, vcc_lo, v37
	v_cmp_gt_i32_e32 vcc_lo, 0, v82
	v_and_b32_e32 v34, v34, v36
	v_not_b32_e32 v36, v38
	v_ashrrev_i32_e32 v35, 31, v35
	s_wait_alu 0xf1ff
	v_xor_b32_e32 v39, s8, v39
	v_lshlrev_b32_e32 v33, 4, v33
	v_and_b32_e32 v34, v34, v37
	v_cmp_gt_i32_e64 s8, 0, v38
	v_ashrrev_i32_e32 v36, 31, v36
	s_wait_alu 0xfffd
	v_xor_b32_e32 v35, vcc_lo, v35
	v_add_nc_u32_e32 v96, v0, v33
	v_and_b32_e32 v34, v34, v39
	s_wait_alu 0xf1ff
	v_xor_b32_e32 v33, s8, v36
	ds_load_b32 v94, v96 offset:16
	v_and_b32_e32 v34, v34, v35
	; wave barrier
	s_delay_alu instid0(VALU_DEP_1) | instskip(NEXT) | instid1(VALU_DEP_1)
	v_and_b32_e32 v33, v34, v33
	v_mbcnt_lo_u32_b32 v95, v33, 0
	v_cmp_ne_u32_e64 s8, 0, v33
	s_delay_alu instid0(VALU_DEP_2)
	v_cmp_eq_u32_e32 vcc_lo, 0, v95
	s_and_b32 s10, s8, vcc_lo
	s_wait_alu 0xfffe
	s_and_saveexec_b32 s8, s10
	s_cbranch_execz .LBB227_39
; %bb.38:
	s_wait_dscnt 0x0
	v_bcnt_u32_b32 v33, v33, v94
	ds_store_b32 v96, v33 offset:16
.LBB227_39:
	s_wait_alu 0xfffe
	s_or_b32 exec_lo, exec_lo, s8
	v_cmp_ne_u16_e32 vcc_lo, 0x7fff, v78
	; wave barrier
	s_wait_alu 0xfffd
	v_cndmask_b32_e32 v33, 0xffff8000, v78, vcc_lo
	s_delay_alu instid0(VALU_DEP_1) | instskip(NEXT) | instid1(VALU_DEP_1)
	v_and_b32_e32 v33, 0xffff, v33
	v_and_b32_e32 v33, s9, v33
	s_delay_alu instid0(VALU_DEP_1)
	v_and_b32_e32 v34, 1, v33
	v_lshlrev_b32_e32 v35, 30, v33
	v_lshlrev_b32_e32 v36, 29, v33
	;; [unrolled: 1-line block ×4, first 2 shown]
	v_add_co_u32 v34, s8, v34, -1
	s_wait_alu 0xf1ff
	v_cndmask_b32_e64 v38, 0, 1, s8
	v_not_b32_e32 v83, v35
	v_cmp_gt_i32_e64 s8, 0, v35
	v_not_b32_e32 v35, v36
	v_lshlrev_b32_e32 v40, 26, v33
	v_cmp_ne_u32_e32 vcc_lo, 0, v38
	v_ashrrev_i32_e32 v83, 31, v83
	v_lshlrev_b32_e32 v82, 25, v33
	v_ashrrev_i32_e32 v35, 31, v35
	v_lshlrev_b32_e32 v38, 24, v33
	s_wait_alu 0xfffd
	v_xor_b32_e32 v34, vcc_lo, v34
	v_cmp_gt_i32_e32 vcc_lo, 0, v36
	v_not_b32_e32 v36, v37
	s_wait_alu 0xf1ff
	v_xor_b32_e32 v83, s8, v83
	v_cmp_gt_i32_e64 s8, 0, v37
	v_and_b32_e32 v34, exec_lo, v34
	v_not_b32_e32 v37, v39
	v_ashrrev_i32_e32 v36, 31, v36
	s_wait_alu 0xfffd
	v_xor_b32_e32 v35, vcc_lo, v35
	v_cmp_gt_i32_e32 vcc_lo, 0, v39
	v_and_b32_e32 v34, v34, v83
	v_not_b32_e32 v39, v40
	v_ashrrev_i32_e32 v37, 31, v37
	s_wait_alu 0xf1ff
	v_xor_b32_e32 v36, s8, v36
	v_cmp_gt_i32_e64 s8, 0, v40
	v_and_b32_e32 v34, v34, v35
	v_not_b32_e32 v35, v82
	v_ashrrev_i32_e32 v39, 31, v39
	s_wait_alu 0xfffd
	v_xor_b32_e32 v37, vcc_lo, v37
	v_cmp_gt_i32_e32 vcc_lo, 0, v82
	v_and_b32_e32 v34, v34, v36
	v_not_b32_e32 v36, v38
	v_ashrrev_i32_e32 v35, 31, v35
	s_wait_alu 0xf1ff
	v_xor_b32_e32 v39, s8, v39
	v_lshlrev_b32_e32 v33, 4, v33
	v_and_b32_e32 v34, v34, v37
	v_cmp_gt_i32_e64 s8, 0, v38
	v_ashrrev_i32_e32 v36, 31, v36
	s_wait_alu 0xfffd
	v_xor_b32_e32 v35, vcc_lo, v35
	v_add_nc_u32_e32 v99, v0, v33
	v_and_b32_e32 v34, v34, v39
	s_wait_alu 0xf1ff
	v_xor_b32_e32 v33, s8, v36
	ds_load_b32 v97, v99 offset:16
	v_and_b32_e32 v34, v34, v35
	; wave barrier
	s_delay_alu instid0(VALU_DEP_1) | instskip(NEXT) | instid1(VALU_DEP_1)
	v_and_b32_e32 v33, v34, v33
	v_mbcnt_lo_u32_b32 v98, v33, 0
	v_cmp_ne_u32_e64 s8, 0, v33
	s_delay_alu instid0(VALU_DEP_2)
	v_cmp_eq_u32_e32 vcc_lo, 0, v98
	s_and_b32 s10, s8, vcc_lo
	s_wait_alu 0xfffe
	s_and_saveexec_b32 s8, s10
	s_cbranch_execz .LBB227_41
; %bb.40:
	s_wait_dscnt 0x0
	v_bcnt_u32_b32 v33, v33, v97
	ds_store_b32 v99, v33 offset:16
.LBB227_41:
	s_wait_alu 0xfffe
	s_or_b32 exec_lo, exec_lo, s8
	v_cmp_ne_u16_e32 vcc_lo, 0x7fff, v79
	; wave barrier
	s_wait_alu 0xfffd
	v_cndmask_b32_e32 v33, 0xffff8000, v79, vcc_lo
	s_delay_alu instid0(VALU_DEP_1) | instskip(NEXT) | instid1(VALU_DEP_1)
	v_and_b32_e32 v33, 0xffff, v33
	v_and_b32_e32 v33, s9, v33
	s_delay_alu instid0(VALU_DEP_1)
	v_and_b32_e32 v34, 1, v33
	v_lshlrev_b32_e32 v35, 30, v33
	v_lshlrev_b32_e32 v36, 29, v33
	;; [unrolled: 1-line block ×4, first 2 shown]
	v_add_co_u32 v34, s8, v34, -1
	s_wait_alu 0xf1ff
	v_cndmask_b32_e64 v38, 0, 1, s8
	v_not_b32_e32 v83, v35
	v_cmp_gt_i32_e64 s8, 0, v35
	v_not_b32_e32 v35, v36
	v_lshlrev_b32_e32 v40, 26, v33
	v_cmp_ne_u32_e32 vcc_lo, 0, v38
	v_ashrrev_i32_e32 v83, 31, v83
	v_lshlrev_b32_e32 v82, 25, v33
	v_ashrrev_i32_e32 v35, 31, v35
	v_lshlrev_b32_e32 v38, 24, v33
	s_wait_alu 0xfffd
	v_xor_b32_e32 v34, vcc_lo, v34
	v_cmp_gt_i32_e32 vcc_lo, 0, v36
	v_not_b32_e32 v36, v37
	s_wait_alu 0xf1ff
	v_xor_b32_e32 v83, s8, v83
	v_cmp_gt_i32_e64 s8, 0, v37
	v_and_b32_e32 v34, exec_lo, v34
	v_not_b32_e32 v37, v39
	v_ashrrev_i32_e32 v36, 31, v36
	s_wait_alu 0xfffd
	v_xor_b32_e32 v35, vcc_lo, v35
	v_cmp_gt_i32_e32 vcc_lo, 0, v39
	v_and_b32_e32 v34, v34, v83
	v_not_b32_e32 v39, v40
	v_ashrrev_i32_e32 v37, 31, v37
	s_wait_alu 0xf1ff
	v_xor_b32_e32 v36, s8, v36
	v_cmp_gt_i32_e64 s8, 0, v40
	v_and_b32_e32 v34, v34, v35
	v_not_b32_e32 v35, v82
	v_ashrrev_i32_e32 v39, 31, v39
	s_wait_alu 0xfffd
	v_xor_b32_e32 v37, vcc_lo, v37
	v_cmp_gt_i32_e32 vcc_lo, 0, v82
	v_and_b32_e32 v34, v34, v36
	v_not_b32_e32 v36, v38
	v_ashrrev_i32_e32 v35, 31, v35
	s_wait_alu 0xf1ff
	v_xor_b32_e32 v39, s8, v39
	v_lshlrev_b32_e32 v33, 4, v33
	v_and_b32_e32 v34, v34, v37
	v_cmp_gt_i32_e64 s8, 0, v38
	v_ashrrev_i32_e32 v36, 31, v36
	s_wait_alu 0xfffd
	v_xor_b32_e32 v35, vcc_lo, v35
	v_add_nc_u32_e32 v102, v0, v33
	v_and_b32_e32 v34, v34, v39
	s_wait_alu 0xf1ff
	v_xor_b32_e32 v33, s8, v36
	ds_load_b32 v100, v102 offset:16
	v_and_b32_e32 v34, v34, v35
	; wave barrier
	s_delay_alu instid0(VALU_DEP_1) | instskip(NEXT) | instid1(VALU_DEP_1)
	v_and_b32_e32 v33, v34, v33
	v_mbcnt_lo_u32_b32 v101, v33, 0
	v_cmp_ne_u32_e64 s8, 0, v33
	s_delay_alu instid0(VALU_DEP_2)
	v_cmp_eq_u32_e32 vcc_lo, 0, v101
	s_and_b32 s10, s8, vcc_lo
	s_wait_alu 0xfffe
	s_and_saveexec_b32 s8, s10
	s_cbranch_execz .LBB227_43
; %bb.42:
	s_wait_dscnt 0x0
	v_bcnt_u32_b32 v33, v33, v100
	ds_store_b32 v102, v33 offset:16
.LBB227_43:
	s_wait_alu 0xfffe
	s_or_b32 exec_lo, exec_lo, s8
	v_cmp_ne_u16_e32 vcc_lo, 0x7fff, v80
	; wave barrier
	s_wait_alu 0xfffd
	v_cndmask_b32_e32 v33, 0xffff8000, v80, vcc_lo
	s_delay_alu instid0(VALU_DEP_1) | instskip(NEXT) | instid1(VALU_DEP_1)
	v_and_b32_e32 v33, 0xffff, v33
	v_and_b32_e32 v33, s9, v33
	s_delay_alu instid0(VALU_DEP_1)
	v_and_b32_e32 v34, 1, v33
	v_lshlrev_b32_e32 v35, 30, v33
	v_lshlrev_b32_e32 v36, 29, v33
	;; [unrolled: 1-line block ×4, first 2 shown]
	v_add_co_u32 v34, s8, v34, -1
	s_wait_alu 0xf1ff
	v_cndmask_b32_e64 v38, 0, 1, s8
	v_not_b32_e32 v83, v35
	v_cmp_gt_i32_e64 s8, 0, v35
	v_not_b32_e32 v35, v36
	v_lshlrev_b32_e32 v40, 26, v33
	v_cmp_ne_u32_e32 vcc_lo, 0, v38
	v_ashrrev_i32_e32 v83, 31, v83
	v_lshlrev_b32_e32 v82, 25, v33
	v_ashrrev_i32_e32 v35, 31, v35
	v_lshlrev_b32_e32 v38, 24, v33
	s_wait_alu 0xfffd
	v_xor_b32_e32 v34, vcc_lo, v34
	v_cmp_gt_i32_e32 vcc_lo, 0, v36
	v_not_b32_e32 v36, v37
	s_wait_alu 0xf1ff
	v_xor_b32_e32 v83, s8, v83
	v_cmp_gt_i32_e64 s8, 0, v37
	v_and_b32_e32 v34, exec_lo, v34
	v_not_b32_e32 v37, v39
	v_ashrrev_i32_e32 v36, 31, v36
	s_wait_alu 0xfffd
	v_xor_b32_e32 v35, vcc_lo, v35
	v_cmp_gt_i32_e32 vcc_lo, 0, v39
	v_and_b32_e32 v34, v34, v83
	v_not_b32_e32 v39, v40
	v_ashrrev_i32_e32 v37, 31, v37
	s_wait_alu 0xf1ff
	v_xor_b32_e32 v36, s8, v36
	v_cmp_gt_i32_e64 s8, 0, v40
	v_and_b32_e32 v34, v34, v35
	v_not_b32_e32 v35, v82
	v_ashrrev_i32_e32 v39, 31, v39
	s_wait_alu 0xfffd
	v_xor_b32_e32 v37, vcc_lo, v37
	v_cmp_gt_i32_e32 vcc_lo, 0, v82
	v_and_b32_e32 v34, v34, v36
	v_not_b32_e32 v36, v38
	v_ashrrev_i32_e32 v35, 31, v35
	s_wait_alu 0xf1ff
	v_xor_b32_e32 v39, s8, v39
	v_lshlrev_b32_e32 v33, 4, v33
	v_and_b32_e32 v34, v34, v37
	v_cmp_gt_i32_e64 s8, 0, v38
	v_ashrrev_i32_e32 v36, 31, v36
	s_wait_alu 0xfffd
	v_xor_b32_e32 v35, vcc_lo, v35
	v_add_nc_u32_e32 v105, v0, v33
	v_and_b32_e32 v34, v34, v39
	s_wait_alu 0xf1ff
	v_xor_b32_e32 v33, s8, v36
	ds_load_b32 v103, v105 offset:16
	v_and_b32_e32 v34, v34, v35
	; wave barrier
	s_delay_alu instid0(VALU_DEP_1) | instskip(NEXT) | instid1(VALU_DEP_1)
	v_and_b32_e32 v33, v34, v33
	v_mbcnt_lo_u32_b32 v104, v33, 0
	v_cmp_ne_u32_e64 s8, 0, v33
	s_delay_alu instid0(VALU_DEP_2)
	v_cmp_eq_u32_e32 vcc_lo, 0, v104
	s_and_b32 s10, s8, vcc_lo
	s_wait_alu 0xfffe
	s_and_saveexec_b32 s8, s10
	s_cbranch_execz .LBB227_45
; %bb.44:
	s_wait_dscnt 0x0
	v_bcnt_u32_b32 v33, v33, v103
	ds_store_b32 v105, v33 offset:16
.LBB227_45:
	s_wait_alu 0xfffe
	s_or_b32 exec_lo, exec_lo, s8
	v_cmp_ne_u16_e32 vcc_lo, 0x7fff, v81
	; wave barrier
	s_wait_alu 0xfffd
	v_cndmask_b32_e32 v33, 0xffff8000, v81, vcc_lo
	s_delay_alu instid0(VALU_DEP_1) | instskip(NEXT) | instid1(VALU_DEP_1)
	v_and_b32_e32 v33, 0xffff, v33
	v_and_b32_e32 v33, s9, v33
	s_delay_alu instid0(VALU_DEP_1)
	v_and_b32_e32 v34, 1, v33
	v_lshlrev_b32_e32 v35, 30, v33
	v_lshlrev_b32_e32 v36, 29, v33
	;; [unrolled: 1-line block ×4, first 2 shown]
	v_add_co_u32 v34, s8, v34, -1
	s_wait_alu 0xf1ff
	v_cndmask_b32_e64 v38, 0, 1, s8
	v_not_b32_e32 v83, v35
	v_cmp_gt_i32_e64 s8, 0, v35
	v_not_b32_e32 v35, v36
	v_lshlrev_b32_e32 v40, 26, v33
	v_cmp_ne_u32_e32 vcc_lo, 0, v38
	v_ashrrev_i32_e32 v83, 31, v83
	v_lshlrev_b32_e32 v82, 25, v33
	v_ashrrev_i32_e32 v35, 31, v35
	v_lshlrev_b32_e32 v38, 24, v33
	s_wait_alu 0xfffd
	v_xor_b32_e32 v34, vcc_lo, v34
	v_cmp_gt_i32_e32 vcc_lo, 0, v36
	v_not_b32_e32 v36, v37
	s_wait_alu 0xf1ff
	v_xor_b32_e32 v83, s8, v83
	v_cmp_gt_i32_e64 s8, 0, v37
	v_and_b32_e32 v34, exec_lo, v34
	v_not_b32_e32 v37, v39
	v_ashrrev_i32_e32 v36, 31, v36
	s_wait_alu 0xfffd
	v_xor_b32_e32 v35, vcc_lo, v35
	v_cmp_gt_i32_e32 vcc_lo, 0, v39
	v_and_b32_e32 v34, v34, v83
	v_not_b32_e32 v39, v40
	v_ashrrev_i32_e32 v37, 31, v37
	s_wait_alu 0xf1ff
	v_xor_b32_e32 v36, s8, v36
	v_cmp_gt_i32_e64 s8, 0, v40
	v_and_b32_e32 v34, v34, v35
	v_not_b32_e32 v35, v82
	v_ashrrev_i32_e32 v39, 31, v39
	s_wait_alu 0xfffd
	v_xor_b32_e32 v37, vcc_lo, v37
	v_cmp_gt_i32_e32 vcc_lo, 0, v82
	v_and_b32_e32 v34, v34, v36
	v_not_b32_e32 v36, v38
	v_ashrrev_i32_e32 v35, 31, v35
	s_wait_alu 0xf1ff
	v_xor_b32_e32 v39, s8, v39
	v_lshlrev_b32_e32 v33, 4, v33
	v_and_b32_e32 v34, v34, v37
	v_cmp_gt_i32_e64 s8, 0, v38
	v_ashrrev_i32_e32 v36, 31, v36
	s_wait_alu 0xfffd
	v_xor_b32_e32 v35, vcc_lo, v35
	v_add_nc_u32_e32 v108, v0, v33
	v_and_b32_e32 v34, v34, v39
	v_min_u32_e32 v82, 0x60, v70
	s_wait_alu 0xf1ff
	v_xor_b32_e32 v33, s8, v36
	ds_load_b32 v106, v108 offset:16
	v_and_b32_e32 v34, v34, v35
	; wave barrier
	s_delay_alu instid0(VALU_DEP_1) | instskip(NEXT) | instid1(VALU_DEP_1)
	v_and_b32_e32 v33, v34, v33
	v_mbcnt_lo_u32_b32 v107, v33, 0
	v_cmp_ne_u32_e64 s8, 0, v33
	s_delay_alu instid0(VALU_DEP_2)
	v_cmp_eq_u32_e32 vcc_lo, 0, v107
	s_and_b32 s9, s8, vcc_lo
	s_wait_alu 0xfffe
	s_and_saveexec_b32 s8, s9
	s_cbranch_execz .LBB227_47
; %bb.46:
	s_wait_dscnt 0x0
	v_bcnt_u32_b32 v33, v33, v106
	ds_store_b32 v108, v33 offset:16
.LBB227_47:
	s_wait_alu 0xfffe
	s_or_b32 exec_lo, exec_lo, s8
	; wave barrier
	s_wait_loadcnt_dscnt 0x0
	s_barrier_signal -1
	s_barrier_wait -1
	global_inv scope:SCOPE_SE
	ds_load_b128 v[37:40], v67 offset:16
	ds_load_b128 v[33:36], v67 offset:32
	v_and_b32_e32 v109, 16, v69
	v_or_b32_e32 v82, 31, v82
	s_delay_alu instid0(VALU_DEP_2) | instskip(NEXT) | instid1(VALU_DEP_2)
	v_cmp_eq_u32_e64 s16, 0, v109
	v_cmp_eq_u32_e64 s14, v46, v82
	v_lshlrev_b32_e32 v82, 2, v68
	s_wait_dscnt 0x1
	v_add_nc_u32_e32 v83, v38, v37
	s_delay_alu instid0(VALU_DEP_1) | instskip(SKIP_1) | instid1(VALU_DEP_1)
	v_add3_u32 v83, v83, v39, v40
	s_wait_dscnt 0x0
	v_add3_u32 v83, v83, v33, v34
	s_delay_alu instid0(VALU_DEP_1) | instskip(SKIP_1) | instid1(VALU_DEP_2)
	v_add3_u32 v36, v83, v35, v36
	v_and_b32_e32 v83, 15, v69
	v_mov_b32_dpp v85, v36 row_shr:1 row_mask:0xf bank_mask:0xf
	s_delay_alu instid0(VALU_DEP_2)
	v_cmp_eq_u32_e64 s8, 0, v83
	v_cmp_lt_u32_e64 s10, 1, v83
	v_cmp_lt_u32_e64 s11, 3, v83
	;; [unrolled: 1-line block ×3, first 2 shown]
	s_wait_alu 0xf1ff
	v_cndmask_b32_e64 v85, v85, 0, s8
	s_delay_alu instid0(VALU_DEP_1) | instskip(NEXT) | instid1(VALU_DEP_1)
	v_add_nc_u32_e32 v36, v85, v36
	v_mov_b32_dpp v85, v36 row_shr:2 row_mask:0xf bank_mask:0xf
	s_delay_alu instid0(VALU_DEP_1) | instskip(NEXT) | instid1(VALU_DEP_1)
	v_cndmask_b32_e64 v85, 0, v85, s10
	v_add_nc_u32_e32 v36, v36, v85
	s_delay_alu instid0(VALU_DEP_1) | instskip(NEXT) | instid1(VALU_DEP_1)
	v_mov_b32_dpp v85, v36 row_shr:4 row_mask:0xf bank_mask:0xf
	v_cndmask_b32_e64 v85, 0, v85, s11
	s_delay_alu instid0(VALU_DEP_1) | instskip(NEXT) | instid1(VALU_DEP_1)
	v_add_nc_u32_e32 v36, v36, v85
	v_mov_b32_dpp v85, v36 row_shr:8 row_mask:0xf bank_mask:0xf
	s_delay_alu instid0(VALU_DEP_1) | instskip(SKIP_1) | instid1(VALU_DEP_2)
	v_cndmask_b32_e64 v83, 0, v85, s13
	v_bfe_i32 v85, v69, 4, 1
	v_add_nc_u32_e32 v83, v36, v83
	ds_swizzle_b32 v36, v83 offset:swizzle(BROADCAST,32,15)
	s_wait_dscnt 0x0
	v_and_b32_e32 v85, v85, v36
	v_mul_i32_i24_e32 v36, 0xffffffe4, v46
	s_delay_alu instid0(VALU_DEP_2)
	v_add_nc_u32_e32 v85, v83, v85
	s_and_saveexec_b32 s9, s14
; %bb.48:
	ds_store_b32 v82, v85
; %bb.49:
	s_wait_alu 0xfffe
	s_or_b32 exec_lo, exec_lo, s9
	v_and_b32_e32 v83, 3, v69
	v_cmp_gt_u32_e64 s15, 4, v46
	s_wait_loadcnt_dscnt 0x0
	s_barrier_signal -1
	s_barrier_wait -1
	v_cmp_eq_u32_e64 s12, 0, v83
	v_cmp_lt_u32_e64 s9, 1, v83
	v_add_nc_u32_e32 v83, v67, v36
	global_inv scope:SCOPE_SE
	s_and_saveexec_b32 s17, s15
	s_cbranch_execz .LBB227_51
; %bb.50:
	ds_load_b32 v36, v83
	s_wait_dscnt 0x0
	v_mov_b32_dpp v109, v36 row_shr:1 row_mask:0xf bank_mask:0xf
	s_delay_alu instid0(VALU_DEP_1) | instskip(NEXT) | instid1(VALU_DEP_1)
	v_cndmask_b32_e64 v109, v109, 0, s12
	v_add_nc_u32_e32 v36, v109, v36
	s_delay_alu instid0(VALU_DEP_1) | instskip(NEXT) | instid1(VALU_DEP_1)
	v_mov_b32_dpp v109, v36 row_shr:2 row_mask:0xf bank_mask:0xf
	v_cndmask_b32_e64 v109, 0, v109, s9
	s_delay_alu instid0(VALU_DEP_1)
	v_add_nc_u32_e32 v36, v36, v109
	ds_store_b32 v83, v36
.LBB227_51:
	s_or_b32 exec_lo, exec_lo, s17
	v_mul_u32_u24_e32 v36, 6, v84
	v_sub_co_u32 v109, vcc_lo, v69, 1
	v_cmp_lt_u32_e64 s17, 31, v46
	v_add_nc_u32_e32 v84, -4, v82
	v_mov_b32_e32 v110, 0
	s_wait_loadcnt_dscnt 0x0
	s_barrier_signal -1
	s_barrier_wait -1
	global_inv scope:SCOPE_SE
	s_and_saveexec_b32 s18, s17
; %bb.52:
	ds_load_b32 v110, v84
; %bb.53:
	s_wait_alu 0xfffe
	s_or_b32 exec_lo, exec_lo, s18
	v_cmp_gt_i32_e64 s18, 0, v109
	s_mov_b32 s24, 0
	s_min_u32 s19, s19, 8
	s_mov_b32 s25, s24
	s_mov_b32 s26, s24
	v_cndmask_b32_e64 v109, v109, v69, s18
	s_mov_b32 s27, s24
	s_wait_dscnt 0x0
	v_add_nc_u32_e32 v111, v110, v85
	v_cmp_eq_u32_e64 s18, 0, v46
	s_wait_alu 0xfffe
	s_lshl_b32 s19, -1, s19
	v_lshlrev_b32_e32 v85, 2, v109
	s_wait_alu 0xfffe
	s_not_b32 s21, s19
	ds_bpermute_b32 v109, v85, v111
	s_wait_dscnt 0x0
	s_wait_alu 0xfffd
	v_cndmask_b32_e32 v109, v109, v110, vcc_lo
	s_delay_alu instid0(VALU_DEP_1) | instskip(NEXT) | instid1(VALU_DEP_1)
	v_cndmask_b32_e64 v109, v109, 0, s18
	v_add_nc_u32_e32 v110, v109, v37
	s_delay_alu instid0(VALU_DEP_1) | instskip(NEXT) | instid1(VALU_DEP_1)
	v_add_nc_u32_e32 v111, v110, v38
	v_add_nc_u32_e32 v112, v111, v39
	s_delay_alu instid0(VALU_DEP_1) | instskip(NEXT) | instid1(VALU_DEP_1)
	v_add_nc_u32_e32 v37, v112, v40
	;; [unrolled: 3-line block ×3, first 2 shown]
	v_add_nc_u32_e32 v40, v39, v35
	ds_store_b128 v67, v[109:112] offset:16
	ds_store_b128 v67, v[37:40] offset:32
	s_wait_loadcnt_dscnt 0x0
	s_barrier_signal -1
	s_barrier_wait -1
	global_inv scope:SCOPE_SE
	ds_load_b32 v33, v87 offset:16
	ds_load_b32 v34, v90 offset:16
	ds_load_b32 v35, v93 offset:16
	ds_load_b32 v37, v96 offset:16
	ds_load_b32 v38, v99 offset:16
	ds_load_b32 v39, v102 offset:16
	ds_load_b32 v40, v105 offset:16
	ds_load_b32 v87, v108 offset:16
	v_add_nc_u32_e32 v90, v73, v36
	s_wait_loadcnt_dscnt 0x0
	s_barrier_signal -1
	s_barrier_wait -1
	global_inv scope:SCOPE_SE
	v_add_nc_u32_e32 v86, v33, v86
	v_add3_u32 v88, v89, v88, v34
	v_add3_u32 v89, v92, v91, v35
	;; [unrolled: 1-line block ×7, first 2 shown]
	v_lshlrev_b32_e32 v33, 1, v86
	v_lshlrev_b32_e32 v34, 1, v88
	;; [unrolled: 1-line block ×8, first 2 shown]
	ds_store_b16 v33, v74
	ds_store_b16 v34, v75
	;; [unrolled: 1-line block ×8, first 2 shown]
	s_wait_loadcnt_dscnt 0x0
	s_barrier_signal -1
	s_barrier_wait -1
	global_inv scope:SCOPE_SE
	ds_load_u16 v74, v73
	ds_load_u16 v75, v73 offset:64
	ds_load_u16 v76, v73 offset:128
	;; [unrolled: 1-line block ×7, first 2 shown]
	v_mad_co_u64_u32 v[86:87], null, v86, 6, v[33:34]
	v_mad_co_u64_u32 v[33:34], null, v88, 6, v[34:35]
	;; [unrolled: 1-line block ×3, first 2 shown]
	s_wait_loadcnt_dscnt 0x0
	s_barrier_signal -1
	s_barrier_wait -1
	global_inv scope:SCOPE_SE
	v_mad_co_u64_u32 v[35:36], null, v91, 6, v[36:37]
	v_lshrrev_b16 v81, 8, v74
	v_cmp_ne_u16_e64 s19, 0x7fff, v74
	ds_store_b64 v86, v[17:18]
	v_mad_co_u64_u32 v[36:37], null, v92, 6, v[37:38]
	v_mad_co_u64_u32 v[37:38], null, v93, 6, v[38:39]
	s_wait_alu 0xf1ff
	v_cndmask_b32_e64 v81, 0x80, v81, s19
	v_mad_co_u64_u32 v[38:39], null, v94, 6, v[39:40]
	v_mad_co_u64_u32 v[39:40], null, v95, 6, v[40:41]
	s_delay_alu instid0(VALU_DEP_3)
	v_and_b32_e32 v17, 0xffff, v81
	ds_store_b64 v33, v[19:20]
	ds_store_b64 v34, v[25:26]
	ds_store_b64 v35, v[27:28]
	ds_store_b64 v36, v[21:22]
	ds_store_b64 v37, v[23:24]
	ds_store_b64 v38, v[29:30]
	ds_store_b64 v39, v[31:32]
	s_wait_alu 0xfffe
	v_and_b32_e32 v40, s21, v17
	s_wait_loadcnt_dscnt 0x0
	s_barrier_signal -1
	s_barrier_wait -1
	global_inv scope:SCOPE_SE
	v_and_b32_e32 v17, 1, v40
	v_lshlrev_b32_e32 v18, 30, v40
	v_lshlrev_b32_e32 v19, 29, v40
	;; [unrolled: 1-line block ×4, first 2 shown]
	v_add_co_u32 v17, s19, v17, -1
	s_wait_alu 0xf1ff
	v_cndmask_b32_e64 v21, 0, 1, s19
	v_not_b32_e32 v25, v18
	v_cmp_gt_i32_e64 s20, 0, v18
	v_not_b32_e32 v18, v19
	v_lshlrev_b32_e32 v23, 26, v40
	v_cmp_ne_u32_e64 s19, 0, v21
	v_ashrrev_i32_e32 v25, 31, v25
	v_lshlrev_b32_e32 v24, 25, v40
	v_ashrrev_i32_e32 v18, 31, v18
	v_lshlrev_b32_e32 v21, 24, v40
	s_wait_alu 0xf1ff
	v_xor_b32_e32 v17, s19, v17
	v_cmp_gt_i32_e64 s19, 0, v19
	v_not_b32_e32 v19, v20
	v_xor_b32_e32 v25, s20, v25
	v_cmp_gt_i32_e64 s20, 0, v20
	v_and_b32_e32 v17, exec_lo, v17
	v_not_b32_e32 v20, v22
	v_ashrrev_i32_e32 v19, 31, v19
	s_wait_alu 0xf1ff
	v_xor_b32_e32 v18, s19, v18
	v_cmp_gt_i32_e64 s19, 0, v22
	v_and_b32_e32 v17, v17, v25
	v_not_b32_e32 v22, v23
	v_ashrrev_i32_e32 v20, 31, v20
	v_xor_b32_e32 v19, s20, v19
	v_cmp_gt_i32_e64 s20, 0, v23
	v_and_b32_e32 v17, v17, v18
	v_not_b32_e32 v18, v24
	v_ashrrev_i32_e32 v22, 31, v22
	s_wait_alu 0xf1ff
	v_xor_b32_e32 v20, s19, v20
	v_cmp_gt_i32_e64 s19, 0, v24
	v_and_b32_e32 v17, v17, v19
	v_not_b32_e32 v19, v21
	v_ashrrev_i32_e32 v18, 31, v18
	v_xor_b32_e32 v22, s20, v22
	v_cmp_gt_i32_e64 s20, 0, v21
	v_and_b32_e32 v17, v17, v20
	v_ashrrev_i32_e32 v19, 31, v19
	s_wait_alu 0xf1ff
	v_xor_b32_e32 v18, s19, v18
	v_dual_mov_b32 v37, s27 :: v_dual_mov_b32 v36, s26
	v_and_b32_e32 v17, v17, v22
	v_xor_b32_e32 v33, s20, v19
	ds_load_2addr_b64 v[21:24], v90 offset1:32
	v_dual_mov_b32 v35, s25 :: v_dual_mov_b32 v34, s24
	v_and_b32_e32 v38, v17, v18
	ds_load_2addr_b64 v[29:32], v90 offset0:64 offset1:96
	ds_load_2addr_b64 v[25:28], v90 offset0:128 offset1:160
	;; [unrolled: 1-line block ×3, first 2 shown]
	v_lshl_add_u32 v86, v40, 4, v0
	s_wait_loadcnt_dscnt 0x0
	s_barrier_signal -1
	v_and_b32_e32 v33, v38, v33
	s_barrier_wait -1
	global_inv scope:SCOPE_SE
	ds_store_b128 v67, v[34:37] offset:16
	ds_store_b128 v67, v[34:37] offset:32
	s_wait_loadcnt_dscnt 0x0
	v_mbcnt_lo_u32_b32 v81, v33, 0
	v_cmp_ne_u32_e64 s20, 0, v33
	s_barrier_signal -1
	s_barrier_wait -1
	global_inv scope:SCOPE_SE
	v_cmp_eq_u32_e64 s19, 0, v81
	; wave barrier
	s_and_b32 s20, s20, s19
	s_wait_alu 0xfffe
	s_and_saveexec_b32 s19, s20
; %bb.54:
	v_bcnt_u32_b32 v33, v33, 0
	ds_store_b32 v86, v33 offset:16
; %bb.55:
	s_wait_alu 0xfffe
	s_or_b32 exec_lo, exec_lo, s19
	v_lshrrev_b16 v33, 8, v75
	v_cmp_ne_u16_e64 s19, 0x7fff, v75
	; wave barrier
	s_wait_alu 0xf1ff
	s_delay_alu instid0(VALU_DEP_1) | instskip(NEXT) | instid1(VALU_DEP_1)
	v_cndmask_b32_e64 v33, 0x80, v33, s19
	v_and_b32_e32 v33, s21, v33
	s_delay_alu instid0(VALU_DEP_1)
	v_and_b32_e32 v34, 1, v33
	v_lshlrev_b32_e32 v35, 30, v33
	v_lshlrev_b32_e32 v36, 29, v33
	;; [unrolled: 1-line block ×4, first 2 shown]
	v_add_co_u32 v34, s19, v34, -1
	s_wait_alu 0xf1ff
	v_cndmask_b32_e64 v38, 0, 1, s19
	v_not_b32_e32 v88, v35
	v_cmp_gt_i32_e64 s20, 0, v35
	v_not_b32_e32 v35, v36
	v_lshlrev_b32_e32 v40, 26, v33
	v_cmp_ne_u32_e64 s19, 0, v38
	v_ashrrev_i32_e32 v88, 31, v88
	v_lshlrev_b32_e32 v87, 25, v33
	v_ashrrev_i32_e32 v35, 31, v35
	v_lshlrev_b32_e32 v38, 24, v33
	s_wait_alu 0xf1ff
	v_xor_b32_e32 v34, s19, v34
	v_cmp_gt_i32_e64 s19, 0, v36
	v_not_b32_e32 v36, v37
	v_xor_b32_e32 v88, s20, v88
	v_cmp_gt_i32_e64 s20, 0, v37
	v_and_b32_e32 v34, exec_lo, v34
	v_not_b32_e32 v37, v39
	v_ashrrev_i32_e32 v36, 31, v36
	s_wait_alu 0xf1ff
	v_xor_b32_e32 v35, s19, v35
	v_cmp_gt_i32_e64 s19, 0, v39
	v_and_b32_e32 v34, v34, v88
	v_not_b32_e32 v39, v40
	v_ashrrev_i32_e32 v37, 31, v37
	v_xor_b32_e32 v36, s20, v36
	v_cmp_gt_i32_e64 s20, 0, v40
	v_and_b32_e32 v34, v34, v35
	v_not_b32_e32 v35, v87
	v_ashrrev_i32_e32 v39, 31, v39
	s_wait_alu 0xf1ff
	v_xor_b32_e32 v37, s19, v37
	v_cmp_gt_i32_e64 s19, 0, v87
	v_and_b32_e32 v34, v34, v36
	v_not_b32_e32 v36, v38
	v_ashrrev_i32_e32 v35, 31, v35
	v_xor_b32_e32 v39, s20, v39
	v_cmp_gt_i32_e64 s20, 0, v38
	v_and_b32_e32 v34, v34, v37
	v_ashrrev_i32_e32 v36, 31, v36
	s_wait_alu 0xf1ff
	v_xor_b32_e32 v35, s19, v35
	v_lshl_add_u32 v89, v33, 4, v0
	v_and_b32_e32 v34, v34, v39
	v_xor_b32_e32 v33, s20, v36
	ds_load_b32 v87, v89 offset:16
	v_and_b32_e32 v34, v34, v35
	; wave barrier
	s_delay_alu instid0(VALU_DEP_1) | instskip(NEXT) | instid1(VALU_DEP_1)
	v_and_b32_e32 v33, v34, v33
	v_mbcnt_lo_u32_b32 v88, v33, 0
	v_cmp_ne_u32_e64 s20, 0, v33
	s_delay_alu instid0(VALU_DEP_2)
	v_cmp_eq_u32_e64 s19, 0, v88
	s_and_b32 s20, s20, s19
	s_wait_alu 0xfffe
	s_and_saveexec_b32 s19, s20
	s_cbranch_execz .LBB227_57
; %bb.56:
	s_wait_dscnt 0x0
	v_bcnt_u32_b32 v33, v33, v87
	ds_store_b32 v89, v33 offset:16
.LBB227_57:
	s_wait_alu 0xfffe
	s_or_b32 exec_lo, exec_lo, s19
	v_lshrrev_b16 v33, 8, v76
	v_cmp_ne_u16_e64 s19, 0x7fff, v76
	; wave barrier
	s_wait_alu 0xf1ff
	s_delay_alu instid0(VALU_DEP_1) | instskip(NEXT) | instid1(VALU_DEP_1)
	v_cndmask_b32_e64 v33, 0x80, v33, s19
	v_and_b32_e32 v33, s21, v33
	s_delay_alu instid0(VALU_DEP_1)
	v_and_b32_e32 v34, 1, v33
	v_lshlrev_b32_e32 v35, 30, v33
	v_lshlrev_b32_e32 v36, 29, v33
	;; [unrolled: 1-line block ×4, first 2 shown]
	v_add_co_u32 v34, s19, v34, -1
	s_wait_alu 0xf1ff
	v_cndmask_b32_e64 v38, 0, 1, s19
	v_not_b32_e32 v91, v35
	v_cmp_gt_i32_e64 s20, 0, v35
	v_not_b32_e32 v35, v36
	v_lshlrev_b32_e32 v40, 26, v33
	v_cmp_ne_u32_e64 s19, 0, v38
	v_ashrrev_i32_e32 v91, 31, v91
	v_lshlrev_b32_e32 v90, 25, v33
	v_ashrrev_i32_e32 v35, 31, v35
	v_lshlrev_b32_e32 v38, 24, v33
	s_wait_alu 0xf1ff
	v_xor_b32_e32 v34, s19, v34
	v_cmp_gt_i32_e64 s19, 0, v36
	v_not_b32_e32 v36, v37
	v_xor_b32_e32 v91, s20, v91
	v_cmp_gt_i32_e64 s20, 0, v37
	v_and_b32_e32 v34, exec_lo, v34
	v_not_b32_e32 v37, v39
	v_ashrrev_i32_e32 v36, 31, v36
	s_wait_alu 0xf1ff
	v_xor_b32_e32 v35, s19, v35
	v_cmp_gt_i32_e64 s19, 0, v39
	v_and_b32_e32 v34, v34, v91
	v_not_b32_e32 v39, v40
	v_ashrrev_i32_e32 v37, 31, v37
	v_xor_b32_e32 v36, s20, v36
	v_cmp_gt_i32_e64 s20, 0, v40
	v_and_b32_e32 v34, v34, v35
	v_not_b32_e32 v35, v90
	v_ashrrev_i32_e32 v39, 31, v39
	s_wait_alu 0xf1ff
	v_xor_b32_e32 v37, s19, v37
	v_cmp_gt_i32_e64 s19, 0, v90
	v_and_b32_e32 v34, v34, v36
	v_not_b32_e32 v36, v38
	v_ashrrev_i32_e32 v35, 31, v35
	v_xor_b32_e32 v39, s20, v39
	v_cmp_gt_i32_e64 s20, 0, v38
	v_and_b32_e32 v34, v34, v37
	v_ashrrev_i32_e32 v36, 31, v36
	s_wait_alu 0xf1ff
	v_xor_b32_e32 v35, s19, v35
	v_lshl_add_u32 v92, v33, 4, v0
	v_and_b32_e32 v34, v34, v39
	v_xor_b32_e32 v33, s20, v36
	ds_load_b32 v90, v92 offset:16
	v_and_b32_e32 v34, v34, v35
	; wave barrier
	s_delay_alu instid0(VALU_DEP_1) | instskip(NEXT) | instid1(VALU_DEP_1)
	v_and_b32_e32 v33, v34, v33
	v_mbcnt_lo_u32_b32 v91, v33, 0
	v_cmp_ne_u32_e64 s20, 0, v33
	s_delay_alu instid0(VALU_DEP_2)
	v_cmp_eq_u32_e64 s19, 0, v91
	s_and_b32 s20, s20, s19
	s_wait_alu 0xfffe
	s_and_saveexec_b32 s19, s20
	s_cbranch_execz .LBB227_59
; %bb.58:
	s_wait_dscnt 0x0
	v_bcnt_u32_b32 v33, v33, v90
	ds_store_b32 v92, v33 offset:16
.LBB227_59:
	s_wait_alu 0xfffe
	s_or_b32 exec_lo, exec_lo, s19
	v_lshrrev_b16 v33, 8, v77
	v_cmp_ne_u16_e64 s19, 0x7fff, v77
	; wave barrier
	s_wait_alu 0xf1ff
	s_delay_alu instid0(VALU_DEP_1) | instskip(NEXT) | instid1(VALU_DEP_1)
	v_cndmask_b32_e64 v33, 0x80, v33, s19
	v_and_b32_e32 v33, s21, v33
	s_delay_alu instid0(VALU_DEP_1)
	v_and_b32_e32 v34, 1, v33
	v_lshlrev_b32_e32 v35, 30, v33
	v_lshlrev_b32_e32 v36, 29, v33
	;; [unrolled: 1-line block ×4, first 2 shown]
	v_add_co_u32 v34, s19, v34, -1
	s_wait_alu 0xf1ff
	v_cndmask_b32_e64 v38, 0, 1, s19
	v_not_b32_e32 v94, v35
	v_cmp_gt_i32_e64 s20, 0, v35
	v_not_b32_e32 v35, v36
	v_lshlrev_b32_e32 v40, 26, v33
	v_cmp_ne_u32_e64 s19, 0, v38
	v_ashrrev_i32_e32 v94, 31, v94
	v_lshlrev_b32_e32 v93, 25, v33
	v_ashrrev_i32_e32 v35, 31, v35
	v_lshlrev_b32_e32 v38, 24, v33
	s_wait_alu 0xf1ff
	v_xor_b32_e32 v34, s19, v34
	v_cmp_gt_i32_e64 s19, 0, v36
	v_not_b32_e32 v36, v37
	v_xor_b32_e32 v94, s20, v94
	v_cmp_gt_i32_e64 s20, 0, v37
	v_and_b32_e32 v34, exec_lo, v34
	v_not_b32_e32 v37, v39
	v_ashrrev_i32_e32 v36, 31, v36
	s_wait_alu 0xf1ff
	v_xor_b32_e32 v35, s19, v35
	v_cmp_gt_i32_e64 s19, 0, v39
	v_and_b32_e32 v34, v34, v94
	v_not_b32_e32 v39, v40
	v_ashrrev_i32_e32 v37, 31, v37
	v_xor_b32_e32 v36, s20, v36
	v_cmp_gt_i32_e64 s20, 0, v40
	v_and_b32_e32 v34, v34, v35
	v_not_b32_e32 v35, v93
	v_ashrrev_i32_e32 v39, 31, v39
	s_wait_alu 0xf1ff
	v_xor_b32_e32 v37, s19, v37
	v_cmp_gt_i32_e64 s19, 0, v93
	v_and_b32_e32 v34, v34, v36
	v_not_b32_e32 v36, v38
	v_ashrrev_i32_e32 v35, 31, v35
	v_xor_b32_e32 v39, s20, v39
	v_cmp_gt_i32_e64 s20, 0, v38
	v_and_b32_e32 v34, v34, v37
	v_ashrrev_i32_e32 v36, 31, v36
	s_wait_alu 0xf1ff
	v_xor_b32_e32 v35, s19, v35
	v_lshl_add_u32 v95, v33, 4, v0
	v_and_b32_e32 v34, v34, v39
	v_xor_b32_e32 v33, s20, v36
	ds_load_b32 v93, v95 offset:16
	v_and_b32_e32 v34, v34, v35
	; wave barrier
	s_delay_alu instid0(VALU_DEP_1) | instskip(NEXT) | instid1(VALU_DEP_1)
	v_and_b32_e32 v33, v34, v33
	v_mbcnt_lo_u32_b32 v94, v33, 0
	v_cmp_ne_u32_e64 s20, 0, v33
	s_delay_alu instid0(VALU_DEP_2)
	v_cmp_eq_u32_e64 s19, 0, v94
	s_and_b32 s20, s20, s19
	s_wait_alu 0xfffe
	s_and_saveexec_b32 s19, s20
	s_cbranch_execz .LBB227_61
; %bb.60:
	s_wait_dscnt 0x0
	v_bcnt_u32_b32 v33, v33, v93
	ds_store_b32 v95, v33 offset:16
.LBB227_61:
	s_wait_alu 0xfffe
	s_or_b32 exec_lo, exec_lo, s19
	v_lshrrev_b16 v33, 8, v78
	v_cmp_ne_u16_e64 s19, 0x7fff, v78
	; wave barrier
	s_wait_alu 0xf1ff
	s_delay_alu instid0(VALU_DEP_1) | instskip(NEXT) | instid1(VALU_DEP_1)
	v_cndmask_b32_e64 v33, 0x80, v33, s19
	v_and_b32_e32 v33, s21, v33
	s_delay_alu instid0(VALU_DEP_1)
	v_and_b32_e32 v34, 1, v33
	v_lshlrev_b32_e32 v35, 30, v33
	v_lshlrev_b32_e32 v36, 29, v33
	v_lshlrev_b32_e32 v37, 28, v33
	v_lshlrev_b32_e32 v39, 27, v33
	v_add_co_u32 v34, s19, v34, -1
	s_wait_alu 0xf1ff
	v_cndmask_b32_e64 v38, 0, 1, s19
	v_not_b32_e32 v97, v35
	v_cmp_gt_i32_e64 s20, 0, v35
	v_not_b32_e32 v35, v36
	v_lshlrev_b32_e32 v40, 26, v33
	v_cmp_ne_u32_e64 s19, 0, v38
	v_ashrrev_i32_e32 v97, 31, v97
	v_lshlrev_b32_e32 v96, 25, v33
	v_ashrrev_i32_e32 v35, 31, v35
	v_lshlrev_b32_e32 v38, 24, v33
	s_wait_alu 0xf1ff
	v_xor_b32_e32 v34, s19, v34
	v_cmp_gt_i32_e64 s19, 0, v36
	v_not_b32_e32 v36, v37
	v_xor_b32_e32 v97, s20, v97
	v_cmp_gt_i32_e64 s20, 0, v37
	v_and_b32_e32 v34, exec_lo, v34
	v_not_b32_e32 v37, v39
	v_ashrrev_i32_e32 v36, 31, v36
	s_wait_alu 0xf1ff
	v_xor_b32_e32 v35, s19, v35
	v_cmp_gt_i32_e64 s19, 0, v39
	v_and_b32_e32 v34, v34, v97
	v_not_b32_e32 v39, v40
	v_ashrrev_i32_e32 v37, 31, v37
	v_xor_b32_e32 v36, s20, v36
	v_cmp_gt_i32_e64 s20, 0, v40
	v_and_b32_e32 v34, v34, v35
	v_not_b32_e32 v35, v96
	v_ashrrev_i32_e32 v39, 31, v39
	s_wait_alu 0xf1ff
	v_xor_b32_e32 v37, s19, v37
	v_cmp_gt_i32_e64 s19, 0, v96
	v_and_b32_e32 v34, v34, v36
	v_not_b32_e32 v36, v38
	v_ashrrev_i32_e32 v35, 31, v35
	v_xor_b32_e32 v39, s20, v39
	v_cmp_gt_i32_e64 s20, 0, v38
	v_and_b32_e32 v34, v34, v37
	v_ashrrev_i32_e32 v36, 31, v36
	s_wait_alu 0xf1ff
	v_xor_b32_e32 v35, s19, v35
	v_lshl_add_u32 v98, v33, 4, v0
	v_and_b32_e32 v34, v34, v39
	v_xor_b32_e32 v33, s20, v36
	ds_load_b32 v96, v98 offset:16
	v_and_b32_e32 v34, v34, v35
	; wave barrier
	s_delay_alu instid0(VALU_DEP_1) | instskip(NEXT) | instid1(VALU_DEP_1)
	v_and_b32_e32 v33, v34, v33
	v_mbcnt_lo_u32_b32 v97, v33, 0
	v_cmp_ne_u32_e64 s20, 0, v33
	s_delay_alu instid0(VALU_DEP_2)
	v_cmp_eq_u32_e64 s19, 0, v97
	s_and_b32 s20, s20, s19
	s_wait_alu 0xfffe
	s_and_saveexec_b32 s19, s20
	s_cbranch_execz .LBB227_63
; %bb.62:
	s_wait_dscnt 0x0
	v_bcnt_u32_b32 v33, v33, v96
	ds_store_b32 v98, v33 offset:16
.LBB227_63:
	s_wait_alu 0xfffe
	s_or_b32 exec_lo, exec_lo, s19
	v_lshrrev_b16 v33, 8, v79
	v_cmp_ne_u16_e64 s19, 0x7fff, v79
	; wave barrier
	s_wait_alu 0xf1ff
	s_delay_alu instid0(VALU_DEP_1) | instskip(NEXT) | instid1(VALU_DEP_1)
	v_cndmask_b32_e64 v33, 0x80, v33, s19
	v_and_b32_e32 v33, s21, v33
	s_delay_alu instid0(VALU_DEP_1)
	v_and_b32_e32 v34, 1, v33
	v_lshlrev_b32_e32 v35, 30, v33
	v_lshlrev_b32_e32 v36, 29, v33
	;; [unrolled: 1-line block ×4, first 2 shown]
	v_add_co_u32 v34, s19, v34, -1
	s_wait_alu 0xf1ff
	v_cndmask_b32_e64 v38, 0, 1, s19
	v_not_b32_e32 v100, v35
	v_cmp_gt_i32_e64 s20, 0, v35
	v_not_b32_e32 v35, v36
	v_lshlrev_b32_e32 v40, 26, v33
	v_cmp_ne_u32_e64 s19, 0, v38
	v_ashrrev_i32_e32 v100, 31, v100
	v_lshlrev_b32_e32 v99, 25, v33
	v_ashrrev_i32_e32 v35, 31, v35
	v_lshlrev_b32_e32 v38, 24, v33
	s_wait_alu 0xf1ff
	v_xor_b32_e32 v34, s19, v34
	v_cmp_gt_i32_e64 s19, 0, v36
	v_not_b32_e32 v36, v37
	v_xor_b32_e32 v100, s20, v100
	v_cmp_gt_i32_e64 s20, 0, v37
	v_and_b32_e32 v34, exec_lo, v34
	v_not_b32_e32 v37, v39
	v_ashrrev_i32_e32 v36, 31, v36
	s_wait_alu 0xf1ff
	v_xor_b32_e32 v35, s19, v35
	v_cmp_gt_i32_e64 s19, 0, v39
	v_and_b32_e32 v34, v34, v100
	v_not_b32_e32 v39, v40
	v_ashrrev_i32_e32 v37, 31, v37
	v_xor_b32_e32 v36, s20, v36
	v_cmp_gt_i32_e64 s20, 0, v40
	v_and_b32_e32 v34, v34, v35
	v_not_b32_e32 v35, v99
	v_ashrrev_i32_e32 v39, 31, v39
	s_wait_alu 0xf1ff
	v_xor_b32_e32 v37, s19, v37
	v_cmp_gt_i32_e64 s19, 0, v99
	v_and_b32_e32 v34, v34, v36
	v_not_b32_e32 v36, v38
	v_ashrrev_i32_e32 v35, 31, v35
	v_xor_b32_e32 v39, s20, v39
	v_cmp_gt_i32_e64 s20, 0, v38
	v_and_b32_e32 v34, v34, v37
	v_ashrrev_i32_e32 v36, 31, v36
	s_wait_alu 0xf1ff
	v_xor_b32_e32 v35, s19, v35
	v_lshl_add_u32 v101, v33, 4, v0
	v_and_b32_e32 v34, v34, v39
	v_xor_b32_e32 v33, s20, v36
	ds_load_b32 v99, v101 offset:16
	v_and_b32_e32 v34, v34, v35
	; wave barrier
	s_delay_alu instid0(VALU_DEP_1) | instskip(NEXT) | instid1(VALU_DEP_1)
	v_and_b32_e32 v33, v34, v33
	v_mbcnt_lo_u32_b32 v100, v33, 0
	v_cmp_ne_u32_e64 s20, 0, v33
	s_delay_alu instid0(VALU_DEP_2)
	v_cmp_eq_u32_e64 s19, 0, v100
	s_and_b32 s20, s20, s19
	s_wait_alu 0xfffe
	s_and_saveexec_b32 s19, s20
	s_cbranch_execz .LBB227_65
; %bb.64:
	s_wait_dscnt 0x0
	v_bcnt_u32_b32 v33, v33, v99
	ds_store_b32 v101, v33 offset:16
.LBB227_65:
	s_wait_alu 0xfffe
	s_or_b32 exec_lo, exec_lo, s19
	v_lshrrev_b16 v33, 8, v80
	v_cmp_ne_u16_e64 s19, 0x7fff, v80
	; wave barrier
	s_wait_alu 0xf1ff
	s_delay_alu instid0(VALU_DEP_1) | instskip(NEXT) | instid1(VALU_DEP_1)
	v_cndmask_b32_e64 v33, 0x80, v33, s19
	v_and_b32_e32 v33, s21, v33
	s_delay_alu instid0(VALU_DEP_1)
	v_and_b32_e32 v34, 1, v33
	v_lshlrev_b32_e32 v35, 30, v33
	v_lshlrev_b32_e32 v36, 29, v33
	;; [unrolled: 1-line block ×4, first 2 shown]
	v_add_co_u32 v34, s19, v34, -1
	s_wait_alu 0xf1ff
	v_cndmask_b32_e64 v38, 0, 1, s19
	v_not_b32_e32 v103, v35
	v_cmp_gt_i32_e64 s20, 0, v35
	v_not_b32_e32 v35, v36
	v_lshlrev_b32_e32 v40, 26, v33
	v_cmp_ne_u32_e64 s19, 0, v38
	v_ashrrev_i32_e32 v103, 31, v103
	v_lshlrev_b32_e32 v102, 25, v33
	v_ashrrev_i32_e32 v35, 31, v35
	v_lshlrev_b32_e32 v38, 24, v33
	s_wait_alu 0xf1ff
	v_xor_b32_e32 v34, s19, v34
	v_cmp_gt_i32_e64 s19, 0, v36
	v_not_b32_e32 v36, v37
	v_xor_b32_e32 v103, s20, v103
	v_cmp_gt_i32_e64 s20, 0, v37
	v_and_b32_e32 v34, exec_lo, v34
	v_not_b32_e32 v37, v39
	v_ashrrev_i32_e32 v36, 31, v36
	s_wait_alu 0xf1ff
	v_xor_b32_e32 v35, s19, v35
	v_cmp_gt_i32_e64 s19, 0, v39
	v_and_b32_e32 v34, v34, v103
	v_not_b32_e32 v39, v40
	v_ashrrev_i32_e32 v37, 31, v37
	v_xor_b32_e32 v36, s20, v36
	v_cmp_gt_i32_e64 s20, 0, v40
	v_and_b32_e32 v34, v34, v35
	v_not_b32_e32 v35, v102
	v_ashrrev_i32_e32 v39, 31, v39
	s_wait_alu 0xf1ff
	v_xor_b32_e32 v37, s19, v37
	v_cmp_gt_i32_e64 s19, 0, v102
	v_and_b32_e32 v34, v34, v36
	v_not_b32_e32 v36, v38
	v_ashrrev_i32_e32 v35, 31, v35
	v_xor_b32_e32 v39, s20, v39
	v_cmp_gt_i32_e64 s20, 0, v38
	v_and_b32_e32 v34, v34, v37
	v_ashrrev_i32_e32 v36, 31, v36
	s_wait_alu 0xf1ff
	v_xor_b32_e32 v35, s19, v35
	v_lshl_add_u32 v104, v33, 4, v0
	v_and_b32_e32 v34, v34, v39
	v_xor_b32_e32 v33, s20, v36
	ds_load_b32 v102, v104 offset:16
	v_and_b32_e32 v34, v34, v35
	; wave barrier
	s_delay_alu instid0(VALU_DEP_1) | instskip(NEXT) | instid1(VALU_DEP_1)
	v_and_b32_e32 v33, v34, v33
	v_mbcnt_lo_u32_b32 v103, v33, 0
	v_cmp_ne_u32_e64 s20, 0, v33
	s_delay_alu instid0(VALU_DEP_2)
	v_cmp_eq_u32_e64 s19, 0, v103
	s_and_b32 s20, s20, s19
	s_wait_alu 0xfffe
	s_and_saveexec_b32 s19, s20
	s_cbranch_execz .LBB227_67
; %bb.66:
	s_wait_dscnt 0x0
	v_bcnt_u32_b32 v33, v33, v102
	ds_store_b32 v104, v33 offset:16
.LBB227_67:
	s_wait_alu 0xfffe
	s_or_b32 exec_lo, exec_lo, s19
	v_lshrrev_b16 v33, 8, v73
	v_cmp_ne_u16_e64 s19, 0x7fff, v73
	; wave barrier
	s_wait_alu 0xf1ff
	s_delay_alu instid0(VALU_DEP_1) | instskip(NEXT) | instid1(VALU_DEP_1)
	v_cndmask_b32_e64 v33, 0x80, v33, s19
	v_and_b32_e32 v33, s21, v33
	s_delay_alu instid0(VALU_DEP_1)
	v_and_b32_e32 v34, 1, v33
	v_lshlrev_b32_e32 v35, 30, v33
	v_lshlrev_b32_e32 v36, 29, v33
	;; [unrolled: 1-line block ×4, first 2 shown]
	v_add_co_u32 v34, s19, v34, -1
	s_wait_alu 0xf1ff
	v_cndmask_b32_e64 v38, 0, 1, s19
	v_not_b32_e32 v106, v35
	v_cmp_gt_i32_e64 s20, 0, v35
	v_not_b32_e32 v35, v36
	v_lshlrev_b32_e32 v40, 26, v33
	v_cmp_ne_u32_e64 s19, 0, v38
	v_ashrrev_i32_e32 v106, 31, v106
	v_lshlrev_b32_e32 v105, 25, v33
	v_ashrrev_i32_e32 v35, 31, v35
	v_lshlrev_b32_e32 v38, 24, v33
	s_wait_alu 0xf1ff
	v_xor_b32_e32 v34, s19, v34
	v_cmp_gt_i32_e64 s19, 0, v36
	v_not_b32_e32 v36, v37
	v_xor_b32_e32 v106, s20, v106
	v_cmp_gt_i32_e64 s20, 0, v37
	v_and_b32_e32 v34, exec_lo, v34
	v_not_b32_e32 v37, v39
	v_ashrrev_i32_e32 v36, 31, v36
	s_wait_alu 0xf1ff
	v_xor_b32_e32 v35, s19, v35
	v_cmp_gt_i32_e64 s19, 0, v39
	v_and_b32_e32 v34, v34, v106
	v_not_b32_e32 v39, v40
	v_ashrrev_i32_e32 v37, 31, v37
	v_xor_b32_e32 v36, s20, v36
	v_cmp_gt_i32_e64 s20, 0, v40
	v_and_b32_e32 v34, v34, v35
	v_not_b32_e32 v35, v105
	v_ashrrev_i32_e32 v39, 31, v39
	s_wait_alu 0xf1ff
	v_xor_b32_e32 v37, s19, v37
	v_cmp_gt_i32_e64 s19, 0, v105
	v_and_b32_e32 v34, v34, v36
	v_not_b32_e32 v36, v38
	v_ashrrev_i32_e32 v35, 31, v35
	v_xor_b32_e32 v39, s20, v39
	v_cmp_gt_i32_e64 s20, 0, v38
	v_and_b32_e32 v34, v34, v37
	v_ashrrev_i32_e32 v36, 31, v36
	s_wait_alu 0xf1ff
	v_xor_b32_e32 v35, s19, v35
	v_lshl_add_u32 v106, v33, 4, v0
	v_and_b32_e32 v34, v34, v39
	v_xor_b32_e32 v33, s20, v36
	ds_load_b32 v0, v106 offset:16
	v_and_b32_e32 v34, v34, v35
	; wave barrier
	s_delay_alu instid0(VALU_DEP_1) | instskip(NEXT) | instid1(VALU_DEP_1)
	v_and_b32_e32 v33, v34, v33
	v_mbcnt_lo_u32_b32 v105, v33, 0
	v_cmp_ne_u32_e64 s20, 0, v33
	s_delay_alu instid0(VALU_DEP_2)
	v_cmp_eq_u32_e64 s19, 0, v105
	s_and_b32 s20, s20, s19
	s_wait_alu 0xfffe
	s_and_saveexec_b32 s19, s20
	s_cbranch_execz .LBB227_69
; %bb.68:
	s_wait_dscnt 0x0
	v_bcnt_u32_b32 v33, v33, v0
	ds_store_b32 v106, v33 offset:16
.LBB227_69:
	s_wait_alu 0xfffe
	s_or_b32 exec_lo, exec_lo, s19
	; wave barrier
	s_wait_loadcnt_dscnt 0x0
	s_barrier_signal -1
	s_barrier_wait -1
	global_inv scope:SCOPE_SE
	ds_load_b128 v[37:40], v67 offset:16
	ds_load_b128 v[33:36], v67 offset:32
	s_wait_dscnt 0x1
	v_add_nc_u32_e32 v107, v38, v37
	s_delay_alu instid0(VALU_DEP_1) | instskip(SKIP_1) | instid1(VALU_DEP_1)
	v_add3_u32 v107, v107, v39, v40
	s_wait_dscnt 0x0
	v_add3_u32 v107, v107, v33, v34
	s_delay_alu instid0(VALU_DEP_1) | instskip(NEXT) | instid1(VALU_DEP_1)
	v_add3_u32 v36, v107, v35, v36
	v_mov_b32_dpp v107, v36 row_shr:1 row_mask:0xf bank_mask:0xf
	s_delay_alu instid0(VALU_DEP_1) | instskip(NEXT) | instid1(VALU_DEP_1)
	v_cndmask_b32_e64 v107, v107, 0, s8
	v_add_nc_u32_e32 v36, v107, v36
	s_delay_alu instid0(VALU_DEP_1) | instskip(NEXT) | instid1(VALU_DEP_1)
	v_mov_b32_dpp v107, v36 row_shr:2 row_mask:0xf bank_mask:0xf
	v_cndmask_b32_e64 v107, 0, v107, s10
	s_delay_alu instid0(VALU_DEP_1) | instskip(NEXT) | instid1(VALU_DEP_1)
	v_add_nc_u32_e32 v36, v36, v107
	v_mov_b32_dpp v107, v36 row_shr:4 row_mask:0xf bank_mask:0xf
	s_delay_alu instid0(VALU_DEP_1) | instskip(NEXT) | instid1(VALU_DEP_1)
	v_cndmask_b32_e64 v107, 0, v107, s11
	v_add_nc_u32_e32 v36, v36, v107
	s_delay_alu instid0(VALU_DEP_1) | instskip(NEXT) | instid1(VALU_DEP_1)
	v_mov_b32_dpp v107, v36 row_shr:8 row_mask:0xf bank_mask:0xf
	v_cndmask_b32_e64 v107, 0, v107, s13
	s_delay_alu instid0(VALU_DEP_1) | instskip(SKIP_3) | instid1(VALU_DEP_1)
	v_add_nc_u32_e32 v36, v36, v107
	ds_swizzle_b32 v107, v36 offset:swizzle(BROADCAST,32,15)
	s_wait_dscnt 0x0
	v_cndmask_b32_e64 v107, v107, 0, s16
	v_add_nc_u32_e32 v36, v36, v107
	s_and_saveexec_b32 s8, s14
; %bb.70:
	ds_store_b32 v82, v36
; %bb.71:
	s_wait_alu 0xfffe
	s_or_b32 exec_lo, exec_lo, s8
	s_wait_loadcnt_dscnt 0x0
	s_barrier_signal -1
	s_barrier_wait -1
	global_inv scope:SCOPE_SE
	s_and_saveexec_b32 s8, s15
	s_cbranch_execz .LBB227_73
; %bb.72:
	ds_load_b32 v82, v83
	s_wait_dscnt 0x0
	v_mov_b32_dpp v107, v82 row_shr:1 row_mask:0xf bank_mask:0xf
	s_delay_alu instid0(VALU_DEP_1) | instskip(NEXT) | instid1(VALU_DEP_1)
	v_cndmask_b32_e64 v107, v107, 0, s12
	v_add_nc_u32_e32 v82, v107, v82
	s_delay_alu instid0(VALU_DEP_1) | instskip(NEXT) | instid1(VALU_DEP_1)
	v_mov_b32_dpp v107, v82 row_shr:2 row_mask:0xf bank_mask:0xf
	v_cndmask_b32_e64 v107, 0, v107, s9
	s_delay_alu instid0(VALU_DEP_1)
	v_add_nc_u32_e32 v82, v82, v107
	ds_store_b32 v83, v82
.LBB227_73:
	s_wait_alu 0xfffe
	s_or_b32 exec_lo, exec_lo, s8
	v_mov_b32_e32 v82, 0
	s_wait_loadcnt_dscnt 0x0
	s_barrier_signal -1
	s_barrier_wait -1
	global_inv scope:SCOPE_SE
	s_and_saveexec_b32 s8, s17
; %bb.74:
	ds_load_b32 v82, v84
; %bb.75:
	s_wait_alu 0xfffe
	s_or_b32 exec_lo, exec_lo, s8
	s_wait_dscnt 0x0
	v_add_nc_u32_e32 v36, v82, v36
	ds_bpermute_b32 v36, v85, v36
	s_wait_dscnt 0x0
	v_cndmask_b32_e32 v36, v36, v82, vcc_lo
	s_delay_alu instid0(VALU_DEP_1) | instskip(NEXT) | instid1(VALU_DEP_1)
	v_cndmask_b32_e64 v36, v36, 0, s18
	v_add_nc_u32_e32 v37, v36, v37
	s_delay_alu instid0(VALU_DEP_1) | instskip(NEXT) | instid1(VALU_DEP_1)
	v_add_nc_u32_e32 v38, v37, v38
	v_add_nc_u32_e32 v39, v38, v39
	s_delay_alu instid0(VALU_DEP_1) | instskip(NEXT) | instid1(VALU_DEP_1)
	v_add_nc_u32_e32 v82, v39, v40
	;; [unrolled: 3-line block ×3, first 2 shown]
	v_add_nc_u32_e32 v85, v84, v35
	ds_store_b128 v67, v[36:39] offset:16
	ds_store_b128 v67, v[82:85] offset:32
	s_wait_loadcnt_dscnt 0x0
	s_barrier_signal -1
	s_barrier_wait -1
	global_inv scope:SCOPE_SE
	ds_load_b32 v33, v106 offset:16
	ds_load_b32 v34, v104 offset:16
	;; [unrolled: 1-line block ×8, first 2 shown]
	v_lshlrev_b32_e32 v82, 1, v66
	s_wait_loadcnt_dscnt 0x0
	s_barrier_signal -1
	s_barrier_wait -1
	global_inv scope:SCOPE_SE
	v_mad_u32_u24 v83, v46, 48, v82
	v_add3_u32 v84, v105, v0, v33
	v_add3_u32 v85, v103, v102, v34
	;; [unrolled: 1-line block ×3, first 2 shown]
	v_add_nc_u32_e32 v81, v36, v81
	v_add3_u32 v87, v88, v87, v37
	v_add3_u32 v88, v91, v90, v38
	;; [unrolled: 1-line block ×4, first 2 shown]
	v_lshlrev_b32_e32 v0, 1, v81
	v_lshlrev_b32_e32 v33, 1, v87
	;; [unrolled: 1-line block ×8, first 2 shown]
	ds_store_b16 v0, v74
	ds_store_b16 v33, v75
	;; [unrolled: 1-line block ×8, first 2 shown]
	v_mad_co_u64_u32 v[73:74], null, v81, 6, v[0:1]
	v_mad_co_u64_u32 v[74:75], null, v87, 6, v[33:34]
	;; [unrolled: 1-line block ×4, first 2 shown]
	s_wait_loadcnt_dscnt 0x0
	s_barrier_signal -1
	s_barrier_wait -1
	global_inv scope:SCOPE_SE
	v_mad_co_u64_u32 v[77:78], null, v40, 6, v[36:37]
	ds_load_b128 v[33:36], v82
	v_mad_co_u64_u32 v[78:79], null, v86, 6, v[37:38]
	v_mad_co_u64_u32 v[37:38], null, v85, 6, v[38:39]
	;; [unrolled: 1-line block ×3, first 2 shown]
	s_wait_loadcnt_dscnt 0x0
	s_barrier_signal -1
	s_barrier_wait -1
	global_inv scope:SCOPE_SE
	ds_store_b64 v73, v[21:22]
	ds_store_b64 v74, v[23:24]
	;; [unrolled: 1-line block ×8, first 2 shown]
	s_wait_loadcnt_dscnt 0x0
	s_barrier_signal -1
	s_barrier_wait -1
	global_inv scope:SCOPE_SE
	ds_load_b128 v[29:32], v83
	ds_load_b128 v[25:28], v83 offset:16
	ds_load_b128 v[21:24], v83 offset:32
	ds_load_b128 v[17:20], v83 offset:48
	v_cmp_lt_i16_e32 vcc_lo, -1, v33
	v_lshrrev_b32_e32 v0, 16, v33
	v_lshrrev_b32_e32 v38, 16, v34
	;; [unrolled: 1-line block ×4, first 2 shown]
	s_wait_alu 0xfffd
	v_cndmask_b32_e64 v37, 0xffff8000, -1, vcc_lo
	v_cmp_lt_i16_e32 vcc_lo, -1, v34
	s_wait_alu 0xfffd
	v_cndmask_b32_e64 v39, 0xffff8000, -1, vcc_lo
	v_cmp_lt_i16_e32 vcc_lo, -1, v35
	;; [unrolled: 3-line block ×5, first 2 shown]
	s_delay_alu instid0(VALU_DEP_2) | instskip(SKIP_3) | instid1(VALU_DEP_3)
	v_perm_b32 v0, v0, v37, 0x5040100
	s_wait_alu 0xfffd
	v_cndmask_b32_e64 v38, 0xffff8000, -1, vcc_lo
	v_cmp_lt_i16_e32 vcc_lo, -1, v40
	v_xor_b32_e32 v0, v0, v33
	s_delay_alu instid0(VALU_DEP_3) | instskip(SKIP_3) | instid1(VALU_DEP_3)
	v_perm_b32 v37, v38, v39, 0x5040100
	s_wait_alu 0xfffd
	v_cndmask_b32_e64 v40, 0xffff8000, -1, vcc_lo
	v_cmp_lt_i16_e32 vcc_lo, -1, v74
	v_xor_b32_e32 v34, v37, v34
	s_delay_alu instid0(VALU_DEP_3) | instskip(SKIP_2) | instid1(VALU_DEP_2)
	v_perm_b32 v38, v40, v73, 0x5040100
	s_wait_alu 0xfffd
	v_cndmask_b32_e64 v74, 0xffff8000, -1, vcc_lo
	v_xor_b32_e32 v33, v38, v35
	s_delay_alu instid0(VALU_DEP_2) | instskip(NEXT) | instid1(VALU_DEP_1)
	v_perm_b32 v39, v74, v75, 0x5040100
	v_xor_b32_e32 v35, v39, v36
	s_branch .LBB227_128
.LBB227_76:
	v_lshlrev_b64_e32 v[1:2], 3, v[41:42]
	v_dual_mov_b32 v43, v42 :: v_dual_mov_b32 v10, v42
	v_dual_mov_b32 v9, v42 :: v_dual_mov_b32 v12, v42
	v_mov_b32_e32 v11, v42
	s_delay_alu instid0(VALU_DEP_4)
	v_add_co_u32 v1, vcc_lo, s34, v1
	s_wait_alu 0xfffd
	v_add_co_ci_u32_e64 v2, null, s35, v2, vcc_lo
	v_dual_mov_b32 v3, v42 :: v_dual_mov_b32 v6, v42
	v_dual_mov_b32 v5, v42 :: v_dual_mov_b32 v8, v42
	global_load_b64 v[13:14], v[1:2], off
	v_dual_mov_b32 v1, v42 :: v_dual_mov_b32 v4, v42
	v_dual_mov_b32 v2, v42 :: v_dual_mov_b32 v7, v42
	s_or_b32 exec_lo, exec_lo, s9
	s_and_saveexec_b32 s9, s1
	s_cbranch_execz .LBB227_22
.LBB227_77:
	v_mul_lo_u32 v22, s28, v15
	v_mov_b32_e32 v23, 0
	s_delay_alu instid0(VALU_DEP_1) | instskip(NEXT) | instid1(VALU_DEP_1)
	v_lshlrev_b64_e32 v[22:23], 3, v[22:23]
	v_add_co_u32 v22, vcc_lo, s34, v22
	s_wait_alu 0xfffd
	s_delay_alu instid0(VALU_DEP_2)
	v_add_co_ci_u32_e64 v23, null, s35, v23, vcc_lo
	global_load_b64 v[42:43], v[22:23], off
	s_or_b32 exec_lo, exec_lo, s9
	s_and_saveexec_b32 s9, s2
	s_cbranch_execz .LBB227_23
.LBB227_78:
	v_mul_lo_u32 v9, s28, v16
	v_mov_b32_e32 v10, 0
	s_delay_alu instid0(VALU_DEP_1) | instskip(NEXT) | instid1(VALU_DEP_1)
	v_lshlrev_b64_e32 v[9:10], 3, v[9:10]
	v_add_co_u32 v9, vcc_lo, s34, v9
	s_wait_alu 0xfffd
	s_delay_alu instid0(VALU_DEP_2)
	v_add_co_ci_u32_e64 v10, null, s35, v10, vcc_lo
	global_load_b64 v[9:10], v[9:10], off
	s_or_b32 exec_lo, exec_lo, s9
	s_and_saveexec_b32 s9, s3
	s_cbranch_execz .LBB227_24
.LBB227_79:
	v_mul_lo_u32 v11, s28, v17
	v_mov_b32_e32 v12, 0
	s_delay_alu instid0(VALU_DEP_1) | instskip(NEXT) | instid1(VALU_DEP_1)
	v_lshlrev_b64_e32 v[11:12], 3, v[11:12]
	v_add_co_u32 v11, vcc_lo, s34, v11
	s_wait_alu 0xfffd
	s_delay_alu instid0(VALU_DEP_2)
	v_add_co_ci_u32_e64 v12, null, s35, v12, vcc_lo
	global_load_b64 v[11:12], v[11:12], off
	s_or_b32 exec_lo, exec_lo, s9
	s_and_saveexec_b32 s9, s4
	s_cbranch_execz .LBB227_25
.LBB227_80:
	v_mul_lo_u32 v1, s28, v18
	v_mov_b32_e32 v2, 0
	s_delay_alu instid0(VALU_DEP_1) | instskip(NEXT) | instid1(VALU_DEP_1)
	v_lshlrev_b64_e32 v[1:2], 3, v[1:2]
	v_add_co_u32 v1, vcc_lo, s34, v1
	s_wait_alu 0xfffd
	s_delay_alu instid0(VALU_DEP_2)
	v_add_co_ci_u32_e64 v2, null, s35, v2, vcc_lo
	global_load_b64 v[1:2], v[1:2], off
	s_or_b32 exec_lo, exec_lo, s9
	s_and_saveexec_b32 s9, s5
	s_cbranch_execz .LBB227_26
.LBB227_81:
	v_mul_lo_u32 v3, s28, v19
	v_mov_b32_e32 v4, 0
	s_delay_alu instid0(VALU_DEP_1) | instskip(NEXT) | instid1(VALU_DEP_1)
	v_lshlrev_b64_e32 v[3:4], 3, v[3:4]
	v_add_co_u32 v3, vcc_lo, s34, v3
	s_wait_alu 0xfffd
	s_delay_alu instid0(VALU_DEP_2)
	v_add_co_ci_u32_e64 v4, null, s35, v4, vcc_lo
	global_load_b64 v[3:4], v[3:4], off
	s_or_b32 exec_lo, exec_lo, s9
	s_and_saveexec_b32 s9, s6
	s_cbranch_execnz .LBB227_27
	s_branch .LBB227_28
.LBB227_82:
                                        ; implicit-def: $vgpr19_vgpr20
                                        ; implicit-def: $vgpr23_vgpr24
                                        ; implicit-def: $vgpr27_vgpr28
                                        ; implicit-def: $vgpr31_vgpr32
                                        ; implicit-def: $vgpr35
                                        ; implicit-def: $vgpr33
                                        ; implicit-def: $vgpr34
                                        ; implicit-def: $vgpr0
	s_cbranch_execz .LBB227_128
; %bb.83:
	v_lshrrev_b32_e32 v0, 16, v49
	v_cmp_gt_i16_e32 vcc_lo, 0, v49
	s_wait_dscnt 0x0
	v_lshrrev_b32_e32 v17, 16, v50
	v_lshrrev_b32_e32 v18, 16, v47
	;; [unrolled: 1-line block ×3, first 2 shown]
	v_or_b32_e32 v21, v69, v70
	s_wait_alu 0xfffd
	v_cndmask_b32_e64 v20, 0x7fff, 0, vcc_lo
	v_cmp_gt_i16_e32 vcc_lo, 0, v0
	v_and_or_b32 v36, 0x1f00, v66, v69
	s_mov_b32 s12, 0
	s_getpc_b64 s[8:9]
	s_sext_i32_i16 s9, s9
	s_add_co_u32 s8, s8, _ZN7rocprim17ROCPRIM_400000_NS16block_radix_sortI6__halfLj128ELj8ElLj1ELj1ELj0ELNS0_26block_radix_rank_algorithmE1ELNS0_18block_padding_hintE2ELNS0_4arch9wavefront6targetE0EE19radix_bits_per_passE@rel32@lo+8
	s_add_co_ci_u32 s9, s9, _ZN7rocprim17ROCPRIM_400000_NS16block_radix_sortI6__halfLj128ELj8ElLj1ELj1ELj0ELNS0_26block_radix_rank_algorithmE1ELNS0_18block_padding_hintE2ELNS0_4arch9wavefront6targetE0EE19radix_bits_per_passE@rel32@hi+16
	s_mov_b32 s13, s12
	s_wait_alu 0xfffd
	v_cndmask_b32_e64 v0, 0x7fff, 0, vcc_lo
	v_cmp_gt_i16_e32 vcc_lo, 0, v50
	s_mov_b32 s14, s12
	s_mov_b32 s15, s12
	v_lshlrev_b32_e32 v25, 1, v36
	v_perm_b32 v0, v0, v20, 0x5040100
	s_wait_alu 0xfffd
	v_cndmask_b32_e64 v22, 0x7fff, 0, vcc_lo
	v_cmp_gt_i16_e32 vcc_lo, 0, v17
	s_load_b32 s19, s[8:9], 0x0
	v_cndmask_b32_e64 v17, 0x7fff, 0, vcc_lo
	v_cmp_gt_i16_e32 vcc_lo, 0, v47
	s_delay_alu instid0(VALU_DEP_2)
	v_perm_b32 v20, v17, v22, 0x5040100
	s_wait_alu 0xfffd
	v_cndmask_b32_e64 v23, 0x7fff, 0, vcc_lo
	v_cmp_gt_i16_e32 vcc_lo, 0, v18
	v_xor_b32_e32 v17, v0, v49
	s_wait_alu 0xfffd
	v_cndmask_b32_e64 v18, 0x7fff, 0, vcc_lo
	v_cmp_gt_i16_e32 vcc_lo, 0, v48
	s_wait_kmcnt 0x0
	s_min_u32 s8, s19, 16
	s_delay_alu instid0(VALU_DEP_2)
	v_perm_b32 v22, v18, v23, 0x5040100
	s_wait_alu 0xfffd
	v_cndmask_b32_e64 v24, 0x7fff, 0, vcc_lo
	v_cmp_gt_i16_e32 vcc_lo, 0, v19
	v_lshlrev_b32_e32 v23, 4, v21
	v_xor_b32_e32 v18, v20, v50
	s_lshl_b32 s8, -1, s8
	s_wait_alu 0xfffd
	v_cndmask_b32_e64 v19, 0x7fff, 0, vcc_lo
	s_not_b32 s9, s8
	s_delay_alu instid0(VALU_DEP_1) | instskip(SKIP_1) | instid1(VALU_DEP_2)
	v_perm_b32 v24, v19, v24, 0x5040100
	v_xor_b32_e32 v19, v22, v47
	v_xor_b32_e32 v20, v24, v48
	ds_store_b128 v23, v[17:20]
	; wave barrier
	ds_load_u16 v26, v25
	ds_load_u16 v27, v25 offset:64
	ds_load_u16 v28, v25 offset:128
	;; [unrolled: 1-line block ×7, first 2 shown]
	s_wait_loadcnt_dscnt 0x0
	s_barrier_signal -1
	s_barrier_wait -1
	global_inv scope:SCOPE_SE
	v_cmp_ne_u16_e32 vcc_lo, 0x8000, v26
	s_wait_alu 0xfffd
	v_cndmask_b32_e32 v0, 0x7fff, v26, vcc_lo
	v_mad_u32_u24 v17, v21, 48, v23
	ds_store_b128 v17, v[13:16]
	ds_store_b128 v17, v[9:12] offset:16
	v_and_b32_e32 v0, 0xffff, v0
	ds_store_b128 v17, v[5:8] offset:32
	ds_store_b128 v17, v[1:4] offset:48
	v_mad_u32_u24 v12, v36, 6, v25
	; wave barrier
	v_and_b32_e32 v23, s9, v0
	ds_load_2addr_b64 v[8:11], v12 offset1:32
	ds_load_2addr_b64 v[0:3], v12 offset0:64 offset1:96
	v_and_b32_e32 v4, 1, v23
	v_lshlrev_b32_e32 v18, 30, v23
	v_lshlrev_b32_e32 v19, 29, v23
	;; [unrolled: 1-line block ×3, first 2 shown]
	s_delay_alu instid0(VALU_DEP_4)
	v_add_co_u32 v16, s8, v4, -1
	s_wait_alu 0xf1ff
	v_cndmask_b32_e64 v17, 0, 1, s8
	ds_load_2addr_b64 v[4:7], v12 offset0:128 offset1:160
	ds_load_2addr_b64 v[12:15], v12 offset0:192 offset1:224
	s_wait_loadcnt_dscnt 0x0
	s_barrier_signal -1
	v_cmp_ne_u32_e32 vcc_lo, 0, v17
	v_not_b32_e32 v17, v18
	s_barrier_wait -1
	global_inv scope:SCOPE_SE
	s_load_b32 s8, s[36:37], 0xc
	v_xor_b32_e32 v16, vcc_lo, v16
	v_cmp_gt_i32_e32 vcc_lo, 0, v18
	v_ashrrev_i32_e32 v17, 31, v17
	v_not_b32_e32 v18, v19
	s_delay_alu instid0(VALU_DEP_4) | instskip(SKIP_1) | instid1(VALU_DEP_3)
	v_and_b32_e32 v16, exec_lo, v16
	s_wait_alu 0xfffd
	v_xor_b32_e32 v17, vcc_lo, v17
	v_cmp_gt_i32_e32 vcc_lo, 0, v19
	v_ashrrev_i32_e32 v18, 31, v18
	v_not_b32_e32 v19, v20
	s_delay_alu instid0(VALU_DEP_4)
	v_and_b32_e32 v16, v16, v17
	v_lshlrev_b32_e32 v17, 27, v23
	s_wait_alu 0xfffd
	v_xor_b32_e32 v18, vcc_lo, v18
	v_cmp_gt_i32_e32 vcc_lo, 0, v20
	v_ashrrev_i32_e32 v19, 31, v19
	v_not_b32_e32 v20, v17
	s_delay_alu instid0(VALU_DEP_4)
	v_and_b32_e32 v16, v16, v18
	v_lshlrev_b32_e32 v18, 26, v23
	s_wait_alu 0xfffd
	v_xor_b32_e32 v19, vcc_lo, v19
	v_cmp_gt_i32_e32 vcc_lo, 0, v17
	v_ashrrev_i32_e32 v17, 31, v20
	s_wait_kmcnt 0x0
	s_lshr_b32 s10, s8, 16
	v_not_b32_e32 v20, v18
	v_and_b32_e32 v16, v16, v19
	v_lshlrev_b32_e32 v19, 25, v23
	s_wait_alu 0xfffd
	v_xor_b32_e32 v17, vcc_lo, v17
	v_cmp_gt_i32_e32 vcc_lo, 0, v18
	v_ashrrev_i32_e32 v18, 31, v20
	v_mad_u32_u24 v21, v72, s10, v71
	v_not_b32_e32 v20, v19
	v_and_b32_e32 v16, v16, v17
	v_lshlrev_b32_e32 v17, 24, v23
	s_wait_alu 0xfffd
	v_xor_b32_e32 v18, vcc_lo, v18
	v_cmp_gt_i32_e32 vcc_lo, 0, v19
	v_ashrrev_i32_e32 v19, 31, v20
	s_and_b32 s8, s8, 0xffff
	v_not_b32_e32 v20, v17
	v_and_b32_e32 v16, v16, v18
	s_wait_alu 0xfffe
	v_mad_co_u64_u32 v[21:22], null, v21, s8, v[46:47]
	s_wait_alu 0xfffd
	v_xor_b32_e32 v18, vcc_lo, v19
	v_cmp_gt_i32_e32 vcc_lo, 0, v17
	v_ashrrev_i32_e32 v17, 31, v20
	s_delay_alu instid0(VALU_DEP_3) | instskip(SKIP_2) | instid1(VALU_DEP_3)
	v_and_b32_e32 v16, v16, v18
	v_lshrrev_b32_e32 v21, 5, v21
	s_wait_alu 0xfffd
	v_xor_b32_e32 v22, vcc_lo, v17
	v_dual_mov_b32 v20, s15 :: v_dual_mov_b32 v19, s14
	v_dual_mov_b32 v18, s13 :: v_dual_mov_b32 v17, s12
	s_delay_alu instid0(VALU_DEP_3)
	v_and_b32_e32 v16, v16, v22
	ds_store_b128 v67, v[17:20] offset:16
	ds_store_b128 v67, v[17:20] offset:32
	v_mbcnt_lo_u32_b32 v38, v16, 0
	v_lshlrev_b32_e32 v24, 2, v21
	v_lshlrev_b32_e32 v17, 4, v23
	v_cmp_ne_u32_e64 s8, 0, v16
	s_wait_loadcnt_dscnt 0x0
	v_cmp_eq_u32_e32 vcc_lo, 0, v38
	s_barrier_signal -1
	v_add_nc_u32_e32 v39, v24, v17
	s_barrier_wait -1
	global_inv scope:SCOPE_SE
	s_and_b32 s10, s8, vcc_lo
	; wave barrier
	s_wait_alu 0xfffe
	s_and_saveexec_b32 s8, s10
; %bb.84:
	v_bcnt_u32_b32 v16, v16, 0
	ds_store_b32 v39, v16 offset:16
; %bb.85:
	s_wait_alu 0xfffe
	s_or_b32 exec_lo, exec_lo, s8
	v_cmp_ne_u16_e32 vcc_lo, 0x8000, v27
	; wave barrier
	s_wait_alu 0xfffd
	v_cndmask_b32_e32 v16, 0x7fff, v27, vcc_lo
	s_delay_alu instid0(VALU_DEP_1) | instskip(NEXT) | instid1(VALU_DEP_1)
	v_and_b32_e32 v16, 0xffff, v16
	v_and_b32_e32 v16, s9, v16
	s_delay_alu instid0(VALU_DEP_1)
	v_and_b32_e32 v17, 1, v16
	v_lshlrev_b32_e32 v18, 30, v16
	v_lshlrev_b32_e32 v19, 29, v16
	;; [unrolled: 1-line block ×4, first 2 shown]
	v_add_co_u32 v17, s8, v17, -1
	s_wait_alu 0xf1ff
	v_cndmask_b32_e64 v21, 0, 1, s8
	v_not_b32_e32 v35, v18
	v_cmp_gt_i32_e64 s8, 0, v18
	v_not_b32_e32 v18, v19
	v_lshlrev_b32_e32 v23, 26, v16
	v_cmp_ne_u32_e32 vcc_lo, 0, v21
	v_ashrrev_i32_e32 v35, 31, v35
	v_lshlrev_b32_e32 v34, 25, v16
	v_ashrrev_i32_e32 v18, 31, v18
	v_lshlrev_b32_e32 v21, 24, v16
	s_wait_alu 0xfffd
	v_xor_b32_e32 v17, vcc_lo, v17
	v_cmp_gt_i32_e32 vcc_lo, 0, v19
	v_not_b32_e32 v19, v20
	s_wait_alu 0xf1ff
	v_xor_b32_e32 v35, s8, v35
	v_cmp_gt_i32_e64 s8, 0, v20
	v_and_b32_e32 v17, exec_lo, v17
	v_not_b32_e32 v20, v22
	v_ashrrev_i32_e32 v19, 31, v19
	s_wait_alu 0xfffd
	v_xor_b32_e32 v18, vcc_lo, v18
	v_cmp_gt_i32_e32 vcc_lo, 0, v22
	v_and_b32_e32 v17, v17, v35
	v_not_b32_e32 v22, v23
	v_ashrrev_i32_e32 v20, 31, v20
	s_wait_alu 0xf1ff
	v_xor_b32_e32 v19, s8, v19
	v_cmp_gt_i32_e64 s8, 0, v23
	v_and_b32_e32 v17, v17, v18
	v_not_b32_e32 v18, v34
	v_ashrrev_i32_e32 v22, 31, v22
	s_wait_alu 0xfffd
	v_xor_b32_e32 v20, vcc_lo, v20
	v_cmp_gt_i32_e32 vcc_lo, 0, v34
	v_and_b32_e32 v17, v17, v19
	v_not_b32_e32 v19, v21
	v_ashrrev_i32_e32 v18, 31, v18
	s_wait_alu 0xf1ff
	v_xor_b32_e32 v22, s8, v22
	v_lshlrev_b32_e32 v16, 4, v16
	v_and_b32_e32 v17, v17, v20
	v_cmp_gt_i32_e64 s8, 0, v21
	v_ashrrev_i32_e32 v19, 31, v19
	s_wait_alu 0xfffd
	v_xor_b32_e32 v18, vcc_lo, v18
	v_add_nc_u32_e32 v48, v24, v16
	v_and_b32_e32 v17, v17, v22
	s_wait_alu 0xf1ff
	v_xor_b32_e32 v16, s8, v19
	ds_load_b32 v40, v48 offset:16
	v_and_b32_e32 v17, v17, v18
	; wave barrier
	s_delay_alu instid0(VALU_DEP_1) | instskip(NEXT) | instid1(VALU_DEP_1)
	v_and_b32_e32 v16, v17, v16
	v_mbcnt_lo_u32_b32 v47, v16, 0
	v_cmp_ne_u32_e64 s8, 0, v16
	s_delay_alu instid0(VALU_DEP_2)
	v_cmp_eq_u32_e32 vcc_lo, 0, v47
	s_and_b32 s10, s8, vcc_lo
	s_wait_alu 0xfffe
	s_and_saveexec_b32 s8, s10
	s_cbranch_execz .LBB227_87
; %bb.86:
	s_wait_dscnt 0x0
	v_bcnt_u32_b32 v16, v16, v40
	ds_store_b32 v48, v16 offset:16
.LBB227_87:
	s_wait_alu 0xfffe
	s_or_b32 exec_lo, exec_lo, s8
	v_cmp_ne_u16_e32 vcc_lo, 0x8000, v28
	; wave barrier
	s_wait_alu 0xfffd
	v_cndmask_b32_e32 v16, 0x7fff, v28, vcc_lo
	s_delay_alu instid0(VALU_DEP_1) | instskip(NEXT) | instid1(VALU_DEP_1)
	v_and_b32_e32 v16, 0xffff, v16
	v_and_b32_e32 v16, s9, v16
	s_delay_alu instid0(VALU_DEP_1)
	v_and_b32_e32 v17, 1, v16
	v_lshlrev_b32_e32 v18, 30, v16
	v_lshlrev_b32_e32 v19, 29, v16
	;; [unrolled: 1-line block ×4, first 2 shown]
	v_add_co_u32 v17, s8, v17, -1
	s_wait_alu 0xf1ff
	v_cndmask_b32_e64 v21, 0, 1, s8
	v_not_b32_e32 v35, v18
	v_cmp_gt_i32_e64 s8, 0, v18
	v_not_b32_e32 v18, v19
	v_lshlrev_b32_e32 v23, 26, v16
	v_cmp_ne_u32_e32 vcc_lo, 0, v21
	v_ashrrev_i32_e32 v35, 31, v35
	v_lshlrev_b32_e32 v34, 25, v16
	v_ashrrev_i32_e32 v18, 31, v18
	v_lshlrev_b32_e32 v21, 24, v16
	s_wait_alu 0xfffd
	v_xor_b32_e32 v17, vcc_lo, v17
	v_cmp_gt_i32_e32 vcc_lo, 0, v19
	v_not_b32_e32 v19, v20
	s_wait_alu 0xf1ff
	v_xor_b32_e32 v35, s8, v35
	v_cmp_gt_i32_e64 s8, 0, v20
	v_and_b32_e32 v17, exec_lo, v17
	v_not_b32_e32 v20, v22
	v_ashrrev_i32_e32 v19, 31, v19
	s_wait_alu 0xfffd
	v_xor_b32_e32 v18, vcc_lo, v18
	v_cmp_gt_i32_e32 vcc_lo, 0, v22
	v_and_b32_e32 v17, v17, v35
	v_not_b32_e32 v22, v23
	v_ashrrev_i32_e32 v20, 31, v20
	s_wait_alu 0xf1ff
	v_xor_b32_e32 v19, s8, v19
	v_cmp_gt_i32_e64 s8, 0, v23
	v_and_b32_e32 v17, v17, v18
	v_not_b32_e32 v18, v34
	v_ashrrev_i32_e32 v22, 31, v22
	s_wait_alu 0xfffd
	v_xor_b32_e32 v20, vcc_lo, v20
	v_cmp_gt_i32_e32 vcc_lo, 0, v34
	v_and_b32_e32 v17, v17, v19
	v_not_b32_e32 v19, v21
	v_ashrrev_i32_e32 v18, 31, v18
	s_wait_alu 0xf1ff
	v_xor_b32_e32 v22, s8, v22
	v_lshlrev_b32_e32 v16, 4, v16
	v_and_b32_e32 v17, v17, v20
	v_cmp_gt_i32_e64 s8, 0, v21
	v_ashrrev_i32_e32 v19, 31, v19
	s_wait_alu 0xfffd
	v_xor_b32_e32 v18, vcc_lo, v18
	v_add_nc_u32_e32 v71, v24, v16
	v_and_b32_e32 v17, v17, v22
	s_wait_alu 0xf1ff
	v_xor_b32_e32 v16, s8, v19
	ds_load_b32 v49, v71 offset:16
	v_and_b32_e32 v17, v17, v18
	; wave barrier
	s_delay_alu instid0(VALU_DEP_1) | instskip(NEXT) | instid1(VALU_DEP_1)
	v_and_b32_e32 v16, v17, v16
	v_mbcnt_lo_u32_b32 v50, v16, 0
	v_cmp_ne_u32_e64 s8, 0, v16
	s_delay_alu instid0(VALU_DEP_2)
	v_cmp_eq_u32_e32 vcc_lo, 0, v50
	s_and_b32 s10, s8, vcc_lo
	s_wait_alu 0xfffe
	s_and_saveexec_b32 s8, s10
	s_cbranch_execz .LBB227_89
; %bb.88:
	s_wait_dscnt 0x0
	v_bcnt_u32_b32 v16, v16, v49
	ds_store_b32 v71, v16 offset:16
.LBB227_89:
	s_wait_alu 0xfffe
	s_or_b32 exec_lo, exec_lo, s8
	v_cmp_ne_u16_e32 vcc_lo, 0x8000, v29
	; wave barrier
	s_wait_alu 0xfffd
	v_cndmask_b32_e32 v16, 0x7fff, v29, vcc_lo
	s_delay_alu instid0(VALU_DEP_1) | instskip(NEXT) | instid1(VALU_DEP_1)
	v_and_b32_e32 v16, 0xffff, v16
	v_and_b32_e32 v16, s9, v16
	s_delay_alu instid0(VALU_DEP_1)
	v_and_b32_e32 v17, 1, v16
	v_lshlrev_b32_e32 v18, 30, v16
	v_lshlrev_b32_e32 v19, 29, v16
	;; [unrolled: 1-line block ×4, first 2 shown]
	v_add_co_u32 v17, s8, v17, -1
	s_wait_alu 0xf1ff
	v_cndmask_b32_e64 v21, 0, 1, s8
	v_not_b32_e32 v35, v18
	v_cmp_gt_i32_e64 s8, 0, v18
	v_not_b32_e32 v18, v19
	v_lshlrev_b32_e32 v23, 26, v16
	v_cmp_ne_u32_e32 vcc_lo, 0, v21
	v_ashrrev_i32_e32 v35, 31, v35
	v_lshlrev_b32_e32 v34, 25, v16
	v_ashrrev_i32_e32 v18, 31, v18
	v_lshlrev_b32_e32 v21, 24, v16
	s_wait_alu 0xfffd
	v_xor_b32_e32 v17, vcc_lo, v17
	v_cmp_gt_i32_e32 vcc_lo, 0, v19
	v_not_b32_e32 v19, v20
	s_wait_alu 0xf1ff
	v_xor_b32_e32 v35, s8, v35
	v_cmp_gt_i32_e64 s8, 0, v20
	v_and_b32_e32 v17, exec_lo, v17
	v_not_b32_e32 v20, v22
	v_ashrrev_i32_e32 v19, 31, v19
	s_wait_alu 0xfffd
	v_xor_b32_e32 v18, vcc_lo, v18
	v_cmp_gt_i32_e32 vcc_lo, 0, v22
	v_and_b32_e32 v17, v17, v35
	v_not_b32_e32 v22, v23
	v_ashrrev_i32_e32 v20, 31, v20
	s_wait_alu 0xf1ff
	v_xor_b32_e32 v19, s8, v19
	v_cmp_gt_i32_e64 s8, 0, v23
	v_and_b32_e32 v17, v17, v18
	v_not_b32_e32 v18, v34
	v_ashrrev_i32_e32 v22, 31, v22
	s_wait_alu 0xfffd
	v_xor_b32_e32 v20, vcc_lo, v20
	v_cmp_gt_i32_e32 vcc_lo, 0, v34
	v_and_b32_e32 v17, v17, v19
	v_not_b32_e32 v19, v21
	v_ashrrev_i32_e32 v18, 31, v18
	s_wait_alu 0xf1ff
	v_xor_b32_e32 v22, s8, v22
	v_lshlrev_b32_e32 v16, 4, v16
	v_and_b32_e32 v17, v17, v20
	v_cmp_gt_i32_e64 s8, 0, v21
	v_ashrrev_i32_e32 v19, 31, v19
	s_wait_alu 0xfffd
	v_xor_b32_e32 v18, vcc_lo, v18
	v_add_nc_u32_e32 v74, v24, v16
	v_and_b32_e32 v17, v17, v22
	s_wait_alu 0xf1ff
	v_xor_b32_e32 v16, s8, v19
	ds_load_b32 v72, v74 offset:16
	v_and_b32_e32 v17, v17, v18
	; wave barrier
	s_delay_alu instid0(VALU_DEP_1) | instskip(NEXT) | instid1(VALU_DEP_1)
	v_and_b32_e32 v16, v17, v16
	v_mbcnt_lo_u32_b32 v73, v16, 0
	v_cmp_ne_u32_e64 s8, 0, v16
	s_delay_alu instid0(VALU_DEP_2)
	v_cmp_eq_u32_e32 vcc_lo, 0, v73
	s_and_b32 s10, s8, vcc_lo
	s_wait_alu 0xfffe
	s_and_saveexec_b32 s8, s10
	s_cbranch_execz .LBB227_91
; %bb.90:
	s_wait_dscnt 0x0
	v_bcnt_u32_b32 v16, v16, v72
	ds_store_b32 v74, v16 offset:16
.LBB227_91:
	s_wait_alu 0xfffe
	s_or_b32 exec_lo, exec_lo, s8
	v_cmp_ne_u16_e32 vcc_lo, 0x8000, v30
	; wave barrier
	s_wait_alu 0xfffd
	v_cndmask_b32_e32 v16, 0x7fff, v30, vcc_lo
	s_delay_alu instid0(VALU_DEP_1) | instskip(NEXT) | instid1(VALU_DEP_1)
	v_and_b32_e32 v16, 0xffff, v16
	v_and_b32_e32 v16, s9, v16
	s_delay_alu instid0(VALU_DEP_1)
	v_and_b32_e32 v17, 1, v16
	v_lshlrev_b32_e32 v18, 30, v16
	v_lshlrev_b32_e32 v19, 29, v16
	;; [unrolled: 1-line block ×4, first 2 shown]
	v_add_co_u32 v17, s8, v17, -1
	s_wait_alu 0xf1ff
	v_cndmask_b32_e64 v21, 0, 1, s8
	v_not_b32_e32 v35, v18
	v_cmp_gt_i32_e64 s8, 0, v18
	v_not_b32_e32 v18, v19
	v_lshlrev_b32_e32 v23, 26, v16
	v_cmp_ne_u32_e32 vcc_lo, 0, v21
	v_ashrrev_i32_e32 v35, 31, v35
	v_lshlrev_b32_e32 v34, 25, v16
	v_ashrrev_i32_e32 v18, 31, v18
	v_lshlrev_b32_e32 v21, 24, v16
	s_wait_alu 0xfffd
	v_xor_b32_e32 v17, vcc_lo, v17
	v_cmp_gt_i32_e32 vcc_lo, 0, v19
	v_not_b32_e32 v19, v20
	s_wait_alu 0xf1ff
	v_xor_b32_e32 v35, s8, v35
	v_cmp_gt_i32_e64 s8, 0, v20
	v_and_b32_e32 v17, exec_lo, v17
	v_not_b32_e32 v20, v22
	v_ashrrev_i32_e32 v19, 31, v19
	s_wait_alu 0xfffd
	v_xor_b32_e32 v18, vcc_lo, v18
	v_cmp_gt_i32_e32 vcc_lo, 0, v22
	v_and_b32_e32 v17, v17, v35
	v_not_b32_e32 v22, v23
	v_ashrrev_i32_e32 v20, 31, v20
	s_wait_alu 0xf1ff
	v_xor_b32_e32 v19, s8, v19
	v_cmp_gt_i32_e64 s8, 0, v23
	v_and_b32_e32 v17, v17, v18
	v_not_b32_e32 v18, v34
	v_ashrrev_i32_e32 v22, 31, v22
	s_wait_alu 0xfffd
	v_xor_b32_e32 v20, vcc_lo, v20
	v_cmp_gt_i32_e32 vcc_lo, 0, v34
	v_and_b32_e32 v17, v17, v19
	v_not_b32_e32 v19, v21
	v_ashrrev_i32_e32 v18, 31, v18
	s_wait_alu 0xf1ff
	v_xor_b32_e32 v22, s8, v22
	v_lshlrev_b32_e32 v16, 4, v16
	v_and_b32_e32 v17, v17, v20
	v_cmp_gt_i32_e64 s8, 0, v21
	v_ashrrev_i32_e32 v19, 31, v19
	s_wait_alu 0xfffd
	v_xor_b32_e32 v18, vcc_lo, v18
	v_add_nc_u32_e32 v77, v24, v16
	v_and_b32_e32 v17, v17, v22
	s_wait_alu 0xf1ff
	v_xor_b32_e32 v16, s8, v19
	ds_load_b32 v75, v77 offset:16
	v_and_b32_e32 v17, v17, v18
	; wave barrier
	s_delay_alu instid0(VALU_DEP_1) | instskip(NEXT) | instid1(VALU_DEP_1)
	v_and_b32_e32 v16, v17, v16
	v_mbcnt_lo_u32_b32 v76, v16, 0
	v_cmp_ne_u32_e64 s8, 0, v16
	s_delay_alu instid0(VALU_DEP_2)
	v_cmp_eq_u32_e32 vcc_lo, 0, v76
	s_and_b32 s10, s8, vcc_lo
	s_wait_alu 0xfffe
	s_and_saveexec_b32 s8, s10
	s_cbranch_execz .LBB227_93
; %bb.92:
	s_wait_dscnt 0x0
	v_bcnt_u32_b32 v16, v16, v75
	ds_store_b32 v77, v16 offset:16
.LBB227_93:
	s_wait_alu 0xfffe
	s_or_b32 exec_lo, exec_lo, s8
	v_cmp_ne_u16_e32 vcc_lo, 0x8000, v31
	; wave barrier
	s_wait_alu 0xfffd
	v_cndmask_b32_e32 v16, 0x7fff, v31, vcc_lo
	s_delay_alu instid0(VALU_DEP_1) | instskip(NEXT) | instid1(VALU_DEP_1)
	v_and_b32_e32 v16, 0xffff, v16
	v_and_b32_e32 v16, s9, v16
	s_delay_alu instid0(VALU_DEP_1)
	v_and_b32_e32 v17, 1, v16
	v_lshlrev_b32_e32 v18, 30, v16
	v_lshlrev_b32_e32 v19, 29, v16
	;; [unrolled: 1-line block ×4, first 2 shown]
	v_add_co_u32 v17, s8, v17, -1
	s_wait_alu 0xf1ff
	v_cndmask_b32_e64 v21, 0, 1, s8
	v_not_b32_e32 v35, v18
	v_cmp_gt_i32_e64 s8, 0, v18
	v_not_b32_e32 v18, v19
	v_lshlrev_b32_e32 v23, 26, v16
	v_cmp_ne_u32_e32 vcc_lo, 0, v21
	v_ashrrev_i32_e32 v35, 31, v35
	v_lshlrev_b32_e32 v34, 25, v16
	v_ashrrev_i32_e32 v18, 31, v18
	v_lshlrev_b32_e32 v21, 24, v16
	s_wait_alu 0xfffd
	v_xor_b32_e32 v17, vcc_lo, v17
	v_cmp_gt_i32_e32 vcc_lo, 0, v19
	v_not_b32_e32 v19, v20
	s_wait_alu 0xf1ff
	v_xor_b32_e32 v35, s8, v35
	v_cmp_gt_i32_e64 s8, 0, v20
	v_and_b32_e32 v17, exec_lo, v17
	v_not_b32_e32 v20, v22
	v_ashrrev_i32_e32 v19, 31, v19
	s_wait_alu 0xfffd
	v_xor_b32_e32 v18, vcc_lo, v18
	v_cmp_gt_i32_e32 vcc_lo, 0, v22
	v_and_b32_e32 v17, v17, v35
	v_not_b32_e32 v22, v23
	v_ashrrev_i32_e32 v20, 31, v20
	s_wait_alu 0xf1ff
	v_xor_b32_e32 v19, s8, v19
	v_cmp_gt_i32_e64 s8, 0, v23
	v_and_b32_e32 v17, v17, v18
	v_not_b32_e32 v18, v34
	v_ashrrev_i32_e32 v22, 31, v22
	s_wait_alu 0xfffd
	v_xor_b32_e32 v20, vcc_lo, v20
	v_cmp_gt_i32_e32 vcc_lo, 0, v34
	v_and_b32_e32 v17, v17, v19
	v_not_b32_e32 v19, v21
	v_ashrrev_i32_e32 v18, 31, v18
	s_wait_alu 0xf1ff
	v_xor_b32_e32 v22, s8, v22
	v_lshlrev_b32_e32 v16, 4, v16
	v_and_b32_e32 v17, v17, v20
	v_cmp_gt_i32_e64 s8, 0, v21
	v_ashrrev_i32_e32 v19, 31, v19
	s_wait_alu 0xfffd
	v_xor_b32_e32 v18, vcc_lo, v18
	v_add_nc_u32_e32 v80, v24, v16
	v_and_b32_e32 v17, v17, v22
	s_wait_alu 0xf1ff
	v_xor_b32_e32 v16, s8, v19
	ds_load_b32 v78, v80 offset:16
	v_and_b32_e32 v17, v17, v18
	; wave barrier
	s_delay_alu instid0(VALU_DEP_1) | instskip(NEXT) | instid1(VALU_DEP_1)
	v_and_b32_e32 v16, v17, v16
	v_mbcnt_lo_u32_b32 v79, v16, 0
	v_cmp_ne_u32_e64 s8, 0, v16
	s_delay_alu instid0(VALU_DEP_2)
	v_cmp_eq_u32_e32 vcc_lo, 0, v79
	s_and_b32 s10, s8, vcc_lo
	s_wait_alu 0xfffe
	s_and_saveexec_b32 s8, s10
	s_cbranch_execz .LBB227_95
; %bb.94:
	s_wait_dscnt 0x0
	v_bcnt_u32_b32 v16, v16, v78
	ds_store_b32 v80, v16 offset:16
.LBB227_95:
	s_wait_alu 0xfffe
	s_or_b32 exec_lo, exec_lo, s8
	v_cmp_ne_u16_e32 vcc_lo, 0x8000, v32
	; wave barrier
	s_wait_alu 0xfffd
	v_cndmask_b32_e32 v16, 0x7fff, v32, vcc_lo
	s_delay_alu instid0(VALU_DEP_1) | instskip(NEXT) | instid1(VALU_DEP_1)
	v_and_b32_e32 v16, 0xffff, v16
	v_and_b32_e32 v16, s9, v16
	s_delay_alu instid0(VALU_DEP_1)
	v_and_b32_e32 v17, 1, v16
	v_lshlrev_b32_e32 v18, 30, v16
	v_lshlrev_b32_e32 v19, 29, v16
	;; [unrolled: 1-line block ×4, first 2 shown]
	v_add_co_u32 v17, s8, v17, -1
	s_wait_alu 0xf1ff
	v_cndmask_b32_e64 v21, 0, 1, s8
	v_not_b32_e32 v35, v18
	v_cmp_gt_i32_e64 s8, 0, v18
	v_not_b32_e32 v18, v19
	v_lshlrev_b32_e32 v23, 26, v16
	v_cmp_ne_u32_e32 vcc_lo, 0, v21
	v_ashrrev_i32_e32 v35, 31, v35
	v_lshlrev_b32_e32 v34, 25, v16
	v_ashrrev_i32_e32 v18, 31, v18
	v_lshlrev_b32_e32 v21, 24, v16
	s_wait_alu 0xfffd
	v_xor_b32_e32 v17, vcc_lo, v17
	v_cmp_gt_i32_e32 vcc_lo, 0, v19
	v_not_b32_e32 v19, v20
	s_wait_alu 0xf1ff
	v_xor_b32_e32 v35, s8, v35
	v_cmp_gt_i32_e64 s8, 0, v20
	v_and_b32_e32 v17, exec_lo, v17
	v_not_b32_e32 v20, v22
	v_ashrrev_i32_e32 v19, 31, v19
	s_wait_alu 0xfffd
	v_xor_b32_e32 v18, vcc_lo, v18
	v_cmp_gt_i32_e32 vcc_lo, 0, v22
	v_and_b32_e32 v17, v17, v35
	v_not_b32_e32 v22, v23
	v_ashrrev_i32_e32 v20, 31, v20
	s_wait_alu 0xf1ff
	v_xor_b32_e32 v19, s8, v19
	v_cmp_gt_i32_e64 s8, 0, v23
	v_and_b32_e32 v17, v17, v18
	v_not_b32_e32 v18, v34
	v_ashrrev_i32_e32 v22, 31, v22
	s_wait_alu 0xfffd
	v_xor_b32_e32 v20, vcc_lo, v20
	v_cmp_gt_i32_e32 vcc_lo, 0, v34
	v_and_b32_e32 v17, v17, v19
	v_not_b32_e32 v19, v21
	v_ashrrev_i32_e32 v18, 31, v18
	s_wait_alu 0xf1ff
	v_xor_b32_e32 v22, s8, v22
	v_lshlrev_b32_e32 v16, 4, v16
	v_and_b32_e32 v17, v17, v20
	v_cmp_gt_i32_e64 s8, 0, v21
	v_ashrrev_i32_e32 v19, 31, v19
	s_wait_alu 0xfffd
	v_xor_b32_e32 v18, vcc_lo, v18
	v_add_nc_u32_e32 v83, v24, v16
	v_and_b32_e32 v17, v17, v22
	s_wait_alu 0xf1ff
	v_xor_b32_e32 v16, s8, v19
	ds_load_b32 v81, v83 offset:16
	v_and_b32_e32 v17, v17, v18
	; wave barrier
	s_delay_alu instid0(VALU_DEP_1) | instskip(NEXT) | instid1(VALU_DEP_1)
	v_and_b32_e32 v16, v17, v16
	v_mbcnt_lo_u32_b32 v82, v16, 0
	v_cmp_ne_u32_e64 s8, 0, v16
	s_delay_alu instid0(VALU_DEP_2)
	v_cmp_eq_u32_e32 vcc_lo, 0, v82
	s_and_b32 s10, s8, vcc_lo
	s_wait_alu 0xfffe
	s_and_saveexec_b32 s8, s10
	s_cbranch_execz .LBB227_97
; %bb.96:
	s_wait_dscnt 0x0
	v_bcnt_u32_b32 v16, v16, v81
	ds_store_b32 v83, v16 offset:16
.LBB227_97:
	s_wait_alu 0xfffe
	s_or_b32 exec_lo, exec_lo, s8
	v_cmp_ne_u16_e32 vcc_lo, 0x8000, v33
	; wave barrier
	s_wait_alu 0xfffd
	v_cndmask_b32_e32 v16, 0x7fff, v33, vcc_lo
	s_delay_alu instid0(VALU_DEP_1) | instskip(NEXT) | instid1(VALU_DEP_1)
	v_and_b32_e32 v16, 0xffff, v16
	v_and_b32_e32 v16, s9, v16
	s_delay_alu instid0(VALU_DEP_1)
	v_and_b32_e32 v17, 1, v16
	v_lshlrev_b32_e32 v18, 30, v16
	v_lshlrev_b32_e32 v19, 29, v16
	;; [unrolled: 1-line block ×4, first 2 shown]
	v_add_co_u32 v17, s8, v17, -1
	s_wait_alu 0xf1ff
	v_cndmask_b32_e64 v21, 0, 1, s8
	v_not_b32_e32 v35, v18
	v_cmp_gt_i32_e64 s8, 0, v18
	v_not_b32_e32 v18, v19
	v_lshlrev_b32_e32 v23, 26, v16
	v_cmp_ne_u32_e32 vcc_lo, 0, v21
	v_ashrrev_i32_e32 v35, 31, v35
	v_lshlrev_b32_e32 v34, 25, v16
	v_ashrrev_i32_e32 v18, 31, v18
	v_lshlrev_b32_e32 v21, 24, v16
	s_wait_alu 0xfffd
	v_xor_b32_e32 v17, vcc_lo, v17
	v_cmp_gt_i32_e32 vcc_lo, 0, v19
	v_not_b32_e32 v19, v20
	s_wait_alu 0xf1ff
	v_xor_b32_e32 v35, s8, v35
	v_cmp_gt_i32_e64 s8, 0, v20
	v_and_b32_e32 v17, exec_lo, v17
	v_not_b32_e32 v20, v22
	v_ashrrev_i32_e32 v19, 31, v19
	s_wait_alu 0xfffd
	v_xor_b32_e32 v18, vcc_lo, v18
	v_cmp_gt_i32_e32 vcc_lo, 0, v22
	v_and_b32_e32 v17, v17, v35
	v_not_b32_e32 v22, v23
	v_ashrrev_i32_e32 v20, 31, v20
	s_wait_alu 0xf1ff
	v_xor_b32_e32 v19, s8, v19
	v_cmp_gt_i32_e64 s8, 0, v23
	v_and_b32_e32 v17, v17, v18
	v_not_b32_e32 v18, v34
	v_ashrrev_i32_e32 v22, 31, v22
	s_wait_alu 0xfffd
	v_xor_b32_e32 v20, vcc_lo, v20
	v_cmp_gt_i32_e32 vcc_lo, 0, v34
	v_and_b32_e32 v17, v17, v19
	v_not_b32_e32 v19, v21
	v_ashrrev_i32_e32 v18, 31, v18
	s_wait_alu 0xf1ff
	v_xor_b32_e32 v22, s8, v22
	v_lshlrev_b32_e32 v16, 4, v16
	v_and_b32_e32 v17, v17, v20
	v_cmp_gt_i32_e64 s8, 0, v21
	v_ashrrev_i32_e32 v19, 31, v19
	s_wait_alu 0xfffd
	v_xor_b32_e32 v18, vcc_lo, v18
	v_add_nc_u32_e32 v86, v24, v16
	v_and_b32_e32 v17, v17, v22
	v_min_u32_e32 v34, 0x60, v70
	s_wait_alu 0xf1ff
	v_xor_b32_e32 v16, s8, v19
	ds_load_b32 v84, v86 offset:16
	v_and_b32_e32 v17, v17, v18
	; wave barrier
	s_delay_alu instid0(VALU_DEP_1) | instskip(NEXT) | instid1(VALU_DEP_1)
	v_and_b32_e32 v16, v17, v16
	v_mbcnt_lo_u32_b32 v85, v16, 0
	v_cmp_ne_u32_e64 s8, 0, v16
	s_delay_alu instid0(VALU_DEP_2)
	v_cmp_eq_u32_e32 vcc_lo, 0, v85
	s_and_b32 s9, s8, vcc_lo
	s_wait_alu 0xfffe
	s_and_saveexec_b32 s8, s9
	s_cbranch_execz .LBB227_99
; %bb.98:
	s_wait_dscnt 0x0
	v_bcnt_u32_b32 v16, v16, v84
	ds_store_b32 v86, v16 offset:16
.LBB227_99:
	s_wait_alu 0xfffe
	s_or_b32 exec_lo, exec_lo, s8
	; wave barrier
	s_wait_loadcnt_dscnt 0x0
	s_barrier_signal -1
	s_barrier_wait -1
	global_inv scope:SCOPE_SE
	ds_load_b128 v[20:23], v67 offset:16
	ds_load_b128 v[16:19], v67 offset:32
	v_and_b32_e32 v70, 16, v69
	v_or_b32_e32 v34, 31, v34
	s_delay_alu instid0(VALU_DEP_2) | instskip(NEXT) | instid1(VALU_DEP_2)
	v_cmp_eq_u32_e64 s16, 0, v70
	v_cmp_eq_u32_e64 s14, v46, v34
	v_lshlrev_b32_e32 v34, 2, v68
	s_wait_dscnt 0x1
	v_add_nc_u32_e32 v35, v21, v20
	s_delay_alu instid0(VALU_DEP_1) | instskip(SKIP_1) | instid1(VALU_DEP_1)
	v_add3_u32 v35, v35, v22, v23
	s_wait_dscnt 0x0
	v_add3_u32 v35, v35, v16, v17
	s_delay_alu instid0(VALU_DEP_1) | instskip(SKIP_1) | instid1(VALU_DEP_2)
	v_add3_u32 v19, v35, v18, v19
	v_and_b32_e32 v35, 15, v69
	v_mov_b32_dpp v37, v19 row_shr:1 row_mask:0xf bank_mask:0xf
	s_delay_alu instid0(VALU_DEP_2)
	v_cmp_eq_u32_e64 s8, 0, v35
	v_cmp_lt_u32_e64 s10, 1, v35
	v_cmp_lt_u32_e64 s11, 3, v35
	v_cmp_lt_u32_e64 s13, 7, v35
	s_wait_alu 0xf1ff
	v_cndmask_b32_e64 v37, v37, 0, s8
	s_delay_alu instid0(VALU_DEP_1) | instskip(NEXT) | instid1(VALU_DEP_1)
	v_add_nc_u32_e32 v19, v37, v19
	v_mov_b32_dpp v37, v19 row_shr:2 row_mask:0xf bank_mask:0xf
	s_delay_alu instid0(VALU_DEP_1) | instskip(NEXT) | instid1(VALU_DEP_1)
	v_cndmask_b32_e64 v37, 0, v37, s10
	v_add_nc_u32_e32 v19, v19, v37
	s_delay_alu instid0(VALU_DEP_1) | instskip(NEXT) | instid1(VALU_DEP_1)
	v_mov_b32_dpp v37, v19 row_shr:4 row_mask:0xf bank_mask:0xf
	v_cndmask_b32_e64 v37, 0, v37, s11
	s_delay_alu instid0(VALU_DEP_1) | instskip(NEXT) | instid1(VALU_DEP_1)
	v_add_nc_u32_e32 v19, v19, v37
	v_mov_b32_dpp v37, v19 row_shr:8 row_mask:0xf bank_mask:0xf
	s_delay_alu instid0(VALU_DEP_1) | instskip(SKIP_1) | instid1(VALU_DEP_2)
	v_cndmask_b32_e64 v35, 0, v37, s13
	v_bfe_i32 v37, v69, 4, 1
	v_add_nc_u32_e32 v35, v19, v35
	ds_swizzle_b32 v19, v35 offset:swizzle(BROADCAST,32,15)
	s_wait_dscnt 0x0
	v_and_b32_e32 v37, v37, v19
	v_mul_i32_i24_e32 v19, 0xffffffe4, v46
	s_delay_alu instid0(VALU_DEP_2)
	v_add_nc_u32_e32 v37, v35, v37
	s_and_saveexec_b32 s9, s14
; %bb.100:
	ds_store_b32 v34, v37
; %bb.101:
	s_wait_alu 0xfffe
	s_or_b32 exec_lo, exec_lo, s9
	v_and_b32_e32 v35, 3, v69
	v_cmp_gt_u32_e64 s15, 4, v46
	s_wait_loadcnt_dscnt 0x0
	s_barrier_signal -1
	s_barrier_wait -1
	v_cmp_eq_u32_e64 s12, 0, v35
	v_cmp_lt_u32_e64 s9, 1, v35
	v_add_nc_u32_e32 v35, v67, v19
	global_inv scope:SCOPE_SE
	s_and_saveexec_b32 s17, s15
	s_cbranch_execz .LBB227_103
; %bb.102:
	ds_load_b32 v19, v35
	s_wait_dscnt 0x0
	v_mov_b32_dpp v68, v19 row_shr:1 row_mask:0xf bank_mask:0xf
	s_delay_alu instid0(VALU_DEP_1) | instskip(NEXT) | instid1(VALU_DEP_1)
	v_cndmask_b32_e64 v68, v68, 0, s12
	v_add_nc_u32_e32 v19, v68, v19
	s_delay_alu instid0(VALU_DEP_1) | instskip(NEXT) | instid1(VALU_DEP_1)
	v_mov_b32_dpp v68, v19 row_shr:2 row_mask:0xf bank_mask:0xf
	v_cndmask_b32_e64 v68, 0, v68, s9
	s_delay_alu instid0(VALU_DEP_1)
	v_add_nc_u32_e32 v19, v19, v68
	ds_store_b32 v35, v19
.LBB227_103:
	s_or_b32 exec_lo, exec_lo, s17
	v_mul_u32_u24_e32 v19, 6, v36
	v_sub_co_u32 v68, vcc_lo, v69, 1
	v_cmp_lt_u32_e64 s17, 31, v46
	v_add_nc_u32_e32 v36, -4, v34
	v_mov_b32_e32 v70, 0
	s_wait_loadcnt_dscnt 0x0
	s_barrier_signal -1
	s_barrier_wait -1
	global_inv scope:SCOPE_SE
	s_and_saveexec_b32 s18, s17
; %bb.104:
	ds_load_b32 v70, v36
; %bb.105:
	s_wait_alu 0xfffe
	s_or_b32 exec_lo, exec_lo, s18
	v_cmp_gt_i32_e64 s18, 0, v68
	s_mov_b32 s24, 0
	s_min_u32 s19, s19, 8
	s_mov_b32 s25, s24
	s_mov_b32 s26, s24
	v_cndmask_b32_e64 v68, v68, v69, s18
	s_wait_dscnt 0x0
	v_add_nc_u32_e32 v69, v70, v37
	s_mov_b32 s27, s24
	v_cmp_eq_u32_e64 s18, 0, v46
	s_wait_alu 0xfffe
	s_lshl_b32 s19, -1, s19
	v_lshlrev_b32_e32 v37, 2, v68
	s_wait_alu 0xfffe
	s_not_b32 s21, s19
	ds_bpermute_b32 v68, v37, v69
	s_wait_dscnt 0x0
	s_wait_alu 0xfffd
	v_cndmask_b32_e32 v68, v68, v70, vcc_lo
	s_delay_alu instid0(VALU_DEP_1) | instskip(NEXT) | instid1(VALU_DEP_1)
	v_cndmask_b32_e64 v87, v68, 0, s18
	v_add_nc_u32_e32 v88, v87, v20
	s_delay_alu instid0(VALU_DEP_1) | instskip(NEXT) | instid1(VALU_DEP_1)
	v_add_nc_u32_e32 v89, v88, v21
	v_add_nc_u32_e32 v90, v89, v22
	s_delay_alu instid0(VALU_DEP_1) | instskip(NEXT) | instid1(VALU_DEP_1)
	v_add_nc_u32_e32 v20, v90, v23
	;; [unrolled: 3-line block ×3, first 2 shown]
	v_add_nc_u32_e32 v23, v22, v18
	ds_store_b128 v67, v[87:90] offset:16
	ds_store_b128 v67, v[20:23] offset:32
	s_wait_loadcnt_dscnt 0x0
	s_barrier_signal -1
	s_barrier_wait -1
	global_inv scope:SCOPE_SE
	ds_load_b32 v16, v39 offset:16
	ds_load_b32 v17, v48 offset:16
	;; [unrolled: 1-line block ×8, first 2 shown]
	v_add_nc_u32_e32 v48, v25, v19
	s_wait_loadcnt_dscnt 0x0
	s_barrier_signal -1
	s_barrier_wait -1
	global_inv scope:SCOPE_SE
	v_add_nc_u32_e32 v38, v16, v38
	v_add3_u32 v40, v47, v40, v17
	v_add3_u32 v47, v50, v49, v18
	;; [unrolled: 1-line block ×7, first 2 shown]
	v_lshlrev_b32_e32 v16, 1, v38
	v_lshlrev_b32_e32 v17, 1, v40
	;; [unrolled: 1-line block ×8, first 2 shown]
	ds_store_b16 v16, v26
	ds_store_b16 v17, v27
	;; [unrolled: 1-line block ×8, first 2 shown]
	s_wait_loadcnt_dscnt 0x0
	s_barrier_signal -1
	s_barrier_wait -1
	global_inv scope:SCOPE_SE
	ds_load_u16 v26, v25
	ds_load_u16 v27, v25 offset:64
	ds_load_u16 v28, v25 offset:128
	;; [unrolled: 1-line block ×7, first 2 shown]
	v_mad_co_u64_u32 v[38:39], null, v38, 6, v[16:17]
	v_mad_co_u64_u32 v[16:17], null, v40, 6, v[17:18]
	;; [unrolled: 1-line block ×3, first 2 shown]
	s_wait_loadcnt_dscnt 0x0
	s_barrier_signal -1
	s_barrier_wait -1
	global_inv scope:SCOPE_SE
	v_mad_co_u64_u32 v[18:19], null, v49, 6, v[19:20]
	v_lshrrev_b16 v33, 8, v26
	v_cmp_ne_u16_e64 s19, 0x8000, v26
	ds_store_b64 v38, v[8:9]
	v_mad_co_u64_u32 v[19:20], null, v50, 6, v[20:21]
	v_mad_co_u64_u32 v[20:21], null, v68, 6, v[21:22]
	s_wait_alu 0xf1ff
	v_cndmask_b32_e64 v33, 0x7f, v33, s19
	v_mad_co_u64_u32 v[21:22], null, v69, 6, v[22:23]
	v_mad_co_u64_u32 v[22:23], null, v70, 6, v[23:24]
	s_delay_alu instid0(VALU_DEP_3)
	v_and_b32_e32 v8, 0xffff, v33
	ds_store_b64 v16, v[10:11]
	ds_store_b64 v17, v[0:1]
	;; [unrolled: 1-line block ×7, first 2 shown]
	s_wait_alu 0xfffe
	v_and_b32_e32 v23, s21, v8
	s_wait_loadcnt_dscnt 0x0
	s_barrier_signal -1
	s_barrier_wait -1
	global_inv scope:SCOPE_SE
	v_and_b32_e32 v0, 1, v23
	v_lshlrev_b32_e32 v1, 30, v23
	v_lshlrev_b32_e32 v2, 29, v23
	;; [unrolled: 1-line block ×4, first 2 shown]
	v_add_co_u32 v0, s19, v0, -1
	s_wait_alu 0xf1ff
	v_cndmask_b32_e64 v4, 0, 1, s19
	v_not_b32_e32 v8, v1
	v_cmp_gt_i32_e64 s20, 0, v1
	v_not_b32_e32 v1, v2
	v_lshlrev_b32_e32 v6, 26, v23
	v_cmp_ne_u32_e64 s19, 0, v4
	v_ashrrev_i32_e32 v8, 31, v8
	v_lshlrev_b32_e32 v7, 25, v23
	v_ashrrev_i32_e32 v1, 31, v1
	v_lshlrev_b32_e32 v4, 24, v23
	s_wait_alu 0xf1ff
	v_xor_b32_e32 v0, s19, v0
	v_cmp_gt_i32_e64 s19, 0, v2
	v_not_b32_e32 v2, v3
	v_xor_b32_e32 v8, s20, v8
	v_cmp_gt_i32_e64 s20, 0, v3
	v_and_b32_e32 v0, exec_lo, v0
	v_not_b32_e32 v3, v5
	v_ashrrev_i32_e32 v2, 31, v2
	s_wait_alu 0xf1ff
	v_xor_b32_e32 v1, s19, v1
	v_cmp_gt_i32_e64 s19, 0, v5
	v_and_b32_e32 v0, v0, v8
	v_not_b32_e32 v5, v6
	v_ashrrev_i32_e32 v3, 31, v3
	v_xor_b32_e32 v2, s20, v2
	v_cmp_gt_i32_e64 s20, 0, v6
	v_and_b32_e32 v0, v0, v1
	v_not_b32_e32 v1, v7
	v_ashrrev_i32_e32 v5, 31, v5
	s_wait_alu 0xf1ff
	v_xor_b32_e32 v3, s19, v3
	v_cmp_gt_i32_e64 s19, 0, v7
	v_and_b32_e32 v0, v0, v2
	v_not_b32_e32 v2, v4
	v_ashrrev_i32_e32 v1, 31, v1
	v_xor_b32_e32 v5, s20, v5
	v_cmp_gt_i32_e64 s20, 0, v4
	v_and_b32_e32 v0, v0, v3
	v_ashrrev_i32_e32 v2, 31, v2
	s_wait_alu 0xf1ff
	v_xor_b32_e32 v1, s19, v1
	v_dual_mov_b32 v17, s24 :: v_dual_mov_b32 v18, s25
	v_and_b32_e32 v0, v0, v5
	v_xor_b32_e32 v16, s20, v2
	ds_load_2addr_b64 v[4:7], v48 offset1:32
	v_dual_mov_b32 v19, s26 :: v_dual_mov_b32 v20, s27
	v_and_b32_e32 v21, v0, v1
	ds_load_2addr_b64 v[12:15], v48 offset0:64 offset1:96
	ds_load_2addr_b64 v[8:11], v48 offset0:128 offset1:160
	;; [unrolled: 1-line block ×3, first 2 shown]
	v_lshl_add_u32 v38, v23, 4, v24
	s_wait_loadcnt_dscnt 0x0
	s_barrier_signal -1
	v_and_b32_e32 v16, v21, v16
	s_barrier_wait -1
	global_inv scope:SCOPE_SE
	ds_store_b128 v67, v[17:20] offset:16
	ds_store_b128 v67, v[17:20] offset:32
	s_wait_loadcnt_dscnt 0x0
	v_mbcnt_lo_u32_b32 v33, v16, 0
	v_cmp_ne_u32_e64 s20, 0, v16
	s_barrier_signal -1
	s_barrier_wait -1
	global_inv scope:SCOPE_SE
	v_cmp_eq_u32_e64 s19, 0, v33
	; wave barrier
	s_and_b32 s20, s20, s19
	s_wait_alu 0xfffe
	s_and_saveexec_b32 s19, s20
; %bb.106:
	v_bcnt_u32_b32 v16, v16, 0
	ds_store_b32 v38, v16 offset:16
; %bb.107:
	s_wait_alu 0xfffe
	s_or_b32 exec_lo, exec_lo, s19
	v_lshrrev_b16 v16, 8, v27
	v_cmp_ne_u16_e64 s19, 0x8000, v27
	; wave barrier
	s_wait_alu 0xf1ff
	s_delay_alu instid0(VALU_DEP_1) | instskip(NEXT) | instid1(VALU_DEP_1)
	v_cndmask_b32_e64 v16, 0x7f, v16, s19
	v_and_b32_e32 v16, s21, v16
	s_delay_alu instid0(VALU_DEP_1)
	v_and_b32_e32 v17, 1, v16
	v_lshlrev_b32_e32 v18, 30, v16
	v_lshlrev_b32_e32 v19, 29, v16
	;; [unrolled: 1-line block ×4, first 2 shown]
	v_add_co_u32 v17, s19, v17, -1
	s_wait_alu 0xf1ff
	v_cndmask_b32_e64 v21, 0, 1, s19
	v_not_b32_e32 v40, v18
	v_cmp_gt_i32_e64 s20, 0, v18
	v_not_b32_e32 v18, v19
	v_lshlrev_b32_e32 v23, 26, v16
	v_cmp_ne_u32_e64 s19, 0, v21
	v_ashrrev_i32_e32 v40, 31, v40
	v_lshlrev_b32_e32 v39, 25, v16
	v_ashrrev_i32_e32 v18, 31, v18
	v_lshlrev_b32_e32 v21, 24, v16
	s_wait_alu 0xf1ff
	v_xor_b32_e32 v17, s19, v17
	v_cmp_gt_i32_e64 s19, 0, v19
	v_not_b32_e32 v19, v20
	v_xor_b32_e32 v40, s20, v40
	v_cmp_gt_i32_e64 s20, 0, v20
	v_and_b32_e32 v17, exec_lo, v17
	v_not_b32_e32 v20, v22
	v_ashrrev_i32_e32 v19, 31, v19
	s_wait_alu 0xf1ff
	v_xor_b32_e32 v18, s19, v18
	v_cmp_gt_i32_e64 s19, 0, v22
	v_and_b32_e32 v17, v17, v40
	v_not_b32_e32 v22, v23
	v_ashrrev_i32_e32 v20, 31, v20
	v_xor_b32_e32 v19, s20, v19
	v_cmp_gt_i32_e64 s20, 0, v23
	v_and_b32_e32 v17, v17, v18
	v_not_b32_e32 v18, v39
	v_ashrrev_i32_e32 v22, 31, v22
	s_wait_alu 0xf1ff
	v_xor_b32_e32 v20, s19, v20
	v_cmp_gt_i32_e64 s19, 0, v39
	v_and_b32_e32 v17, v17, v19
	v_not_b32_e32 v19, v21
	v_ashrrev_i32_e32 v18, 31, v18
	v_xor_b32_e32 v22, s20, v22
	v_cmp_gt_i32_e64 s20, 0, v21
	v_and_b32_e32 v17, v17, v20
	v_ashrrev_i32_e32 v19, 31, v19
	s_wait_alu 0xf1ff
	v_xor_b32_e32 v18, s19, v18
	v_lshl_add_u32 v47, v16, 4, v24
	v_and_b32_e32 v17, v17, v22
	v_xor_b32_e32 v16, s20, v19
	ds_load_b32 v39, v47 offset:16
	v_and_b32_e32 v17, v17, v18
	; wave barrier
	s_delay_alu instid0(VALU_DEP_1) | instskip(NEXT) | instid1(VALU_DEP_1)
	v_and_b32_e32 v16, v17, v16
	v_mbcnt_lo_u32_b32 v40, v16, 0
	v_cmp_ne_u32_e64 s20, 0, v16
	s_delay_alu instid0(VALU_DEP_2)
	v_cmp_eq_u32_e64 s19, 0, v40
	s_and_b32 s20, s20, s19
	s_wait_alu 0xfffe
	s_and_saveexec_b32 s19, s20
	s_cbranch_execz .LBB227_109
; %bb.108:
	s_wait_dscnt 0x0
	v_bcnt_u32_b32 v16, v16, v39
	ds_store_b32 v47, v16 offset:16
.LBB227_109:
	s_wait_alu 0xfffe
	s_or_b32 exec_lo, exec_lo, s19
	v_lshrrev_b16 v16, 8, v28
	v_cmp_ne_u16_e64 s19, 0x8000, v28
	; wave barrier
	s_wait_alu 0xf1ff
	s_delay_alu instid0(VALU_DEP_1) | instskip(NEXT) | instid1(VALU_DEP_1)
	v_cndmask_b32_e64 v16, 0x7f, v16, s19
	v_and_b32_e32 v16, s21, v16
	s_delay_alu instid0(VALU_DEP_1)
	v_and_b32_e32 v17, 1, v16
	v_lshlrev_b32_e32 v18, 30, v16
	v_lshlrev_b32_e32 v19, 29, v16
	;; [unrolled: 1-line block ×4, first 2 shown]
	v_add_co_u32 v17, s19, v17, -1
	s_wait_alu 0xf1ff
	v_cndmask_b32_e64 v21, 0, 1, s19
	v_not_b32_e32 v49, v18
	v_cmp_gt_i32_e64 s20, 0, v18
	v_not_b32_e32 v18, v19
	v_lshlrev_b32_e32 v23, 26, v16
	v_cmp_ne_u32_e64 s19, 0, v21
	v_ashrrev_i32_e32 v49, 31, v49
	v_lshlrev_b32_e32 v48, 25, v16
	v_ashrrev_i32_e32 v18, 31, v18
	v_lshlrev_b32_e32 v21, 24, v16
	s_wait_alu 0xf1ff
	v_xor_b32_e32 v17, s19, v17
	v_cmp_gt_i32_e64 s19, 0, v19
	v_not_b32_e32 v19, v20
	v_xor_b32_e32 v49, s20, v49
	v_cmp_gt_i32_e64 s20, 0, v20
	v_and_b32_e32 v17, exec_lo, v17
	v_not_b32_e32 v20, v22
	v_ashrrev_i32_e32 v19, 31, v19
	s_wait_alu 0xf1ff
	v_xor_b32_e32 v18, s19, v18
	v_cmp_gt_i32_e64 s19, 0, v22
	v_and_b32_e32 v17, v17, v49
	v_not_b32_e32 v22, v23
	v_ashrrev_i32_e32 v20, 31, v20
	v_xor_b32_e32 v19, s20, v19
	v_cmp_gt_i32_e64 s20, 0, v23
	v_and_b32_e32 v17, v17, v18
	v_not_b32_e32 v18, v48
	v_ashrrev_i32_e32 v22, 31, v22
	s_wait_alu 0xf1ff
	v_xor_b32_e32 v20, s19, v20
	v_cmp_gt_i32_e64 s19, 0, v48
	v_and_b32_e32 v17, v17, v19
	v_not_b32_e32 v19, v21
	v_ashrrev_i32_e32 v18, 31, v18
	v_xor_b32_e32 v22, s20, v22
	v_cmp_gt_i32_e64 s20, 0, v21
	v_and_b32_e32 v17, v17, v20
	v_ashrrev_i32_e32 v19, 31, v19
	s_wait_alu 0xf1ff
	v_xor_b32_e32 v18, s19, v18
	v_lshl_add_u32 v50, v16, 4, v24
	v_and_b32_e32 v17, v17, v22
	v_xor_b32_e32 v16, s20, v19
	ds_load_b32 v48, v50 offset:16
	v_and_b32_e32 v17, v17, v18
	; wave barrier
	s_delay_alu instid0(VALU_DEP_1) | instskip(NEXT) | instid1(VALU_DEP_1)
	v_and_b32_e32 v16, v17, v16
	v_mbcnt_lo_u32_b32 v49, v16, 0
	v_cmp_ne_u32_e64 s20, 0, v16
	s_delay_alu instid0(VALU_DEP_2)
	v_cmp_eq_u32_e64 s19, 0, v49
	s_and_b32 s20, s20, s19
	s_wait_alu 0xfffe
	s_and_saveexec_b32 s19, s20
	s_cbranch_execz .LBB227_111
; %bb.110:
	s_wait_dscnt 0x0
	v_bcnt_u32_b32 v16, v16, v48
	ds_store_b32 v50, v16 offset:16
.LBB227_111:
	s_wait_alu 0xfffe
	s_or_b32 exec_lo, exec_lo, s19
	v_lshrrev_b16 v16, 8, v29
	v_cmp_ne_u16_e64 s19, 0x8000, v29
	; wave barrier
	s_wait_alu 0xf1ff
	s_delay_alu instid0(VALU_DEP_1) | instskip(NEXT) | instid1(VALU_DEP_1)
	v_cndmask_b32_e64 v16, 0x7f, v16, s19
	v_and_b32_e32 v16, s21, v16
	s_delay_alu instid0(VALU_DEP_1)
	v_and_b32_e32 v17, 1, v16
	v_lshlrev_b32_e32 v18, 30, v16
	v_lshlrev_b32_e32 v19, 29, v16
	;; [unrolled: 1-line block ×4, first 2 shown]
	v_add_co_u32 v17, s19, v17, -1
	s_wait_alu 0xf1ff
	v_cndmask_b32_e64 v21, 0, 1, s19
	v_not_b32_e32 v69, v18
	v_cmp_gt_i32_e64 s20, 0, v18
	v_not_b32_e32 v18, v19
	v_lshlrev_b32_e32 v23, 26, v16
	v_cmp_ne_u32_e64 s19, 0, v21
	v_ashrrev_i32_e32 v69, 31, v69
	v_lshlrev_b32_e32 v68, 25, v16
	v_ashrrev_i32_e32 v18, 31, v18
	v_lshlrev_b32_e32 v21, 24, v16
	s_wait_alu 0xf1ff
	v_xor_b32_e32 v17, s19, v17
	v_cmp_gt_i32_e64 s19, 0, v19
	v_not_b32_e32 v19, v20
	v_xor_b32_e32 v69, s20, v69
	v_cmp_gt_i32_e64 s20, 0, v20
	v_and_b32_e32 v17, exec_lo, v17
	v_not_b32_e32 v20, v22
	v_ashrrev_i32_e32 v19, 31, v19
	s_wait_alu 0xf1ff
	v_xor_b32_e32 v18, s19, v18
	v_cmp_gt_i32_e64 s19, 0, v22
	v_and_b32_e32 v17, v17, v69
	v_not_b32_e32 v22, v23
	v_ashrrev_i32_e32 v20, 31, v20
	v_xor_b32_e32 v19, s20, v19
	v_cmp_gt_i32_e64 s20, 0, v23
	v_and_b32_e32 v17, v17, v18
	v_not_b32_e32 v18, v68
	v_ashrrev_i32_e32 v22, 31, v22
	s_wait_alu 0xf1ff
	v_xor_b32_e32 v20, s19, v20
	v_cmp_gt_i32_e64 s19, 0, v68
	v_and_b32_e32 v17, v17, v19
	v_not_b32_e32 v19, v21
	v_ashrrev_i32_e32 v18, 31, v18
	v_xor_b32_e32 v22, s20, v22
	v_cmp_gt_i32_e64 s20, 0, v21
	v_and_b32_e32 v17, v17, v20
	v_ashrrev_i32_e32 v19, 31, v19
	s_wait_alu 0xf1ff
	v_xor_b32_e32 v18, s19, v18
	v_lshl_add_u32 v70, v16, 4, v24
	v_and_b32_e32 v17, v17, v22
	v_xor_b32_e32 v16, s20, v19
	ds_load_b32 v68, v70 offset:16
	v_and_b32_e32 v17, v17, v18
	; wave barrier
	s_delay_alu instid0(VALU_DEP_1) | instskip(NEXT) | instid1(VALU_DEP_1)
	v_and_b32_e32 v16, v17, v16
	v_mbcnt_lo_u32_b32 v69, v16, 0
	v_cmp_ne_u32_e64 s20, 0, v16
	s_delay_alu instid0(VALU_DEP_2)
	v_cmp_eq_u32_e64 s19, 0, v69
	s_and_b32 s20, s20, s19
	s_wait_alu 0xfffe
	s_and_saveexec_b32 s19, s20
	s_cbranch_execz .LBB227_113
; %bb.112:
	s_wait_dscnt 0x0
	v_bcnt_u32_b32 v16, v16, v68
	ds_store_b32 v70, v16 offset:16
.LBB227_113:
	s_wait_alu 0xfffe
	s_or_b32 exec_lo, exec_lo, s19
	v_lshrrev_b16 v16, 8, v30
	v_cmp_ne_u16_e64 s19, 0x8000, v30
	; wave barrier
	s_wait_alu 0xf1ff
	s_delay_alu instid0(VALU_DEP_1) | instskip(NEXT) | instid1(VALU_DEP_1)
	v_cndmask_b32_e64 v16, 0x7f, v16, s19
	v_and_b32_e32 v16, s21, v16
	s_delay_alu instid0(VALU_DEP_1)
	v_and_b32_e32 v17, 1, v16
	v_lshlrev_b32_e32 v18, 30, v16
	v_lshlrev_b32_e32 v19, 29, v16
	;; [unrolled: 1-line block ×4, first 2 shown]
	v_add_co_u32 v17, s19, v17, -1
	s_wait_alu 0xf1ff
	v_cndmask_b32_e64 v21, 0, 1, s19
	v_not_b32_e32 v72, v18
	v_cmp_gt_i32_e64 s20, 0, v18
	v_not_b32_e32 v18, v19
	v_lshlrev_b32_e32 v23, 26, v16
	v_cmp_ne_u32_e64 s19, 0, v21
	v_ashrrev_i32_e32 v72, 31, v72
	v_lshlrev_b32_e32 v71, 25, v16
	v_ashrrev_i32_e32 v18, 31, v18
	v_lshlrev_b32_e32 v21, 24, v16
	s_wait_alu 0xf1ff
	v_xor_b32_e32 v17, s19, v17
	v_cmp_gt_i32_e64 s19, 0, v19
	v_not_b32_e32 v19, v20
	v_xor_b32_e32 v72, s20, v72
	v_cmp_gt_i32_e64 s20, 0, v20
	v_and_b32_e32 v17, exec_lo, v17
	v_not_b32_e32 v20, v22
	v_ashrrev_i32_e32 v19, 31, v19
	s_wait_alu 0xf1ff
	v_xor_b32_e32 v18, s19, v18
	v_cmp_gt_i32_e64 s19, 0, v22
	v_and_b32_e32 v17, v17, v72
	v_not_b32_e32 v22, v23
	v_ashrrev_i32_e32 v20, 31, v20
	v_xor_b32_e32 v19, s20, v19
	v_cmp_gt_i32_e64 s20, 0, v23
	v_and_b32_e32 v17, v17, v18
	v_not_b32_e32 v18, v71
	v_ashrrev_i32_e32 v22, 31, v22
	s_wait_alu 0xf1ff
	v_xor_b32_e32 v20, s19, v20
	v_cmp_gt_i32_e64 s19, 0, v71
	v_and_b32_e32 v17, v17, v19
	v_not_b32_e32 v19, v21
	v_ashrrev_i32_e32 v18, 31, v18
	v_xor_b32_e32 v22, s20, v22
	v_cmp_gt_i32_e64 s20, 0, v21
	v_and_b32_e32 v17, v17, v20
	v_ashrrev_i32_e32 v19, 31, v19
	s_wait_alu 0xf1ff
	v_xor_b32_e32 v18, s19, v18
	v_lshl_add_u32 v73, v16, 4, v24
	v_and_b32_e32 v17, v17, v22
	v_xor_b32_e32 v16, s20, v19
	ds_load_b32 v71, v73 offset:16
	v_and_b32_e32 v17, v17, v18
	; wave barrier
	s_delay_alu instid0(VALU_DEP_1) | instskip(NEXT) | instid1(VALU_DEP_1)
	v_and_b32_e32 v16, v17, v16
	v_mbcnt_lo_u32_b32 v72, v16, 0
	v_cmp_ne_u32_e64 s20, 0, v16
	s_delay_alu instid0(VALU_DEP_2)
	v_cmp_eq_u32_e64 s19, 0, v72
	s_and_b32 s20, s20, s19
	s_wait_alu 0xfffe
	s_and_saveexec_b32 s19, s20
	s_cbranch_execz .LBB227_115
; %bb.114:
	s_wait_dscnt 0x0
	v_bcnt_u32_b32 v16, v16, v71
	ds_store_b32 v73, v16 offset:16
.LBB227_115:
	s_wait_alu 0xfffe
	s_or_b32 exec_lo, exec_lo, s19
	v_lshrrev_b16 v16, 8, v31
	v_cmp_ne_u16_e64 s19, 0x8000, v31
	; wave barrier
	s_wait_alu 0xf1ff
	s_delay_alu instid0(VALU_DEP_1) | instskip(NEXT) | instid1(VALU_DEP_1)
	v_cndmask_b32_e64 v16, 0x7f, v16, s19
	v_and_b32_e32 v16, s21, v16
	s_delay_alu instid0(VALU_DEP_1)
	v_and_b32_e32 v17, 1, v16
	v_lshlrev_b32_e32 v18, 30, v16
	v_lshlrev_b32_e32 v19, 29, v16
	;; [unrolled: 1-line block ×4, first 2 shown]
	v_add_co_u32 v17, s19, v17, -1
	s_wait_alu 0xf1ff
	v_cndmask_b32_e64 v21, 0, 1, s19
	v_not_b32_e32 v75, v18
	v_cmp_gt_i32_e64 s20, 0, v18
	v_not_b32_e32 v18, v19
	v_lshlrev_b32_e32 v23, 26, v16
	v_cmp_ne_u32_e64 s19, 0, v21
	v_ashrrev_i32_e32 v75, 31, v75
	v_lshlrev_b32_e32 v74, 25, v16
	v_ashrrev_i32_e32 v18, 31, v18
	v_lshlrev_b32_e32 v21, 24, v16
	s_wait_alu 0xf1ff
	v_xor_b32_e32 v17, s19, v17
	v_cmp_gt_i32_e64 s19, 0, v19
	v_not_b32_e32 v19, v20
	v_xor_b32_e32 v75, s20, v75
	v_cmp_gt_i32_e64 s20, 0, v20
	v_and_b32_e32 v17, exec_lo, v17
	v_not_b32_e32 v20, v22
	v_ashrrev_i32_e32 v19, 31, v19
	s_wait_alu 0xf1ff
	v_xor_b32_e32 v18, s19, v18
	v_cmp_gt_i32_e64 s19, 0, v22
	v_and_b32_e32 v17, v17, v75
	v_not_b32_e32 v22, v23
	v_ashrrev_i32_e32 v20, 31, v20
	v_xor_b32_e32 v19, s20, v19
	v_cmp_gt_i32_e64 s20, 0, v23
	v_and_b32_e32 v17, v17, v18
	v_not_b32_e32 v18, v74
	v_ashrrev_i32_e32 v22, 31, v22
	s_wait_alu 0xf1ff
	v_xor_b32_e32 v20, s19, v20
	v_cmp_gt_i32_e64 s19, 0, v74
	v_and_b32_e32 v17, v17, v19
	v_not_b32_e32 v19, v21
	v_ashrrev_i32_e32 v18, 31, v18
	v_xor_b32_e32 v22, s20, v22
	v_cmp_gt_i32_e64 s20, 0, v21
	v_and_b32_e32 v17, v17, v20
	v_ashrrev_i32_e32 v19, 31, v19
	s_wait_alu 0xf1ff
	v_xor_b32_e32 v18, s19, v18
	v_lshl_add_u32 v76, v16, 4, v24
	v_and_b32_e32 v17, v17, v22
	v_xor_b32_e32 v16, s20, v19
	ds_load_b32 v74, v76 offset:16
	v_and_b32_e32 v17, v17, v18
	; wave barrier
	s_delay_alu instid0(VALU_DEP_1) | instskip(NEXT) | instid1(VALU_DEP_1)
	v_and_b32_e32 v16, v17, v16
	v_mbcnt_lo_u32_b32 v75, v16, 0
	v_cmp_ne_u32_e64 s20, 0, v16
	s_delay_alu instid0(VALU_DEP_2)
	v_cmp_eq_u32_e64 s19, 0, v75
	s_and_b32 s20, s20, s19
	s_wait_alu 0xfffe
	s_and_saveexec_b32 s19, s20
	s_cbranch_execz .LBB227_117
; %bb.116:
	s_wait_dscnt 0x0
	v_bcnt_u32_b32 v16, v16, v74
	ds_store_b32 v76, v16 offset:16
.LBB227_117:
	s_wait_alu 0xfffe
	s_or_b32 exec_lo, exec_lo, s19
	v_lshrrev_b16 v16, 8, v32
	v_cmp_ne_u16_e64 s19, 0x8000, v32
	; wave barrier
	s_wait_alu 0xf1ff
	s_delay_alu instid0(VALU_DEP_1) | instskip(NEXT) | instid1(VALU_DEP_1)
	v_cndmask_b32_e64 v16, 0x7f, v16, s19
	v_and_b32_e32 v16, s21, v16
	s_delay_alu instid0(VALU_DEP_1)
	v_and_b32_e32 v17, 1, v16
	v_lshlrev_b32_e32 v18, 30, v16
	v_lshlrev_b32_e32 v19, 29, v16
	;; [unrolled: 1-line block ×4, first 2 shown]
	v_add_co_u32 v17, s19, v17, -1
	s_wait_alu 0xf1ff
	v_cndmask_b32_e64 v21, 0, 1, s19
	v_not_b32_e32 v78, v18
	v_cmp_gt_i32_e64 s20, 0, v18
	v_not_b32_e32 v18, v19
	v_lshlrev_b32_e32 v23, 26, v16
	v_cmp_ne_u32_e64 s19, 0, v21
	v_ashrrev_i32_e32 v78, 31, v78
	v_lshlrev_b32_e32 v77, 25, v16
	v_ashrrev_i32_e32 v18, 31, v18
	v_lshlrev_b32_e32 v21, 24, v16
	s_wait_alu 0xf1ff
	v_xor_b32_e32 v17, s19, v17
	v_cmp_gt_i32_e64 s19, 0, v19
	v_not_b32_e32 v19, v20
	v_xor_b32_e32 v78, s20, v78
	v_cmp_gt_i32_e64 s20, 0, v20
	v_and_b32_e32 v17, exec_lo, v17
	v_not_b32_e32 v20, v22
	v_ashrrev_i32_e32 v19, 31, v19
	s_wait_alu 0xf1ff
	v_xor_b32_e32 v18, s19, v18
	v_cmp_gt_i32_e64 s19, 0, v22
	v_and_b32_e32 v17, v17, v78
	v_not_b32_e32 v22, v23
	v_ashrrev_i32_e32 v20, 31, v20
	v_xor_b32_e32 v19, s20, v19
	v_cmp_gt_i32_e64 s20, 0, v23
	v_and_b32_e32 v17, v17, v18
	v_not_b32_e32 v18, v77
	v_ashrrev_i32_e32 v22, 31, v22
	s_wait_alu 0xf1ff
	v_xor_b32_e32 v20, s19, v20
	v_cmp_gt_i32_e64 s19, 0, v77
	v_and_b32_e32 v17, v17, v19
	v_not_b32_e32 v19, v21
	v_ashrrev_i32_e32 v18, 31, v18
	v_xor_b32_e32 v22, s20, v22
	v_cmp_gt_i32_e64 s20, 0, v21
	v_and_b32_e32 v17, v17, v20
	v_ashrrev_i32_e32 v19, 31, v19
	s_wait_alu 0xf1ff
	v_xor_b32_e32 v18, s19, v18
	v_lshl_add_u32 v79, v16, 4, v24
	v_and_b32_e32 v17, v17, v22
	v_xor_b32_e32 v16, s20, v19
	ds_load_b32 v77, v79 offset:16
	v_and_b32_e32 v17, v17, v18
	; wave barrier
	s_delay_alu instid0(VALU_DEP_1) | instskip(NEXT) | instid1(VALU_DEP_1)
	v_and_b32_e32 v16, v17, v16
	v_mbcnt_lo_u32_b32 v78, v16, 0
	v_cmp_ne_u32_e64 s20, 0, v16
	s_delay_alu instid0(VALU_DEP_2)
	v_cmp_eq_u32_e64 s19, 0, v78
	s_and_b32 s20, s20, s19
	s_wait_alu 0xfffe
	s_and_saveexec_b32 s19, s20
	s_cbranch_execz .LBB227_119
; %bb.118:
	s_wait_dscnt 0x0
	v_bcnt_u32_b32 v16, v16, v77
	ds_store_b32 v79, v16 offset:16
.LBB227_119:
	s_wait_alu 0xfffe
	s_or_b32 exec_lo, exec_lo, s19
	v_lshrrev_b16 v16, 8, v25
	v_cmp_ne_u16_e64 s19, 0x8000, v25
	; wave barrier
	s_wait_alu 0xf1ff
	s_delay_alu instid0(VALU_DEP_1) | instskip(NEXT) | instid1(VALU_DEP_1)
	v_cndmask_b32_e64 v16, 0x7f, v16, s19
	v_and_b32_e32 v16, s21, v16
	s_delay_alu instid0(VALU_DEP_1)
	v_and_b32_e32 v17, 1, v16
	v_lshlrev_b32_e32 v18, 30, v16
	v_lshlrev_b32_e32 v19, 29, v16
	;; [unrolled: 1-line block ×4, first 2 shown]
	v_add_co_u32 v17, s19, v17, -1
	s_wait_alu 0xf1ff
	v_cndmask_b32_e64 v21, 0, 1, s19
	v_not_b32_e32 v81, v18
	v_cmp_gt_i32_e64 s20, 0, v18
	v_not_b32_e32 v18, v19
	v_lshlrev_b32_e32 v23, 26, v16
	v_cmp_ne_u32_e64 s19, 0, v21
	v_ashrrev_i32_e32 v81, 31, v81
	v_lshlrev_b32_e32 v80, 25, v16
	v_ashrrev_i32_e32 v18, 31, v18
	v_lshlrev_b32_e32 v21, 24, v16
	s_wait_alu 0xf1ff
	v_xor_b32_e32 v17, s19, v17
	v_cmp_gt_i32_e64 s19, 0, v19
	v_not_b32_e32 v19, v20
	v_xor_b32_e32 v81, s20, v81
	v_cmp_gt_i32_e64 s20, 0, v20
	v_and_b32_e32 v17, exec_lo, v17
	v_not_b32_e32 v20, v22
	v_ashrrev_i32_e32 v19, 31, v19
	s_wait_alu 0xf1ff
	v_xor_b32_e32 v18, s19, v18
	v_cmp_gt_i32_e64 s19, 0, v22
	v_and_b32_e32 v17, v17, v81
	v_not_b32_e32 v22, v23
	v_ashrrev_i32_e32 v20, 31, v20
	v_xor_b32_e32 v19, s20, v19
	v_cmp_gt_i32_e64 s20, 0, v23
	v_and_b32_e32 v17, v17, v18
	v_not_b32_e32 v18, v80
	v_ashrrev_i32_e32 v22, 31, v22
	s_wait_alu 0xf1ff
	v_xor_b32_e32 v20, s19, v20
	v_cmp_gt_i32_e64 s19, 0, v80
	v_and_b32_e32 v17, v17, v19
	v_not_b32_e32 v19, v21
	v_ashrrev_i32_e32 v18, 31, v18
	v_xor_b32_e32 v22, s20, v22
	v_cmp_gt_i32_e64 s20, 0, v21
	v_and_b32_e32 v17, v17, v20
	v_ashrrev_i32_e32 v19, 31, v19
	s_wait_alu 0xf1ff
	v_xor_b32_e32 v18, s19, v18
	v_lshl_add_u32 v81, v16, 4, v24
	v_and_b32_e32 v17, v17, v22
	v_xor_b32_e32 v16, s20, v19
	ds_load_b32 v24, v81 offset:16
	v_and_b32_e32 v17, v17, v18
	; wave barrier
	s_delay_alu instid0(VALU_DEP_1) | instskip(NEXT) | instid1(VALU_DEP_1)
	v_and_b32_e32 v16, v17, v16
	v_mbcnt_lo_u32_b32 v80, v16, 0
	v_cmp_ne_u32_e64 s20, 0, v16
	s_delay_alu instid0(VALU_DEP_2)
	v_cmp_eq_u32_e64 s19, 0, v80
	s_and_b32 s20, s20, s19
	s_wait_alu 0xfffe
	s_and_saveexec_b32 s19, s20
	s_cbranch_execz .LBB227_121
; %bb.120:
	s_wait_dscnt 0x0
	v_bcnt_u32_b32 v16, v16, v24
	ds_store_b32 v81, v16 offset:16
.LBB227_121:
	s_wait_alu 0xfffe
	s_or_b32 exec_lo, exec_lo, s19
	; wave barrier
	s_wait_loadcnt_dscnt 0x0
	s_barrier_signal -1
	s_barrier_wait -1
	global_inv scope:SCOPE_SE
	ds_load_b128 v[20:23], v67 offset:16
	ds_load_b128 v[16:19], v67 offset:32
	s_wait_dscnt 0x1
	v_add_nc_u32_e32 v82, v21, v20
	s_delay_alu instid0(VALU_DEP_1) | instskip(SKIP_1) | instid1(VALU_DEP_1)
	v_add3_u32 v82, v82, v22, v23
	s_wait_dscnt 0x0
	v_add3_u32 v82, v82, v16, v17
	s_delay_alu instid0(VALU_DEP_1) | instskip(NEXT) | instid1(VALU_DEP_1)
	v_add3_u32 v19, v82, v18, v19
	v_mov_b32_dpp v82, v19 row_shr:1 row_mask:0xf bank_mask:0xf
	s_delay_alu instid0(VALU_DEP_1) | instskip(NEXT) | instid1(VALU_DEP_1)
	v_cndmask_b32_e64 v82, v82, 0, s8
	v_add_nc_u32_e32 v19, v82, v19
	s_delay_alu instid0(VALU_DEP_1) | instskip(NEXT) | instid1(VALU_DEP_1)
	v_mov_b32_dpp v82, v19 row_shr:2 row_mask:0xf bank_mask:0xf
	v_cndmask_b32_e64 v82, 0, v82, s10
	s_delay_alu instid0(VALU_DEP_1) | instskip(NEXT) | instid1(VALU_DEP_1)
	v_add_nc_u32_e32 v19, v19, v82
	v_mov_b32_dpp v82, v19 row_shr:4 row_mask:0xf bank_mask:0xf
	s_delay_alu instid0(VALU_DEP_1) | instskip(NEXT) | instid1(VALU_DEP_1)
	v_cndmask_b32_e64 v82, 0, v82, s11
	v_add_nc_u32_e32 v19, v19, v82
	s_delay_alu instid0(VALU_DEP_1) | instskip(NEXT) | instid1(VALU_DEP_1)
	v_mov_b32_dpp v82, v19 row_shr:8 row_mask:0xf bank_mask:0xf
	v_cndmask_b32_e64 v82, 0, v82, s13
	s_delay_alu instid0(VALU_DEP_1) | instskip(SKIP_3) | instid1(VALU_DEP_1)
	v_add_nc_u32_e32 v19, v19, v82
	ds_swizzle_b32 v82, v19 offset:swizzle(BROADCAST,32,15)
	s_wait_dscnt 0x0
	v_cndmask_b32_e64 v82, v82, 0, s16
	v_add_nc_u32_e32 v19, v19, v82
	s_and_saveexec_b32 s8, s14
; %bb.122:
	ds_store_b32 v34, v19
; %bb.123:
	s_wait_alu 0xfffe
	s_or_b32 exec_lo, exec_lo, s8
	s_wait_loadcnt_dscnt 0x0
	s_barrier_signal -1
	s_barrier_wait -1
	global_inv scope:SCOPE_SE
	s_and_saveexec_b32 s8, s15
	s_cbranch_execz .LBB227_125
; %bb.124:
	ds_load_b32 v34, v35
	s_wait_dscnt 0x0
	v_mov_b32_dpp v82, v34 row_shr:1 row_mask:0xf bank_mask:0xf
	s_delay_alu instid0(VALU_DEP_1) | instskip(NEXT) | instid1(VALU_DEP_1)
	v_cndmask_b32_e64 v82, v82, 0, s12
	v_add_nc_u32_e32 v34, v82, v34
	s_delay_alu instid0(VALU_DEP_1) | instskip(NEXT) | instid1(VALU_DEP_1)
	v_mov_b32_dpp v82, v34 row_shr:2 row_mask:0xf bank_mask:0xf
	v_cndmask_b32_e64 v82, 0, v82, s9
	s_delay_alu instid0(VALU_DEP_1)
	v_add_nc_u32_e32 v34, v34, v82
	ds_store_b32 v35, v34
.LBB227_125:
	s_wait_alu 0xfffe
	s_or_b32 exec_lo, exec_lo, s8
	v_mov_b32_e32 v34, 0
	s_wait_loadcnt_dscnt 0x0
	s_barrier_signal -1
	s_barrier_wait -1
	global_inv scope:SCOPE_SE
	s_and_saveexec_b32 s8, s17
; %bb.126:
	ds_load_b32 v34, v36
; %bb.127:
	s_wait_alu 0xfffe
	s_or_b32 exec_lo, exec_lo, s8
	s_wait_dscnt 0x0
	v_add_nc_u32_e32 v19, v34, v19
	ds_bpermute_b32 v19, v37, v19
	s_wait_dscnt 0x0
	v_cndmask_b32_e32 v19, v19, v34, vcc_lo
	s_delay_alu instid0(VALU_DEP_1) | instskip(NEXT) | instid1(VALU_DEP_1)
	v_cndmask_b32_e64 v19, v19, 0, s18
	v_add_nc_u32_e32 v20, v19, v20
	s_delay_alu instid0(VALU_DEP_1) | instskip(NEXT) | instid1(VALU_DEP_1)
	v_add_nc_u32_e32 v21, v20, v21
	v_add_nc_u32_e32 v22, v21, v22
	s_delay_alu instid0(VALU_DEP_1) | instskip(NEXT) | instid1(VALU_DEP_1)
	v_add_nc_u32_e32 v34, v22, v23
	;; [unrolled: 3-line block ×3, first 2 shown]
	v_add_nc_u32_e32 v37, v36, v18
	ds_store_b128 v67, v[19:22] offset:16
	ds_store_b128 v67, v[34:37] offset:32
	s_wait_loadcnt_dscnt 0x0
	s_barrier_signal -1
	s_barrier_wait -1
	global_inv scope:SCOPE_SE
	ds_load_b32 v16, v81 offset:16
	ds_load_b32 v17, v79 offset:16
	;; [unrolled: 1-line block ×8, first 2 shown]
	v_lshlrev_b32_e32 v34, 1, v66
	s_wait_loadcnt_dscnt 0x0
	s_barrier_signal -1
	s_barrier_wait -1
	global_inv scope:SCOPE_SE
	v_mad_u32_u24 v37, v46, 48, v34
	v_add3_u32 v35, v80, v24, v16
	v_add3_u32 v36, v78, v77, v17
	;; [unrolled: 1-line block ×3, first 2 shown]
	v_add_nc_u32_e32 v24, v19, v33
	v_add3_u32 v33, v40, v39, v20
	v_add3_u32 v39, v49, v48, v21
	;; [unrolled: 1-line block ×4, first 2 shown]
	v_lshlrev_b32_e32 v16, 1, v24
	v_lshlrev_b32_e32 v17, 1, v33
	;; [unrolled: 1-line block ×8, first 2 shown]
	ds_store_b16 v16, v26
	ds_store_b16 v17, v27
	;; [unrolled: 1-line block ×8, first 2 shown]
	v_mad_co_u64_u32 v[24:25], null, v24, 6, v[16:17]
	v_mad_co_u64_u32 v[16:17], null, v33, 6, v[17:18]
	;; [unrolled: 1-line block ×7, first 2 shown]
	s_wait_loadcnt_dscnt 0x0
	s_barrier_signal -1
	s_barrier_wait -1
	global_inv scope:SCOPE_SE
	v_mad_co_u64_u32 v[22:23], null, v35, 6, v[23:24]
	ds_load_b128 v[33:36], v34
	s_wait_loadcnt_dscnt 0x0
	s_barrier_signal -1
	s_barrier_wait -1
	global_inv scope:SCOPE_SE
	ds_store_b64 v24, v[4:5]
	ds_store_b64 v16, v[6:7]
	;; [unrolled: 1-line block ×8, first 2 shown]
	s_wait_loadcnt_dscnt 0x0
	s_barrier_signal -1
	s_barrier_wait -1
	global_inv scope:SCOPE_SE
	ds_load_b128 v[29:32], v37
	ds_load_b128 v[25:28], v37 offset:16
	ds_load_b128 v[21:24], v37 offset:32
	;; [unrolled: 1-line block ×3, first 2 shown]
	v_cmp_gt_i16_e32 vcc_lo, 0, v33
	v_lshrrev_b32_e32 v0, 16, v33
	v_lshrrev_b32_e32 v2, 16, v34
	;; [unrolled: 1-line block ×4, first 2 shown]
	s_wait_alu 0xfffd
	v_cndmask_b32_e64 v1, 0x7fff, 0, vcc_lo
	v_cmp_gt_i16_e32 vcc_lo, 0, v34
	s_wait_alu 0xfffd
	v_cndmask_b32_e64 v3, 0x7fff, 0, vcc_lo
	v_cmp_gt_i16_e32 vcc_lo, 0, v35
	;; [unrolled: 3-line block ×5, first 2 shown]
	s_delay_alu instid0(VALU_DEP_2) | instskip(SKIP_3) | instid1(VALU_DEP_3)
	v_perm_b32 v0, v0, v1, 0x5040100
	s_wait_alu 0xfffd
	v_cndmask_b32_e64 v2, 0x7fff, 0, vcc_lo
	v_cmp_gt_i16_e32 vcc_lo, 0, v4
	v_xor_b32_e32 v0, v0, v33
	s_delay_alu instid0(VALU_DEP_3) | instskip(SKIP_3) | instid1(VALU_DEP_3)
	v_perm_b32 v1, v2, v3, 0x5040100
	s_wait_alu 0xfffd
	v_cndmask_b32_e64 v4, 0x7fff, 0, vcc_lo
	v_cmp_gt_i16_e32 vcc_lo, 0, v6
	v_xor_b32_e32 v34, v1, v34
	s_delay_alu instid0(VALU_DEP_3) | instskip(SKIP_2) | instid1(VALU_DEP_2)
	v_perm_b32 v2, v4, v5, 0x5040100
	s_wait_alu 0xfffd
	v_cndmask_b32_e64 v6, 0x7fff, 0, vcc_lo
	v_xor_b32_e32 v33, v2, v35
	s_delay_alu instid0(VALU_DEP_2) | instskip(NEXT) | instid1(VALU_DEP_1)
	v_perm_b32 v3, v6, v7, 0x5040100
	v_xor_b32_e32 v35, v3, v36
.LBB227_128:
	s_wait_loadcnt_dscnt 0x0
	s_barrier_signal -1
	s_barrier_wait -1
	global_inv scope:SCOPE_SE
	ds_store_2addr_b32 v58, v0, v34 offset1:1
	ds_store_2addr_b32 v58, v33, v35 offset0:2 offset1:3
	s_wait_loadcnt_dscnt 0x0
	s_barrier_signal -1
	s_barrier_wait -1
	global_inv scope:SCOPE_SE
	ds_load_u16 v8, v45 offset:256
	ds_load_u16 v7, v52 offset:512
	;; [unrolled: 1-line block ×7, first 2 shown]
	v_mov_b32_e32 v45, 0
	s_delay_alu instid0(VALU_DEP_1) | instskip(NEXT) | instid1(VALU_DEP_1)
	v_lshlrev_b64_e32 v[0:1], 1, v[44:45]
	v_add_co_u32 v0, vcc_lo, s30, v0
	s_wait_alu 0xfffd
	s_delay_alu instid0(VALU_DEP_2)
	v_add_co_ci_u32_e64 v1, null, s31, v1, vcc_lo
	s_and_saveexec_b32 s8, s0
	s_cbranch_execnz .LBB227_147
; %bb.129:
	s_wait_alu 0xfffe
	s_or_b32 exec_lo, exec_lo, s8
	s_and_saveexec_b32 s8, s1
	s_cbranch_execnz .LBB227_148
.LBB227_130:
	s_wait_alu 0xfffe
	s_or_b32 exec_lo, exec_lo, s8
	s_and_saveexec_b32 s8, s2
	s_cbranch_execnz .LBB227_149
.LBB227_131:
	s_wait_alu 0xfffe
	s_or_b32 exec_lo, exec_lo, s8
	s_and_saveexec_b32 s8, s3
	s_cbranch_execnz .LBB227_150
.LBB227_132:
	s_wait_alu 0xfffe
	s_or_b32 exec_lo, exec_lo, s8
	s_and_saveexec_b32 s8, s4
	s_cbranch_execnz .LBB227_151
.LBB227_133:
	s_wait_alu 0xfffe
	s_or_b32 exec_lo, exec_lo, s8
	s_and_saveexec_b32 s8, s5
	s_cbranch_execnz .LBB227_152
.LBB227_134:
	s_wait_alu 0xfffe
	s_or_b32 exec_lo, exec_lo, s8
	s_and_saveexec_b32 s8, s6
	s_cbranch_execnz .LBB227_153
.LBB227_135:
	s_wait_alu 0xfffe
	s_or_b32 exec_lo, exec_lo, s8
	s_and_saveexec_b32 s8, s7
	s_cbranch_execz .LBB227_137
.LBB227_136:
	s_mul_i32 s10, s22, 0x380
	s_mov_b32 s11, 0
	s_wait_alu 0xfffe
	s_lshl_b64 s[10:11], s[10:11], 1
	s_wait_alu 0xfffe
	v_add_co_u32 v0, vcc_lo, v0, s10
	s_wait_alu 0xfffd
	v_add_co_ci_u32_e64 v1, null, s11, v1, vcc_lo
	s_wait_dscnt 0x0
	global_store_b16 v[0:1], v2, off
.LBB227_137:
	s_wait_alu 0xfffe
	s_or_b32 exec_lo, exec_lo, s8
	s_wait_storecnt 0x0
	s_wait_loadcnt_dscnt 0x0
	s_barrier_signal -1
	s_barrier_wait -1
	global_inv scope:SCOPE_SE
	ds_store_2addr_b64 v65, v[29:30], v[31:32] offset1:1
	ds_store_2addr_b64 v65, v[25:26], v[27:28] offset0:2 offset1:3
	ds_store_2addr_b64 v65, v[21:22], v[23:24] offset0:4 offset1:5
	;; [unrolled: 1-line block ×3, first 2 shown]
	s_wait_loadcnt_dscnt 0x0
	s_barrier_signal -1
	s_barrier_wait -1
	global_inv scope:SCOPE_SE
	ds_load_b64 v[14:15], v60 offset:1024
	ds_load_b64 v[12:13], v61 offset:2048
	;; [unrolled: 1-line block ×7, first 2 shown]
	v_mov_b32_e32 v42, 0
	s_delay_alu instid0(VALU_DEP_1) | instskip(NEXT) | instid1(VALU_DEP_1)
	v_lshlrev_b64_e32 v[2:3], 3, v[41:42]
	v_add_co_u32 v2, vcc_lo, s34, v2
	s_wait_alu 0xfffd
	s_delay_alu instid0(VALU_DEP_2)
	v_add_co_ci_u32_e64 v3, null, s35, v3, vcc_lo
	s_and_saveexec_b32 s8, s0
	s_cbranch_execnz .LBB227_154
; %bb.138:
	s_wait_alu 0xfffe
	s_or_b32 exec_lo, exec_lo, s8
	s_and_saveexec_b32 s0, s1
	s_cbranch_execnz .LBB227_155
.LBB227_139:
	s_or_b32 exec_lo, exec_lo, s0
	s_and_saveexec_b32 s0, s2
	s_cbranch_execnz .LBB227_156
.LBB227_140:
	s_or_b32 exec_lo, exec_lo, s0
	s_and_saveexec_b32 s0, s3
	s_cbranch_execnz .LBB227_157
.LBB227_141:
	s_or_b32 exec_lo, exec_lo, s0
	s_and_saveexec_b32 s0, s4
	s_cbranch_execnz .LBB227_158
.LBB227_142:
	s_or_b32 exec_lo, exec_lo, s0
	s_and_saveexec_b32 s0, s5
	s_cbranch_execnz .LBB227_159
.LBB227_143:
	s_or_b32 exec_lo, exec_lo, s0
	s_and_saveexec_b32 s0, s6
	s_cbranch_execnz .LBB227_160
.LBB227_144:
	s_or_b32 exec_lo, exec_lo, s0
	s_and_saveexec_b32 s0, s7
	s_cbranch_execz .LBB227_146
.LBB227_145:
	s_mul_i32 s0, s28, 0x380
	s_mov_b32 s1, 0
	s_delay_alu instid0(SALU_CYCLE_1) | instskip(NEXT) | instid1(SALU_CYCLE_1)
	s_lshl_b64 s[0:1], s[0:1], 3
	v_add_co_u32 v2, vcc_lo, v2, s0
	s_wait_alu 0xfffd
	v_add_co_ci_u32_e64 v3, null, s1, v3, vcc_lo
	s_wait_dscnt 0x0
	global_store_b64 v[2:3], v[0:1], off
.LBB227_146:
	s_nop 0
	s_sendmsg sendmsg(MSG_DEALLOC_VGPRS)
	s_endpgm
.LBB227_147:
	ds_load_u16 v9, v51
	s_wait_dscnt 0x0
	global_store_b16 v[0:1], v9, off
	s_wait_alu 0xfffe
	s_or_b32 exec_lo, exec_lo, s8
	s_and_saveexec_b32 s8, s1
	s_cbranch_execz .LBB227_130
.LBB227_148:
	s_lshl_b32 s10, s22, 7
	s_mov_b32 s11, 0
	s_wait_alu 0xfffe
	s_lshl_b64 s[10:11], s[10:11], 1
	s_wait_alu 0xfffe
	v_add_co_u32 v9, vcc_lo, v0, s10
	s_wait_alu 0xfffd
	v_add_co_ci_u32_e64 v10, null, s11, v1, vcc_lo
	s_wait_dscnt 0x6
	global_store_b16 v[9:10], v8, off
	s_or_b32 exec_lo, exec_lo, s8
	s_and_saveexec_b32 s8, s2
	s_cbranch_execz .LBB227_131
.LBB227_149:
	s_lshl_b32 s10, s22, 8
	s_mov_b32 s11, 0
	s_wait_alu 0xfffe
	s_lshl_b64 s[10:11], s[10:11], 1
	s_wait_dscnt 0x6
	s_wait_alu 0xfffe
	v_add_co_u32 v8, vcc_lo, v0, s10
	s_wait_alu 0xfffd
	v_add_co_ci_u32_e64 v9, null, s11, v1, vcc_lo
	s_wait_dscnt 0x5
	global_store_b16 v[8:9], v7, off
	s_or_b32 exec_lo, exec_lo, s8
	s_and_saveexec_b32 s8, s3
	s_cbranch_execz .LBB227_132
.LBB227_150:
	s_mul_i32 s10, s22, 0x180
	s_mov_b32 s11, 0
	s_wait_alu 0xfffe
	s_lshl_b64 s[10:11], s[10:11], 1
	s_wait_dscnt 0x5
	s_wait_alu 0xfffe
	v_add_co_u32 v7, vcc_lo, v0, s10
	s_wait_alu 0xfffd
	v_add_co_ci_u32_e64 v8, null, s11, v1, vcc_lo
	s_wait_dscnt 0x4
	global_store_b16 v[7:8], v6, off
	s_or_b32 exec_lo, exec_lo, s8
	s_and_saveexec_b32 s8, s4
	s_cbranch_execz .LBB227_133
.LBB227_151:
	s_lshl_b32 s10, s22, 9
	s_mov_b32 s11, 0
	s_wait_alu 0xfffe
	s_lshl_b64 s[10:11], s[10:11], 1
	s_wait_dscnt 0x4
	s_wait_alu 0xfffe
	v_add_co_u32 v6, vcc_lo, v0, s10
	s_wait_alu 0xfffd
	v_add_co_ci_u32_e64 v7, null, s11, v1, vcc_lo
	s_wait_dscnt 0x3
	global_store_b16 v[6:7], v5, off
	s_or_b32 exec_lo, exec_lo, s8
	s_and_saveexec_b32 s8, s5
	s_cbranch_execz .LBB227_134
.LBB227_152:
	s_mul_i32 s10, s22, 0x280
	s_mov_b32 s11, 0
	s_wait_alu 0xfffe
	s_lshl_b64 s[10:11], s[10:11], 1
	s_wait_dscnt 0x3
	s_wait_alu 0xfffe
	v_add_co_u32 v5, vcc_lo, v0, s10
	s_wait_alu 0xfffd
	v_add_co_ci_u32_e64 v6, null, s11, v1, vcc_lo
	s_wait_dscnt 0x2
	global_store_b16 v[5:6], v4, off
	s_or_b32 exec_lo, exec_lo, s8
	s_and_saveexec_b32 s8, s6
	s_cbranch_execz .LBB227_135
.LBB227_153:
	s_mul_i32 s10, s22, 0x300
	s_mov_b32 s11, 0
	s_wait_alu 0xfffe
	s_lshl_b64 s[10:11], s[10:11], 1
	s_wait_dscnt 0x2
	s_wait_alu 0xfffe
	v_add_co_u32 v4, vcc_lo, v0, s10
	s_wait_alu 0xfffd
	v_add_co_ci_u32_e64 v5, null, s11, v1, vcc_lo
	s_wait_dscnt 0x1
	global_store_b16 v[4:5], v3, off
	s_or_b32 exec_lo, exec_lo, s8
	s_and_saveexec_b32 s8, s7
	s_cbranch_execnz .LBB227_136
	s_branch .LBB227_137
.LBB227_154:
	ds_load_b64 v[16:17], v59
	s_wait_dscnt 0x0
	global_store_b64 v[2:3], v[16:17], off
	s_wait_alu 0xfffe
	s_or_b32 exec_lo, exec_lo, s8
	s_and_saveexec_b32 s0, s1
	s_cbranch_execz .LBB227_139
.LBB227_155:
	s_lshl_b32 s8, s28, 7
	s_mov_b32 s9, 0
	s_wait_alu 0xfffe
	s_lshl_b64 s[8:9], s[8:9], 3
	s_wait_alu 0xfffe
	v_add_co_u32 v16, vcc_lo, v2, s8
	s_wait_alu 0xfffd
	v_add_co_ci_u32_e64 v17, null, s9, v3, vcc_lo
	s_wait_dscnt 0x6
	global_store_b64 v[16:17], v[14:15], off
	s_or_b32 exec_lo, exec_lo, s0
	s_and_saveexec_b32 s0, s2
	s_cbranch_execz .LBB227_140
.LBB227_156:
	s_lshl_b32 s8, s28, 8
	s_mov_b32 s9, 0
	s_wait_alu 0xfffe
	s_lshl_b64 s[8:9], s[8:9], 3
	s_wait_dscnt 0x6
	s_wait_alu 0xfffe
	v_add_co_u32 v14, vcc_lo, v2, s8
	s_wait_alu 0xfffd
	v_add_co_ci_u32_e64 v15, null, s9, v3, vcc_lo
	s_wait_dscnt 0x5
	global_store_b64 v[14:15], v[12:13], off
	s_or_b32 exec_lo, exec_lo, s0
	s_and_saveexec_b32 s0, s3
	s_cbranch_execz .LBB227_141
.LBB227_157:
	s_mul_i32 s2, s28, 0x180
	s_mov_b32 s3, 0
	s_wait_alu 0xfffe
	s_lshl_b64 s[2:3], s[2:3], 3
	s_wait_dscnt 0x5
	s_wait_alu 0xfffe
	v_add_co_u32 v12, vcc_lo, v2, s2
	s_wait_alu 0xfffd
	v_add_co_ci_u32_e64 v13, null, s3, v3, vcc_lo
	s_wait_dscnt 0x4
	global_store_b64 v[12:13], v[10:11], off
	s_or_b32 exec_lo, exec_lo, s0
	s_and_saveexec_b32 s0, s4
	s_cbranch_execz .LBB227_142
.LBB227_158:
	s_lshl_b32 s2, s28, 9
	s_mov_b32 s3, 0
	s_wait_alu 0xfffe
	s_lshl_b64 s[2:3], s[2:3], 3
	s_wait_dscnt 0x4
	s_wait_alu 0xfffe
	v_add_co_u32 v10, vcc_lo, v2, s2
	s_wait_alu 0xfffd
	v_add_co_ci_u32_e64 v11, null, s3, v3, vcc_lo
	s_wait_dscnt 0x3
	global_store_b64 v[10:11], v[8:9], off
	s_or_b32 exec_lo, exec_lo, s0
	s_and_saveexec_b32 s0, s5
	s_cbranch_execz .LBB227_143
.LBB227_159:
	s_mul_i32 s2, s28, 0x280
	s_mov_b32 s3, 0
	s_wait_alu 0xfffe
	s_lshl_b64 s[2:3], s[2:3], 3
	s_wait_dscnt 0x3
	s_wait_alu 0xfffe
	v_add_co_u32 v8, vcc_lo, v2, s2
	s_wait_alu 0xfffd
	v_add_co_ci_u32_e64 v9, null, s3, v3, vcc_lo
	s_wait_dscnt 0x2
	global_store_b64 v[8:9], v[6:7], off
	s_or_b32 exec_lo, exec_lo, s0
	s_and_saveexec_b32 s0, s6
	s_cbranch_execz .LBB227_144
.LBB227_160:
	s_mul_i32 s2, s28, 0x300
	s_mov_b32 s3, 0
	s_wait_alu 0xfffe
	s_lshl_b64 s[2:3], s[2:3], 3
	s_wait_dscnt 0x2
	s_wait_alu 0xfffe
	v_add_co_u32 v6, vcc_lo, v2, s2
	s_wait_alu 0xfffd
	v_add_co_ci_u32_e64 v7, null, s3, v3, vcc_lo
	s_wait_dscnt 0x1
	global_store_b64 v[6:7], v[4:5], off
	s_or_b32 exec_lo, exec_lo, s0
	s_and_saveexec_b32 s0, s7
	s_cbranch_execnz .LBB227_145
	s_branch .LBB227_146
	.section	.rodata,"a",@progbits
	.p2align	6, 0x0
	.amdhsa_kernel _ZN2at6native18radixSortKVInPlaceILi2ELin1ELi128ELi8EN3c104HalfEljEEvNS_4cuda6detail10TensorInfoIT3_T5_EES8_S8_S8_NS6_IT4_S8_EES8_b
		.amdhsa_group_segment_fixed_size 8448
		.amdhsa_private_segment_fixed_size 0
		.amdhsa_kernarg_size 712
		.amdhsa_user_sgpr_count 2
		.amdhsa_user_sgpr_dispatch_ptr 0
		.amdhsa_user_sgpr_queue_ptr 0
		.amdhsa_user_sgpr_kernarg_segment_ptr 1
		.amdhsa_user_sgpr_dispatch_id 0
		.amdhsa_user_sgpr_private_segment_size 0
		.amdhsa_wavefront_size32 1
		.amdhsa_uses_dynamic_stack 0
		.amdhsa_enable_private_segment 0
		.amdhsa_system_sgpr_workgroup_id_x 1
		.amdhsa_system_sgpr_workgroup_id_y 1
		.amdhsa_system_sgpr_workgroup_id_z 1
		.amdhsa_system_sgpr_workgroup_info 0
		.amdhsa_system_vgpr_workitem_id 2
		.amdhsa_next_free_vgpr 113
		.amdhsa_next_free_sgpr 38
		.amdhsa_reserve_vcc 1
		.amdhsa_float_round_mode_32 0
		.amdhsa_float_round_mode_16_64 0
		.amdhsa_float_denorm_mode_32 3
		.amdhsa_float_denorm_mode_16_64 3
		.amdhsa_fp16_overflow 0
		.amdhsa_workgroup_processor_mode 1
		.amdhsa_memory_ordered 1
		.amdhsa_forward_progress 1
		.amdhsa_inst_pref_size 180
		.amdhsa_round_robin_scheduling 0
		.amdhsa_exception_fp_ieee_invalid_op 0
		.amdhsa_exception_fp_denorm_src 0
		.amdhsa_exception_fp_ieee_div_zero 0
		.amdhsa_exception_fp_ieee_overflow 0
		.amdhsa_exception_fp_ieee_underflow 0
		.amdhsa_exception_fp_ieee_inexact 0
		.amdhsa_exception_int_div_zero 0
	.end_amdhsa_kernel
	.section	.text._ZN2at6native18radixSortKVInPlaceILi2ELin1ELi128ELi8EN3c104HalfEljEEvNS_4cuda6detail10TensorInfoIT3_T5_EES8_S8_S8_NS6_IT4_S8_EES8_b,"axG",@progbits,_ZN2at6native18radixSortKVInPlaceILi2ELin1ELi128ELi8EN3c104HalfEljEEvNS_4cuda6detail10TensorInfoIT3_T5_EES8_S8_S8_NS6_IT4_S8_EES8_b,comdat
.Lfunc_end227:
	.size	_ZN2at6native18radixSortKVInPlaceILi2ELin1ELi128ELi8EN3c104HalfEljEEvNS_4cuda6detail10TensorInfoIT3_T5_EES8_S8_S8_NS6_IT4_S8_EES8_b, .Lfunc_end227-_ZN2at6native18radixSortKVInPlaceILi2ELin1ELi128ELi8EN3c104HalfEljEEvNS_4cuda6detail10TensorInfoIT3_T5_EES8_S8_S8_NS6_IT4_S8_EES8_b
                                        ; -- End function
	.set _ZN2at6native18radixSortKVInPlaceILi2ELin1ELi128ELi8EN3c104HalfEljEEvNS_4cuda6detail10TensorInfoIT3_T5_EES8_S8_S8_NS6_IT4_S8_EES8_b.num_vgpr, 113
	.set _ZN2at6native18radixSortKVInPlaceILi2ELin1ELi128ELi8EN3c104HalfEljEEvNS_4cuda6detail10TensorInfoIT3_T5_EES8_S8_S8_NS6_IT4_S8_EES8_b.num_agpr, 0
	.set _ZN2at6native18radixSortKVInPlaceILi2ELin1ELi128ELi8EN3c104HalfEljEEvNS_4cuda6detail10TensorInfoIT3_T5_EES8_S8_S8_NS6_IT4_S8_EES8_b.numbered_sgpr, 38
	.set _ZN2at6native18radixSortKVInPlaceILi2ELin1ELi128ELi8EN3c104HalfEljEEvNS_4cuda6detail10TensorInfoIT3_T5_EES8_S8_S8_NS6_IT4_S8_EES8_b.num_named_barrier, 0
	.set _ZN2at6native18radixSortKVInPlaceILi2ELin1ELi128ELi8EN3c104HalfEljEEvNS_4cuda6detail10TensorInfoIT3_T5_EES8_S8_S8_NS6_IT4_S8_EES8_b.private_seg_size, 0
	.set _ZN2at6native18radixSortKVInPlaceILi2ELin1ELi128ELi8EN3c104HalfEljEEvNS_4cuda6detail10TensorInfoIT3_T5_EES8_S8_S8_NS6_IT4_S8_EES8_b.uses_vcc, 1
	.set _ZN2at6native18radixSortKVInPlaceILi2ELin1ELi128ELi8EN3c104HalfEljEEvNS_4cuda6detail10TensorInfoIT3_T5_EES8_S8_S8_NS6_IT4_S8_EES8_b.uses_flat_scratch, 0
	.set _ZN2at6native18radixSortKVInPlaceILi2ELin1ELi128ELi8EN3c104HalfEljEEvNS_4cuda6detail10TensorInfoIT3_T5_EES8_S8_S8_NS6_IT4_S8_EES8_b.has_dyn_sized_stack, 0
	.set _ZN2at6native18radixSortKVInPlaceILi2ELin1ELi128ELi8EN3c104HalfEljEEvNS_4cuda6detail10TensorInfoIT3_T5_EES8_S8_S8_NS6_IT4_S8_EES8_b.has_recursion, 0
	.set _ZN2at6native18radixSortKVInPlaceILi2ELin1ELi128ELi8EN3c104HalfEljEEvNS_4cuda6detail10TensorInfoIT3_T5_EES8_S8_S8_NS6_IT4_S8_EES8_b.has_indirect_call, 0
	.section	.AMDGPU.csdata,"",@progbits
; Kernel info:
; codeLenInByte = 22964
; TotalNumSgprs: 40
; NumVgprs: 113
; ScratchSize: 0
; MemoryBound: 0
; FloatMode: 240
; IeeeMode: 1
; LDSByteSize: 8448 bytes/workgroup (compile time only)
; SGPRBlocks: 0
; VGPRBlocks: 14
; NumSGPRsForWavesPerEU: 40
; NumVGPRsForWavesPerEU: 113
; Occupancy: 12
; WaveLimiterHint : 1
; COMPUTE_PGM_RSRC2:SCRATCH_EN: 0
; COMPUTE_PGM_RSRC2:USER_SGPR: 2
; COMPUTE_PGM_RSRC2:TRAP_HANDLER: 0
; COMPUTE_PGM_RSRC2:TGID_X_EN: 1
; COMPUTE_PGM_RSRC2:TGID_Y_EN: 1
; COMPUTE_PGM_RSRC2:TGID_Z_EN: 1
; COMPUTE_PGM_RSRC2:TIDIG_COMP_CNT: 2
	.section	.text._ZN2at6native18radixSortKVInPlaceILi2ELin1ELi32ELi4EN3c104HalfEljEEvNS_4cuda6detail10TensorInfoIT3_T5_EES8_S8_S8_NS6_IT4_S8_EES8_b,"axG",@progbits,_ZN2at6native18radixSortKVInPlaceILi2ELin1ELi32ELi4EN3c104HalfEljEEvNS_4cuda6detail10TensorInfoIT3_T5_EES8_S8_S8_NS6_IT4_S8_EES8_b,comdat
	.protected	_ZN2at6native18radixSortKVInPlaceILi2ELin1ELi32ELi4EN3c104HalfEljEEvNS_4cuda6detail10TensorInfoIT3_T5_EES8_S8_S8_NS6_IT4_S8_EES8_b ; -- Begin function _ZN2at6native18radixSortKVInPlaceILi2ELin1ELi32ELi4EN3c104HalfEljEEvNS_4cuda6detail10TensorInfoIT3_T5_EES8_S8_S8_NS6_IT4_S8_EES8_b
	.globl	_ZN2at6native18radixSortKVInPlaceILi2ELin1ELi32ELi4EN3c104HalfEljEEvNS_4cuda6detail10TensorInfoIT3_T5_EES8_S8_S8_NS6_IT4_S8_EES8_b
	.p2align	8
	.type	_ZN2at6native18radixSortKVInPlaceILi2ELin1ELi32ELi4EN3c104HalfEljEEvNS_4cuda6detail10TensorInfoIT3_T5_EES8_S8_S8_NS6_IT4_S8_EES8_b,@function
_ZN2at6native18radixSortKVInPlaceILi2ELin1ELi32ELi4EN3c104HalfEljEEvNS_4cuda6detail10TensorInfoIT3_T5_EES8_S8_S8_NS6_IT4_S8_EES8_b: ; @_ZN2at6native18radixSortKVInPlaceILi2ELin1ELi32ELi4EN3c104HalfEljEEvNS_4cuda6detail10TensorInfoIT3_T5_EES8_S8_S8_NS6_IT4_S8_EES8_b
; %bb.0:
	s_clause 0x1
	s_load_b64 s[2:3], s[0:1], 0x1c8
	s_load_b96 s[12:14], s[0:1], 0xd8
	s_lshr_b32 s4, ttmp7, 16
	s_wait_kmcnt 0x0
	s_mul_i32 s3, s3, s4
	s_and_b32 s4, ttmp7, 0xffff
	s_delay_alu instid0(SALU_CYCLE_1) | instskip(NEXT) | instid1(SALU_CYCLE_1)
	s_add_co_i32 s3, s3, s4
	s_mul_i32 s2, s3, s2
	s_delay_alu instid0(SALU_CYCLE_1) | instskip(NEXT) | instid1(SALU_CYCLE_1)
	s_add_co_i32 s2, s2, ttmp9
	s_cmp_ge_u32 s2, s12
	s_cbranch_scc1 .LBB228_74
; %bb.1:
	s_clause 0x2
	s_load_b32 s12, s[0:1], 0xc
	s_load_b64 s[8:9], s[0:1], 0x6c
	s_load_b32 s15, s[0:1], 0x1b8
	s_add_nc_u64 s[6:7], s[0:1], 0xe8
	s_wait_kmcnt 0x0
	s_cvt_f32_u32 s3, s12
	s_delay_alu instid0(SALU_CYCLE_3) | instskip(NEXT) | instid1(TRANS32_DEP_1)
	v_rcp_iflag_f32_e32 v1, s3
	v_readfirstlane_b32 s3, v1
	s_mul_f32 s3, s3, 0x4f7ffffe
	s_wait_alu 0xfffe
	s_delay_alu instid0(SALU_CYCLE_2) | instskip(SKIP_2) | instid1(SALU_CYCLE_1)
	s_cvt_u32_f32 s4, s3
	s_sub_co_i32 s3, 0, s12
	s_wait_alu 0xfffe
	s_mul_i32 s5, s3, s4
	s_mov_b32 s3, 0
	s_mul_hi_u32 s5, s4, s5
	s_wait_alu 0xfffe
	s_mov_b32 s11, s3
	s_add_co_i32 s10, s4, s5
	s_cmp_lt_i32 s15, 2
	s_mov_b32 s4, s2
	s_mov_b32 s5, s3
	s_cbranch_scc1 .LBB228_4
; %bb.2:
	s_add_co_i32 s4, s15, -1
	s_mov_b32 s5, 0
	s_add_co_i32 s15, s15, 1
	s_lshl_b64 s[16:17], s[4:5], 2
	s_mov_b32 s4, s2
	s_add_nc_u64 s[16:17], s[6:7], s[16:17]
	s_delay_alu instid0(SALU_CYCLE_1)
	s_add_nc_u64 s[16:17], s[16:17], 8
.LBB228_3:                              ; =>This Inner Loop Header: Depth=1
	s_clause 0x1
	s_load_b32 s18, s[16:17], 0x0
	s_load_b32 s19, s[16:17], 0x64
	s_mov_b32 s22, s4
	s_add_nc_u64 s[16:17], s[16:17], -4
	s_wait_kmcnt 0x0
	s_cvt_f32_u32 s20, s18
	s_sub_co_i32 s21, 0, s18
	s_wait_alu 0xfffe
	s_delay_alu instid0(SALU_CYCLE_1) | instskip(NEXT) | instid1(TRANS32_DEP_1)
	v_rcp_iflag_f32_e32 v1, s20
	v_readfirstlane_b32 s20, v1
	s_mul_f32 s20, s20, 0x4f7ffffe
	s_wait_alu 0xfffe
	s_delay_alu instid0(SALU_CYCLE_2) | instskip(SKIP_1) | instid1(SALU_CYCLE_2)
	s_cvt_u32_f32 s20, s20
	s_wait_alu 0xfffe
	s_mul_i32 s21, s21, s20
	s_wait_alu 0xfffe
	s_mul_hi_u32 s21, s20, s21
	s_wait_alu 0xfffe
	s_add_co_i32 s20, s20, s21
	s_wait_alu 0xfffe
	s_mul_hi_u32 s4, s4, s20
	s_delay_alu instid0(SALU_CYCLE_1)
	s_mul_i32 s20, s4, s18
	s_add_co_i32 s21, s4, 1
	s_wait_alu 0xfffe
	s_sub_co_i32 s20, s22, s20
	s_wait_alu 0xfffe
	s_sub_co_i32 s23, s20, s18
	s_cmp_ge_u32 s20, s18
	s_cselect_b32 s4, s21, s4
	s_cselect_b32 s20, s23, s20
	s_add_co_i32 s21, s4, 1
	s_wait_alu 0xfffe
	s_cmp_ge_u32 s20, s18
	s_cselect_b32 s4, s21, s4
	s_add_co_i32 s15, s15, -1
	s_mul_i32 s18, s4, s18
	s_delay_alu instid0(SALU_CYCLE_1) | instskip(NEXT) | instid1(SALU_CYCLE_1)
	s_sub_co_i32 s18, s22, s18
	s_mul_i32 s18, s19, s18
	s_delay_alu instid0(SALU_CYCLE_1)
	s_add_co_i32 s5, s18, s5
	s_cmp_gt_u32 s15, 2
	s_cbranch_scc1 .LBB228_3
.LBB228_4:
	s_mul_u64 s[10:11], s[2:3], s[10:11]
	s_clause 0x1
	s_load_b64 s[18:19], s[0:1], 0x0
	s_load_b64 s[16:17], s[0:1], 0x1c0
	s_mul_i32 s3, s11, s12
	s_add_nc_u64 s[22:23], s[0:1], 0x1c8
	s_wait_alu 0xfffe
	s_sub_co_i32 s0, s2, s3
	s_add_co_i32 s1, s11, 1
	s_sub_co_i32 s3, s0, s12
	s_cmp_ge_u32 s0, s12
	v_and_b32_e32 v21, 0x3ff, v0
	s_cselect_b32 s1, s1, s11
	s_wait_alu 0xfffe
	s_cselect_b32 s0, s3, s0
	s_add_co_i32 s3, s1, 1
	s_cmp_ge_u32 s0, s12
	v_mul_lo_u32 v17, s14, v21
	s_wait_alu 0xfffe
	s_cselect_b32 s0, s3, s1
	s_mov_b32 s3, 0
	s_mul_i32 s1, s0, s12
	s_mul_i32 s0, s0, s8
	s_sub_co_i32 s1, s2, s1
	s_delay_alu instid0(SALU_CYCLE_1) | instskip(NEXT) | instid1(SALU_CYCLE_1)
	s_mul_i32 s1, s1, s9
	s_add_co_i32 s2, s0, s1
	s_wait_kmcnt 0x0
	s_bitcmp1_b32 s17, 0
	s_mov_b32 s0, 0xffff
	s_cselect_b32 s8, -1, 0
	s_delay_alu instid0(SALU_CYCLE_1)
	s_and_b32 s1, s8, exec_lo
	s_cselect_b32 s9, s0, 0x7fff
	v_cmp_gt_u32_e64 s0, s13, v21
	v_mov_b32_e32 v1, s9
	s_wait_alu 0xfffe
	s_lshl_b64 s[2:3], s[2:3], 1
	s_wait_alu 0xfffe
	s_add_nc_u64 s[18:19], s[18:19], s[2:3]
	s_and_saveexec_b32 s1, s0
	s_cbranch_execz .LBB228_6
; %bb.5:
	v_mov_b32_e32 v18, 0
	s_delay_alu instid0(VALU_DEP_1) | instskip(NEXT) | instid1(VALU_DEP_1)
	v_lshlrev_b64_e32 v[1:2], 1, v[17:18]
	v_add_co_u32 v1, vcc_lo, s18, v1
	s_delay_alu instid0(VALU_DEP_1)
	v_add_co_ci_u32_e64 v2, null, s19, v2, vcc_lo
	global_load_u16 v1, v[1:2], off
.LBB228_6:
	s_or_b32 exec_lo, exec_lo, s1
	v_dual_mov_b32 v2, s9 :: v_dual_add_nc_u32 v9, 32, v21
	s_delay_alu instid0(VALU_DEP_1)
	v_cmp_gt_u32_e64 s1, s13, v9
	s_and_saveexec_b32 s2, s1
	s_cbranch_execz .LBB228_8
; %bb.7:
	v_mul_lo_u32 v2, s14, v9
	v_mov_b32_e32 v3, 0
	s_delay_alu instid0(VALU_DEP_1) | instskip(NEXT) | instid1(VALU_DEP_1)
	v_lshlrev_b64_e32 v[2:3], 1, v[2:3]
	v_add_co_u32 v2, vcc_lo, s18, v2
	s_wait_alu 0xfffd
	s_delay_alu instid0(VALU_DEP_2)
	v_add_co_ci_u32_e64 v3, null, s19, v3, vcc_lo
	global_load_u16 v2, v[2:3], off
.LBB228_8:
	s_wait_alu 0xfffe
	s_or_b32 exec_lo, exec_lo, s2
	v_dual_mov_b32 v3, s9 :: v_dual_add_nc_u32 v10, 64, v21
	s_delay_alu instid0(VALU_DEP_1)
	v_cmp_gt_u32_e64 s2, s13, v10
	s_and_saveexec_b32 s3, s2
	s_cbranch_execz .LBB228_10
; %bb.9:
	v_mul_lo_u32 v3, s14, v10
	v_mov_b32_e32 v4, 0
	s_delay_alu instid0(VALU_DEP_1) | instskip(NEXT) | instid1(VALU_DEP_1)
	v_lshlrev_b64_e32 v[3:4], 1, v[3:4]
	v_add_co_u32 v3, vcc_lo, s18, v3
	s_wait_alu 0xfffd
	s_delay_alu instid0(VALU_DEP_2)
	v_add_co_ci_u32_e64 v4, null, s19, v4, vcc_lo
	global_load_u16 v3, v[3:4], off
.LBB228_10:
	s_wait_alu 0xfffe
	s_or_b32 exec_lo, exec_lo, s3
	s_clause 0x1
	s_load_b32 s10, s[6:7], 0x6c
	s_load_b64 s[6:7], s[6:7], 0x0
	v_dual_mov_b32 v4, s9 :: v_dual_add_nc_u32 v11, 0x60, v21
	s_delay_alu instid0(VALU_DEP_1)
	v_cmp_gt_u32_e64 s3, s13, v11
	s_and_saveexec_b32 s9, s3
	s_cbranch_execz .LBB228_12
; %bb.11:
	v_mul_lo_u32 v4, s14, v11
	v_mov_b32_e32 v5, 0
	s_delay_alu instid0(VALU_DEP_1) | instskip(NEXT) | instid1(VALU_DEP_1)
	v_lshlrev_b64_e32 v[4:5], 1, v[4:5]
	v_add_co_u32 v4, vcc_lo, s18, v4
	s_wait_alu 0xfffd
	s_delay_alu instid0(VALU_DEP_2)
	v_add_co_ci_u32_e64 v5, null, s19, v5, vcc_lo
	global_load_u16 v4, v[4:5], off
.LBB228_12:
	s_wait_alu 0xfffe
	s_or_b32 exec_lo, exec_lo, s9
	v_lshrrev_b32_e32 v5, 4, v21
	v_lshrrev_b32_e32 v6, 4, v9
	v_lshlrev_b32_e32 v7, 1, v21
	v_lshrrev_b32_e32 v8, 4, v10
	v_lshrrev_b32_e32 v13, 2, v21
	v_and_b32_e32 v5, 60, v5
	v_and_b32_e32 v6, 0x7c, v6
	v_lshrrev_b32_e32 v12, 4, v11
	v_and_b32_e32 v8, 0x7c, v8
	s_wait_kmcnt 0x0
	s_mul_i32 s4, s10, s4
	v_add_nc_u32_e32 v32, v5, v7
	v_add_nc_u32_e32 v18, v6, v7
	v_and_b32_e32 v5, 0xfc, v13
	v_and_b32_e32 v12, 0x7c, v12
	v_mul_lo_u32 v19, s16, v21
	s_wait_loadcnt 0x0
	ds_store_b16 v32, v1
	ds_store_b16 v18, v2 offset:64
	v_mov_b32_e32 v1, 0
	v_lshl_add_u32 v35, v21, 3, v5
	v_dual_mov_b32 v2, 0 :: v_dual_add_nc_u32 v33, v8, v7
	v_add_nc_u32_e32 v34, v12, v7
	ds_store_b16 v33, v3 offset:128
	ds_store_b16 v34, v4 offset:192
	s_wait_dscnt 0x0
	; wave barrier
	global_inv scope:SCOPE_SE
	ds_load_2addr_b32 v[22:23], v35 offset1:1
	s_add_co_i32 s4, s4, s5
	s_mov_b32 s5, 0
	v_mov_b32_e32 v3, 0
	v_mov_b32_e32 v4, 0
	s_lshl_b64 s[4:5], s[4:5], 3
	s_wait_loadcnt_dscnt 0x0
	s_add_nc_u64 s[20:21], s[6:7], s[4:5]
	; wave barrier
	global_inv scope:SCOPE_SE
	s_and_saveexec_b32 s4, s0
	s_cbranch_execz .LBB228_14
; %bb.13:
	v_mov_b32_e32 v20, 0
	s_delay_alu instid0(VALU_DEP_1) | instskip(SKIP_1) | instid1(VALU_DEP_1)
	v_lshlrev_b64_e32 v[3:4], 3, v[19:20]
	s_wait_alu 0xfffe
	v_add_co_u32 v3, vcc_lo, s20, v3
	s_wait_alu 0xfffd
	s_delay_alu instid0(VALU_DEP_2)
	v_add_co_ci_u32_e64 v4, null, s21, v4, vcc_lo
	global_load_b64 v[3:4], v[3:4], off
.LBB228_14:
	s_or_b32 exec_lo, exec_lo, s4
	s_and_saveexec_b32 s4, s1
	s_cbranch_execz .LBB228_16
; %bb.15:
	v_mul_lo_u32 v1, s16, v9
	v_mov_b32_e32 v2, 0
	s_delay_alu instid0(VALU_DEP_1) | instskip(SKIP_1) | instid1(VALU_DEP_1)
	v_lshlrev_b64_e32 v[1:2], 3, v[1:2]
	s_wait_alu 0xfffe
	v_add_co_u32 v1, vcc_lo, s20, v1
	s_wait_alu 0xfffd
	s_delay_alu instid0(VALU_DEP_2)
	v_add_co_ci_u32_e64 v2, null, s21, v2, vcc_lo
	global_load_b64 v[1:2], v[1:2], off
.LBB228_16:
	s_or_b32 exec_lo, exec_lo, s4
	v_mov_b32_e32 v5, 0
	v_dual_mov_b32 v6, 0 :: v_dual_mov_b32 v7, 0
	v_mov_b32_e32 v8, 0
	s_and_saveexec_b32 s4, s2
	s_cbranch_execz .LBB228_18
; %bb.17:
	v_mul_lo_u32 v7, s16, v10
	v_mov_b32_e32 v8, 0
	s_delay_alu instid0(VALU_DEP_1) | instskip(SKIP_1) | instid1(VALU_DEP_1)
	v_lshlrev_b64_e32 v[7:8], 3, v[7:8]
	s_wait_alu 0xfffe
	v_add_co_u32 v7, vcc_lo, s20, v7
	s_wait_alu 0xfffd
	s_delay_alu instid0(VALU_DEP_2)
	v_add_co_ci_u32_e64 v8, null, s21, v8, vcc_lo
	global_load_b64 v[7:8], v[7:8], off
.LBB228_18:
	s_or_b32 exec_lo, exec_lo, s4
	v_lshrrev_b32_e32 v12, 5, v21
	v_lshrrev_b32_e32 v9, 5, v9
	;; [unrolled: 1-line block ×4, first 2 shown]
	v_lshlrev_b32_e32 v41, 2, v21
	v_lshrrev_b32_e32 v14, 3, v21
	s_xor_b32 s6, s8, -1
	s_and_saveexec_b32 s4, s3
	s_cbranch_execz .LBB228_20
; %bb.19:
	v_mul_lo_u32 v5, s16, v11
	v_mov_b32_e32 v6, 0
	s_delay_alu instid0(VALU_DEP_1) | instskip(SKIP_1) | instid1(VALU_DEP_1)
	v_lshlrev_b64_e32 v[5:6], 3, v[5:6]
	s_wait_alu 0xfffe
	v_add_co_u32 v5, vcc_lo, s20, v5
	s_wait_alu 0xfffd
	s_delay_alu instid0(VALU_DEP_2)
	v_add_co_ci_u32_e64 v6, null, s21, v6, vcc_lo
	global_load_b64 v[5:6], v[5:6], off
.LBB228_20:
	s_or_b32 exec_lo, exec_lo, s4
	v_lshlrev_b32_e32 v11, 3, v21
	v_lshlrev_b32_e32 v40, 3, v41
	v_mbcnt_lo_u32_b32 v44, -1, 0
	v_lshrrev_b32_e32 v48, 16, v22
	v_lshrrev_b32_e32 v47, 16, v23
	v_lshl_add_u32 v36, v12, 3, v11
	v_lshl_add_u32 v39, v14, 3, v40
	;; [unrolled: 1-line block ×5, first 2 shown]
	s_wait_loadcnt 0x0
	ds_store_b64 v36, v[3:4]
	ds_store_b64 v20, v[1:2] offset:256
	ds_store_b64 v37, v[7:8] offset:512
	;; [unrolled: 1-line block ×3, first 2 shown]
	s_wait_dscnt 0x0
	; wave barrier
	global_inv scope:SCOPE_SE
	ds_load_2addr_b64 v[5:8], v39 offset1:1
	ds_load_2addr_b64 v[1:4], v39 offset0:2 offset1:3
	v_and_b32_e32 v43, 3, v44
	v_and_b32_e32 v45, 28, v44
	s_and_b32 vcc_lo, exec_lo, s6
	v_bfe_u32 v46, v0, 10, 10
	v_bfe_u32 v0, v0, 20, 10
	v_cmp_eq_u32_e64 s5, 1, v43
	v_cmp_eq_u32_e64 s4, 2, v43
	v_cmp_eq_u32_e64 s6, 3, v43
	v_lshlrev_b32_e32 v42, 5, v21
	s_mov_b32 s7, -1
	; wave barrier
	s_wait_loadcnt_dscnt 0x0
	global_inv scope:SCOPE_SE
                                        ; implicit-def: $vgpr14
                                        ; implicit-def: $vgpr13
	s_wait_alu 0xfffe
	s_cbranch_vccz .LBB228_42
; %bb.21:
	v_cmp_lt_i16_e32 vcc_lo, -1, v22
	s_getpc_b64 s[8:9]
	s_wait_alu 0xfffe
	s_sext_i32_i16 s9, s9
	s_add_co_u32 s8, s8, _ZN7rocprim17ROCPRIM_400000_NS16block_radix_sortI6__halfLj32ELj4ElLj1ELj1ELj0ELNS0_26block_radix_rank_algorithmE1ELNS0_18block_padding_hintE2ELNS0_4arch9wavefront6targetE0EE19radix_bits_per_passE@rel32@lo+12
	s_wait_alu 0xfffe
	s_add_co_ci_u32 s9, s9, _ZN7rocprim17ROCPRIM_400000_NS16block_radix_sortI6__halfLj32ELj4ElLj1ELj1ELj0ELNS0_26block_radix_rank_algorithmE1ELNS0_18block_padding_hintE2ELNS0_4arch9wavefront6targetE0EE19radix_bits_per_passE@rel32@hi+24
	s_wait_loadcnt 0x0
	s_load_b32 s13, s[8:9], 0x0
	; wave barrier
	global_inv scope:SCOPE_SE
	v_cndmask_b32_e64 v9, -1, 0xffff8000, vcc_lo
	v_cmp_lt_i16_e32 vcc_lo, -1, v48
	s_load_b32 s9, s[22:23], 0xc
	ds_bpermute_b32 v56, v45, v5
	ds_bpermute_b32 v31, v45, v6
	v_xor_b32_e32 v9, v9, v22
	v_cndmask_b32_e64 v10, -1, 0xffff8000, vcc_lo
	v_cmp_lt_i16_e32 vcc_lo, -1, v23
	ds_bpermute_b32 v49, v45, v7
	ds_bpermute_b32 v28, v45, v8
	v_and_b32_e32 v9, 0xffff, v9
	v_xor_b32_e32 v10, v10, v48
	s_wait_alu 0xfffd
	v_cndmask_b32_e64 v11, -1, 0xffff8000, vcc_lo
	v_cmp_lt_i16_e32 vcc_lo, -1, v47
	ds_bpermute_b32 v29, v45, v1
	ds_bpermute_b32 v13, v45, v9
	v_dual_mov_b32 v83, 0 :: v_dual_and_b32 v10, 0xffff, v10
	s_wait_alu 0xfffd
	v_cndmask_b32_e64 v12, -1, 0xffff8000, vcc_lo
	v_xor_b32_e32 v11, v11, v23
	s_wait_kmcnt 0x0
	s_min_u32 s7, s13, 16
	ds_bpermute_b32 v14, v45, v10
	s_lshl_b32 s7, -1, s7
	v_xor_b32_e32 v12, v12, v47
	v_and_b32_e32 v11, 0xffff, v11
	s_not_b32 s8, s7
	ds_bpermute_b32 v25, v45, v2
	ds_bpermute_b32 v26, v45, v3
	v_and_b32_e32 v12, 0xffff, v12
	ds_bpermute_b32 v15, v45, v11
	ds_bpermute_b32 v27, v45, v4
	ds_bpermute_b32 v63, v45, v5 offset:32
	ds_bpermute_b32 v64, v45, v6 offset:32
	ds_bpermute_b32 v16, v45, v12
	ds_bpermute_b32 v55, v45, v7 offset:32
	ds_bpermute_b32 v57, v45, v8 offset:32
	;; [unrolled: 1-line block ×7, first 2 shown]
	s_wait_dscnt 0xe
	v_cndmask_b32_e64 v13, v13, v14, s5
	ds_bpermute_b32 v66, v45, v6 offset:64
	ds_bpermute_b32 v60, v45, v7 offset:64
	ds_bpermute_b32 v61, v45, v8 offset:64
	ds_bpermute_b32 v58, v45, v1 offset:64
	ds_bpermute_b32 v59, v45, v2 offset:64
	ds_bpermute_b32 v51, v45, v3 offset:64
	ds_bpermute_b32 v54, v45, v4 offset:64
	s_wait_dscnt 0x12
	v_cndmask_b32_e64 v13, v13, v15, s4
	ds_bpermute_b32 v67, v45, v5 offset:96
	ds_bpermute_b32 v68, v45, v9 offset:32
	;; [unrolled: 1-line block ×4, first 2 shown]
	s_wait_dscnt 0x12
	v_cndmask_b32_e64 v62, v13, v16, s6
	ds_bpermute_b32 v80, v45, v12 offset:32
	ds_bpermute_b32 v14, v45, v10 offset:64
	;; [unrolled: 1-line block ×4, first 2 shown]
	v_and_b32_e32 v13, 0xffff, v62
	v_cmp_ne_u16_e32 vcc_lo, 0x7fff, v62
	ds_bpermute_b32 v12, v45, v12 offset:96
	ds_store_2addr_b32 v42, v83, v83 offset0:1 offset1:2
	ds_store_2addr_b32 v42, v83, v83 offset0:3 offset1:4
	;; [unrolled: 1-line block ×4, first 2 shown]
	; wave barrier
	s_wait_loadcnt_dscnt 0x0
	global_inv scope:SCOPE_SE
	s_wait_alu 0xfffd
	v_cndmask_b32_e32 v13, 0x8000, v13, vcc_lo
	; wave barrier
	s_wait_alu 0xfffe
	s_delay_alu instid0(VALU_DEP_1)
	v_and_b32_e32 v78, s8, v13
	ds_bpermute_b32 v13, v45, v9 offset:64
	ds_bpermute_b32 v9, v45, v9 offset:96
	v_and_b32_e32 v15, 1, v78
	v_lshlrev_b32_e32 v24, 30, v78
	v_lshlrev_b32_e32 v72, 28, v78
	s_delay_alu instid0(VALU_DEP_3)
	v_add_co_u32 v69, s7, v15, -1
	s_wait_alu 0xf1ff
	v_cndmask_b32_e64 v70, 0, 1, s7
	v_not_b32_e32 v71, v24
	v_cmp_gt_i32_e64 s7, 0, v24
	ds_bpermute_b32 v15, v45, v11 offset:64
	ds_bpermute_b32 v11, v45, v11 offset:96
	v_cmp_ne_u32_e32 vcc_lo, 0, v70
	v_lshlrev_b32_e32 v70, 29, v78
	v_ashrrev_i32_e32 v24, 31, v71
	s_wait_alu 0xfffd
	v_xor_b32_e32 v69, vcc_lo, v69
	s_delay_alu instid0(VALU_DEP_3)
	v_not_b32_e32 v71, v70
	s_wait_alu 0xf1ff
	v_xor_b32_e32 v24, s7, v24
	v_cmp_gt_i32_e32 vcc_lo, 0, v70
	s_lshr_b32 s7, s9, 16
	v_and_b32_e32 v69, exec_lo, v69
	v_ashrrev_i32_e32 v70, 31, v71
	v_not_b32_e32 v71, v72
	s_wait_alu 0xfffe
	v_mad_u32_u24 v75, v0, s7, v46
	s_and_b32 s9, s9, 0xffff
	v_and_b32_e32 v24, v69, v24
	v_lshlrev_b32_e32 v69, 27, v78
	s_wait_alu 0xfffd
	v_xor_b32_e32 v70, vcc_lo, v70
	v_cmp_gt_i32_e32 vcc_lo, 0, v72
	v_ashrrev_i32_e32 v72, 31, v71
	s_wait_alu 0xfffe
	v_mad_co_u64_u32 v[81:82], null, v75, s9, v[21:22]
	v_not_b32_e32 v73, v69
	v_and_b32_e32 v24, v24, v70
	v_lshlrev_b32_e32 v70, 26, v78
	s_wait_alu 0xfffd
	v_xor_b32_e32 v72, vcc_lo, v72
	v_cmp_gt_i32_e32 vcc_lo, 0, v69
	v_ashrrev_i32_e32 v73, 31, v73
	ds_bpermute_b32 v71, v45, v6 offset:96
	v_not_b32_e32 v74, v70
	v_and_b32_e32 v24, v24, v72
	v_lshlrev_b32_e32 v72, 25, v78
	s_wait_alu 0xfffd
	v_xor_b32_e32 v73, vcc_lo, v73
	v_cmp_gt_i32_e32 vcc_lo, 0, v70
	v_ashrrev_i32_e32 v70, 31, v74
	ds_bpermute_b32 v69, v45, v7 offset:96
	;; [unrolled: 8-line block ×3, first 2 shown]
	v_not_b32_e32 v74, v73
	v_and_b32_e32 v24, v24, v70
	v_lshrrev_b32_e32 v82, 5, v81
	s_wait_alu 0xfffd
	v_xor_b32_e32 v70, vcc_lo, v72
	v_cmp_gt_i32_e32 vcc_lo, 0, v73
	v_ashrrev_i32_e32 v72, 31, v74
	ds_bpermute_b32 v73, v45, v1 offset:96
	ds_bpermute_b32 v74, v45, v2 offset:96
	v_and_b32_e32 v24, v24, v70
	ds_bpermute_b32 v70, v45, v3 offset:96
	s_wait_alu 0xfffd
	v_xor_b32_e32 v76, vcc_lo, v72
	ds_bpermute_b32 v72, v45, v4 offset:96
	v_and_b32_e32 v81, v24, v76
	v_lshlrev_b32_e32 v24, 2, v82
	s_delay_alu instid0(VALU_DEP_2) | instskip(SKIP_1) | instid1(VALU_DEP_3)
	v_mbcnt_lo_u32_b32 v76, v81, 0
	v_cmp_ne_u32_e64 s7, 0, v81
	v_lshl_add_u32 v78, v78, 2, v24
	s_delay_alu instid0(VALU_DEP_3)
	v_cmp_eq_u32_e32 vcc_lo, 0, v76
	s_and_b32 s9, s7, vcc_lo
	s_wait_alu 0xfffe
	s_and_saveexec_b32 s7, s9
; %bb.22:
	v_bcnt_u32_b32 v81, v81, 0
	ds_store_b32 v78, v81 offset:4
; %bb.23:
	s_wait_alu 0xfffe
	s_or_b32 exec_lo, exec_lo, s7
	v_cndmask_b32_e64 v68, v68, v77, s5
	; wave barrier
	s_delay_alu instid0(VALU_DEP_1) | instskip(NEXT) | instid1(VALU_DEP_1)
	v_cndmask_b32_e64 v68, v68, v79, s4
	v_cndmask_b32_e64 v77, v68, v80, s6
	s_delay_alu instid0(VALU_DEP_1) | instskip(SKIP_2) | instid1(VALU_DEP_2)
	v_and_b32_e32 v68, 0xffff, v77
	v_cmp_ne_u16_e32 vcc_lo, 0x7fff, v77
	s_wait_alu 0xfffd
	v_cndmask_b32_e32 v68, 0x8000, v68, vcc_lo
	s_delay_alu instid0(VALU_DEP_1) | instskip(NEXT) | instid1(VALU_DEP_1)
	v_and_b32_e32 v68, s8, v68
	v_and_b32_e32 v79, 1, v68
	v_lshlrev_b32_e32 v80, 30, v68
	v_lshlrev_b32_e32 v81, 29, v68
	;; [unrolled: 1-line block ×4, first 2 shown]
	v_add_co_u32 v79, s7, v79, -1
	s_wait_alu 0xf1ff
	v_cndmask_b32_e64 v83, 0, 1, s7
	v_not_b32_e32 v87, v80
	v_cmp_gt_i32_e64 s7, 0, v80
	v_not_b32_e32 v80, v81
	v_lshlrev_b32_e32 v85, 26, v68
	v_cmp_ne_u32_e32 vcc_lo, 0, v83
	v_ashrrev_i32_e32 v87, 31, v87
	v_lshlrev_b32_e32 v86, 25, v68
	v_ashrrev_i32_e32 v80, 31, v80
	v_lshlrev_b32_e32 v83, 24, v68
	s_wait_alu 0xfffd
	v_xor_b32_e32 v79, vcc_lo, v79
	v_cmp_gt_i32_e32 vcc_lo, 0, v81
	v_not_b32_e32 v81, v82
	s_wait_alu 0xf1ff
	v_xor_b32_e32 v87, s7, v87
	v_cmp_gt_i32_e64 s7, 0, v82
	v_and_b32_e32 v79, exec_lo, v79
	v_not_b32_e32 v82, v84
	v_ashrrev_i32_e32 v81, 31, v81
	s_wait_alu 0xfffd
	v_xor_b32_e32 v80, vcc_lo, v80
	v_cmp_gt_i32_e32 vcc_lo, 0, v84
	v_and_b32_e32 v79, v79, v87
	v_not_b32_e32 v84, v85
	v_ashrrev_i32_e32 v82, 31, v82
	s_wait_alu 0xf1ff
	v_xor_b32_e32 v81, s7, v81
	v_cmp_gt_i32_e64 s7, 0, v85
	v_and_b32_e32 v79, v79, v80
	v_not_b32_e32 v80, v86
	v_ashrrev_i32_e32 v84, 31, v84
	s_wait_alu 0xfffd
	v_xor_b32_e32 v82, vcc_lo, v82
	v_cmp_gt_i32_e32 vcc_lo, 0, v86
	v_and_b32_e32 v79, v79, v81
	v_not_b32_e32 v81, v83
	v_ashrrev_i32_e32 v80, 31, v80
	s_wait_alu 0xf1ff
	v_xor_b32_e32 v84, s7, v84
	v_cmp_gt_i32_e64 s7, 0, v83
	v_and_b32_e32 v79, v79, v82
	v_ashrrev_i32_e32 v81, 31, v81
	s_wait_alu 0xfffd
	v_xor_b32_e32 v80, vcc_lo, v80
	v_lshl_add_u32 v82, v68, 2, v24
	v_and_b32_e32 v79, v79, v84
	s_wait_alu 0xf1ff
	v_xor_b32_e32 v68, s7, v81
	s_delay_alu instid0(VALU_DEP_2) | instskip(SKIP_2) | instid1(VALU_DEP_1)
	v_and_b32_e32 v80, v79, v80
	ds_load_b32 v79, v82 offset:4
	; wave barrier
	v_and_b32_e32 v68, v80, v68
	v_mbcnt_lo_u32_b32 v80, v68, 0
	v_cmp_ne_u32_e64 s7, 0, v68
	s_delay_alu instid0(VALU_DEP_2)
	v_cmp_eq_u32_e32 vcc_lo, 0, v80
	s_and_b32 s9, s7, vcc_lo
	s_wait_alu 0xfffe
	s_and_saveexec_b32 s7, s9
	s_cbranch_execz .LBB228_25
; %bb.24:
	s_wait_dscnt 0x0
	v_bcnt_u32_b32 v68, v68, v79
	ds_store_b32 v82, v68 offset:4
.LBB228_25:
	s_wait_alu 0xfffe
	s_or_b32 exec_lo, exec_lo, s7
	s_wait_dscnt 0xb
	v_cndmask_b32_e64 v13, v13, v14, s5
	; wave barrier
	s_wait_dscnt 0x9
	s_delay_alu instid0(VALU_DEP_1) | instskip(NEXT) | instid1(VALU_DEP_1)
	v_cndmask_b32_e64 v13, v13, v15, s4
	v_cndmask_b32_e64 v81, v13, v16, s6
	s_delay_alu instid0(VALU_DEP_1) | instskip(SKIP_2) | instid1(VALU_DEP_2)
	v_and_b32_e32 v13, 0xffff, v81
	v_cmp_ne_u16_e32 vcc_lo, 0x7fff, v81
	s_wait_alu 0xfffd
	v_cndmask_b32_e32 v13, 0x8000, v13, vcc_lo
	s_delay_alu instid0(VALU_DEP_1) | instskip(NEXT) | instid1(VALU_DEP_1)
	v_and_b32_e32 v13, s8, v13
	v_and_b32_e32 v14, 1, v13
	v_lshlrev_b32_e32 v15, 30, v13
	v_lshlrev_b32_e32 v16, 29, v13
	;; [unrolled: 1-line block ×4, first 2 shown]
	v_add_co_u32 v14, s7, v14, -1
	s_wait_alu 0xf1ff
	v_cndmask_b32_e64 v83, 0, 1, s7
	v_not_b32_e32 v87, v15
	v_cmp_gt_i32_e64 s7, 0, v15
	v_not_b32_e32 v15, v16
	v_lshlrev_b32_e32 v85, 26, v13
	v_cmp_ne_u32_e32 vcc_lo, 0, v83
	v_ashrrev_i32_e32 v87, 31, v87
	v_lshlrev_b32_e32 v86, 25, v13
	v_ashrrev_i32_e32 v15, 31, v15
	v_lshlrev_b32_e32 v83, 24, v13
	s_wait_alu 0xfffd
	v_xor_b32_e32 v14, vcc_lo, v14
	v_cmp_gt_i32_e32 vcc_lo, 0, v16
	v_not_b32_e32 v16, v68
	s_wait_alu 0xf1ff
	v_xor_b32_e32 v87, s7, v87
	v_cmp_gt_i32_e64 s7, 0, v68
	v_and_b32_e32 v14, exec_lo, v14
	v_not_b32_e32 v68, v84
	v_ashrrev_i32_e32 v16, 31, v16
	s_wait_alu 0xfffd
	v_xor_b32_e32 v15, vcc_lo, v15
	v_cmp_gt_i32_e32 vcc_lo, 0, v84
	v_and_b32_e32 v14, v14, v87
	v_not_b32_e32 v84, v85
	v_ashrrev_i32_e32 v68, 31, v68
	s_wait_alu 0xf1ff
	v_xor_b32_e32 v16, s7, v16
	v_cmp_gt_i32_e64 s7, 0, v85
	v_and_b32_e32 v14, v14, v15
	v_not_b32_e32 v15, v86
	v_ashrrev_i32_e32 v84, 31, v84
	s_wait_alu 0xfffd
	v_xor_b32_e32 v68, vcc_lo, v68
	v_cmp_gt_i32_e32 vcc_lo, 0, v86
	v_and_b32_e32 v14, v14, v16
	v_not_b32_e32 v16, v83
	v_ashrrev_i32_e32 v15, 31, v15
	s_wait_alu 0xf1ff
	v_xor_b32_e32 v84, s7, v84
	v_cmp_gt_i32_e64 s7, 0, v83
	v_and_b32_e32 v14, v14, v68
	v_ashrrev_i32_e32 v16, 31, v16
	s_wait_alu 0xfffd
	v_xor_b32_e32 v15, vcc_lo, v15
	v_lshl_add_u32 v86, v13, 2, v24
	v_and_b32_e32 v14, v14, v84
	s_wait_alu 0xf1ff
	v_xor_b32_e32 v13, s7, v16
	ds_load_b32 v83, v86 offset:4
	v_and_b32_e32 v14, v14, v15
	; wave barrier
	s_delay_alu instid0(VALU_DEP_1) | instskip(NEXT) | instid1(VALU_DEP_1)
	v_and_b32_e32 v13, v14, v13
	v_mbcnt_lo_u32_b32 v84, v13, 0
	v_cmp_ne_u32_e64 s7, 0, v13
	s_delay_alu instid0(VALU_DEP_2)
	v_cmp_eq_u32_e32 vcc_lo, 0, v84
	s_and_b32 s9, s7, vcc_lo
	s_wait_alu 0xfffe
	s_and_saveexec_b32 s7, s9
	s_cbranch_execz .LBB228_27
; %bb.26:
	s_wait_dscnt 0x0
	v_bcnt_u32_b32 v13, v13, v83
	ds_store_b32 v86, v13 offset:4
.LBB228_27:
	s_wait_alu 0xfffe
	s_or_b32 exec_lo, exec_lo, s7
	v_cndmask_b32_e64 v9, v9, v10, s5
	; wave barrier
	v_and_or_b32 v90, 0xf80, v41, v44
	s_wait_dscnt 0x9
	s_delay_alu instid0(VALU_DEP_2) | instskip(NEXT) | instid1(VALU_DEP_1)
	v_cndmask_b32_e64 v9, v9, v11, s4
	v_cndmask_b32_e64 v85, v9, v12, s6
	s_delay_alu instid0(VALU_DEP_1) | instskip(SKIP_2) | instid1(VALU_DEP_2)
	v_and_b32_e32 v9, 0xffff, v85
	v_cmp_ne_u16_e32 vcc_lo, 0x7fff, v85
	s_wait_alu 0xfffd
	v_cndmask_b32_e32 v9, 0x8000, v9, vcc_lo
	s_delay_alu instid0(VALU_DEP_1) | instskip(NEXT) | instid1(VALU_DEP_1)
	v_and_b32_e32 v9, s8, v9
	v_and_b32_e32 v10, 1, v9
	v_lshlrev_b32_e32 v11, 30, v9
	v_lshlrev_b32_e32 v12, 29, v9
	;; [unrolled: 1-line block ×4, first 2 shown]
	v_add_co_u32 v10, s7, v10, -1
	s_wait_alu 0xf1ff
	v_cndmask_b32_e64 v14, 0, 1, s7
	v_not_b32_e32 v87, v11
	v_cmp_gt_i32_e64 s7, 0, v11
	v_not_b32_e32 v11, v12
	v_lshlrev_b32_e32 v16, 26, v9
	v_cmp_ne_u32_e32 vcc_lo, 0, v14
	v_ashrrev_i32_e32 v87, 31, v87
	v_lshlrev_b32_e32 v68, 25, v9
	v_ashrrev_i32_e32 v11, 31, v11
	v_lshlrev_b32_e32 v14, 24, v9
	s_wait_alu 0xfffd
	v_xor_b32_e32 v10, vcc_lo, v10
	v_cmp_gt_i32_e32 vcc_lo, 0, v12
	v_not_b32_e32 v12, v13
	s_wait_alu 0xf1ff
	v_xor_b32_e32 v87, s7, v87
	v_cmp_gt_i32_e64 s7, 0, v13
	v_and_b32_e32 v10, exec_lo, v10
	v_not_b32_e32 v13, v15
	v_ashrrev_i32_e32 v12, 31, v12
	s_wait_alu 0xfffd
	v_xor_b32_e32 v11, vcc_lo, v11
	v_cmp_gt_i32_e32 vcc_lo, 0, v15
	v_and_b32_e32 v10, v10, v87
	v_not_b32_e32 v15, v16
	v_ashrrev_i32_e32 v13, 31, v13
	s_wait_alu 0xf1ff
	v_xor_b32_e32 v12, s7, v12
	v_cmp_gt_i32_e64 s7, 0, v16
	v_and_b32_e32 v10, v10, v11
	v_not_b32_e32 v11, v68
	v_ashrrev_i32_e32 v15, 31, v15
	s_wait_alu 0xfffd
	v_xor_b32_e32 v13, vcc_lo, v13
	v_cmp_gt_i32_e32 vcc_lo, 0, v68
	v_and_b32_e32 v10, v10, v12
	v_not_b32_e32 v12, v14
	v_ashrrev_i32_e32 v11, 31, v11
	s_wait_alu 0xf1ff
	v_xor_b32_e32 v15, s7, v15
	v_cmp_gt_i32_e64 s7, 0, v14
	v_and_b32_e32 v10, v10, v13
	v_ashrrev_i32_e32 v12, 31, v12
	s_wait_alu 0xfffd
	v_xor_b32_e32 v11, vcc_lo, v11
	v_lshl_add_u32 v89, v9, 2, v24
	v_and_b32_e32 v10, v10, v15
	s_wait_alu 0xf1ff
	v_xor_b32_e32 v9, s7, v12
	ds_load_b32 v87, v89 offset:4
	v_and_b32_e32 v10, v10, v11
	; wave barrier
	s_delay_alu instid0(VALU_DEP_1) | instskip(NEXT) | instid1(VALU_DEP_1)
	v_and_b32_e32 v9, v10, v9
	v_mbcnt_lo_u32_b32 v88, v9, 0
	v_cmp_ne_u32_e64 s7, 0, v9
	s_delay_alu instid0(VALU_DEP_2)
	v_cmp_eq_u32_e32 vcc_lo, 0, v88
	s_and_b32 s8, s7, vcc_lo
	s_wait_alu 0xfffe
	s_and_saveexec_b32 s7, s8
	s_cbranch_execz .LBB228_29
; %bb.28:
	s_wait_dscnt 0x0
	v_bcnt_u32_b32 v9, v9, v87
	ds_store_b32 v89, v9 offset:4
.LBB228_29:
	s_wait_alu 0xfffe
	s_or_b32 exec_lo, exec_lo, s7
	; wave barrier
	; wave barrier
	s_wait_loadcnt_dscnt 0x0
	global_inv scope:SCOPE_SE
	ds_load_2addr_b32 v[15:16], v42 offset0:1 offset1:2
	ds_load_2addr_b32 v[13:14], v42 offset0:3 offset1:4
	;; [unrolled: 1-line block ×4, first 2 shown]
	v_and_b32_e32 v92, 16, v44
	v_cmp_eq_u32_e64 s10, 31, v21
	s_delay_alu instid0(VALU_DEP_2) | instskip(SKIP_3) | instid1(VALU_DEP_1)
	v_cmp_eq_u32_e64 s11, 0, v92
	s_wait_dscnt 0x3
	v_add_nc_u32_e32 v68, v16, v15
	s_wait_dscnt 0x2
	v_add3_u32 v68, v68, v13, v14
	s_wait_dscnt 0x1
	s_delay_alu instid0(VALU_DEP_1) | instskip(SKIP_1) | instid1(VALU_DEP_1)
	v_add3_u32 v68, v68, v11, v12
	s_wait_dscnt 0x0
	v_add3_u32 v10, v68, v9, v10
	v_and_b32_e32 v68, 15, v44
	s_delay_alu instid0(VALU_DEP_2) | instskip(NEXT) | instid1(VALU_DEP_2)
	v_mov_b32_dpp v91, v10 row_shr:1 row_mask:0xf bank_mask:0xf
	v_cmp_eq_u32_e32 vcc_lo, 0, v68
	v_cmp_lt_u32_e64 s7, 1, v68
	v_cmp_lt_u32_e64 s8, 3, v68
	;; [unrolled: 1-line block ×3, first 2 shown]
	s_wait_alu 0xfffd
	v_cndmask_b32_e64 v91, v91, 0, vcc_lo
	s_delay_alu instid0(VALU_DEP_1) | instskip(NEXT) | instid1(VALU_DEP_1)
	v_add_nc_u32_e32 v10, v91, v10
	v_mov_b32_dpp v91, v10 row_shr:2 row_mask:0xf bank_mask:0xf
	s_wait_alu 0xf1ff
	s_delay_alu instid0(VALU_DEP_1) | instskip(NEXT) | instid1(VALU_DEP_1)
	v_cndmask_b32_e64 v91, 0, v91, s7
	v_add_nc_u32_e32 v10, v10, v91
	s_delay_alu instid0(VALU_DEP_1) | instskip(NEXT) | instid1(VALU_DEP_1)
	v_mov_b32_dpp v91, v10 row_shr:4 row_mask:0xf bank_mask:0xf
	v_cndmask_b32_e64 v91, 0, v91, s8
	s_delay_alu instid0(VALU_DEP_1) | instskip(NEXT) | instid1(VALU_DEP_1)
	v_add_nc_u32_e32 v10, v10, v91
	v_mov_b32_dpp v91, v10 row_shr:8 row_mask:0xf bank_mask:0xf
	s_delay_alu instid0(VALU_DEP_1) | instskip(NEXT) | instid1(VALU_DEP_1)
	v_cndmask_b32_e64 v68, 0, v91, s9
	v_add_nc_u32_e32 v91, v10, v68
	v_bfe_i32 v68, v44, 4, 1
	ds_swizzle_b32 v10, v91 offset:swizzle(BROADCAST,32,15)
	s_wait_dscnt 0x0
	v_and_b32_e32 v93, v68, v10
	v_sub_co_u32 v68, s15, v44, 1
	v_mul_u32_u24_e32 v10, 6, v90
	s_delay_alu instid0(VALU_DEP_3)
	v_add_nc_u32_e32 v91, v91, v93
	s_and_saveexec_b32 s12, s10
; %bb.30:
	v_mov_b32_e32 v92, 0
	ds_store_b32 v92, v91
; %bb.31:
	s_wait_alu 0xfffe
	s_or_b32 exec_lo, exec_lo, s12
	v_cmp_gt_i32_e64 s12, 0, v68
	; wave barrier
	s_wait_loadcnt_dscnt 0x0
	global_inv scope:SCOPE_SE
	s_min_u32 s13, s13, 8
	s_wait_alu 0xfffe
	s_lshl_b32 s13, -1, s13
	v_cndmask_b32_e64 v68, v68, v44, s12
	v_cmp_eq_u32_e64 s12, 0, v21
	s_wait_alu 0xfffe
	s_not_b32 s13, s13
	v_lshlrev_b32_e32 v68, 2, v68
	s_or_b32 s15, s12, s15
	v_cmp_eq_u32_e64 s12, 0, v43
	ds_bpermute_b32 v91, v68, v91
	s_wait_dscnt 0x0
	s_wait_alu 0xfffe
	v_cndmask_b32_e64 v91, v91, 0, s15
	s_delay_alu instid0(VALU_DEP_1) | instskip(NEXT) | instid1(VALU_DEP_1)
	v_add_nc_u32_e32 v15, v91, v15
	v_add_nc_u32_e32 v16, v15, v16
	s_delay_alu instid0(VALU_DEP_1) | instskip(NEXT) | instid1(VALU_DEP_1)
	v_add_nc_u32_e32 v13, v16, v13
	v_add_nc_u32_e32 v14, v13, v14
	;; [unrolled: 3-line block ×3, first 2 shown]
	s_delay_alu instid0(VALU_DEP_1)
	v_add_nc_u32_e32 v9, v12, v9
	ds_store_2addr_b32 v42, v91, v15 offset0:1 offset1:2
	ds_store_2addr_b32 v42, v16, v13 offset0:3 offset1:4
	;; [unrolled: 1-line block ×4, first 2 shown]
	; wave barrier
	s_wait_loadcnt_dscnt 0x0
	global_inv scope:SCOPE_SE
	ds_load_b32 v9, v78 offset:4
	ds_load_b32 v11, v82 offset:4
	;; [unrolled: 1-line block ×4, first 2 shown]
	s_wait_alu 0xf1ff
	v_cndmask_b32_e64 v14, 0, v56, s12
	v_lshlrev_b32_e32 v15, 1, v90
	v_cndmask_b32_e64 v56, 0, v64, s12
	v_cndmask_b32_e64 v64, 0, v66, s12
	;; [unrolled: 1-line block ×9, first 2 shown]
	v_add_nc_u32_e32 v67, v15, v10
	; wave barrier
	s_wait_loadcnt_dscnt 0x0
	global_inv scope:SCOPE_SE
	v_cndmask_b32_e64 v16, v16, v28, s5
	v_cndmask_b32_e64 v28, v56, v57, s5
	v_add_nc_u32_e32 v29, v9, v76
	v_add3_u32 v71, v80, v79, v11
	v_add3_u32 v76, v84, v83, v12
	;; [unrolled: 1-line block ×3, first 2 shown]
	v_cndmask_b32_e64 v31, v31, v55, s5
	v_lshlrev_b32_e32 v9, 1, v29
	v_lshlrev_b32_e32 v10, 1, v71
	;; [unrolled: 1-line block ×4, first 2 shown]
	ds_store_b16 v9, v62
	ds_store_b16 v10, v77
	;; [unrolled: 1-line block ×4, first 2 shown]
	; wave barrier
	s_wait_loadcnt_dscnt 0x0
	global_inv scope:SCOPE_SE
	ds_load_u16 v49, v15
	v_cndmask_b32_e64 v16, v16, v25, s4
	v_cndmask_b32_e64 v55, v64, v61, s5
	;; [unrolled: 1-line block ×10, first 2 shown]
	ds_load_u16 v50, v15 offset:64
	ds_load_u16 v52, v15 offset:128
	;; [unrolled: 1-line block ×3, first 2 shown]
	v_cndmask_b32_e64 v15, v25, v30, s6
	v_cndmask_b32_e64 v26, v31, v54, s6
	;; [unrolled: 1-line block ×5, first 2 shown]
	; wave barrier
	s_wait_loadcnt_dscnt 0x0
	global_inv scope:SCOPE_SE
	v_cndmask_b32_e64 v55, v60, v73, s4
	v_lshrrev_b16 v27, 8, v49
	v_cmp_ne_u16_e64 s12, 0x7fff, v49
	v_cndmask_b32_e64 v25, v28, v51, s6
	v_cndmask_b32_e64 v28, v56, v72, s6
	s_wait_alu 0xf1ff
	s_delay_alu instid0(VALU_DEP_3) | instskip(SKIP_1) | instid1(VALU_DEP_2)
	v_cndmask_b32_e64 v30, 0x80, v27, s12
	v_cndmask_b32_e64 v27, v55, v70, s6
	v_and_b32_e32 v31, 0xffff, v30
	v_mad_co_u64_u32 v[29:30], null, v29, 6, v[9:10]
	v_mad_co_u64_u32 v[9:10], null, v71, 6, v[10:11]
	s_delay_alu instid0(VALU_DEP_3) | instskip(SKIP_2) | instid1(VALU_DEP_3)
	v_and_b32_e32 v30, s13, v31
	v_mad_co_u64_u32 v[10:11], null, v76, 6, v[11:12]
	v_mad_co_u64_u32 v[11:12], null, v78, 6, v[12:13]
	v_and_b32_e32 v12, 1, v30
	ds_store_b64 v29, v[13:14]
	v_lshlrev_b32_e32 v13, 30, v30
	v_lshlrev_b32_e32 v14, 29, v30
	;; [unrolled: 1-line block ×3, first 2 shown]
	v_add_co_u32 v12, s6, v12, -1
	s_wait_alu 0xf1ff
	v_cndmask_b32_e64 v31, 0, 1, s6
	v_not_b32_e32 v56, v13
	v_cmp_gt_i32_e64 s12, 0, v13
	v_not_b32_e32 v13, v14
	v_lshlrev_b32_e32 v51, 27, v30
	v_cmp_ne_u32_e64 s6, 0, v31
	v_ashrrev_i32_e32 v56, 31, v56
	v_lshlrev_b32_e32 v54, 26, v30
	v_ashrrev_i32_e32 v13, 31, v13
	v_lshlrev_b32_e32 v55, 25, v30
	s_wait_alu 0xf1ff
	v_xor_b32_e32 v12, s6, v12
	v_cmp_gt_i32_e64 s6, 0, v14
	v_not_b32_e32 v14, v29
	v_xor_b32_e32 v56, s12, v56
	v_cmp_gt_i32_e64 s12, 0, v29
	v_and_b32_e32 v12, exec_lo, v12
	v_not_b32_e32 v29, v51
	v_ashrrev_i32_e32 v14, 31, v14
	s_wait_alu 0xf1ff
	v_xor_b32_e32 v13, s6, v13
	v_cmp_gt_i32_e64 s6, 0, v51
	v_and_b32_e32 v12, v12, v56
	v_not_b32_e32 v51, v54
	v_ashrrev_i32_e32 v29, 31, v29
	v_xor_b32_e32 v14, s12, v14
	v_lshlrev_b32_e32 v31, 24, v30
	v_and_b32_e32 v12, v12, v13
	v_cmp_gt_i32_e64 s12, 0, v54
	v_not_b32_e32 v13, v55
	v_ashrrev_i32_e32 v51, 31, v51
	s_wait_alu 0xf1ff
	v_xor_b32_e32 v29, s6, v29
	v_and_b32_e32 v12, v12, v14
	v_cmp_gt_i32_e64 s6, 0, v55
	v_not_b32_e32 v14, v31
	v_ashrrev_i32_e32 v13, 31, v13
	v_xor_b32_e32 v51, s12, v51
	v_and_b32_e32 v12, v12, v29
	ds_store_b64 v9, v[15:16]
	v_cmp_gt_i32_e64 s12, 0, v31
	v_ashrrev_i32_e32 v9, 31, v14
	s_wait_alu 0xf1ff
	v_xor_b32_e32 v13, s6, v13
	v_and_b32_e32 v12, v12, v51
	ds_store_b64 v10, v[25:26]
	ds_store_b64 v11, v[27:28]
	s_wait_loadcnt_dscnt 0x0
	v_xor_b32_e32 v25, s12, v9
	; wave barrier
	global_inv scope:SCOPE_SE
	v_and_b32_e32 v26, v12, v13
	ds_load_2addr_b64 v[13:16], v67 offset1:32
	ds_load_2addr_b64 v[9:12], v67 offset0:64 offset1:96
	v_lshl_add_u32 v54, v30, 2, v24
	; wave barrier
	s_wait_loadcnt_dscnt 0x0
	global_inv scope:SCOPE_SE
	v_dual_mov_b32 v26, 0 :: v_dual_and_b32 v25, v26, v25
	ds_store_2addr_b32 v42, v26, v26 offset0:1 offset1:2
	ds_store_2addr_b32 v42, v26, v26 offset0:3 offset1:4
	;; [unrolled: 1-line block ×4, first 2 shown]
	v_mbcnt_lo_u32_b32 v51, v25, 0
	v_cmp_ne_u32_e64 s12, 0, v25
	; wave barrier
	s_wait_loadcnt_dscnt 0x0
	global_inv scope:SCOPE_SE
	v_cmp_eq_u32_e64 s6, 0, v51
	; wave barrier
	s_and_b32 s12, s12, s6
	s_wait_alu 0xfffe
	s_and_saveexec_b32 s6, s12
; %bb.32:
	v_bcnt_u32_b32 v25, v25, 0
	ds_store_b32 v54, v25 offset:4
; %bb.33:
	s_wait_alu 0xfffe
	s_or_b32 exec_lo, exec_lo, s6
	v_lshrrev_b16 v25, 8, v50
	v_cmp_ne_u16_e64 s6, 0x7fff, v50
	; wave barrier
	s_wait_alu 0xf1ff
	s_delay_alu instid0(VALU_DEP_1) | instskip(NEXT) | instid1(VALU_DEP_1)
	v_cndmask_b32_e64 v25, 0x80, v25, s6
	v_and_b32_e32 v25, s13, v25
	s_delay_alu instid0(VALU_DEP_1)
	v_and_b32_e32 v26, 1, v25
	v_lshlrev_b32_e32 v27, 30, v25
	v_lshlrev_b32_e32 v28, 29, v25
	;; [unrolled: 1-line block ×4, first 2 shown]
	v_add_co_u32 v26, s6, v26, -1
	s_wait_alu 0xf1ff
	v_cndmask_b32_e64 v30, 0, 1, s6
	v_not_b32_e32 v57, v27
	v_cmp_gt_i32_e64 s12, 0, v27
	v_not_b32_e32 v27, v28
	v_lshlrev_b32_e32 v55, 26, v25
	v_cmp_ne_u32_e64 s6, 0, v30
	v_ashrrev_i32_e32 v57, 31, v57
	v_lshlrev_b32_e32 v56, 25, v25
	v_ashrrev_i32_e32 v27, 31, v27
	v_lshlrev_b32_e32 v30, 24, v25
	s_wait_alu 0xf1ff
	v_xor_b32_e32 v26, s6, v26
	v_cmp_gt_i32_e64 s6, 0, v28
	v_not_b32_e32 v28, v29
	v_xor_b32_e32 v57, s12, v57
	v_cmp_gt_i32_e64 s12, 0, v29
	v_and_b32_e32 v26, exec_lo, v26
	v_not_b32_e32 v29, v31
	v_ashrrev_i32_e32 v28, 31, v28
	s_wait_alu 0xf1ff
	v_xor_b32_e32 v27, s6, v27
	v_cmp_gt_i32_e64 s6, 0, v31
	v_and_b32_e32 v26, v26, v57
	v_not_b32_e32 v31, v55
	v_ashrrev_i32_e32 v29, 31, v29
	v_xor_b32_e32 v28, s12, v28
	v_cmp_gt_i32_e64 s12, 0, v55
	v_and_b32_e32 v26, v26, v27
	v_not_b32_e32 v27, v56
	v_ashrrev_i32_e32 v31, 31, v31
	s_wait_alu 0xf1ff
	v_xor_b32_e32 v29, s6, v29
	v_cmp_gt_i32_e64 s6, 0, v56
	v_and_b32_e32 v26, v26, v28
	v_not_b32_e32 v28, v30
	v_ashrrev_i32_e32 v27, 31, v27
	v_xor_b32_e32 v31, s12, v31
	v_cmp_gt_i32_e64 s12, 0, v30
	v_and_b32_e32 v26, v26, v29
	v_ashrrev_i32_e32 v28, 31, v28
	s_wait_alu 0xf1ff
	v_xor_b32_e32 v27, s6, v27
	v_lshl_add_u32 v57, v25, 2, v24
	v_and_b32_e32 v26, v26, v31
	v_xor_b32_e32 v25, s12, v28
	ds_load_b32 v55, v57 offset:4
	v_and_b32_e32 v26, v26, v27
	; wave barrier
	s_delay_alu instid0(VALU_DEP_1) | instskip(NEXT) | instid1(VALU_DEP_1)
	v_and_b32_e32 v25, v26, v25
	v_mbcnt_lo_u32_b32 v56, v25, 0
	v_cmp_ne_u32_e64 s12, 0, v25
	s_delay_alu instid0(VALU_DEP_2)
	v_cmp_eq_u32_e64 s6, 0, v56
	s_and_b32 s12, s12, s6
	s_wait_alu 0xfffe
	s_and_saveexec_b32 s6, s12
	s_cbranch_execz .LBB228_35
; %bb.34:
	s_wait_dscnt 0x0
	v_bcnt_u32_b32 v25, v25, v55
	ds_store_b32 v57, v25 offset:4
.LBB228_35:
	s_wait_alu 0xfffe
	s_or_b32 exec_lo, exec_lo, s6
	v_lshrrev_b16 v25, 8, v52
	v_cmp_ne_u16_e64 s6, 0x7fff, v52
	; wave barrier
	s_wait_alu 0xf1ff
	s_delay_alu instid0(VALU_DEP_1) | instskip(NEXT) | instid1(VALU_DEP_1)
	v_cndmask_b32_e64 v25, 0x80, v25, s6
	v_and_b32_e32 v25, s13, v25
	s_delay_alu instid0(VALU_DEP_1)
	v_and_b32_e32 v26, 1, v25
	v_lshlrev_b32_e32 v27, 30, v25
	v_lshlrev_b32_e32 v28, 29, v25
	v_lshlrev_b32_e32 v29, 28, v25
	v_lshlrev_b32_e32 v31, 27, v25
	v_add_co_u32 v26, s6, v26, -1
	s_wait_alu 0xf1ff
	v_cndmask_b32_e64 v30, 0, 1, s6
	v_not_b32_e32 v60, v27
	v_cmp_gt_i32_e64 s12, 0, v27
	v_not_b32_e32 v27, v28
	v_lshlrev_b32_e32 v58, 26, v25
	v_cmp_ne_u32_e64 s6, 0, v30
	v_ashrrev_i32_e32 v60, 31, v60
	v_lshlrev_b32_e32 v59, 25, v25
	v_ashrrev_i32_e32 v27, 31, v27
	v_lshlrev_b32_e32 v30, 24, v25
	s_wait_alu 0xf1ff
	v_xor_b32_e32 v26, s6, v26
	v_cmp_gt_i32_e64 s6, 0, v28
	v_not_b32_e32 v28, v29
	v_xor_b32_e32 v60, s12, v60
	v_cmp_gt_i32_e64 s12, 0, v29
	v_and_b32_e32 v26, exec_lo, v26
	v_not_b32_e32 v29, v31
	v_ashrrev_i32_e32 v28, 31, v28
	s_wait_alu 0xf1ff
	v_xor_b32_e32 v27, s6, v27
	v_cmp_gt_i32_e64 s6, 0, v31
	v_and_b32_e32 v26, v26, v60
	v_not_b32_e32 v31, v58
	v_ashrrev_i32_e32 v29, 31, v29
	v_xor_b32_e32 v28, s12, v28
	v_cmp_gt_i32_e64 s12, 0, v58
	v_and_b32_e32 v26, v26, v27
	v_not_b32_e32 v27, v59
	v_ashrrev_i32_e32 v31, 31, v31
	s_wait_alu 0xf1ff
	v_xor_b32_e32 v29, s6, v29
	v_cmp_gt_i32_e64 s6, 0, v59
	v_and_b32_e32 v26, v26, v28
	v_not_b32_e32 v28, v30
	v_ashrrev_i32_e32 v27, 31, v27
	v_xor_b32_e32 v31, s12, v31
	v_cmp_gt_i32_e64 s12, 0, v30
	v_and_b32_e32 v26, v26, v29
	v_ashrrev_i32_e32 v28, 31, v28
	s_wait_alu 0xf1ff
	v_xor_b32_e32 v27, s6, v27
	v_lshl_add_u32 v60, v25, 2, v24
	v_and_b32_e32 v26, v26, v31
	v_xor_b32_e32 v25, s12, v28
	ds_load_b32 v58, v60 offset:4
	v_and_b32_e32 v26, v26, v27
	; wave barrier
	s_delay_alu instid0(VALU_DEP_1) | instskip(NEXT) | instid1(VALU_DEP_1)
	v_and_b32_e32 v25, v26, v25
	v_mbcnt_lo_u32_b32 v59, v25, 0
	v_cmp_ne_u32_e64 s12, 0, v25
	s_delay_alu instid0(VALU_DEP_2)
	v_cmp_eq_u32_e64 s6, 0, v59
	s_and_b32 s12, s12, s6
	s_wait_alu 0xfffe
	s_and_saveexec_b32 s6, s12
	s_cbranch_execz .LBB228_37
; %bb.36:
	s_wait_dscnt 0x0
	v_bcnt_u32_b32 v25, v25, v58
	ds_store_b32 v60, v25 offset:4
.LBB228_37:
	s_wait_alu 0xfffe
	s_or_b32 exec_lo, exec_lo, s6
	v_lshrrev_b16 v25, 8, v53
	v_cmp_ne_u16_e64 s6, 0x7fff, v53
	; wave barrier
	s_wait_alu 0xf1ff
	s_delay_alu instid0(VALU_DEP_1) | instskip(NEXT) | instid1(VALU_DEP_1)
	v_cndmask_b32_e64 v25, 0x80, v25, s6
	v_and_b32_e32 v25, s13, v25
	s_delay_alu instid0(VALU_DEP_1)
	v_and_b32_e32 v26, 1, v25
	v_lshlrev_b32_e32 v27, 30, v25
	v_lshlrev_b32_e32 v28, 29, v25
	;; [unrolled: 1-line block ×4, first 2 shown]
	v_add_co_u32 v26, s6, v26, -1
	s_wait_alu 0xf1ff
	v_cndmask_b32_e64 v30, 0, 1, s6
	v_not_b32_e32 v63, v27
	v_cmp_gt_i32_e64 s12, 0, v27
	v_not_b32_e32 v27, v28
	v_lshlrev_b32_e32 v61, 26, v25
	v_cmp_ne_u32_e64 s6, 0, v30
	v_ashrrev_i32_e32 v63, 31, v63
	v_lshlrev_b32_e32 v62, 25, v25
	v_ashrrev_i32_e32 v27, 31, v27
	v_lshlrev_b32_e32 v30, 24, v25
	s_wait_alu 0xf1ff
	v_xor_b32_e32 v26, s6, v26
	v_cmp_gt_i32_e64 s6, 0, v28
	v_not_b32_e32 v28, v29
	v_xor_b32_e32 v63, s12, v63
	v_cmp_gt_i32_e64 s12, 0, v29
	v_and_b32_e32 v26, exec_lo, v26
	v_not_b32_e32 v29, v31
	v_ashrrev_i32_e32 v28, 31, v28
	s_wait_alu 0xf1ff
	v_xor_b32_e32 v27, s6, v27
	v_cmp_gt_i32_e64 s6, 0, v31
	v_and_b32_e32 v26, v26, v63
	v_not_b32_e32 v31, v61
	v_ashrrev_i32_e32 v29, 31, v29
	v_xor_b32_e32 v28, s12, v28
	v_cmp_gt_i32_e64 s12, 0, v61
	v_and_b32_e32 v26, v26, v27
	v_not_b32_e32 v27, v62
	v_ashrrev_i32_e32 v31, 31, v31
	s_wait_alu 0xf1ff
	v_xor_b32_e32 v29, s6, v29
	v_cmp_gt_i32_e64 s6, 0, v62
	v_and_b32_e32 v26, v26, v28
	v_not_b32_e32 v28, v30
	v_ashrrev_i32_e32 v27, 31, v27
	v_xor_b32_e32 v31, s12, v31
	v_cmp_gt_i32_e64 s12, 0, v30
	v_and_b32_e32 v26, v26, v29
	v_ashrrev_i32_e32 v28, 31, v28
	s_wait_alu 0xf1ff
	v_xor_b32_e32 v27, s6, v27
	v_lshl_add_u32 v63, v25, 2, v24
	v_and_b32_e32 v26, v26, v31
	v_xor_b32_e32 v24, s12, v28
	ds_load_b32 v61, v63 offset:4
	v_and_b32_e32 v25, v26, v27
	; wave barrier
	s_delay_alu instid0(VALU_DEP_1) | instskip(NEXT) | instid1(VALU_DEP_1)
	v_and_b32_e32 v24, v25, v24
	v_mbcnt_lo_u32_b32 v62, v24, 0
	v_cmp_ne_u32_e64 s12, 0, v24
	s_delay_alu instid0(VALU_DEP_2)
	v_cmp_eq_u32_e64 s6, 0, v62
	s_and_b32 s12, s12, s6
	s_wait_alu 0xfffe
	s_and_saveexec_b32 s6, s12
	s_cbranch_execz .LBB228_39
; %bb.38:
	s_wait_dscnt 0x0
	v_bcnt_u32_b32 v24, v24, v61
	ds_store_b32 v63, v24 offset:4
.LBB228_39:
	s_wait_alu 0xfffe
	s_or_b32 exec_lo, exec_lo, s6
	; wave barrier
	; wave barrier
	s_wait_loadcnt_dscnt 0x0
	global_inv scope:SCOPE_SE
	ds_load_2addr_b32 v[30:31], v42 offset0:1 offset1:2
	ds_load_2addr_b32 v[28:29], v42 offset0:3 offset1:4
	;; [unrolled: 1-line block ×4, first 2 shown]
	s_wait_dscnt 0x3
	v_add_nc_u32_e32 v64, v31, v30
	s_wait_dscnt 0x2
	s_delay_alu instid0(VALU_DEP_1) | instskip(SKIP_1) | instid1(VALU_DEP_1)
	v_add3_u32 v64, v64, v28, v29
	s_wait_dscnt 0x1
	v_add3_u32 v64, v64, v26, v27
	s_wait_dscnt 0x0
	s_delay_alu instid0(VALU_DEP_1) | instskip(NEXT) | instid1(VALU_DEP_1)
	v_add3_u32 v25, v64, v24, v25
	v_mov_b32_dpp v64, v25 row_shr:1 row_mask:0xf bank_mask:0xf
	s_delay_alu instid0(VALU_DEP_1) | instskip(NEXT) | instid1(VALU_DEP_1)
	v_cndmask_b32_e64 v64, v64, 0, vcc_lo
	v_add_nc_u32_e32 v25, v64, v25
	s_delay_alu instid0(VALU_DEP_1) | instskip(NEXT) | instid1(VALU_DEP_1)
	v_mov_b32_dpp v64, v25 row_shr:2 row_mask:0xf bank_mask:0xf
	v_cndmask_b32_e64 v64, 0, v64, s7
	s_mov_b32 s7, 0
	s_delay_alu instid0(VALU_DEP_1) | instskip(NEXT) | instid1(VALU_DEP_1)
	v_add_nc_u32_e32 v25, v25, v64
	v_mov_b32_dpp v64, v25 row_shr:4 row_mask:0xf bank_mask:0xf
	s_delay_alu instid0(VALU_DEP_1) | instskip(NEXT) | instid1(VALU_DEP_1)
	v_cndmask_b32_e64 v64, 0, v64, s8
	v_add_nc_u32_e32 v25, v25, v64
	s_delay_alu instid0(VALU_DEP_1) | instskip(NEXT) | instid1(VALU_DEP_1)
	v_mov_b32_dpp v64, v25 row_shr:8 row_mask:0xf bank_mask:0xf
	v_cndmask_b32_e64 v64, 0, v64, s9
	s_delay_alu instid0(VALU_DEP_1) | instskip(SKIP_3) | instid1(VALU_DEP_1)
	v_add_nc_u32_e32 v25, v25, v64
	ds_swizzle_b32 v64, v25 offset:swizzle(BROADCAST,32,15)
	s_wait_dscnt 0x0
	v_cndmask_b32_e64 v64, v64, 0, s11
	v_add_nc_u32_e32 v25, v25, v64
	s_and_saveexec_b32 s6, s10
; %bb.40:
	v_mov_b32_e32 v64, 0
	ds_store_b32 v64, v25
; %bb.41:
	s_wait_alu 0xfffe
	s_or_b32 exec_lo, exec_lo, s6
	ds_bpermute_b32 v25, v68, v25
	; wave barrier
	s_wait_loadcnt_dscnt 0x0
	global_inv scope:SCOPE_SE
	v_cndmask_b32_e64 v25, v25, 0, s15
	s_delay_alu instid0(VALU_DEP_1) | instskip(NEXT) | instid1(VALU_DEP_1)
	v_add_nc_u32_e32 v30, v25, v30
	v_add_nc_u32_e32 v31, v30, v31
	s_delay_alu instid0(VALU_DEP_1) | instskip(NEXT) | instid1(VALU_DEP_1)
	v_add_nc_u32_e32 v28, v31, v28
	v_add_nc_u32_e32 v29, v28, v29
	;; [unrolled: 3-line block ×3, first 2 shown]
	s_delay_alu instid0(VALU_DEP_1)
	v_add_nc_u32_e32 v24, v27, v24
	ds_store_2addr_b32 v42, v25, v30 offset0:1 offset1:2
	ds_store_2addr_b32 v42, v31, v28 offset0:3 offset1:4
	;; [unrolled: 1-line block ×4, first 2 shown]
	; wave barrier
	s_wait_loadcnt_dscnt 0x0
	global_inv scope:SCOPE_SE
	ds_load_b32 v24, v54 offset:4
	ds_load_b32 v25, v57 offset:4
	;; [unrolled: 1-line block ×4, first 2 shown]
	v_lshlrev_b32_e32 v28, 1, v41
	; wave barrier
	s_wait_loadcnt_dscnt 0x0
	global_inv scope:SCOPE_SE
	v_add_nc_u32_e32 v30, v24, v51
	v_add3_u32 v51, v56, v55, v25
	v_add3_u32 v54, v59, v58, v26
	;; [unrolled: 1-line block ×3, first 2 shown]
	s_delay_alu instid0(VALU_DEP_4) | instskip(NEXT) | instid1(VALU_DEP_4)
	v_lshlrev_b32_e32 v24, 1, v30
	v_lshlrev_b32_e32 v25, 1, v51
	s_delay_alu instid0(VALU_DEP_4) | instskip(NEXT) | instid1(VALU_DEP_4)
	v_lshlrev_b32_e32 v26, 1, v54
	v_lshlrev_b32_e32 v27, 1, v55
	ds_store_b16 v24, v49
	ds_store_b16 v25, v50
	;; [unrolled: 1-line block ×4, first 2 shown]
	; wave barrier
	s_wait_loadcnt_dscnt 0x0
	global_inv scope:SCOPE_SE
	ds_load_b64 v[28:29], v28
	v_mad_co_u64_u32 v[30:31], null, v30, 6, v[24:25]
	v_mad_co_u64_u32 v[24:25], null, v51, 6, v[25:26]
	;; [unrolled: 1-line block ×3, first 2 shown]
	; wave barrier
	s_wait_loadcnt_dscnt 0x0
	global_inv scope:SCOPE_SE
	ds_store_b64 v30, v[13:14]
	ds_store_b64 v24, v[15:16]
	v_cmp_lt_i16_e32 vcc_lo, -1, v28
	v_lshrrev_b32_e32 v26, 16, v28
	v_lshrrev_b32_e32 v49, 16, v29
	s_wait_alu 0xfffd
	v_cndmask_b32_e64 v31, 0xffff8000, -1, vcc_lo
	v_cmp_lt_i16_e32 vcc_lo, -1, v29
	s_wait_alu 0xfffd
	v_cndmask_b32_e64 v50, 0xffff8000, -1, vcc_lo
	v_cmp_lt_i16_e32 vcc_lo, -1, v26
	v_mad_co_u64_u32 v[26:27], null, v55, 6, v[27:28]
	ds_store_b64 v25, v[9:10]
	ds_store_b64 v26, v[11:12]
	s_wait_alu 0xfffd
	v_cndmask_b32_e64 v51, 0xffff8000, -1, vcc_lo
	v_cmp_lt_i16_e32 vcc_lo, -1, v49
	; wave barrier
	s_wait_loadcnt_dscnt 0x0
	global_inv scope:SCOPE_SE
	v_perm_b32 v27, v51, v31, 0x5040100
	s_wait_alu 0xfffd
	v_cndmask_b32_e64 v49, 0xffff8000, -1, vcc_lo
	s_delay_alu instid0(VALU_DEP_2) | instskip(NEXT) | instid1(VALU_DEP_2)
	v_xor_b32_e32 v13, v27, v28
	v_perm_b32 v31, v49, v50, 0x5040100
	s_delay_alu instid0(VALU_DEP_1)
	v_xor_b32_e32 v14, v31, v29
.LBB228_42:
	s_and_b32 vcc_lo, exec_lo, s7
	s_wait_alu 0xfffe
	s_cbranch_vccz .LBB228_64
; %bb.43:
	v_cmp_gt_i16_e32 vcc_lo, 0, v22
	s_getpc_b64 s[6:7]
	s_wait_alu 0xfffe
	s_sext_i32_i16 s7, s7
	s_add_co_u32 s6, s6, _ZN7rocprim17ROCPRIM_400000_NS16block_radix_sortI6__halfLj32ELj4ElLj1ELj1ELj0ELNS0_26block_radix_rank_algorithmE1ELNS0_18block_padding_hintE2ELNS0_4arch9wavefront6targetE0EE19radix_bits_per_passE@rel32@lo+12
	s_wait_alu 0xfffe
	s_add_co_ci_u32 s7, s7, _ZN7rocprim17ROCPRIM_400000_NS16block_radix_sortI6__halfLj32ELj4ElLj1ELj1ELj0ELNS0_26block_radix_rank_algorithmE1ELNS0_18block_padding_hintE2ELNS0_4arch9wavefront6targetE0EE19radix_bits_per_passE@rel32@hi+24
	ds_bpermute_b32 v27, v45, v5
	s_load_b32 s13, s[6:7], 0x0
	ds_bpermute_b32 v50, v45, v5 offset:32
	v_cndmask_b32_e64 v9, 0x7fff, 0, vcc_lo
	v_cmp_gt_i16_e32 vcc_lo, 0, v48
	ds_bpermute_b32 v52, v45, v5 offset:64
	ds_bpermute_b32 v54, v45, v5 offset:96
	ds_bpermute_b32 v15, v45, v6
	v_xor_b32_e32 v9, v9, v22
	s_wait_alu 0xfffd
	v_cndmask_b32_e64 v10, 0x7fff, 0, vcc_lo
	v_cmp_gt_i16_e32 vcc_lo, 0, v23
	ds_bpermute_b32 v51, v45, v6 offset:32
	ds_bpermute_b32 v53, v45, v6 offset:64
	v_and_b32_e32 v55, 0xffff, v9
	v_xor_b32_e32 v10, v10, v48
	s_wait_alu 0xfffd
	v_cndmask_b32_e64 v11, 0x7fff, 0, vcc_lo
	v_cmp_gt_i16_e32 vcc_lo, 0, v47
	s_wait_loadcnt_dscnt 0x0
	ds_bpermute_b32 v14, v45, v55
	ds_bpermute_b32 v61, v45, v55 offset:32
	v_xor_b32_e32 v11, v11, v23
	s_wait_alu 0xfffd
	v_cndmask_b32_e64 v12, 0x7fff, 0, vcc_lo
	v_cmp_eq_u32_e32 vcc_lo, 3, v43
	s_wait_kmcnt 0x0
	s_min_u32 s7, s13, 16
	ds_bpermute_b32 v65, v45, v55 offset:64
	v_and_b32_e32 v57, 0xffff, v11
	v_xor_b32_e32 v9, v12, v47
	; wave barrier
	s_wait_dscnt 0x0
	global_inv scope:SCOPE_SE
	ds_bpermute_b32 v16, v45, v7
	ds_bpermute_b32 v26, v45, v7 offset:32
	ds_bpermute_b32 v23, v45, v57
	v_and_b32_e32 v58, 0xffff, v9
	ds_bpermute_b32 v64, v45, v57 offset:32
	ds_bpermute_b32 v69, v45, v57 offset:64
	;; [unrolled: 1-line block ×4, first 2 shown]
	ds_bpermute_b32 v29, v45, v58
	v_and_b32_e32 v56, 0xffff, v10
	ds_bpermute_b32 v66, v45, v58 offset:32
	ds_bpermute_b32 v72, v45, v58 offset:64
	ds_bpermute_b32 v13, v45, v1
	ds_bpermute_b32 v24, v45, v1 offset:32
	ds_bpermute_b32 v22, v45, v56
	ds_bpermute_b32 v12, v45, v8
	;; [unrolled: 1-line block ×5, first 2 shown]
	ds_bpermute_b32 v28, v45, v8 offset:32
	ds_bpermute_b32 v25, v45, v2 offset:32
	;; [unrolled: 1-line block ×4, first 2 shown]
	s_wait_dscnt 0x8
	v_cndmask_b32_e64 v30, v14, v22, s5
	ds_bpermute_b32 v22, v45, v4 offset:32
	ds_bpermute_b32 v14, v45, v3 offset:32
	v_cndmask_b32_e64 v23, v30, v23, s4
	ds_bpermute_b32 v30, v45, v2 offset:64
	s_wait_alu 0xfffd
	v_cndmask_b32_e32 v49, v23, v29, vcc_lo
	ds_bpermute_b32 v63, v45, v56 offset:32
	ds_bpermute_b32 v67, v45, v56 offset:64
	;; [unrolled: 1-line block ×4, first 2 shown]
	v_and_b32_e32 v59, 0xffff, v49
	v_cmp_ne_u16_e64 s6, 0x8000, v49
	ds_bpermute_b32 v23, v45, v3 offset:64
	s_wait_alu 0xf1ff
	v_cndmask_b32_e64 v5, 0x7fff, v59, s6
	s_wait_alu 0xfffe
	s_lshl_b32 s6, -1, s7
	s_wait_alu 0xfffe
	s_not_b32 s8, s6
	s_wait_alu 0xfffe
	v_and_b32_e32 v62, s8, v5
	s_delay_alu instid0(VALU_DEP_1) | instskip(SKIP_2) | instid1(VALU_DEP_3)
	v_and_b32_e32 v5, 1, v62
	v_lshlrev_b32_e32 v71, 30, v62
	v_lshlrev_b32_e32 v56, 29, v62
	v_add_co_u32 v59, s6, v5, -1
	s_wait_alu 0xf1ff
	v_cndmask_b32_e64 v60, 0, 1, s6
	ds_bpermute_b32 v5, v45, v55 offset:96
	v_not_b32_e32 v55, v71
	v_cmp_gt_i32_e64 s7, 0, v71
	ds_bpermute_b32 v71, v45, v58 offset:96
	v_cmp_ne_u32_e64 s6, 0, v60
	v_not_b32_e32 v58, v56
	v_ashrrev_i32_e32 v55, 31, v55
	s_wait_alu 0xf1ff
	s_delay_alu instid0(VALU_DEP_3) | instskip(SKIP_1) | instid1(VALU_DEP_3)
	v_xor_b32_e32 v57, s6, v59
	v_lshlrev_b32_e32 v59, 28, v62
	v_xor_b32_e32 v55, s7, v55
	v_cmp_gt_i32_e64 s6, 0, v56
	v_ashrrev_i32_e32 v56, 31, v58
	v_and_b32_e32 v57, exec_lo, v57
	v_not_b32_e32 v58, v59
	s_load_b32 s7, s[22:23], 0xc
	s_delay_alu instid0(VALU_DEP_3) | instskip(NEXT) | instid1(VALU_DEP_3)
	v_xor_b32_e32 v60, s6, v56
	v_and_b32_e32 v55, v57, v55
	v_lshlrev_b32_e32 v57, 27, v62
	v_cmp_gt_i32_e64 s6, 0, v59
	v_ashrrev_i32_e32 v58, 31, v58
	ds_bpermute_b32 v56, v45, v6 offset:96
	v_and_b32_e32 v59, v55, v60
	v_not_b32_e32 v6, v57
	v_lshlrev_b32_e32 v60, 26, v62
	s_wait_alu 0xf1ff
	v_xor_b32_e32 v58, s6, v58
	v_cmp_gt_i32_e64 s6, 0, v57
	ds_bpermute_b32 v55, v45, v7 offset:96
	v_ashrrev_i32_e32 v6, 31, v6
	v_not_b32_e32 v7, v60
	v_and_b32_e32 v57, v59, v58
	v_lshlrev_b32_e32 v58, 25, v62
	s_wait_alu 0xf1ff
	v_xor_b32_e32 v6, s6, v6
	v_cmp_gt_i32_e64 s6, 0, v60
	v_ashrrev_i32_e32 v7, 31, v7
	v_not_b32_e32 v59, v58
	s_wait_kmcnt 0x0
	s_lshr_b32 s9, s7, 16
	v_and_b32_e32 v6, v57, v6
	v_lshlrev_b32_e32 v57, 24, v62
	v_xor_b32_e32 v7, s6, v7
	v_cmp_gt_i32_e64 s6, 0, v58
	v_ashrrev_i32_e32 v58, 31, v59
	s_wait_alu 0xfffe
	v_mad_u32_u24 v0, v0, s9, v46
	v_not_b32_e32 v59, v57
	v_and_b32_e32 v46, v6, v7
	s_and_b32 s7, s7, 0xffff
	v_xor_b32_e32 v58, s6, v58
	v_cmp_gt_i32_e64 s6, 0, v57
	v_ashrrev_i32_e32 v60, 31, v59
	s_wait_dscnt 0xb
	s_wait_alu 0xfffe
	v_mad_co_u64_u32 v[6:7], null, v0, s7, v[21:22]
	ds_bpermute_b32 v57, v45, v1 offset:96
	v_and_b32_e32 v0, v46, v58
	s_wait_alu 0xf1ff
	v_xor_b32_e32 v1, s6, v60
	ds_bpermute_b32 v59, v45, v8 offset:96
	ds_bpermute_b32 v58, v45, v2 offset:96
	;; [unrolled: 1-line block ×4, first 2 shown]
	v_and_b32_e32 v0, v0, v1
	v_lshrrev_b32_e32 v2, 5, v6
	v_mov_b32_e32 v1, 0
	ds_store_2addr_b32 v42, v1, v1 offset0:1 offset1:2
	ds_store_2addr_b32 v42, v1, v1 offset0:3 offset1:4
	;; [unrolled: 1-line block ×4, first 2 shown]
	v_mbcnt_lo_u32_b32 v60, v0, 0
	v_lshlrev_b32_e32 v8, 2, v2
	v_cmp_ne_u32_e64 s7, 0, v0
	; wave barrier
	s_wait_loadcnt_dscnt 0x0
	global_inv scope:SCOPE_SE
	v_cmp_eq_u32_e64 s6, 0, v60
	v_lshl_add_u32 v62, v62, 2, v8
	; wave barrier
	s_and_b32 s7, s7, s6
	s_wait_alu 0xfffe
	s_and_saveexec_b32 s6, s7
; %bb.44:
	v_bcnt_u32_b32 v0, v0, 0
	ds_store_b32 v62, v0 offset:4
; %bb.45:
	s_wait_alu 0xfffe
	s_or_b32 exec_lo, exec_lo, s6
	v_cndmask_b32_e64 v0, v61, v63, s5
	; wave barrier
	s_delay_alu instid0(VALU_DEP_1) | instskip(NEXT) | instid1(VALU_DEP_1)
	v_cndmask_b32_e64 v0, v0, v64, s4
	v_cndmask_b32_e32 v61, v0, v66, vcc_lo
	s_delay_alu instid0(VALU_DEP_1) | instskip(SKIP_2) | instid1(VALU_DEP_1)
	v_and_b32_e32 v0, 0xffff, v61
	v_cmp_ne_u16_e64 s6, 0x8000, v61
	s_wait_alu 0xf1ff
	v_cndmask_b32_e64 v0, 0x7fff, v0, s6
	s_delay_alu instid0(VALU_DEP_1) | instskip(NEXT) | instid1(VALU_DEP_1)
	v_and_b32_e32 v0, s8, v0
	v_and_b32_e32 v1, 1, v0
	v_lshlrev_b32_e32 v2, 30, v0
	v_lshlrev_b32_e32 v3, 29, v0
	;; [unrolled: 1-line block ×4, first 2 shown]
	v_add_co_u32 v1, s6, v1, -1
	s_wait_alu 0xf1ff
	v_cndmask_b32_e64 v6, 0, 1, s6
	v_not_b32_e32 v66, v2
	v_cmp_gt_i32_e64 s7, 0, v2
	v_not_b32_e32 v2, v3
	v_lshlrev_b32_e32 v63, 26, v0
	v_cmp_ne_u32_e64 s6, 0, v6
	v_ashrrev_i32_e32 v66, 31, v66
	v_lshlrev_b32_e32 v64, 25, v0
	v_ashrrev_i32_e32 v2, 31, v2
	v_lshlrev_b32_e32 v6, 24, v0
	s_wait_alu 0xf1ff
	v_xor_b32_e32 v1, s6, v1
	v_cmp_gt_i32_e64 s6, 0, v3
	v_not_b32_e32 v3, v4
	v_xor_b32_e32 v66, s7, v66
	v_cmp_gt_i32_e64 s7, 0, v4
	v_and_b32_e32 v1, exec_lo, v1
	v_not_b32_e32 v4, v7
	v_ashrrev_i32_e32 v3, 31, v3
	s_wait_alu 0xf1ff
	v_xor_b32_e32 v2, s6, v2
	v_cmp_gt_i32_e64 s6, 0, v7
	v_and_b32_e32 v1, v1, v66
	v_not_b32_e32 v7, v63
	v_ashrrev_i32_e32 v4, 31, v4
	v_xor_b32_e32 v3, s7, v3
	v_cmp_gt_i32_e64 s7, 0, v63
	v_and_b32_e32 v1, v1, v2
	v_not_b32_e32 v2, v64
	v_ashrrev_i32_e32 v7, 31, v7
	s_wait_alu 0xf1ff
	v_xor_b32_e32 v4, s6, v4
	v_cmp_gt_i32_e64 s6, 0, v64
	v_and_b32_e32 v1, v1, v3
	v_not_b32_e32 v3, v6
	v_ashrrev_i32_e32 v2, 31, v2
	v_xor_b32_e32 v7, s7, v7
	v_cmp_gt_i32_e64 s7, 0, v6
	v_and_b32_e32 v1, v1, v4
	v_ashrrev_i32_e32 v3, 31, v3
	s_wait_alu 0xf1ff
	v_xor_b32_e32 v2, s6, v2
	v_lshl_add_u32 v66, v0, 2, v8
	v_and_b32_e32 v1, v1, v7
	v_xor_b32_e32 v0, s7, v3
	ds_load_b32 v63, v66 offset:4
	v_and_b32_e32 v1, v1, v2
	; wave barrier
	s_delay_alu instid0(VALU_DEP_1) | instskip(NEXT) | instid1(VALU_DEP_1)
	v_and_b32_e32 v0, v1, v0
	v_mbcnt_lo_u32_b32 v64, v0, 0
	v_cmp_ne_u32_e64 s7, 0, v0
	s_delay_alu instid0(VALU_DEP_2)
	v_cmp_eq_u32_e64 s6, 0, v64
	s_and_b32 s7, s7, s6
	s_wait_alu 0xfffe
	s_and_saveexec_b32 s6, s7
	s_cbranch_execz .LBB228_47
; %bb.46:
	s_wait_dscnt 0x0
	v_bcnt_u32_b32 v0, v0, v63
	ds_store_b32 v66, v0 offset:4
.LBB228_47:
	s_wait_alu 0xfffe
	s_or_b32 exec_lo, exec_lo, s6
	v_cndmask_b32_e64 v0, v65, v67, s5
	; wave barrier
	s_delay_alu instid0(VALU_DEP_1) | instskip(NEXT) | instid1(VALU_DEP_1)
	v_cndmask_b32_e64 v0, v0, v69, s4
	v_cndmask_b32_e32 v65, v0, v72, vcc_lo
	s_delay_alu instid0(VALU_DEP_1) | instskip(SKIP_2) | instid1(VALU_DEP_1)
	v_and_b32_e32 v0, 0xffff, v65
	v_cmp_ne_u16_e64 s6, 0x8000, v65
	s_wait_alu 0xf1ff
	v_cndmask_b32_e64 v0, 0x7fff, v0, s6
	s_delay_alu instid0(VALU_DEP_1) | instskip(NEXT) | instid1(VALU_DEP_1)
	v_and_b32_e32 v0, s8, v0
	v_and_b32_e32 v1, 1, v0
	v_lshlrev_b32_e32 v2, 30, v0
	v_lshlrev_b32_e32 v3, 29, v0
	v_lshlrev_b32_e32 v4, 28, v0
	v_lshlrev_b32_e32 v7, 27, v0
	v_add_co_u32 v1, s6, v1, -1
	s_wait_alu 0xf1ff
	v_cndmask_b32_e64 v6, 0, 1, s6
	v_not_b32_e32 v72, v2
	v_cmp_gt_i32_e64 s7, 0, v2
	v_not_b32_e32 v2, v3
	v_lshlrev_b32_e32 v67, 26, v0
	v_cmp_ne_u32_e64 s6, 0, v6
	v_ashrrev_i32_e32 v72, 31, v72
	v_lshlrev_b32_e32 v69, 25, v0
	v_ashrrev_i32_e32 v2, 31, v2
	v_lshlrev_b32_e32 v6, 24, v0
	s_wait_alu 0xf1ff
	v_xor_b32_e32 v1, s6, v1
	v_cmp_gt_i32_e64 s6, 0, v3
	v_not_b32_e32 v3, v4
	v_xor_b32_e32 v72, s7, v72
	v_cmp_gt_i32_e64 s7, 0, v4
	v_and_b32_e32 v1, exec_lo, v1
	v_not_b32_e32 v4, v7
	v_ashrrev_i32_e32 v3, 31, v3
	s_wait_alu 0xf1ff
	v_xor_b32_e32 v2, s6, v2
	v_cmp_gt_i32_e64 s6, 0, v7
	v_and_b32_e32 v1, v1, v72
	v_not_b32_e32 v7, v67
	v_ashrrev_i32_e32 v4, 31, v4
	v_xor_b32_e32 v3, s7, v3
	v_cmp_gt_i32_e64 s7, 0, v67
	v_and_b32_e32 v1, v1, v2
	v_not_b32_e32 v2, v69
	v_ashrrev_i32_e32 v7, 31, v7
	s_wait_alu 0xf1ff
	v_xor_b32_e32 v4, s6, v4
	v_cmp_gt_i32_e64 s6, 0, v69
	v_and_b32_e32 v1, v1, v3
	v_not_b32_e32 v3, v6
	v_ashrrev_i32_e32 v2, 31, v2
	v_xor_b32_e32 v7, s7, v7
	v_cmp_gt_i32_e64 s7, 0, v6
	v_and_b32_e32 v1, v1, v4
	v_ashrrev_i32_e32 v3, 31, v3
	s_wait_alu 0xf1ff
	v_xor_b32_e32 v2, s6, v2
	v_lshl_add_u32 v72, v0, 2, v8
	v_and_b32_e32 v1, v1, v7
	v_xor_b32_e32 v0, s7, v3
	ds_load_b32 v67, v72 offset:4
	v_and_b32_e32 v1, v1, v2
	; wave barrier
	s_delay_alu instid0(VALU_DEP_1) | instskip(NEXT) | instid1(VALU_DEP_1)
	v_and_b32_e32 v0, v1, v0
	v_mbcnt_lo_u32_b32 v69, v0, 0
	v_cmp_ne_u32_e64 s7, 0, v0
	s_delay_alu instid0(VALU_DEP_2)
	v_cmp_eq_u32_e64 s6, 0, v69
	s_and_b32 s7, s7, s6
	s_wait_alu 0xfffe
	s_and_saveexec_b32 s6, s7
	s_cbranch_execz .LBB228_49
; %bb.48:
	s_wait_dscnt 0x0
	v_bcnt_u32_b32 v0, v0, v67
	ds_store_b32 v72, v0 offset:4
.LBB228_49:
	s_wait_alu 0xfffe
	s_or_b32 exec_lo, exec_lo, s6
	v_cndmask_b32_e64 v0, v5, v68, s5
	; wave barrier
	v_and_or_b32 v74, 0xf80, v41, v44
	s_delay_alu instid0(VALU_DEP_2) | instskip(NEXT) | instid1(VALU_DEP_1)
	v_cndmask_b32_e64 v0, v0, v70, s4
	v_cndmask_b32_e32 v68, v0, v71, vcc_lo
	s_delay_alu instid0(VALU_DEP_1) | instskip(SKIP_2) | instid1(VALU_DEP_1)
	v_and_b32_e32 v0, 0xffff, v68
	v_cmp_ne_u16_e64 s6, 0x8000, v68
	s_wait_alu 0xf1ff
	v_cndmask_b32_e64 v0, 0x7fff, v0, s6
	s_delay_alu instid0(VALU_DEP_1) | instskip(NEXT) | instid1(VALU_DEP_1)
	v_and_b32_e32 v0, s8, v0
	v_and_b32_e32 v1, 1, v0
	v_lshlrev_b32_e32 v2, 30, v0
	v_lshlrev_b32_e32 v3, 29, v0
	;; [unrolled: 1-line block ×4, first 2 shown]
	v_add_co_u32 v1, s6, v1, -1
	s_wait_alu 0xf1ff
	v_cndmask_b32_e64 v5, 0, 1, s6
	v_not_b32_e32 v71, v2
	v_cmp_gt_i32_e64 s7, 0, v2
	v_not_b32_e32 v2, v3
	v_lshlrev_b32_e32 v7, 26, v0
	v_cmp_ne_u32_e64 s6, 0, v5
	v_ashrrev_i32_e32 v71, 31, v71
	v_lshlrev_b32_e32 v70, 25, v0
	v_ashrrev_i32_e32 v2, 31, v2
	v_lshlrev_b32_e32 v5, 24, v0
	s_wait_alu 0xf1ff
	v_xor_b32_e32 v1, s6, v1
	v_cmp_gt_i32_e64 s6, 0, v3
	v_not_b32_e32 v3, v4
	v_xor_b32_e32 v71, s7, v71
	v_cmp_gt_i32_e64 s7, 0, v4
	v_and_b32_e32 v1, exec_lo, v1
	v_not_b32_e32 v4, v6
	v_ashrrev_i32_e32 v3, 31, v3
	s_wait_alu 0xf1ff
	v_xor_b32_e32 v2, s6, v2
	v_cmp_gt_i32_e64 s6, 0, v6
	v_and_b32_e32 v1, v1, v71
	v_not_b32_e32 v6, v7
	v_ashrrev_i32_e32 v4, 31, v4
	v_xor_b32_e32 v3, s7, v3
	v_cmp_gt_i32_e64 s7, 0, v7
	v_and_b32_e32 v1, v1, v2
	v_not_b32_e32 v2, v70
	v_ashrrev_i32_e32 v6, 31, v6
	s_wait_alu 0xf1ff
	v_xor_b32_e32 v4, s6, v4
	v_cmp_gt_i32_e64 s6, 0, v70
	v_and_b32_e32 v1, v1, v3
	v_not_b32_e32 v3, v5
	v_ashrrev_i32_e32 v2, 31, v2
	v_xor_b32_e32 v6, s7, v6
	v_cmp_gt_i32_e64 s7, 0, v5
	v_and_b32_e32 v1, v1, v4
	v_ashrrev_i32_e32 v3, 31, v3
	s_wait_alu 0xf1ff
	v_xor_b32_e32 v2, s6, v2
	v_lshl_add_u32 v73, v0, 2, v8
	v_and_b32_e32 v1, v1, v6
	v_xor_b32_e32 v0, s7, v3
	ds_load_b32 v70, v73 offset:4
	v_and_b32_e32 v1, v1, v2
	; wave barrier
	s_delay_alu instid0(VALU_DEP_1) | instskip(NEXT) | instid1(VALU_DEP_1)
	v_and_b32_e32 v0, v1, v0
	v_mbcnt_lo_u32_b32 v71, v0, 0
	v_cmp_ne_u32_e64 s7, 0, v0
	s_delay_alu instid0(VALU_DEP_2)
	v_cmp_eq_u32_e64 s6, 0, v71
	s_and_b32 s7, s7, s6
	s_wait_alu 0xfffe
	s_and_saveexec_b32 s6, s7
	s_cbranch_execz .LBB228_51
; %bb.50:
	s_wait_dscnt 0x0
	v_bcnt_u32_b32 v0, v0, v70
	ds_store_b32 v73, v0 offset:4
.LBB228_51:
	s_wait_alu 0xfffe
	s_or_b32 exec_lo, exec_lo, s6
	; wave barrier
	; wave barrier
	s_wait_loadcnt_dscnt 0x0
	global_inv scope:SCOPE_SE
	ds_load_2addr_b32 v[6:7], v42 offset0:1 offset1:2
	ds_load_2addr_b32 v[4:5], v42 offset0:3 offset1:4
	;; [unrolled: 1-line block ×4, first 2 shown]
	v_and_b32_e32 v77, 16, v44
	v_cmp_eq_u32_e64 s10, 31, v21
	s_delay_alu instid0(VALU_DEP_2) | instskip(SKIP_3) | instid1(VALU_DEP_1)
	v_cmp_eq_u32_e64 s11, 0, v77
	s_wait_dscnt 0x3
	v_add_nc_u32_e32 v75, v7, v6
	s_wait_dscnt 0x2
	v_add3_u32 v75, v75, v4, v5
	s_wait_dscnt 0x1
	s_delay_alu instid0(VALU_DEP_1) | instskip(SKIP_1) | instid1(VALU_DEP_1)
	v_add3_u32 v75, v75, v2, v3
	s_wait_dscnt 0x0
	v_add3_u32 v1, v75, v0, v1
	v_and_b32_e32 v75, 15, v44
	s_delay_alu instid0(VALU_DEP_2) | instskip(NEXT) | instid1(VALU_DEP_2)
	v_mov_b32_dpp v76, v1 row_shr:1 row_mask:0xf bank_mask:0xf
	v_cmp_eq_u32_e64 s6, 0, v75
	v_cmp_lt_u32_e64 s7, 1, v75
	v_cmp_lt_u32_e64 s8, 3, v75
	;; [unrolled: 1-line block ×3, first 2 shown]
	s_wait_alu 0xf1ff
	v_cndmask_b32_e64 v76, v76, 0, s6
	s_delay_alu instid0(VALU_DEP_1) | instskip(NEXT) | instid1(VALU_DEP_1)
	v_add_nc_u32_e32 v1, v76, v1
	v_mov_b32_dpp v76, v1 row_shr:2 row_mask:0xf bank_mask:0xf
	s_delay_alu instid0(VALU_DEP_1) | instskip(NEXT) | instid1(VALU_DEP_1)
	v_cndmask_b32_e64 v76, 0, v76, s7
	v_add_nc_u32_e32 v1, v1, v76
	s_delay_alu instid0(VALU_DEP_1) | instskip(NEXT) | instid1(VALU_DEP_1)
	v_mov_b32_dpp v76, v1 row_shr:4 row_mask:0xf bank_mask:0xf
	v_cndmask_b32_e64 v76, 0, v76, s8
	s_delay_alu instid0(VALU_DEP_1) | instskip(NEXT) | instid1(VALU_DEP_1)
	v_add_nc_u32_e32 v1, v1, v76
	v_mov_b32_dpp v76, v1 row_shr:8 row_mask:0xf bank_mask:0xf
	s_delay_alu instid0(VALU_DEP_1) | instskip(SKIP_1) | instid1(VALU_DEP_2)
	v_cndmask_b32_e64 v75, 0, v76, s9
	v_bfe_i32 v76, v44, 4, 1
	v_add_nc_u32_e32 v75, v1, v75
	ds_swizzle_b32 v1, v75 offset:swizzle(BROADCAST,32,15)
	s_wait_dscnt 0x0
	v_and_b32_e32 v78, v76, v1
	v_sub_co_u32 v76, s15, v44, 1
	v_mul_u32_u24_e32 v1, 6, v74
	s_delay_alu instid0(VALU_DEP_3)
	v_add_nc_u32_e32 v75, v75, v78
	s_and_saveexec_b32 s12, s10
; %bb.52:
	v_mov_b32_e32 v77, 0
	ds_store_b32 v77, v75
; %bb.53:
	s_wait_alu 0xfffe
	s_or_b32 exec_lo, exec_lo, s12
	v_cmp_gt_i32_e64 s12, 0, v76
	; wave barrier
	s_wait_loadcnt_dscnt 0x0
	global_inv scope:SCOPE_SE
	s_min_u32 s13, s13, 8
	s_wait_alu 0xfffe
	s_lshl_b32 s13, -1, s13
	v_cndmask_b32_e64 v44, v76, v44, s12
	v_cmp_eq_u32_e64 s12, 0, v21
	s_wait_alu 0xfffe
	s_not_b32 s13, s13
	v_lshlrev_b32_e32 v44, 2, v44
	s_or_b32 s15, s12, s15
	v_cmp_eq_u32_e64 s12, 0, v43
	ds_bpermute_b32 v75, v44, v75
	s_wait_alu 0xf1ff
	v_cndmask_b32_e64 v43, 0, v53, s12
	s_wait_dscnt 0x0
	s_wait_alu 0xfffe
	v_cndmask_b32_e64 v21, v75, 0, s15
	s_delay_alu instid0(VALU_DEP_1) | instskip(NEXT) | instid1(VALU_DEP_1)
	v_add_nc_u32_e32 v6, v21, v6
	v_add_nc_u32_e32 v7, v6, v7
	s_delay_alu instid0(VALU_DEP_1) | instskip(NEXT) | instid1(VALU_DEP_1)
	v_add_nc_u32_e32 v4, v7, v4
	v_add_nc_u32_e32 v5, v4, v5
	;; [unrolled: 3-line block ×3, first 2 shown]
	s_delay_alu instid0(VALU_DEP_1)
	v_add_nc_u32_e32 v0, v3, v0
	ds_store_2addr_b32 v42, v21, v6 offset0:1 offset1:2
	ds_store_2addr_b32 v42, v7, v4 offset0:3 offset1:4
	ds_store_2addr_b32 v42, v5, v2 offset0:5 offset1:6
	ds_store_2addr_b32 v42, v3, v0 offset0:7 offset1:8
	; wave barrier
	s_wait_loadcnt_dscnt 0x0
	global_inv scope:SCOPE_SE
	ds_load_b32 v0, v62 offset:4
	ds_load_b32 v2, v66 offset:4
	;; [unrolled: 1-line block ×4, first 2 shown]
	v_cndmask_b32_e64 v5, 0, v27, s12
	v_cndmask_b32_e64 v7, 0, v15, s12
	;; [unrolled: 1-line block ×13, first 2 shown]
	v_lshlrev_b32_e32 v6, 1, v74
	v_cndmask_b32_e64 v50, 0, v54, s12
	; wave barrier
	s_wait_loadcnt_dscnt 0x0
	global_inv scope:SCOPE_SE
	v_add3_u32 v53, v64, v63, v2
	v_add3_u32 v54, v69, v67, v3
	;; [unrolled: 1-line block ×3, first 2 shown]
	v_cndmask_b32_e32 v4, v5, v10, vcc_lo
	v_cndmask_b32_e64 v10, v12, v25, s4
	v_cndmask_b32_e64 v12, v26, v29, s4
	;; [unrolled: 1-line block ×3, first 2 shown]
	v_add_nc_u32_e32 v13, v0, v60
	v_add_nc_u32_e32 v52, v6, v1
	v_lshlrev_b32_e32 v1, 1, v53
	v_lshlrev_b32_e32 v2, 1, v54
	;; [unrolled: 1-line block ×4, first 2 shown]
	ds_store_b16 v0, v49
	ds_store_b16 v1, v61
	;; [unrolled: 1-line block ×4, first 2 shown]
	; wave barrier
	s_wait_loadcnt_dscnt 0x0
	global_inv scope:SCOPE_SE
	ds_load_u16 v16, v6
	v_cndmask_b32_e64 v21, v43, v47, s5
	v_cndmask_b32_e64 v28, v50, v55, s5
	;; [unrolled: 1-line block ×4, first 2 shown]
	s_delay_alu instid0(VALU_DEP_4) | instskip(NEXT) | instid1(VALU_DEP_4)
	v_cndmask_b32_e64 v15, v21, v30, s4
	v_cndmask_b32_e64 v25, v28, v57, s4
	s_delay_alu instid0(VALU_DEP_4)
	v_cndmask_b32_e32 v5, v7, v11, vcc_lo
	v_cndmask_b32_e32 v7, v10, v22, vcc_lo
	ds_load_u16 v21, v6 offset:64
	ds_load_u16 v22, v6 offset:128
	;; [unrolled: 1-line block ×3, first 2 shown]
	v_cndmask_b32_e32 v6, v9, v14, vcc_lo
	v_dual_cndmask_b32 v10, v15, v48 :: v_dual_cndmask_b32 v9, v12, v23
	v_cndmask_b32_e32 v12, v26, v45, vcc_lo
	; wave barrier
	s_wait_loadcnt_dscnt 0x0
	global_inv scope:SCOPE_SE
	v_lshrrev_b16 v11, 8, v16
	v_cmp_ne_u16_e64 s4, 0x8000, v16
	s_wait_alu 0xf1ff
	s_delay_alu instid0(VALU_DEP_1) | instskip(SKIP_1) | instid1(VALU_DEP_2)
	v_cndmask_b32_e64 v14, 0x7f, v11, s4
	v_cndmask_b32_e32 v11, v25, v46, vcc_lo
	v_and_b32_e32 v15, 0xffff, v14
	v_mad_co_u64_u32 v[13:14], null, v13, 6, v[0:1]
	v_mad_co_u64_u32 v[0:1], null, v53, 6, v[1:2]
	s_delay_alu instid0(VALU_DEP_3) | instskip(SKIP_2) | instid1(VALU_DEP_3)
	v_and_b32_e32 v14, s13, v15
	v_mad_co_u64_u32 v[1:2], null, v54, 6, v[2:3]
	v_mad_co_u64_u32 v[2:3], null, v56, 6, v[3:4]
	v_and_b32_e32 v3, 1, v14
	ds_store_b64 v13, v[4:5]
	v_lshlrev_b32_e32 v4, 30, v14
	v_lshlrev_b32_e32 v5, 29, v14
	;; [unrolled: 1-line block ×3, first 2 shown]
	v_add_co_u32 v3, s4, v3, -1
	s_wait_alu 0xf1ff
	v_cndmask_b32_e64 v15, 0, 1, s4
	v_not_b32_e32 v27, v4
	v_cmp_gt_i32_e64 s4, 0, v4
	v_not_b32_e32 v4, v5
	v_lshlrev_b32_e32 v23, 27, v14
	v_cmp_ne_u32_e32 vcc_lo, 0, v15
	v_ashrrev_i32_e32 v27, 31, v27
	v_lshlrev_b32_e32 v25, 26, v14
	v_ashrrev_i32_e32 v4, 31, v4
	v_lshlrev_b32_e32 v26, 25, v14
	s_wait_alu 0xfffd
	v_xor_b32_e32 v3, vcc_lo, v3
	v_cmp_gt_i32_e32 vcc_lo, 0, v5
	v_not_b32_e32 v5, v13
	s_wait_alu 0xf1ff
	v_xor_b32_e32 v27, s4, v27
	v_cmp_gt_i32_e64 s4, 0, v13
	v_and_b32_e32 v3, exec_lo, v3
	v_not_b32_e32 v13, v23
	v_ashrrev_i32_e32 v5, 31, v5
	s_wait_alu 0xfffd
	v_xor_b32_e32 v4, vcc_lo, v4
	v_cmp_gt_i32_e32 vcc_lo, 0, v23
	v_and_b32_e32 v3, v3, v27
	v_not_b32_e32 v23, v25
	v_ashrrev_i32_e32 v13, 31, v13
	s_wait_alu 0xf1ff
	v_xor_b32_e32 v5, s4, v5
	v_lshlrev_b32_e32 v15, 24, v14
	v_and_b32_e32 v3, v3, v4
	v_cmp_gt_i32_e64 s4, 0, v25
	v_not_b32_e32 v4, v26
	v_ashrrev_i32_e32 v23, 31, v23
	s_wait_alu 0xfffd
	v_xor_b32_e32 v13, vcc_lo, v13
	v_and_b32_e32 v3, v3, v5
	v_cmp_gt_i32_e32 vcc_lo, 0, v26
	v_not_b32_e32 v5, v15
	v_ashrrev_i32_e32 v4, 31, v4
	s_wait_alu 0xf1ff
	v_xor_b32_e32 v23, s4, v23
	v_and_b32_e32 v3, v3, v13
	ds_store_b64 v0, v[6:7]
	v_cmp_gt_i32_e64 s4, 0, v15
	v_ashrrev_i32_e32 v0, 31, v5
	s_wait_alu 0xfffd
	v_xor_b32_e32 v4, vcc_lo, v4
	v_and_b32_e32 v3, v3, v23
	ds_store_b64 v1, v[9:10]
	ds_store_b64 v2, v[11:12]
	s_wait_loadcnt_dscnt 0x0
	s_wait_alu 0xf1ff
	v_xor_b32_e32 v9, s4, v0
	; wave barrier
	global_inv scope:SCOPE_SE
	v_and_b32_e32 v10, v3, v4
	ds_load_2addr_b64 v[4:7], v52 offset1:32
	ds_load_2addr_b64 v[0:3], v52 offset0:64 offset1:96
	v_lshl_add_u32 v25, v14, 2, v8
	; wave barrier
	s_wait_loadcnt_dscnt 0x0
	global_inv scope:SCOPE_SE
	v_dual_mov_b32 v10, 0 :: v_dual_and_b32 v9, v10, v9
	ds_store_2addr_b32 v42, v10, v10 offset0:1 offset1:2
	ds_store_2addr_b32 v42, v10, v10 offset0:3 offset1:4
	ds_store_2addr_b32 v42, v10, v10 offset0:5 offset1:6
	ds_store_2addr_b32 v42, v10, v10 offset0:7 offset1:8
	v_mbcnt_lo_u32_b32 v23, v9, 0
	v_cmp_ne_u32_e64 s4, 0, v9
	; wave barrier
	s_wait_loadcnt_dscnt 0x0
	global_inv scope:SCOPE_SE
	v_cmp_eq_u32_e32 vcc_lo, 0, v23
	; wave barrier
	s_and_b32 s5, s4, vcc_lo
	s_wait_alu 0xfffe
	s_and_saveexec_b32 s4, s5
; %bb.54:
	v_bcnt_u32_b32 v9, v9, 0
	ds_store_b32 v25, v9 offset:4
; %bb.55:
	s_wait_alu 0xfffe
	s_or_b32 exec_lo, exec_lo, s4
	v_lshrrev_b16 v9, 8, v21
	v_cmp_ne_u16_e32 vcc_lo, 0x8000, v21
	; wave barrier
	s_wait_alu 0xfffd
	s_delay_alu instid0(VALU_DEP_2) | instskip(NEXT) | instid1(VALU_DEP_1)
	v_cndmask_b32_e32 v9, 0x7f, v9, vcc_lo
	v_and_b32_e32 v9, s13, v9
	s_delay_alu instid0(VALU_DEP_1)
	v_and_b32_e32 v10, 1, v9
	v_lshlrev_b32_e32 v11, 30, v9
	v_lshlrev_b32_e32 v12, 29, v9
	;; [unrolled: 1-line block ×4, first 2 shown]
	v_add_co_u32 v10, s4, v10, -1
	s_wait_alu 0xf1ff
	v_cndmask_b32_e64 v14, 0, 1, s4
	v_not_b32_e32 v28, v11
	v_cmp_gt_i32_e64 s4, 0, v11
	v_not_b32_e32 v11, v12
	v_lshlrev_b32_e32 v26, 26, v9
	v_cmp_ne_u32_e32 vcc_lo, 0, v14
	v_ashrrev_i32_e32 v28, 31, v28
	v_lshlrev_b32_e32 v27, 25, v9
	v_ashrrev_i32_e32 v11, 31, v11
	v_lshlrev_b32_e32 v14, 24, v9
	s_wait_alu 0xfffd
	v_xor_b32_e32 v10, vcc_lo, v10
	v_cmp_gt_i32_e32 vcc_lo, 0, v12
	v_not_b32_e32 v12, v13
	s_wait_alu 0xf1ff
	v_xor_b32_e32 v28, s4, v28
	v_cmp_gt_i32_e64 s4, 0, v13
	v_and_b32_e32 v10, exec_lo, v10
	v_not_b32_e32 v13, v15
	v_ashrrev_i32_e32 v12, 31, v12
	s_wait_alu 0xfffd
	v_xor_b32_e32 v11, vcc_lo, v11
	v_cmp_gt_i32_e32 vcc_lo, 0, v15
	v_and_b32_e32 v10, v10, v28
	v_not_b32_e32 v15, v26
	v_ashrrev_i32_e32 v13, 31, v13
	s_wait_alu 0xf1ff
	v_xor_b32_e32 v12, s4, v12
	v_cmp_gt_i32_e64 s4, 0, v26
	v_and_b32_e32 v10, v10, v11
	v_not_b32_e32 v11, v27
	v_ashrrev_i32_e32 v15, 31, v15
	s_wait_alu 0xfffd
	v_xor_b32_e32 v13, vcc_lo, v13
	v_cmp_gt_i32_e32 vcc_lo, 0, v27
	v_and_b32_e32 v10, v10, v12
	v_not_b32_e32 v12, v14
	v_ashrrev_i32_e32 v11, 31, v11
	s_wait_alu 0xf1ff
	v_xor_b32_e32 v15, s4, v15
	v_cmp_gt_i32_e64 s4, 0, v14
	v_and_b32_e32 v10, v10, v13
	v_ashrrev_i32_e32 v12, 31, v12
	s_wait_alu 0xfffd
	v_xor_b32_e32 v11, vcc_lo, v11
	v_lshl_add_u32 v28, v9, 2, v8
	v_and_b32_e32 v10, v10, v15
	s_wait_alu 0xf1ff
	v_xor_b32_e32 v9, s4, v12
	ds_load_b32 v26, v28 offset:4
	v_and_b32_e32 v10, v10, v11
	; wave barrier
	s_delay_alu instid0(VALU_DEP_1) | instskip(NEXT) | instid1(VALU_DEP_1)
	v_and_b32_e32 v9, v10, v9
	v_mbcnt_lo_u32_b32 v27, v9, 0
	v_cmp_ne_u32_e64 s4, 0, v9
	s_delay_alu instid0(VALU_DEP_2)
	v_cmp_eq_u32_e32 vcc_lo, 0, v27
	s_and_b32 s5, s4, vcc_lo
	s_wait_alu 0xfffe
	s_and_saveexec_b32 s4, s5
	s_cbranch_execz .LBB228_57
; %bb.56:
	s_wait_dscnt 0x0
	v_bcnt_u32_b32 v9, v9, v26
	ds_store_b32 v28, v9 offset:4
.LBB228_57:
	s_wait_alu 0xfffe
	s_or_b32 exec_lo, exec_lo, s4
	v_lshrrev_b16 v9, 8, v22
	v_cmp_ne_u16_e32 vcc_lo, 0x8000, v22
	; wave barrier
	s_wait_alu 0xfffd
	s_delay_alu instid0(VALU_DEP_2) | instskip(NEXT) | instid1(VALU_DEP_1)
	v_cndmask_b32_e32 v9, 0x7f, v9, vcc_lo
	v_and_b32_e32 v9, s13, v9
	s_delay_alu instid0(VALU_DEP_1)
	v_and_b32_e32 v10, 1, v9
	v_lshlrev_b32_e32 v11, 30, v9
	v_lshlrev_b32_e32 v12, 29, v9
	;; [unrolled: 1-line block ×4, first 2 shown]
	v_add_co_u32 v10, s4, v10, -1
	s_wait_alu 0xf1ff
	v_cndmask_b32_e64 v14, 0, 1, s4
	v_not_b32_e32 v31, v11
	v_cmp_gt_i32_e64 s4, 0, v11
	v_not_b32_e32 v11, v12
	v_lshlrev_b32_e32 v29, 26, v9
	v_cmp_ne_u32_e32 vcc_lo, 0, v14
	v_ashrrev_i32_e32 v31, 31, v31
	v_lshlrev_b32_e32 v30, 25, v9
	v_ashrrev_i32_e32 v11, 31, v11
	v_lshlrev_b32_e32 v14, 24, v9
	s_wait_alu 0xfffd
	v_xor_b32_e32 v10, vcc_lo, v10
	v_cmp_gt_i32_e32 vcc_lo, 0, v12
	v_not_b32_e32 v12, v13
	s_wait_alu 0xf1ff
	v_xor_b32_e32 v31, s4, v31
	v_cmp_gt_i32_e64 s4, 0, v13
	v_and_b32_e32 v10, exec_lo, v10
	v_not_b32_e32 v13, v15
	v_ashrrev_i32_e32 v12, 31, v12
	s_wait_alu 0xfffd
	v_xor_b32_e32 v11, vcc_lo, v11
	v_cmp_gt_i32_e32 vcc_lo, 0, v15
	v_and_b32_e32 v10, v10, v31
	v_not_b32_e32 v15, v29
	v_ashrrev_i32_e32 v13, 31, v13
	s_wait_alu 0xf1ff
	v_xor_b32_e32 v12, s4, v12
	v_cmp_gt_i32_e64 s4, 0, v29
	v_and_b32_e32 v10, v10, v11
	v_not_b32_e32 v11, v30
	v_ashrrev_i32_e32 v15, 31, v15
	s_wait_alu 0xfffd
	v_xor_b32_e32 v13, vcc_lo, v13
	v_cmp_gt_i32_e32 vcc_lo, 0, v30
	v_and_b32_e32 v10, v10, v12
	v_not_b32_e32 v12, v14
	v_ashrrev_i32_e32 v11, 31, v11
	s_wait_alu 0xf1ff
	v_xor_b32_e32 v15, s4, v15
	v_cmp_gt_i32_e64 s4, 0, v14
	v_and_b32_e32 v10, v10, v13
	v_ashrrev_i32_e32 v12, 31, v12
	s_wait_alu 0xfffd
	v_xor_b32_e32 v11, vcc_lo, v11
	v_lshl_add_u32 v31, v9, 2, v8
	v_and_b32_e32 v10, v10, v15
	s_wait_alu 0xf1ff
	v_xor_b32_e32 v9, s4, v12
	ds_load_b32 v29, v31 offset:4
	v_and_b32_e32 v10, v10, v11
	; wave barrier
	s_delay_alu instid0(VALU_DEP_1) | instskip(NEXT) | instid1(VALU_DEP_1)
	v_and_b32_e32 v9, v10, v9
	v_mbcnt_lo_u32_b32 v30, v9, 0
	v_cmp_ne_u32_e64 s4, 0, v9
	s_delay_alu instid0(VALU_DEP_2)
	v_cmp_eq_u32_e32 vcc_lo, 0, v30
	s_and_b32 s5, s4, vcc_lo
	s_wait_alu 0xfffe
	s_and_saveexec_b32 s4, s5
	s_cbranch_execz .LBB228_59
; %bb.58:
	s_wait_dscnt 0x0
	v_bcnt_u32_b32 v9, v9, v29
	ds_store_b32 v31, v9 offset:4
.LBB228_59:
	s_wait_alu 0xfffe
	s_or_b32 exec_lo, exec_lo, s4
	v_lshrrev_b16 v9, 8, v24
	v_cmp_ne_u16_e32 vcc_lo, 0x8000, v24
	; wave barrier
	s_wait_alu 0xfffd
	s_delay_alu instid0(VALU_DEP_2) | instskip(NEXT) | instid1(VALU_DEP_1)
	v_cndmask_b32_e32 v9, 0x7f, v9, vcc_lo
	v_and_b32_e32 v9, s13, v9
	s_delay_alu instid0(VALU_DEP_1)
	v_and_b32_e32 v10, 1, v9
	v_lshlrev_b32_e32 v11, 30, v9
	v_lshlrev_b32_e32 v12, 29, v9
	;; [unrolled: 1-line block ×4, first 2 shown]
	v_add_co_u32 v10, s4, v10, -1
	s_wait_alu 0xf1ff
	v_cndmask_b32_e64 v14, 0, 1, s4
	v_not_b32_e32 v46, v11
	v_cmp_gt_i32_e64 s4, 0, v11
	v_not_b32_e32 v11, v12
	v_lshlrev_b32_e32 v43, 26, v9
	v_cmp_ne_u32_e32 vcc_lo, 0, v14
	v_ashrrev_i32_e32 v46, 31, v46
	v_lshlrev_b32_e32 v45, 25, v9
	v_ashrrev_i32_e32 v11, 31, v11
	v_lshlrev_b32_e32 v14, 24, v9
	s_wait_alu 0xfffd
	v_xor_b32_e32 v10, vcc_lo, v10
	v_cmp_gt_i32_e32 vcc_lo, 0, v12
	v_not_b32_e32 v12, v13
	s_wait_alu 0xf1ff
	v_xor_b32_e32 v46, s4, v46
	v_cmp_gt_i32_e64 s4, 0, v13
	v_and_b32_e32 v10, exec_lo, v10
	v_not_b32_e32 v13, v15
	v_ashrrev_i32_e32 v12, 31, v12
	s_wait_alu 0xfffd
	v_xor_b32_e32 v11, vcc_lo, v11
	v_cmp_gt_i32_e32 vcc_lo, 0, v15
	v_and_b32_e32 v10, v10, v46
	v_not_b32_e32 v15, v43
	v_ashrrev_i32_e32 v13, 31, v13
	s_wait_alu 0xf1ff
	v_xor_b32_e32 v12, s4, v12
	v_cmp_gt_i32_e64 s4, 0, v43
	v_and_b32_e32 v10, v10, v11
	v_not_b32_e32 v11, v45
	v_ashrrev_i32_e32 v15, 31, v15
	s_wait_alu 0xfffd
	v_xor_b32_e32 v13, vcc_lo, v13
	v_cmp_gt_i32_e32 vcc_lo, 0, v45
	v_and_b32_e32 v10, v10, v12
	v_not_b32_e32 v12, v14
	v_ashrrev_i32_e32 v11, 31, v11
	s_wait_alu 0xf1ff
	v_xor_b32_e32 v15, s4, v15
	v_cmp_gt_i32_e64 s4, 0, v14
	v_and_b32_e32 v10, v10, v13
	v_ashrrev_i32_e32 v12, 31, v12
	s_wait_alu 0xfffd
	v_xor_b32_e32 v11, vcc_lo, v11
	v_lshl_add_u32 v46, v9, 2, v8
	v_and_b32_e32 v10, v10, v15
	s_wait_alu 0xf1ff
	v_xor_b32_e32 v8, s4, v12
	ds_load_b32 v43, v46 offset:4
	v_and_b32_e32 v9, v10, v11
	; wave barrier
	s_delay_alu instid0(VALU_DEP_1) | instskip(NEXT) | instid1(VALU_DEP_1)
	v_and_b32_e32 v8, v9, v8
	v_mbcnt_lo_u32_b32 v45, v8, 0
	v_cmp_ne_u32_e64 s4, 0, v8
	s_delay_alu instid0(VALU_DEP_2)
	v_cmp_eq_u32_e32 vcc_lo, 0, v45
	s_and_b32 s5, s4, vcc_lo
	s_wait_alu 0xfffe
	s_and_saveexec_b32 s4, s5
	s_cbranch_execz .LBB228_61
; %bb.60:
	s_wait_dscnt 0x0
	v_bcnt_u32_b32 v8, v8, v43
	ds_store_b32 v46, v8 offset:4
.LBB228_61:
	s_wait_alu 0xfffe
	s_or_b32 exec_lo, exec_lo, s4
	; wave barrier
	; wave barrier
	s_wait_loadcnt_dscnt 0x0
	global_inv scope:SCOPE_SE
	ds_load_2addr_b32 v[14:15], v42 offset0:1 offset1:2
	ds_load_2addr_b32 v[12:13], v42 offset0:3 offset1:4
	ds_load_2addr_b32 v[10:11], v42 offset0:5 offset1:6
	ds_load_2addr_b32 v[8:9], v42 offset0:7 offset1:8
	s_wait_dscnt 0x3
	v_add_nc_u32_e32 v47, v15, v14
	s_wait_dscnt 0x2
	s_delay_alu instid0(VALU_DEP_1) | instskip(SKIP_1) | instid1(VALU_DEP_1)
	v_add3_u32 v47, v47, v12, v13
	s_wait_dscnt 0x1
	v_add3_u32 v47, v47, v10, v11
	s_wait_dscnt 0x0
	s_delay_alu instid0(VALU_DEP_1) | instskip(NEXT) | instid1(VALU_DEP_1)
	v_add3_u32 v9, v47, v8, v9
	v_mov_b32_dpp v47, v9 row_shr:1 row_mask:0xf bank_mask:0xf
	s_delay_alu instid0(VALU_DEP_1) | instskip(NEXT) | instid1(VALU_DEP_1)
	v_cndmask_b32_e64 v47, v47, 0, s6
	v_add_nc_u32_e32 v9, v47, v9
	s_delay_alu instid0(VALU_DEP_1) | instskip(NEXT) | instid1(VALU_DEP_1)
	v_mov_b32_dpp v47, v9 row_shr:2 row_mask:0xf bank_mask:0xf
	v_cndmask_b32_e64 v47, 0, v47, s7
	s_delay_alu instid0(VALU_DEP_1) | instskip(NEXT) | instid1(VALU_DEP_1)
	v_add_nc_u32_e32 v9, v9, v47
	v_mov_b32_dpp v47, v9 row_shr:4 row_mask:0xf bank_mask:0xf
	s_delay_alu instid0(VALU_DEP_1) | instskip(NEXT) | instid1(VALU_DEP_1)
	v_cndmask_b32_e64 v47, 0, v47, s8
	v_add_nc_u32_e32 v9, v9, v47
	s_delay_alu instid0(VALU_DEP_1) | instskip(NEXT) | instid1(VALU_DEP_1)
	v_mov_b32_dpp v47, v9 row_shr:8 row_mask:0xf bank_mask:0xf
	v_cndmask_b32_e64 v47, 0, v47, s9
	s_delay_alu instid0(VALU_DEP_1) | instskip(SKIP_3) | instid1(VALU_DEP_1)
	v_add_nc_u32_e32 v9, v9, v47
	ds_swizzle_b32 v47, v9 offset:swizzle(BROADCAST,32,15)
	s_wait_dscnt 0x0
	v_cndmask_b32_e64 v47, v47, 0, s11
	v_add_nc_u32_e32 v9, v9, v47
	s_and_saveexec_b32 s4, s10
; %bb.62:
	v_mov_b32_e32 v47, 0
	ds_store_b32 v47, v9
; %bb.63:
	s_wait_alu 0xfffe
	s_or_b32 exec_lo, exec_lo, s4
	ds_bpermute_b32 v9, v44, v9
	; wave barrier
	s_wait_loadcnt_dscnt 0x0
	global_inv scope:SCOPE_SE
	v_cndmask_b32_e64 v9, v9, 0, s15
	s_delay_alu instid0(VALU_DEP_1) | instskip(NEXT) | instid1(VALU_DEP_1)
	v_add_nc_u32_e32 v14, v9, v14
	v_add_nc_u32_e32 v15, v14, v15
	s_delay_alu instid0(VALU_DEP_1) | instskip(NEXT) | instid1(VALU_DEP_1)
	v_add_nc_u32_e32 v12, v15, v12
	v_add_nc_u32_e32 v13, v12, v13
	s_delay_alu instid0(VALU_DEP_1) | instskip(NEXT) | instid1(VALU_DEP_1)
	v_add_nc_u32_e32 v10, v13, v10
	v_add_nc_u32_e32 v11, v10, v11
	s_delay_alu instid0(VALU_DEP_1)
	v_add_nc_u32_e32 v8, v11, v8
	ds_store_2addr_b32 v42, v9, v14 offset0:1 offset1:2
	ds_store_2addr_b32 v42, v15, v12 offset0:3 offset1:4
	;; [unrolled: 1-line block ×4, first 2 shown]
	; wave barrier
	s_wait_loadcnt_dscnt 0x0
	global_inv scope:SCOPE_SE
	ds_load_b32 v8, v25 offset:4
	ds_load_b32 v9, v28 offset:4
	;; [unrolled: 1-line block ×4, first 2 shown]
	v_lshlrev_b32_e32 v12, 1, v41
	; wave barrier
	s_wait_loadcnt_dscnt 0x0
	global_inv scope:SCOPE_SE
	v_add_nc_u32_e32 v15, v8, v23
	v_add3_u32 v23, v27, v26, v9
	v_add3_u32 v25, v30, v29, v10
	;; [unrolled: 1-line block ×3, first 2 shown]
	s_delay_alu instid0(VALU_DEP_4) | instskip(NEXT) | instid1(VALU_DEP_4)
	v_lshlrev_b32_e32 v8, 1, v15
	v_lshlrev_b32_e32 v9, 1, v23
	s_delay_alu instid0(VALU_DEP_4) | instskip(NEXT) | instid1(VALU_DEP_4)
	v_lshlrev_b32_e32 v10, 1, v25
	v_lshlrev_b32_e32 v11, 1, v26
	ds_store_b16 v8, v16
	ds_store_b16 v9, v21
	;; [unrolled: 1-line block ×4, first 2 shown]
	; wave barrier
	s_wait_loadcnt_dscnt 0x0
	global_inv scope:SCOPE_SE
	ds_load_b64 v[13:14], v12
	v_mad_co_u64_u32 v[15:16], null, v15, 6, v[8:9]
	v_mad_co_u64_u32 v[8:9], null, v23, 6, v[9:10]
	;; [unrolled: 1-line block ×3, first 2 shown]
	; wave barrier
	s_wait_loadcnt_dscnt 0x0
	global_inv scope:SCOPE_SE
	ds_store_b64 v15, v[4:5]
	ds_store_b64 v8, v[6:7]
	v_cmp_gt_i16_e32 vcc_lo, 0, v13
	v_lshrrev_b32_e32 v10, 16, v13
	v_lshrrev_b32_e32 v16, 16, v14
	s_wait_alu 0xfffd
	v_cndmask_b32_e64 v12, 0x7fff, 0, vcc_lo
	v_cmp_gt_i16_e32 vcc_lo, 0, v14
	s_wait_alu 0xfffd
	v_cndmask_b32_e64 v21, 0x7fff, 0, vcc_lo
	v_cmp_gt_i16_e32 vcc_lo, 0, v10
	v_mad_co_u64_u32 v[10:11], null, v26, 6, v[11:12]
	ds_store_b64 v9, v[0:1]
	ds_store_b64 v10, v[2:3]
	s_wait_alu 0xfffd
	v_cndmask_b32_e64 v22, 0x7fff, 0, vcc_lo
	v_cmp_gt_i16_e32 vcc_lo, 0, v16
	; wave barrier
	s_wait_loadcnt_dscnt 0x0
	global_inv scope:SCOPE_SE
	v_perm_b32 v11, v22, v12, 0x5040100
	s_wait_alu 0xfffd
	v_cndmask_b32_e64 v16, 0x7fff, 0, vcc_lo
	s_delay_alu instid0(VALU_DEP_2) | instskip(NEXT) | instid1(VALU_DEP_2)
	v_xor_b32_e32 v13, v11, v13
	v_perm_b32 v12, v16, v21, 0x5040100
	s_delay_alu instid0(VALU_DEP_1)
	v_xor_b32_e32 v14, v12, v14
.LBB228_64:
	ds_load_b128 v[0:3], v40
	ds_load_b128 v[4:7], v40 offset:16
	; wave barrier
	s_wait_loadcnt_dscnt 0x0
	global_inv scope:SCOPE_SE
	ds_store_2addr_b32 v35, v13, v14 offset1:1
	; wave barrier
	s_wait_loadcnt_dscnt 0x0
	global_inv scope:SCOPE_SE
	ds_load_u16 v12, v18 offset:64
	ds_load_u16 v11, v33 offset:128
	;; [unrolled: 1-line block ×3, first 2 shown]
	v_mov_b32_e32 v18, 0
	s_delay_alu instid0(VALU_DEP_1) | instskip(NEXT) | instid1(VALU_DEP_1)
	v_lshlrev_b64_e32 v[8:9], 1, v[17:18]
	v_add_co_u32 v8, vcc_lo, s18, v8
	s_wait_alu 0xfffd
	s_delay_alu instid0(VALU_DEP_2)
	v_add_co_ci_u32_e64 v9, null, s19, v9, vcc_lo
	s_and_saveexec_b32 s4, s0
	s_cbranch_execnz .LBB228_75
; %bb.65:
	s_wait_alu 0xfffe
	s_or_b32 exec_lo, exec_lo, s4
	s_and_saveexec_b32 s4, s1
	s_cbranch_execnz .LBB228_76
.LBB228_66:
	s_wait_alu 0xfffe
	s_or_b32 exec_lo, exec_lo, s4
	s_and_saveexec_b32 s4, s2
	s_cbranch_execnz .LBB228_77
.LBB228_67:
	s_wait_alu 0xfffe
	s_or_b32 exec_lo, exec_lo, s4
	s_and_saveexec_b32 s4, s3
	s_cbranch_execz .LBB228_69
.LBB228_68:
	s_mul_i32 s6, s14, 0x60
	s_mov_b32 s7, 0
	s_wait_alu 0xfffe
	s_lshl_b64 s[6:7], s[6:7], 1
	s_wait_alu 0xfffe
	v_add_co_u32 v8, vcc_lo, v8, s6
	s_wait_alu 0xfffd
	v_add_co_ci_u32_e64 v9, null, s7, v9, vcc_lo
	s_wait_dscnt 0x0
	global_store_b16 v[8:9], v10, off
.LBB228_69:
	s_wait_alu 0xfffe
	s_or_b32 exec_lo, exec_lo, s4
	s_wait_storecnt 0x0
	; wave barrier
	s_wait_loadcnt_dscnt 0x0
	global_inv scope:SCOPE_SE
	ds_store_2addr_b64 v39, v[0:1], v[2:3] offset1:1
	ds_store_2addr_b64 v39, v[4:5], v[6:7] offset0:2 offset1:3
	; wave barrier
	s_wait_loadcnt_dscnt 0x0
	global_inv scope:SCOPE_SE
	ds_load_b64 v[6:7], v20 offset:256
	ds_load_b64 v[4:5], v37 offset:512
	ds_load_b64 v[0:1], v38 offset:768
	v_mov_b32_e32 v20, 0
	s_delay_alu instid0(VALU_DEP_1) | instskip(NEXT) | instid1(VALU_DEP_1)
	v_lshlrev_b64_e32 v[2:3], 3, v[19:20]
	v_add_co_u32 v2, vcc_lo, s20, v2
	s_wait_alu 0xfffd
	s_delay_alu instid0(VALU_DEP_2)
	v_add_co_ci_u32_e64 v3, null, s21, v3, vcc_lo
	s_and_saveexec_b32 s4, s0
	s_cbranch_execnz .LBB228_78
; %bb.70:
	s_wait_alu 0xfffe
	s_or_b32 exec_lo, exec_lo, s4
	s_and_saveexec_b32 s0, s1
	s_cbranch_execnz .LBB228_79
.LBB228_71:
	s_or_b32 exec_lo, exec_lo, s0
	s_and_saveexec_b32 s0, s2
	s_cbranch_execnz .LBB228_80
.LBB228_72:
	s_or_b32 exec_lo, exec_lo, s0
	s_and_saveexec_b32 s0, s3
	s_cbranch_execz .LBB228_74
.LBB228_73:
	s_mul_i32 s0, s16, 0x60
	s_mov_b32 s1, 0
	s_delay_alu instid0(SALU_CYCLE_1) | instskip(NEXT) | instid1(SALU_CYCLE_1)
	s_lshl_b64 s[0:1], s[0:1], 3
	v_add_co_u32 v2, vcc_lo, v2, s0
	s_wait_alu 0xfffd
	v_add_co_ci_u32_e64 v3, null, s1, v3, vcc_lo
	s_wait_dscnt 0x0
	global_store_b64 v[2:3], v[0:1], off
.LBB228_74:
	s_endpgm
.LBB228_75:
	ds_load_u16 v13, v32
	s_wait_dscnt 0x0
	global_store_b16 v[8:9], v13, off
	s_wait_alu 0xfffe
	s_or_b32 exec_lo, exec_lo, s4
	s_and_saveexec_b32 s4, s1
	s_cbranch_execz .LBB228_66
.LBB228_76:
	s_lshl_b32 s6, s14, 5
	s_mov_b32 s7, 0
	s_wait_alu 0xfffe
	s_lshl_b64 s[6:7], s[6:7], 1
	s_wait_alu 0xfffe
	v_add_co_u32 v13, vcc_lo, v8, s6
	s_wait_alu 0xfffd
	v_add_co_ci_u32_e64 v14, null, s7, v9, vcc_lo
	s_wait_dscnt 0x2
	global_store_b16 v[13:14], v12, off
	s_or_b32 exec_lo, exec_lo, s4
	s_and_saveexec_b32 s4, s2
	s_cbranch_execz .LBB228_67
.LBB228_77:
	s_lshl_b32 s6, s14, 6
	s_mov_b32 s7, 0
	s_wait_alu 0xfffe
	s_lshl_b64 s[6:7], s[6:7], 1
	s_wait_dscnt 0x2
	s_wait_alu 0xfffe
	v_add_co_u32 v12, vcc_lo, v8, s6
	s_wait_alu 0xfffd
	v_add_co_ci_u32_e64 v13, null, s7, v9, vcc_lo
	s_wait_dscnt 0x1
	global_store_b16 v[12:13], v11, off
	s_or_b32 exec_lo, exec_lo, s4
	s_and_saveexec_b32 s4, s3
	s_cbranch_execnz .LBB228_68
	s_branch .LBB228_69
.LBB228_78:
	ds_load_b64 v[8:9], v36
	s_wait_dscnt 0x0
	global_store_b64 v[2:3], v[8:9], off
	s_wait_alu 0xfffe
	s_or_b32 exec_lo, exec_lo, s4
	s_and_saveexec_b32 s0, s1
	s_cbranch_execz .LBB228_71
.LBB228_79:
	s_lshl_b32 s4, s16, 5
	s_mov_b32 s5, 0
	s_wait_alu 0xfffe
	s_lshl_b64 s[4:5], s[4:5], 3
	s_wait_alu 0xfffe
	v_add_co_u32 v8, vcc_lo, v2, s4
	s_wait_alu 0xfffd
	v_add_co_ci_u32_e64 v9, null, s5, v3, vcc_lo
	s_wait_dscnt 0x2
	global_store_b64 v[8:9], v[6:7], off
	s_or_b32 exec_lo, exec_lo, s0
	s_and_saveexec_b32 s0, s2
	s_cbranch_execz .LBB228_72
.LBB228_80:
	s_lshl_b32 s4, s16, 6
	s_mov_b32 s5, 0
	s_wait_alu 0xfffe
	s_lshl_b64 s[4:5], s[4:5], 3
	s_wait_dscnt 0x2
	s_wait_alu 0xfffe
	v_add_co_u32 v6, vcc_lo, v2, s4
	s_wait_alu 0xfffd
	v_add_co_ci_u32_e64 v7, null, s5, v3, vcc_lo
	s_wait_dscnt 0x1
	global_store_b64 v[6:7], v[4:5], off
	s_or_b32 exec_lo, exec_lo, s0
	s_and_saveexec_b32 s0, s3
	s_cbranch_execnz .LBB228_73
	s_branch .LBB228_74
	.section	.rodata,"a",@progbits
	.p2align	6, 0x0
	.amdhsa_kernel _ZN2at6native18radixSortKVInPlaceILi2ELin1ELi32ELi4EN3c104HalfEljEEvNS_4cuda6detail10TensorInfoIT3_T5_EES8_S8_S8_NS6_IT4_S8_EES8_b
		.amdhsa_group_segment_fixed_size 1056
		.amdhsa_private_segment_fixed_size 0
		.amdhsa_kernarg_size 712
		.amdhsa_user_sgpr_count 2
		.amdhsa_user_sgpr_dispatch_ptr 0
		.amdhsa_user_sgpr_queue_ptr 0
		.amdhsa_user_sgpr_kernarg_segment_ptr 1
		.amdhsa_user_sgpr_dispatch_id 0
		.amdhsa_user_sgpr_private_segment_size 0
		.amdhsa_wavefront_size32 1
		.amdhsa_uses_dynamic_stack 0
		.amdhsa_enable_private_segment 0
		.amdhsa_system_sgpr_workgroup_id_x 1
		.amdhsa_system_sgpr_workgroup_id_y 1
		.amdhsa_system_sgpr_workgroup_id_z 1
		.amdhsa_system_sgpr_workgroup_info 0
		.amdhsa_system_vgpr_workitem_id 2
		.amdhsa_next_free_vgpr 94
		.amdhsa_next_free_sgpr 24
		.amdhsa_reserve_vcc 1
		.amdhsa_float_round_mode_32 0
		.amdhsa_float_round_mode_16_64 0
		.amdhsa_float_denorm_mode_32 3
		.amdhsa_float_denorm_mode_16_64 3
		.amdhsa_fp16_overflow 0
		.amdhsa_workgroup_processor_mode 1
		.amdhsa_memory_ordered 1
		.amdhsa_forward_progress 1
		.amdhsa_inst_pref_size 111
		.amdhsa_round_robin_scheduling 0
		.amdhsa_exception_fp_ieee_invalid_op 0
		.amdhsa_exception_fp_denorm_src 0
		.amdhsa_exception_fp_ieee_div_zero 0
		.amdhsa_exception_fp_ieee_overflow 0
		.amdhsa_exception_fp_ieee_underflow 0
		.amdhsa_exception_fp_ieee_inexact 0
		.amdhsa_exception_int_div_zero 0
	.end_amdhsa_kernel
	.section	.text._ZN2at6native18radixSortKVInPlaceILi2ELin1ELi32ELi4EN3c104HalfEljEEvNS_4cuda6detail10TensorInfoIT3_T5_EES8_S8_S8_NS6_IT4_S8_EES8_b,"axG",@progbits,_ZN2at6native18radixSortKVInPlaceILi2ELin1ELi32ELi4EN3c104HalfEljEEvNS_4cuda6detail10TensorInfoIT3_T5_EES8_S8_S8_NS6_IT4_S8_EES8_b,comdat
.Lfunc_end228:
	.size	_ZN2at6native18radixSortKVInPlaceILi2ELin1ELi32ELi4EN3c104HalfEljEEvNS_4cuda6detail10TensorInfoIT3_T5_EES8_S8_S8_NS6_IT4_S8_EES8_b, .Lfunc_end228-_ZN2at6native18radixSortKVInPlaceILi2ELin1ELi32ELi4EN3c104HalfEljEEvNS_4cuda6detail10TensorInfoIT3_T5_EES8_S8_S8_NS6_IT4_S8_EES8_b
                                        ; -- End function
	.set _ZN2at6native18radixSortKVInPlaceILi2ELin1ELi32ELi4EN3c104HalfEljEEvNS_4cuda6detail10TensorInfoIT3_T5_EES8_S8_S8_NS6_IT4_S8_EES8_b.num_vgpr, 94
	.set _ZN2at6native18radixSortKVInPlaceILi2ELin1ELi32ELi4EN3c104HalfEljEEvNS_4cuda6detail10TensorInfoIT3_T5_EES8_S8_S8_NS6_IT4_S8_EES8_b.num_agpr, 0
	.set _ZN2at6native18radixSortKVInPlaceILi2ELin1ELi32ELi4EN3c104HalfEljEEvNS_4cuda6detail10TensorInfoIT3_T5_EES8_S8_S8_NS6_IT4_S8_EES8_b.numbered_sgpr, 24
	.set _ZN2at6native18radixSortKVInPlaceILi2ELin1ELi32ELi4EN3c104HalfEljEEvNS_4cuda6detail10TensorInfoIT3_T5_EES8_S8_S8_NS6_IT4_S8_EES8_b.num_named_barrier, 0
	.set _ZN2at6native18radixSortKVInPlaceILi2ELin1ELi32ELi4EN3c104HalfEljEEvNS_4cuda6detail10TensorInfoIT3_T5_EES8_S8_S8_NS6_IT4_S8_EES8_b.private_seg_size, 0
	.set _ZN2at6native18radixSortKVInPlaceILi2ELin1ELi32ELi4EN3c104HalfEljEEvNS_4cuda6detail10TensorInfoIT3_T5_EES8_S8_S8_NS6_IT4_S8_EES8_b.uses_vcc, 1
	.set _ZN2at6native18radixSortKVInPlaceILi2ELin1ELi32ELi4EN3c104HalfEljEEvNS_4cuda6detail10TensorInfoIT3_T5_EES8_S8_S8_NS6_IT4_S8_EES8_b.uses_flat_scratch, 0
	.set _ZN2at6native18radixSortKVInPlaceILi2ELin1ELi32ELi4EN3c104HalfEljEEvNS_4cuda6detail10TensorInfoIT3_T5_EES8_S8_S8_NS6_IT4_S8_EES8_b.has_dyn_sized_stack, 0
	.set _ZN2at6native18radixSortKVInPlaceILi2ELin1ELi32ELi4EN3c104HalfEljEEvNS_4cuda6detail10TensorInfoIT3_T5_EES8_S8_S8_NS6_IT4_S8_EES8_b.has_recursion, 0
	.set _ZN2at6native18radixSortKVInPlaceILi2ELin1ELi32ELi4EN3c104HalfEljEEvNS_4cuda6detail10TensorInfoIT3_T5_EES8_S8_S8_NS6_IT4_S8_EES8_b.has_indirect_call, 0
	.section	.AMDGPU.csdata,"",@progbits
; Kernel info:
; codeLenInByte = 14108
; TotalNumSgprs: 26
; NumVgprs: 94
; ScratchSize: 0
; MemoryBound: 0
; FloatMode: 240
; IeeeMode: 1
; LDSByteSize: 1056 bytes/workgroup (compile time only)
; SGPRBlocks: 0
; VGPRBlocks: 11
; NumSGPRsForWavesPerEU: 26
; NumVGPRsForWavesPerEU: 94
; Occupancy: 16
; WaveLimiterHint : 1
; COMPUTE_PGM_RSRC2:SCRATCH_EN: 0
; COMPUTE_PGM_RSRC2:USER_SGPR: 2
; COMPUTE_PGM_RSRC2:TRAP_HANDLER: 0
; COMPUTE_PGM_RSRC2:TGID_X_EN: 1
; COMPUTE_PGM_RSRC2:TGID_Y_EN: 1
; COMPUTE_PGM_RSRC2:TGID_Z_EN: 1
; COMPUTE_PGM_RSRC2:TIDIG_COMP_CNT: 2
	.section	.text._ZN2at6native18radixSortKVInPlaceILi2ELin1ELi16ELi2EN3c104HalfEljEEvNS_4cuda6detail10TensorInfoIT3_T5_EES8_S8_S8_NS6_IT4_S8_EES8_b,"axG",@progbits,_ZN2at6native18radixSortKVInPlaceILi2ELin1ELi16ELi2EN3c104HalfEljEEvNS_4cuda6detail10TensorInfoIT3_T5_EES8_S8_S8_NS6_IT4_S8_EES8_b,comdat
	.protected	_ZN2at6native18radixSortKVInPlaceILi2ELin1ELi16ELi2EN3c104HalfEljEEvNS_4cuda6detail10TensorInfoIT3_T5_EES8_S8_S8_NS6_IT4_S8_EES8_b ; -- Begin function _ZN2at6native18radixSortKVInPlaceILi2ELin1ELi16ELi2EN3c104HalfEljEEvNS_4cuda6detail10TensorInfoIT3_T5_EES8_S8_S8_NS6_IT4_S8_EES8_b
	.globl	_ZN2at6native18radixSortKVInPlaceILi2ELin1ELi16ELi2EN3c104HalfEljEEvNS_4cuda6detail10TensorInfoIT3_T5_EES8_S8_S8_NS6_IT4_S8_EES8_b
	.p2align	8
	.type	_ZN2at6native18radixSortKVInPlaceILi2ELin1ELi16ELi2EN3c104HalfEljEEvNS_4cuda6detail10TensorInfoIT3_T5_EES8_S8_S8_NS6_IT4_S8_EES8_b,@function
_ZN2at6native18radixSortKVInPlaceILi2ELin1ELi16ELi2EN3c104HalfEljEEvNS_4cuda6detail10TensorInfoIT3_T5_EES8_S8_S8_NS6_IT4_S8_EES8_b: ; @_ZN2at6native18radixSortKVInPlaceILi2ELin1ELi16ELi2EN3c104HalfEljEEvNS_4cuda6detail10TensorInfoIT3_T5_EES8_S8_S8_NS6_IT4_S8_EES8_b
; %bb.0:
	s_clause 0x1
	s_load_b64 s[2:3], s[0:1], 0x1c8
	s_load_b96 s[8:10], s[0:1], 0xd8
	s_lshr_b32 s4, ttmp7, 16
	s_wait_kmcnt 0x0
	s_mul_i32 s3, s3, s4
	s_and_b32 s4, ttmp7, 0xffff
	s_delay_alu instid0(SALU_CYCLE_1) | instskip(NEXT) | instid1(SALU_CYCLE_1)
	s_add_co_i32 s3, s3, s4
	s_mul_i32 s2, s3, s2
	s_delay_alu instid0(SALU_CYCLE_1) | instskip(NEXT) | instid1(SALU_CYCLE_1)
	s_add_co_i32 s6, s2, ttmp9
	s_cmp_ge_u32 s6, s8
	s_cbranch_scc1 .LBB229_112
; %bb.1:
	s_clause 0x2
	s_load_b32 s8, s[0:1], 0xc
	s_load_b64 s[14:15], s[0:1], 0x6c
	s_load_b32 s11, s[0:1], 0x1b8
	s_mov_b32 s7, 0
	s_add_nc_u64 s[4:5], s[0:1], 0xe8
	s_mov_b32 s13, s7
	s_wait_kmcnt 0x0
	s_cvt_f32_u32 s2, s8
	s_sub_co_i32 s3, 0, s8
	s_delay_alu instid0(SALU_CYCLE_2) | instskip(NEXT) | instid1(TRANS32_DEP_1)
	v_rcp_iflag_f32_e32 v1, s2
	v_readfirstlane_b32 s2, v1
	s_mul_f32 s2, s2, 0x4f7ffffe
	s_wait_alu 0xfffe
	s_delay_alu instid0(SALU_CYCLE_2) | instskip(SKIP_1) | instid1(SALU_CYCLE_2)
	s_cvt_u32_f32 s2, s2
	s_wait_alu 0xfffe
	s_mul_i32 s3, s3, s2
	s_wait_alu 0xfffe
	s_mul_hi_u32 s3, s2, s3
	s_wait_alu 0xfffe
	s_add_co_i32 s12, s2, s3
	s_cmp_lt_i32 s11, 2
	s_mov_b32 s2, s6
	s_mov_b32 s3, s7
	s_cbranch_scc1 .LBB229_4
; %bb.2:
	s_add_co_i32 s2, s11, -1
	s_mov_b32 s3, 0
	s_add_co_i32 s11, s11, 1
	s_wait_alu 0xfffe
	s_lshl_b64 s[16:17], s[2:3], 2
	s_mov_b32 s2, s6
	s_add_nc_u64 s[16:17], s[4:5], s[16:17]
	s_delay_alu instid0(SALU_CYCLE_1)
	s_add_nc_u64 s[16:17], s[16:17], 8
.LBB229_3:                              ; =>This Inner Loop Header: Depth=1
	s_clause 0x1
	s_load_b32 s18, s[16:17], 0x0
	s_load_b32 s19, s[16:17], 0x64
	s_mov_b32 s22, s2
	s_add_nc_u64 s[16:17], s[16:17], -4
	s_wait_kmcnt 0x0
	s_cvt_f32_u32 s20, s18
	s_sub_co_i32 s21, 0, s18
	s_wait_alu 0xfffe
	s_delay_alu instid0(SALU_CYCLE_1) | instskip(NEXT) | instid1(TRANS32_DEP_1)
	v_rcp_iflag_f32_e32 v1, s20
	v_readfirstlane_b32 s20, v1
	s_mul_f32 s20, s20, 0x4f7ffffe
	s_wait_alu 0xfffe
	s_delay_alu instid0(SALU_CYCLE_2) | instskip(SKIP_1) | instid1(SALU_CYCLE_2)
	s_cvt_u32_f32 s20, s20
	s_wait_alu 0xfffe
	s_mul_i32 s21, s21, s20
	s_wait_alu 0xfffe
	s_mul_hi_u32 s21, s20, s21
	s_wait_alu 0xfffe
	s_add_co_i32 s20, s20, s21
	s_wait_alu 0xfffe
	s_mul_hi_u32 s2, s2, s20
	s_wait_alu 0xfffe
	s_mul_i32 s20, s2, s18
	s_add_co_i32 s21, s2, 1
	s_wait_alu 0xfffe
	s_sub_co_i32 s20, s22, s20
	s_wait_alu 0xfffe
	s_sub_co_i32 s23, s20, s18
	s_cmp_ge_u32 s20, s18
	s_cselect_b32 s2, s21, s2
	s_cselect_b32 s20, s23, s20
	s_wait_alu 0xfffe
	s_add_co_i32 s21, s2, 1
	s_cmp_ge_u32 s20, s18
	s_wait_alu 0xfffe
	s_cselect_b32 s2, s21, s2
	s_add_co_i32 s11, s11, -1
	s_wait_alu 0xfffe
	s_mul_i32 s18, s2, s18
	s_delay_alu instid0(SALU_CYCLE_1) | instskip(NEXT) | instid1(SALU_CYCLE_1)
	s_sub_co_i32 s18, s22, s18
	s_mul_i32 s18, s19, s18
	s_delay_alu instid0(SALU_CYCLE_1)
	s_add_co_i32 s3, s18, s3
	s_cmp_gt_u32 s11, 2
	s_cbranch_scc1 .LBB229_3
.LBB229_4:
	s_mul_u64 s[18:19], s[6:7], s[12:13]
	s_clause 0x1
	s_load_b64 s[16:17], s[0:1], 0x0
	s_load_b64 s[12:13], s[0:1], 0x1c0
	s_mul_i32 s7, s19, s8
	s_add_co_i32 s1, s19, 1
	s_sub_co_i32 s0, s6, s7
	v_mul_lo_u32 v20, s10, v0
	s_sub_co_i32 s7, s0, s8
	s_cmp_ge_u32 s0, s8
	s_cselect_b32 s1, s1, s19
	s_cselect_b32 s0, s7, s0
	s_add_co_i32 s7, s1, 1
	s_cmp_ge_u32 s0, s8
	s_cselect_b32 s0, s7, s1
	s_delay_alu instid0(SALU_CYCLE_1) | instskip(SKIP_2) | instid1(SALU_CYCLE_1)
	s_mul_i32 s1, s0, s8
	s_mul_i32 s0, s0, s14
	s_sub_co_i32 s1, s6, s1
	s_mul_i32 s1, s1, s15
	s_mov_b32 s15, 0
	s_add_co_i32 s14, s0, s1
	s_wait_kmcnt 0x0
	s_bitcmp1_b32 s13, 0
	s_mov_b32 s0, 0xffff
	s_cselect_b32 s6, -1, 0
	s_delay_alu instid0(SALU_CYCLE_1) | instskip(SKIP_4) | instid1(SALU_CYCLE_1)
	s_and_b32 s1, s6, exec_lo
	s_cselect_b32 s8, s0, 0x7fff
	v_cmp_gt_u32_e64 s0, s9, v0
	v_mov_b32_e32 v1, s8
	s_lshl_b64 s[14:15], s[14:15], 1
	s_add_nc_u64 s[14:15], s[16:17], s[14:15]
	s_and_saveexec_b32 s1, s0
	s_cbranch_execz .LBB229_6
; %bb.5:
	v_mov_b32_e32 v21, 0
	s_delay_alu instid0(VALU_DEP_1) | instskip(NEXT) | instid1(VALU_DEP_1)
	v_lshlrev_b64_e32 v[1:2], 1, v[20:21]
	v_add_co_u32 v1, vcc_lo, s14, v1
	s_delay_alu instid0(VALU_DEP_1)
	v_add_co_ci_u32_e64 v2, null, s15, v2, vcc_lo
	global_load_u16 v1, v[1:2], off
.LBB229_6:
	s_or_b32 exec_lo, exec_lo, s1
	s_clause 0x1
	s_load_b32 s7, s[4:5], 0x6c
	s_load_b64 s[4:5], s[4:5], 0x0
	v_or_b32_e32 v3, 16, v0
	v_mov_b32_e32 v2, s8
	s_delay_alu instid0(VALU_DEP_2)
	v_cmp_gt_u32_e64 s1, s9, v3
	s_and_saveexec_b32 s8, s1
	s_cbranch_execz .LBB229_8
; %bb.7:
	v_mul_lo_u32 v4, s10, v3
	v_mov_b32_e32 v5, 0
	s_delay_alu instid0(VALU_DEP_1) | instskip(NEXT) | instid1(VALU_DEP_1)
	v_lshlrev_b64_e32 v[4:5], 1, v[4:5]
	v_add_co_u32 v4, vcc_lo, s14, v4
	s_wait_alu 0xfffd
	s_delay_alu instid0(VALU_DEP_2)
	v_add_co_ci_u32_e64 v5, null, s15, v5, vcc_lo
	global_load_u16 v2, v[4:5], off
.LBB229_8:
	s_wait_alu 0xfffe
	s_or_b32 exec_lo, exec_lo, s8
	v_lshlrev_b32_e32 v22, 1, v0
	v_dual_mov_b32 v18, 0 :: v_dual_lshlrev_b32 v21, 2, v0
	s_wait_kmcnt 0x0
	s_mul_i32 s2, s7, s2
	v_mul_lo_u32 v17, s12, v0
	s_wait_loadcnt 0x0
	ds_store_b16 v22, v1
	ds_store_b16 v22, v2 offset:32
	s_wait_dscnt 0x0
	; wave barrier
	global_inv scope:SCOPE_SE
	ds_load_b32 v27, v21
	s_wait_alu 0xfffe
	s_add_co_i32 s2, s2, s3
	s_mov_b32 s3, 0
	v_mov_b32_e32 v1, 0
	v_dual_mov_b32 v2, 0 :: v_dual_mov_b32 v19, v18
	s_wait_alu 0xfffe
	s_lshl_b64 s[2:3], s[2:3], 3
	s_wait_loadcnt_dscnt 0x0
	s_wait_alu 0xfffe
	s_add_nc_u64 s[8:9], s[4:5], s[2:3]
	; wave barrier
	global_inv scope:SCOPE_SE
	s_and_saveexec_b32 s2, s0
	s_cbranch_execz .LBB229_10
; %bb.9:
	v_lshlrev_b64_e32 v[1:2], 3, v[17:18]
	v_mov_b32_e32 v19, v18
	s_wait_alu 0xfffe
	s_delay_alu instid0(VALU_DEP_2) | instskip(SKIP_1) | instid1(VALU_DEP_3)
	v_add_co_u32 v1, vcc_lo, s8, v1
	s_wait_alu 0xfffd
	v_add_co_ci_u32_e64 v2, null, s9, v2, vcc_lo
	global_load_b64 v[1:2], v[1:2], off
.LBB229_10:
	s_wait_alu 0xfffe
	s_or_b32 exec_lo, exec_lo, s2
	s_xor_b32 s16, s6, -1
	s_and_saveexec_b32 s2, s1
	s_cbranch_execz .LBB229_12
; %bb.11:
	v_mul_lo_u32 v3, s12, v3
	v_mov_b32_e32 v4, 0
	s_delay_alu instid0(VALU_DEP_1) | instskip(NEXT) | instid1(VALU_DEP_1)
	v_lshlrev_b64_e32 v[3:4], 3, v[3:4]
	v_add_co_u32 v3, vcc_lo, s8, v3
	s_wait_alu 0xfffd
	s_delay_alu instid0(VALU_DEP_2)
	v_add_co_ci_u32_e64 v4, null, s9, v4, vcc_lo
	global_load_b64 v[18:19], v[3:4], off
.LBB229_12:
	s_wait_alu 0xfffe
	s_or_b32 exec_lo, exec_lo, s2
	v_mbcnt_lo_u32_b32 v5, -1, 0
	v_lshlrev_b32_e32 v23, 3, v0
	s_getpc_b64 s[2:3]
	s_wait_alu 0xfffe
	s_sext_i32_i16 s3, s3
	s_add_co_u32 s2, s2, _ZN7rocprim17ROCPRIM_400000_NS16block_radix_sortI6__halfLj16ELj2ElLj1ELj1ELj0ELNS0_26block_radix_rank_algorithmE1ELNS0_18block_padding_hintE2ELNS0_4arch9wavefront6targetE0EE19radix_bits_per_passE@rel32@lo+12
	s_wait_alu 0xfffe
	s_add_co_ci_u32 s3, s3, _ZN7rocprim17ROCPRIM_400000_NS16block_radix_sortI6__halfLj16ELj2ElLj1ELj1ELj0ELNS0_26block_radix_rank_algorithmE1ELNS0_18block_padding_hintE2ELNS0_4arch9wavefront6targetE0EE19radix_bits_per_passE@rel32@hi+24
	v_lshlrev_b32_e32 v25, 5, v0
	s_load_b32 s13, s[2:3], 0x0
	v_sub_co_u32 v7, s11, v5, 1
	v_and_b32_e32 v8, 16, v5
	s_wait_loadcnt 0x0
	ds_store_2addr_b64 v23, v[1:2], v[18:19] offset1:16
	s_wait_dscnt 0x0
	; wave barrier
	global_inv scope:SCOPE_SE
	v_and_b32_e32 v6, 15, v5
	v_cmp_lt_i32_e32 vcc_lo, v7, v8
	v_lshlrev_b32_e32 v24, 3, v22
	v_mad_i32_i24 v19, 0xffffffe4, v0, v25
	v_lshrrev_b32_e32 v28, 16, v27
	v_cmp_gt_u32_e64 s7, 0x80, v0
	s_wait_alu 0xfffd
	v_cndmask_b32_e32 v5, v7, v5, vcc_lo
	ds_load_2addr_b64 v[1:4], v24 offset1:1
	v_cmp_eq_u32_e64 s5, 0, v6
	v_cmp_lt_u32_e64 s3, 1, v6
	v_cmp_lt_u32_e64 s6, 3, v6
	;; [unrolled: 1-line block ×3, first 2 shown]
	v_cmp_eq_u32_e64 s2, 15, v0
	v_lshlrev_b32_e32 v26, 2, v5
	v_mad_u32_u24 v18, v0, 12, v19
	s_and_b32 vcc_lo, exec_lo, s16
	s_mov_b32 s16, -1
	; wave barrier
	s_wait_loadcnt_dscnt 0x0
	global_inv scope:SCOPE_SE
	s_wait_alu 0xfffe
	s_cbranch_vccz .LBB229_58
; %bb.13:
	s_and_saveexec_b32 s16, s7
	s_cbranch_execz .LBB229_22
; %bb.14:
	v_mov_b32_e32 v5, 0
	v_cmp_gt_u32_e32 vcc_lo, 0x70, v0
	ds_store_b32 v21, v5
	s_and_b32 exec_lo, exec_lo, vcc_lo
	s_cbranch_execz .LBB229_22
; %bb.15:
	v_cmp_gt_u32_e32 vcc_lo, 0x60, v0
	ds_store_b32 v21, v5 offset:64
	s_and_b32 exec_lo, exec_lo, vcc_lo
	s_cbranch_execz .LBB229_22
; %bb.16:
	v_mov_b32_e32 v5, 0
	v_cmp_gt_u32_e32 vcc_lo, 0x50, v0
	ds_store_b32 v21, v5 offset:128
	s_and_b32 exec_lo, exec_lo, vcc_lo
	s_cbranch_execz .LBB229_22
; %bb.17:
	v_cmp_gt_u32_e32 vcc_lo, 64, v0
	ds_store_b32 v21, v5 offset:192
	s_and_b32 exec_lo, exec_lo, vcc_lo
	s_cbranch_execz .LBB229_22
; %bb.18:
	v_mov_b32_e32 v5, 0
	v_cmp_gt_u32_e32 vcc_lo, 48, v0
	ds_store_b32 v21, v5 offset:256
	;; [unrolled: 11-line block ×3, first 2 shown]
	s_and_b32 exec_lo, exec_lo, vcc_lo
; %bb.21:
	ds_store_b32 v21, v5 offset:448
.LBB229_22:
	s_or_b32 exec_lo, exec_lo, s16
	v_cmp_lt_i16_e32 vcc_lo, -1, v27
	s_wait_kmcnt 0x0
	s_min_u32 s16, s13, 16
	s_delay_alu instid0(SALU_CYCLE_1) | instskip(NEXT) | instid1(SALU_CYCLE_1)
	s_lshl_b32 s16, -1, s16
	s_not_b32 s16, s16
	s_wait_alu 0xfffd
	v_cndmask_b32_e64 v5, -1, 0xffff8000, vcc_lo
	s_delay_alu instid0(VALU_DEP_1) | instskip(NEXT) | instid1(VALU_DEP_1)
	v_xor_b32_e32 v13, v5, v27
	v_cmp_ne_u16_e32 vcc_lo, 0x7fff, v13
	s_wait_alu 0xfffd
	v_cndmask_b32_e32 v5, 0xffff8000, v13, vcc_lo
	v_cmp_lt_i16_e32 vcc_lo, -1, v28
	s_delay_alu instid0(VALU_DEP_2) | instskip(SKIP_2) | instid1(VALU_DEP_2)
	v_and_b32_e32 v5, 0xffff, v5
	s_wait_alu 0xfffd
	v_cndmask_b32_e64 v7, -1, 0xffff8000, vcc_lo
	v_and_b32_e32 v5, s16, v5
	s_delay_alu instid0(VALU_DEP_2) | instskip(NEXT) | instid1(VALU_DEP_1)
	v_xor_b32_e32 v14, v7, v28
	v_cmp_ne_u16_e32 vcc_lo, 0x7fff, v14
	s_delay_alu instid0(VALU_DEP_3) | instskip(SKIP_1) | instid1(VALU_DEP_2)
	v_lshlrev_b32_e32 v6, 4, v5
	v_lshrrev_b32_e32 v5, 2, v5
	v_and_or_b32 v6, 0x70, v6, v0
	s_delay_alu instid0(VALU_DEP_2) | instskip(NEXT) | instid1(VALU_DEP_1)
	v_and_b32_e32 v5, 0x3ffe, v5
	v_lshl_add_u32 v15, v6, 2, v5
	s_wait_alu 0xfffd
	v_cndmask_b32_e32 v5, 0xffff8000, v14, vcc_lo
	ds_load_u16 v16, v15
	v_and_b32_e32 v5, 0xffff, v5
	s_delay_alu instid0(VALU_DEP_1) | instskip(NEXT) | instid1(VALU_DEP_1)
	v_and_b32_e32 v5, s16, v5
	v_lshlrev_b32_e32 v6, 4, v5
	v_lshrrev_b32_e32 v5, 2, v5
	s_delay_alu instid0(VALU_DEP_2) | instskip(NEXT) | instid1(VALU_DEP_2)
	v_and_or_b32 v6, 0x70, v6, v0
	v_and_b32_e32 v5, 0x3ffe, v5
	s_wait_dscnt 0x0
	v_add_nc_u16 v7, v16, 1
	s_delay_alu instid0(VALU_DEP_2)
	v_lshl_add_u32 v29, v6, 2, v5
	ds_store_b16 v15, v7
	ds_load_u16 v31, v29
	s_wait_dscnt 0x0
	v_add_nc_u16 v5, v31, 1
	ds_store_b16 v29, v5
	; wave barrier
	s_wait_loadcnt_dscnt 0x0
	global_inv scope:SCOPE_SE
	ds_load_b128 v[9:12], v25
	ds_load_b128 v[5:8], v25 offset:16
	s_wait_dscnt 0x1
	v_add_nc_u32_e32 v30, v10, v9
	s_delay_alu instid0(VALU_DEP_1) | instskip(SKIP_1) | instid1(VALU_DEP_1)
	v_add3_u32 v30, v30, v11, v12
	s_wait_dscnt 0x0
	v_add3_u32 v30, v30, v5, v6
	s_delay_alu instid0(VALU_DEP_1) | instskip(NEXT) | instid1(VALU_DEP_1)
	v_add3_u32 v8, v30, v7, v8
	v_mov_b32_dpp v30, v8 row_shr:1 row_mask:0xf bank_mask:0xf
	s_delay_alu instid0(VALU_DEP_1) | instskip(NEXT) | instid1(VALU_DEP_1)
	v_cndmask_b32_e64 v30, v30, 0, s5
	v_add_nc_u32_e32 v8, v30, v8
	s_delay_alu instid0(VALU_DEP_1) | instskip(NEXT) | instid1(VALU_DEP_1)
	v_mov_b32_dpp v30, v8 row_shr:2 row_mask:0xf bank_mask:0xf
	v_cndmask_b32_e64 v30, 0, v30, s3
	s_delay_alu instid0(VALU_DEP_1) | instskip(NEXT) | instid1(VALU_DEP_1)
	v_add_nc_u32_e32 v8, v8, v30
	v_mov_b32_dpp v30, v8 row_shr:4 row_mask:0xf bank_mask:0xf
	s_delay_alu instid0(VALU_DEP_1) | instskip(NEXT) | instid1(VALU_DEP_1)
	v_cndmask_b32_e64 v30, 0, v30, s6
	v_add_nc_u32_e32 v8, v8, v30
	s_delay_alu instid0(VALU_DEP_1) | instskip(NEXT) | instid1(VALU_DEP_1)
	v_mov_b32_dpp v30, v8 row_shr:8 row_mask:0xf bank_mask:0xf
	v_cndmask_b32_e64 v30, 0, v30, s4
	s_delay_alu instid0(VALU_DEP_1)
	v_add_nc_u32_e32 v8, v8, v30
	s_and_saveexec_b32 s16, s2
; %bb.23:
	v_mov_b32_e32 v30, 0
	ds_store_b32 v30, v8 offset:512
; %bb.24:
	s_wait_alu 0xfffe
	s_or_b32 exec_lo, exec_lo, s16
	ds_bpermute_b32 v8, v26, v8
	v_mov_b32_e32 v30, 0
	; wave barrier
	s_wait_loadcnt_dscnt 0x0
	global_inv scope:SCOPE_SE
	ds_load_b32 v32, v30 offset:512
	v_cndmask_b32_e64 v8, v8, 0, s11
	s_wait_dscnt 0x0
	s_delay_alu instid0(VALU_DEP_1) | instskip(NEXT) | instid1(VALU_DEP_1)
	v_lshl_add_u32 v8, v32, 16, v8
	v_add_nc_u32_e32 v9, v8, v9
	s_delay_alu instid0(VALU_DEP_1) | instskip(NEXT) | instid1(VALU_DEP_1)
	v_add_nc_u32_e32 v10, v9, v10
	v_add_nc_u32_e32 v11, v10, v11
	s_delay_alu instid0(VALU_DEP_1) | instskip(NEXT) | instid1(VALU_DEP_1)
	v_add_nc_u32_e32 v32, v11, v12
	v_add_nc_u32_e32 v33, v32, v5
	s_delay_alu instid0(VALU_DEP_1) | instskip(NEXT) | instid1(VALU_DEP_1)
	v_add_nc_u32_e32 v34, v33, v6
	v_add_nc_u32_e32 v35, v34, v7
	v_and_b32_e32 v7, 0xffff, v16
	ds_store_b128 v25, v[8:11]
	ds_store_b128 v25, v[32:35] offset:16
	; wave barrier
	s_wait_loadcnt_dscnt 0x0
	global_inv scope:SCOPE_SE
	ds_load_u16 v5, v15
	ds_load_u16 v6, v29
	v_and_b32_e32 v8, 0xffff, v31
	; wave barrier
	s_wait_loadcnt_dscnt 0x0
	global_inv scope:SCOPE_SE
	v_add_nc_u32_e32 v5, v5, v7
	v_add_nc_u32_e32 v6, v6, v8
	s_delay_alu instid0(VALU_DEP_2) | instskip(NEXT) | instid1(VALU_DEP_2)
	v_lshlrev_b32_e32 v7, 1, v5
	v_lshlrev_b32_e32 v8, 1, v6
	ds_store_b16 v7, v13
	ds_store_b16 v8, v14
	v_mad_u32_u24 v5, v5, 6, v7
	v_mad_u32_u24 v6, v6, 6, v8
	; wave barrier
	s_wait_loadcnt_dscnt 0x0
	global_inv scope:SCOPE_SE
	ds_load_b32 v29, v19
	; wave barrier
	s_wait_loadcnt_dscnt 0x0
	global_inv scope:SCOPE_SE
	ds_store_b64 v5, v[1:2]
	ds_store_b64 v6, v[3:4]
	; wave barrier
	s_wait_loadcnt_dscnt 0x0
	global_inv scope:SCOPE_SE
	ds_load_b128 v[5:8], v18
	; wave barrier
	s_wait_loadcnt_dscnt 0x0
	global_inv scope:SCOPE_SE
	s_and_saveexec_b32 s16, s7
	s_cbranch_execz .LBB229_33
; %bb.25:
	v_cmp_gt_u32_e32 vcc_lo, 0x70, v0
	ds_store_b32 v21, v30
	s_and_b32 exec_lo, exec_lo, vcc_lo
	s_cbranch_execz .LBB229_33
; %bb.26:
	v_mov_b32_e32 v9, 0
	v_cmp_gt_u32_e32 vcc_lo, 0x60, v0
	ds_store_b32 v21, v9 offset:64
	s_and_b32 exec_lo, exec_lo, vcc_lo
	s_cbranch_execz .LBB229_33
; %bb.27:
	v_cmp_gt_u32_e32 vcc_lo, 0x50, v0
	ds_store_b32 v21, v9 offset:128
	s_and_b32 exec_lo, exec_lo, vcc_lo
	s_cbranch_execz .LBB229_33
; %bb.28:
	v_mov_b32_e32 v9, 0
	v_cmp_gt_u32_e32 vcc_lo, 64, v0
	ds_store_b32 v21, v9 offset:192
	s_and_b32 exec_lo, exec_lo, vcc_lo
	s_cbranch_execz .LBB229_33
; %bb.29:
	v_cmp_gt_u32_e32 vcc_lo, 48, v0
	ds_store_b32 v21, v9 offset:256
	;; [unrolled: 11-line block ×3, first 2 shown]
	s_and_b32 exec_lo, exec_lo, vcc_lo
; %bb.32:
	v_mov_b32_e32 v9, 0
	ds_store_b32 v21, v9 offset:448
.LBB229_33:
	s_wait_alu 0xfffe
	s_or_b32 exec_lo, exec_lo, s16
	v_lshrrev_b16 v9, 4, v29
	v_cmp_ne_u16_e32 vcc_lo, 0x7fff, v29
	s_min_u32 s16, s13, 12
	v_lshrrev_b32_e32 v30, 16, v29
	s_wait_alu 0xfffe
	s_lshl_b32 s16, -1, s16
	v_lshrrev_b32_e32 v11, 20, v29
	s_wait_alu 0xfffd
	v_cndmask_b32_e32 v9, 0x800, v9, vcc_lo
	s_wait_alu 0xfffe
	s_not_b32 s16, s16
	v_cmp_ne_u16_e32 vcc_lo, 0x7fff, v30
	s_delay_alu instid0(VALU_DEP_2) | instskip(SKIP_1) | instid1(VALU_DEP_1)
	v_and_b32_e32 v9, 0xffff, v9
	s_wait_alu 0xfffe
	v_and_b32_e32 v9, s16, v9
	s_delay_alu instid0(VALU_DEP_1) | instskip(SKIP_1) | instid1(VALU_DEP_2)
	v_lshlrev_b32_e32 v10, 4, v9
	v_lshrrev_b32_e32 v9, 2, v9
	v_and_or_b32 v10, 0x70, v10, v0
	s_delay_alu instid0(VALU_DEP_2) | instskip(NEXT) | instid1(VALU_DEP_1)
	v_and_b32_e32 v9, 0x3fe, v9
	v_lshl_add_u32 v31, v10, 2, v9
	s_wait_alu 0xfffd
	v_cndmask_b32_e32 v9, 0x800, v11, vcc_lo
	ds_load_u16 v32, v31
	v_and_b32_e32 v9, 0xffff, v9
	s_delay_alu instid0(VALU_DEP_1) | instskip(NEXT) | instid1(VALU_DEP_1)
	v_and_b32_e32 v9, s16, v9
	v_lshlrev_b32_e32 v10, 4, v9
	v_lshrrev_b32_e32 v9, 2, v9
	s_delay_alu instid0(VALU_DEP_2) | instskip(NEXT) | instid1(VALU_DEP_2)
	v_and_or_b32 v10, 0x70, v10, v0
	v_and_b32_e32 v9, 0x3fe, v9
	s_wait_dscnt 0x0
	v_add_nc_u16 v11, v32, 1
	s_delay_alu instid0(VALU_DEP_2)
	v_lshl_add_u32 v33, v10, 2, v9
	ds_store_b16 v31, v11
	ds_load_u16 v34, v33
	s_wait_dscnt 0x0
	v_add_nc_u16 v9, v34, 1
	ds_store_b16 v33, v9
	; wave barrier
	s_wait_loadcnt_dscnt 0x0
	global_inv scope:SCOPE_SE
	ds_load_b128 v[13:16], v25
	ds_load_b128 v[9:12], v25 offset:16
	s_wait_dscnt 0x1
	v_add_nc_u32_e32 v35, v14, v13
	s_delay_alu instid0(VALU_DEP_1) | instskip(SKIP_1) | instid1(VALU_DEP_1)
	v_add3_u32 v35, v35, v15, v16
	s_wait_dscnt 0x0
	v_add3_u32 v35, v35, v9, v10
	s_delay_alu instid0(VALU_DEP_1) | instskip(NEXT) | instid1(VALU_DEP_1)
	v_add3_u32 v12, v35, v11, v12
	v_mov_b32_dpp v35, v12 row_shr:1 row_mask:0xf bank_mask:0xf
	s_delay_alu instid0(VALU_DEP_1) | instskip(NEXT) | instid1(VALU_DEP_1)
	v_cndmask_b32_e64 v35, v35, 0, s5
	v_add_nc_u32_e32 v12, v35, v12
	s_delay_alu instid0(VALU_DEP_1) | instskip(NEXT) | instid1(VALU_DEP_1)
	v_mov_b32_dpp v35, v12 row_shr:2 row_mask:0xf bank_mask:0xf
	v_cndmask_b32_e64 v35, 0, v35, s3
	s_delay_alu instid0(VALU_DEP_1) | instskip(NEXT) | instid1(VALU_DEP_1)
	v_add_nc_u32_e32 v12, v12, v35
	v_mov_b32_dpp v35, v12 row_shr:4 row_mask:0xf bank_mask:0xf
	s_delay_alu instid0(VALU_DEP_1) | instskip(NEXT) | instid1(VALU_DEP_1)
	v_cndmask_b32_e64 v35, 0, v35, s6
	v_add_nc_u32_e32 v12, v12, v35
	s_delay_alu instid0(VALU_DEP_1) | instskip(NEXT) | instid1(VALU_DEP_1)
	v_mov_b32_dpp v35, v12 row_shr:8 row_mask:0xf bank_mask:0xf
	v_cndmask_b32_e64 v35, 0, v35, s4
	s_delay_alu instid0(VALU_DEP_1)
	v_add_nc_u32_e32 v12, v12, v35
	s_and_saveexec_b32 s16, s2
; %bb.34:
	v_mov_b32_e32 v35, 0
	ds_store_b32 v35, v12 offset:512
; %bb.35:
	s_wait_alu 0xfffe
	s_or_b32 exec_lo, exec_lo, s16
	ds_bpermute_b32 v35, v26, v12
	v_mov_b32_e32 v12, 0
	; wave barrier
	s_wait_loadcnt_dscnt 0x0
	global_inv scope:SCOPE_SE
	ds_load_b32 v36, v12 offset:512
	v_cndmask_b32_e64 v35, v35, 0, s11
	s_wait_dscnt 0x0
	s_delay_alu instid0(VALU_DEP_1) | instskip(NEXT) | instid1(VALU_DEP_1)
	v_lshl_add_u32 v35, v36, 16, v35
	v_add_nc_u32_e32 v36, v35, v13
	s_delay_alu instid0(VALU_DEP_1) | instskip(NEXT) | instid1(VALU_DEP_1)
	v_add_nc_u32_e32 v37, v36, v14
	v_add_nc_u32_e32 v38, v37, v15
	s_delay_alu instid0(VALU_DEP_1) | instskip(NEXT) | instid1(VALU_DEP_1)
	v_add_nc_u32_e32 v13, v38, v16
	;; [unrolled: 3-line block ×3, first 2 shown]
	v_add_nc_u32_e32 v16, v15, v11
	v_and_b32_e32 v11, 0xffff, v32
	ds_store_b128 v25, v[35:38]
	ds_store_b128 v25, v[13:16] offset:16
	; wave barrier
	s_wait_loadcnt_dscnt 0x0
	global_inv scope:SCOPE_SE
	ds_load_u16 v9, v31
	ds_load_u16 v10, v33
	v_and_b32_e32 v13, 0xffff, v34
	; wave barrier
	s_wait_loadcnt_dscnt 0x0
	global_inv scope:SCOPE_SE
	v_add_nc_u32_e32 v9, v9, v11
	v_add_nc_u32_e32 v10, v10, v13
	s_delay_alu instid0(VALU_DEP_2) | instskip(NEXT) | instid1(VALU_DEP_2)
	v_lshlrev_b32_e32 v11, 1, v9
	v_lshlrev_b32_e32 v13, 1, v10
	ds_store_b16 v11, v29
	ds_store_b16 v13, v30
	v_mad_u32_u24 v9, v9, 6, v11
	v_mad_u32_u24 v10, v10, 6, v13
	; wave barrier
	s_wait_loadcnt_dscnt 0x0
	global_inv scope:SCOPE_SE
	ds_load_b32 v29, v19
	; wave barrier
	s_wait_loadcnt_dscnt 0x0
	global_inv scope:SCOPE_SE
	ds_store_b64 v9, v[5:6]
	ds_store_b64 v10, v[7:8]
	; wave barrier
	s_wait_loadcnt_dscnt 0x0
	global_inv scope:SCOPE_SE
	ds_load_b128 v[5:8], v18
	; wave barrier
	s_wait_loadcnt_dscnt 0x0
	global_inv scope:SCOPE_SE
	s_and_saveexec_b32 s16, s7
	s_cbranch_execz .LBB229_44
; %bb.36:
	v_cmp_gt_u32_e32 vcc_lo, 0x70, v0
	ds_store_b32 v21, v12
	s_and_b32 exec_lo, exec_lo, vcc_lo
	s_cbranch_execz .LBB229_44
; %bb.37:
	v_mov_b32_e32 v9, 0
	v_cmp_gt_u32_e32 vcc_lo, 0x60, v0
	ds_store_b32 v21, v9 offset:64
	s_and_b32 exec_lo, exec_lo, vcc_lo
	s_cbranch_execz .LBB229_44
; %bb.38:
	v_cmp_gt_u32_e32 vcc_lo, 0x50, v0
	ds_store_b32 v21, v9 offset:128
	s_and_b32 exec_lo, exec_lo, vcc_lo
	s_cbranch_execz .LBB229_44
; %bb.39:
	v_mov_b32_e32 v9, 0
	v_cmp_gt_u32_e32 vcc_lo, 64, v0
	ds_store_b32 v21, v9 offset:192
	s_and_b32 exec_lo, exec_lo, vcc_lo
	s_cbranch_execz .LBB229_44
; %bb.40:
	v_cmp_gt_u32_e32 vcc_lo, 48, v0
	ds_store_b32 v21, v9 offset:256
	;; [unrolled: 11-line block ×3, first 2 shown]
	s_and_b32 exec_lo, exec_lo, vcc_lo
; %bb.43:
	v_mov_b32_e32 v9, 0
	ds_store_b32 v21, v9 offset:448
.LBB229_44:
	s_wait_alu 0xfffe
	s_or_b32 exec_lo, exec_lo, s16
	v_lshrrev_b16 v9, 8, v29
	v_cmp_ne_u16_e32 vcc_lo, 0x7fff, v29
	s_min_u32 s16, s13, 8
	v_lshrrev_b32_e32 v30, 16, v29
	s_wait_alu 0xfffe
	s_lshl_b32 s16, -1, s16
	v_lshrrev_b32_e32 v11, 24, v29
	s_wait_alu 0xfffd
	v_cndmask_b32_e32 v9, 0x80, v9, vcc_lo
	s_wait_alu 0xfffe
	s_not_b32 s16, s16
	v_cmp_ne_u16_e32 vcc_lo, 0x7fff, v30
	s_delay_alu instid0(VALU_DEP_2) | instskip(SKIP_1) | instid1(VALU_DEP_1)
	v_and_b32_e32 v9, 0xffff, v9
	s_wait_alu 0xfffe
	v_and_b32_e32 v9, s16, v9
	s_delay_alu instid0(VALU_DEP_1) | instskip(SKIP_1) | instid1(VALU_DEP_2)
	v_lshlrev_b32_e32 v10, 4, v9
	v_lshrrev_b32_e32 v9, 2, v9
	v_and_or_b32 v10, 0x70, v10, v0
	s_delay_alu instid0(VALU_DEP_2) | instskip(NEXT) | instid1(VALU_DEP_1)
	v_and_b32_e32 v9, 62, v9
	v_lshl_add_u32 v31, v10, 2, v9
	s_wait_alu 0xfffd
	v_cndmask_b32_e32 v9, 0x80, v11, vcc_lo
	ds_load_u16 v32, v31
	v_and_b32_e32 v9, 0xffff, v9
	s_delay_alu instid0(VALU_DEP_1) | instskip(NEXT) | instid1(VALU_DEP_1)
	v_and_b32_e32 v9, s16, v9
	v_lshlrev_b32_e32 v10, 4, v9
	v_lshrrev_b32_e32 v9, 2, v9
	s_delay_alu instid0(VALU_DEP_2) | instskip(NEXT) | instid1(VALU_DEP_2)
	v_and_or_b32 v10, 0x70, v10, v0
	v_and_b32_e32 v9, 62, v9
	s_wait_dscnt 0x0
	v_add_nc_u16 v11, v32, 1
	s_delay_alu instid0(VALU_DEP_2)
	v_lshl_add_u32 v33, v10, 2, v9
	ds_store_b16 v31, v11
	ds_load_u16 v34, v33
	s_wait_dscnt 0x0
	v_add_nc_u16 v9, v34, 1
	ds_store_b16 v33, v9
	; wave barrier
	s_wait_loadcnt_dscnt 0x0
	global_inv scope:SCOPE_SE
	ds_load_b128 v[13:16], v25
	ds_load_b128 v[9:12], v25 offset:16
	s_wait_dscnt 0x1
	v_add_nc_u32_e32 v35, v14, v13
	s_delay_alu instid0(VALU_DEP_1) | instskip(SKIP_1) | instid1(VALU_DEP_1)
	v_add3_u32 v35, v35, v15, v16
	s_wait_dscnt 0x0
	v_add3_u32 v35, v35, v9, v10
	s_delay_alu instid0(VALU_DEP_1) | instskip(NEXT) | instid1(VALU_DEP_1)
	v_add3_u32 v12, v35, v11, v12
	v_mov_b32_dpp v35, v12 row_shr:1 row_mask:0xf bank_mask:0xf
	s_delay_alu instid0(VALU_DEP_1) | instskip(NEXT) | instid1(VALU_DEP_1)
	v_cndmask_b32_e64 v35, v35, 0, s5
	v_add_nc_u32_e32 v12, v35, v12
	s_delay_alu instid0(VALU_DEP_1) | instskip(NEXT) | instid1(VALU_DEP_1)
	v_mov_b32_dpp v35, v12 row_shr:2 row_mask:0xf bank_mask:0xf
	v_cndmask_b32_e64 v35, 0, v35, s3
	s_delay_alu instid0(VALU_DEP_1) | instskip(NEXT) | instid1(VALU_DEP_1)
	v_add_nc_u32_e32 v12, v12, v35
	v_mov_b32_dpp v35, v12 row_shr:4 row_mask:0xf bank_mask:0xf
	s_delay_alu instid0(VALU_DEP_1) | instskip(NEXT) | instid1(VALU_DEP_1)
	v_cndmask_b32_e64 v35, 0, v35, s6
	v_add_nc_u32_e32 v12, v12, v35
	s_delay_alu instid0(VALU_DEP_1) | instskip(NEXT) | instid1(VALU_DEP_1)
	v_mov_b32_dpp v35, v12 row_shr:8 row_mask:0xf bank_mask:0xf
	v_cndmask_b32_e64 v35, 0, v35, s4
	s_delay_alu instid0(VALU_DEP_1)
	v_add_nc_u32_e32 v12, v12, v35
	s_and_saveexec_b32 s16, s2
; %bb.45:
	v_mov_b32_e32 v35, 0
	ds_store_b32 v35, v12 offset:512
; %bb.46:
	s_wait_alu 0xfffe
	s_or_b32 exec_lo, exec_lo, s16
	ds_bpermute_b32 v35, v26, v12
	v_mov_b32_e32 v12, 0
	; wave barrier
	s_wait_loadcnt_dscnt 0x0
	global_inv scope:SCOPE_SE
	ds_load_b32 v36, v12 offset:512
	v_cndmask_b32_e64 v35, v35, 0, s11
	s_wait_dscnt 0x0
	s_delay_alu instid0(VALU_DEP_1) | instskip(NEXT) | instid1(VALU_DEP_1)
	v_lshl_add_u32 v35, v36, 16, v35
	v_add_nc_u32_e32 v36, v35, v13
	s_delay_alu instid0(VALU_DEP_1) | instskip(NEXT) | instid1(VALU_DEP_1)
	v_add_nc_u32_e32 v37, v36, v14
	v_add_nc_u32_e32 v38, v37, v15
	s_delay_alu instid0(VALU_DEP_1) | instskip(NEXT) | instid1(VALU_DEP_1)
	v_add_nc_u32_e32 v13, v38, v16
	;; [unrolled: 3-line block ×3, first 2 shown]
	v_add_nc_u32_e32 v16, v15, v11
	v_and_b32_e32 v11, 0xffff, v32
	ds_store_b128 v25, v[35:38]
	ds_store_b128 v25, v[13:16] offset:16
	; wave barrier
	s_wait_loadcnt_dscnt 0x0
	global_inv scope:SCOPE_SE
	ds_load_u16 v9, v31
	ds_load_u16 v10, v33
	v_and_b32_e32 v13, 0xffff, v34
	; wave barrier
	s_wait_loadcnt_dscnt 0x0
	global_inv scope:SCOPE_SE
	v_add_nc_u32_e32 v9, v9, v11
	v_add_nc_u32_e32 v10, v10, v13
	s_delay_alu instid0(VALU_DEP_2) | instskip(NEXT) | instid1(VALU_DEP_2)
	v_lshlrev_b32_e32 v11, 1, v9
	v_lshlrev_b32_e32 v13, 1, v10
	ds_store_b16 v11, v29
	ds_store_b16 v13, v30
	v_mad_u32_u24 v9, v9, 6, v11
	v_mad_u32_u24 v10, v10, 6, v13
	; wave barrier
	s_wait_loadcnt_dscnt 0x0
	global_inv scope:SCOPE_SE
	ds_load_b32 v29, v19
	; wave barrier
	s_wait_loadcnt_dscnt 0x0
	global_inv scope:SCOPE_SE
	ds_store_b64 v9, v[5:6]
	ds_store_b64 v10, v[7:8]
	; wave barrier
	s_wait_loadcnt_dscnt 0x0
	global_inv scope:SCOPE_SE
	ds_load_b128 v[5:8], v18
	; wave barrier
	s_wait_loadcnt_dscnt 0x0
	global_inv scope:SCOPE_SE
	s_and_saveexec_b32 s16, s7
	s_cbranch_execz .LBB229_55
; %bb.47:
	v_cmp_gt_u32_e32 vcc_lo, 0x70, v0
	ds_store_b32 v21, v12
	s_and_b32 exec_lo, exec_lo, vcc_lo
	s_cbranch_execz .LBB229_55
; %bb.48:
	v_mov_b32_e32 v9, 0
	v_cmp_gt_u32_e32 vcc_lo, 0x60, v0
	ds_store_b32 v21, v9 offset:64
	s_and_b32 exec_lo, exec_lo, vcc_lo
	s_cbranch_execz .LBB229_55
; %bb.49:
	v_cmp_gt_u32_e32 vcc_lo, 0x50, v0
	ds_store_b32 v21, v9 offset:128
	s_and_b32 exec_lo, exec_lo, vcc_lo
	s_cbranch_execz .LBB229_55
; %bb.50:
	v_mov_b32_e32 v9, 0
	v_cmp_gt_u32_e32 vcc_lo, 64, v0
	ds_store_b32 v21, v9 offset:192
	s_and_b32 exec_lo, exec_lo, vcc_lo
	s_cbranch_execz .LBB229_55
; %bb.51:
	v_cmp_gt_u32_e32 vcc_lo, 48, v0
	ds_store_b32 v21, v9 offset:256
	s_and_b32 exec_lo, exec_lo, vcc_lo
	s_cbranch_execz .LBB229_55
; %bb.52:
	v_mov_b32_e32 v9, 0
	v_cmp_gt_u32_e32 vcc_lo, 32, v0
	ds_store_b32 v21, v9 offset:320
	s_and_b32 exec_lo, exec_lo, vcc_lo
	s_cbranch_execz .LBB229_55
; %bb.53:
	v_cmp_gt_u32_e32 vcc_lo, 16, v0
	ds_store_b32 v21, v9 offset:384
	s_and_b32 exec_lo, exec_lo, vcc_lo
; %bb.54:
	v_mov_b32_e32 v9, 0
	ds_store_b32 v21, v9 offset:448
.LBB229_55:
	s_wait_alu 0xfffe
	s_or_b32 exec_lo, exec_lo, s16
	v_lshrrev_b16 v9, 12, v29
	v_cmp_ne_u16_e32 vcc_lo, 0x7fff, v29
	s_min_u32 s16, s13, 4
	v_lshrrev_b32_e32 v30, 16, v29
	s_wait_alu 0xfffe
	s_lshl_b32 s16, -1, s16
	v_lshrrev_b32_e32 v11, 28, v29
	s_wait_alu 0xfffd
	v_cndmask_b32_e32 v9, 8, v9, vcc_lo
	s_wait_alu 0xfffe
	s_not_b32 s16, s16
	v_cmp_ne_u16_e32 vcc_lo, 0x7fff, v30
	s_delay_alu instid0(VALU_DEP_2) | instskip(SKIP_1) | instid1(VALU_DEP_1)
	v_and_b32_e32 v9, 0xffff, v9
	s_wait_alu 0xfffe
	v_and_b32_e32 v9, s16, v9
	s_delay_alu instid0(VALU_DEP_1) | instskip(SKIP_1) | instid1(VALU_DEP_2)
	v_lshlrev_b32_e32 v10, 4, v9
	v_lshrrev_b32_e32 v9, 2, v9
	v_and_or_b32 v10, 0x70, v10, v0
	s_delay_alu instid0(VALU_DEP_2) | instskip(NEXT) | instid1(VALU_DEP_1)
	v_and_b32_e32 v9, 2, v9
	v_lshl_or_b32 v31, v10, 2, v9
	s_wait_alu 0xfffd
	v_cndmask_b32_e32 v9, 8, v11, vcc_lo
	ds_load_u16 v32, v31
	v_and_b32_e32 v9, 0xffff, v9
	s_delay_alu instid0(VALU_DEP_1) | instskip(SKIP_1) | instid1(VALU_DEP_1)
	v_and_b32_e32 v9, s16, v9
	s_mov_b32 s16, 0
	v_lshlrev_b32_e32 v10, 4, v9
	v_lshrrev_b32_e32 v9, 2, v9
	s_delay_alu instid0(VALU_DEP_2) | instskip(NEXT) | instid1(VALU_DEP_2)
	v_and_or_b32 v10, 0x70, v10, v0
	v_and_b32_e32 v9, 2, v9
	s_wait_dscnt 0x0
	v_add_nc_u16 v11, v32, 1
	s_delay_alu instid0(VALU_DEP_2)
	v_lshl_or_b32 v33, v10, 2, v9
	ds_store_b16 v31, v11
	ds_load_u16 v34, v33
	s_wait_dscnt 0x0
	v_add_nc_u16 v9, v34, 1
	ds_store_b16 v33, v9
	; wave barrier
	s_wait_loadcnt_dscnt 0x0
	global_inv scope:SCOPE_SE
	ds_load_b128 v[13:16], v25
	ds_load_b128 v[9:12], v25 offset:16
	s_wait_dscnt 0x1
	v_add_nc_u32_e32 v35, v14, v13
	s_delay_alu instid0(VALU_DEP_1) | instskip(SKIP_1) | instid1(VALU_DEP_1)
	v_add3_u32 v35, v35, v15, v16
	s_wait_dscnt 0x0
	v_add3_u32 v35, v35, v9, v10
	s_delay_alu instid0(VALU_DEP_1) | instskip(NEXT) | instid1(VALU_DEP_1)
	v_add3_u32 v12, v35, v11, v12
	v_mov_b32_dpp v35, v12 row_shr:1 row_mask:0xf bank_mask:0xf
	s_delay_alu instid0(VALU_DEP_1) | instskip(NEXT) | instid1(VALU_DEP_1)
	v_cndmask_b32_e64 v35, v35, 0, s5
	v_add_nc_u32_e32 v12, v35, v12
	s_delay_alu instid0(VALU_DEP_1) | instskip(NEXT) | instid1(VALU_DEP_1)
	v_mov_b32_dpp v35, v12 row_shr:2 row_mask:0xf bank_mask:0xf
	v_cndmask_b32_e64 v35, 0, v35, s3
	s_delay_alu instid0(VALU_DEP_1) | instskip(NEXT) | instid1(VALU_DEP_1)
	v_add_nc_u32_e32 v12, v12, v35
	v_mov_b32_dpp v35, v12 row_shr:4 row_mask:0xf bank_mask:0xf
	s_delay_alu instid0(VALU_DEP_1) | instskip(NEXT) | instid1(VALU_DEP_1)
	v_cndmask_b32_e64 v35, 0, v35, s6
	v_add_nc_u32_e32 v12, v12, v35
	s_delay_alu instid0(VALU_DEP_1) | instskip(NEXT) | instid1(VALU_DEP_1)
	v_mov_b32_dpp v35, v12 row_shr:8 row_mask:0xf bank_mask:0xf
	v_cndmask_b32_e64 v35, 0, v35, s4
	s_delay_alu instid0(VALU_DEP_1)
	v_add_nc_u32_e32 v12, v12, v35
	s_and_saveexec_b32 s17, s2
; %bb.56:
	v_mov_b32_e32 v35, 0
	ds_store_b32 v35, v12 offset:512
; %bb.57:
	s_wait_alu 0xfffe
	s_or_b32 exec_lo, exec_lo, s17
	ds_bpermute_b32 v12, v26, v12
	v_mov_b32_e32 v35, 0
	; wave barrier
	s_wait_loadcnt_dscnt 0x0
	global_inv scope:SCOPE_SE
	ds_load_b32 v35, v35 offset:512
	v_cndmask_b32_e64 v12, v12, 0, s11
	s_wait_dscnt 0x0
	s_delay_alu instid0(VALU_DEP_1) | instskip(NEXT) | instid1(VALU_DEP_1)
	v_lshl_add_u32 v12, v35, 16, v12
	v_add_nc_u32_e32 v13, v12, v13
	s_delay_alu instid0(VALU_DEP_1) | instskip(NEXT) | instid1(VALU_DEP_1)
	v_add_nc_u32_e32 v14, v13, v14
	v_add_nc_u32_e32 v15, v14, v15
	s_delay_alu instid0(VALU_DEP_1) | instskip(NEXT) | instid1(VALU_DEP_1)
	v_add_nc_u32_e32 v35, v15, v16
	;; [unrolled: 3-line block ×3, first 2 shown]
	v_add_nc_u32_e32 v38, v37, v11
	v_and_b32_e32 v11, 0xffff, v32
	ds_store_b128 v25, v[12:15]
	ds_store_b128 v25, v[35:38] offset:16
	; wave barrier
	s_wait_loadcnt_dscnt 0x0
	global_inv scope:SCOPE_SE
	ds_load_u16 v9, v31
	ds_load_u16 v10, v33
	v_and_b32_e32 v12, 0xffff, v34
	; wave barrier
	s_wait_loadcnt_dscnt 0x0
	global_inv scope:SCOPE_SE
	v_add_nc_u32_e32 v9, v9, v11
	v_add_nc_u32_e32 v10, v10, v12
	s_delay_alu instid0(VALU_DEP_2) | instskip(NEXT) | instid1(VALU_DEP_2)
	v_lshlrev_b32_e32 v11, 1, v9
	v_lshlrev_b32_e32 v12, 1, v10
	ds_store_b16 v11, v29
	ds_store_b16 v12, v30
	; wave barrier
	s_wait_loadcnt_dscnt 0x0
	global_inv scope:SCOPE_SE
	ds_load_b32 v13, v19
	v_mad_u32_u24 v9, v9, 6, v11
	v_mad_u32_u24 v10, v10, 6, v12
	; wave barrier
	s_wait_loadcnt_dscnt 0x0
	global_inv scope:SCOPE_SE
	ds_store_b64 v9, v[5:6]
	ds_store_b64 v10, v[7:8]
	; wave barrier
	s_wait_loadcnt_dscnt 0x0
	global_inv scope:SCOPE_SE
	ds_load_b128 v[5:8], v18
	v_lshrrev_b32_e32 v9, 16, v13
	v_cmp_lt_i16_e32 vcc_lo, -1, v13
	s_wait_alu 0xfffd
	v_cndmask_b32_e64 v10, 0xffff8000, -1, vcc_lo
	s_delay_alu instid0(VALU_DEP_3) | instskip(SKIP_2) | instid1(VALU_DEP_1)
	v_cmp_lt_i16_e32 vcc_lo, -1, v9
	s_wait_alu 0xfffd
	v_cndmask_b32_e64 v9, 0xffff8000, -1, vcc_lo
	v_perm_b32 v9, v9, v10, 0x5040100
	s_delay_alu instid0(VALU_DEP_1)
	v_xor_b32_e32 v9, v9, v13
	s_and_b32 vcc_lo, exec_lo, s16
	s_wait_alu 0xfffe
	s_cbranch_vccnz .LBB229_59
	s_branch .LBB229_104
.LBB229_58:
                                        ; implicit-def: $vgpr7_vgpr8
                                        ; implicit-def: $vgpr9
	s_and_b32 vcc_lo, exec_lo, s16
	s_wait_alu 0xfffe
	s_cbranch_vccz .LBB229_104
.LBB229_59:
	s_and_saveexec_b32 s16, s7
	s_cbranch_execz .LBB229_68
; %bb.60:
	s_wait_dscnt 0x0
	v_mad_i32_i24 v5, v0, -12, v18
	v_mov_b32_e32 v6, 0
	v_cmp_gt_u32_e32 vcc_lo, 0x70, v0
	ds_store_b32 v5, v6
	s_and_b32 exec_lo, exec_lo, vcc_lo
	s_cbranch_execz .LBB229_68
; %bb.61:
	v_mul_i32_i24_e32 v5, -12, v0
	v_cmp_gt_u32_e32 vcc_lo, 0x60, v0
	s_delay_alu instid0(VALU_DEP_2)
	v_add_nc_u32_e32 v5, v18, v5
	ds_store_b32 v5, v6 offset:64
	s_and_b32 exec_lo, exec_lo, vcc_lo
	s_cbranch_execz .LBB229_68
; %bb.62:
	v_mov_b32_e32 v6, 0
	v_cmp_gt_u32_e32 vcc_lo, 0x50, v0
	ds_store_b32 v5, v6 offset:128
	s_and_b32 exec_lo, exec_lo, vcc_lo
	s_cbranch_execz .LBB229_68
; %bb.63:
	v_cmp_gt_u32_e32 vcc_lo, 64, v0
	ds_store_b32 v5, v6 offset:192
	s_and_b32 exec_lo, exec_lo, vcc_lo
	s_cbranch_execz .LBB229_68
; %bb.64:
	v_mov_b32_e32 v6, 0
	v_cmp_gt_u32_e32 vcc_lo, 48, v0
	ds_store_b32 v5, v6 offset:256
	s_and_b32 exec_lo, exec_lo, vcc_lo
	s_cbranch_execz .LBB229_68
; %bb.65:
	v_cmp_gt_u32_e32 vcc_lo, 32, v0
	ds_store_b32 v5, v6 offset:320
	s_and_b32 exec_lo, exec_lo, vcc_lo
	s_cbranch_execz .LBB229_68
; %bb.66:
	v_mov_b32_e32 v6, 0
	v_cmp_gt_u32_e32 vcc_lo, 16, v0
	ds_store_b32 v5, v6 offset:384
	s_and_b32 exec_lo, exec_lo, vcc_lo
; %bb.67:
	ds_store_b32 v5, v6 offset:448
.LBB229_68:
	s_wait_alu 0xfffe
	s_or_b32 exec_lo, exec_lo, s16
	v_cmp_gt_i16_e32 vcc_lo, 0, v27
	s_wait_kmcnt 0x0
	s_min_u32 s16, s13, 16
	s_wait_alu 0xfffe
	s_lshl_b32 s16, -1, s16
	s_wait_alu 0xfffe
	s_not_b32 s16, s16
	s_wait_dscnt 0x0
	s_wait_alu 0xfffd
	v_cndmask_b32_e64 v5, 0x7fff, 0, vcc_lo
	s_delay_alu instid0(VALU_DEP_1) | instskip(NEXT) | instid1(VALU_DEP_1)
	v_xor_b32_e32 v13, v5, v27
	v_cmp_ne_u16_e32 vcc_lo, 0x8000, v13
	s_wait_alu 0xfffd
	v_cndmask_b32_e32 v5, 0x7fff, v13, vcc_lo
	v_cmp_gt_i16_e32 vcc_lo, 0, v28
	s_delay_alu instid0(VALU_DEP_2) | instskip(SKIP_3) | instid1(VALU_DEP_2)
	v_and_b32_e32 v5, 0xffff, v5
	s_wait_alu 0xfffd
	v_cndmask_b32_e64 v7, 0x7fff, 0, vcc_lo
	s_wait_alu 0xfffe
	v_and_b32_e32 v5, s16, v5
	s_delay_alu instid0(VALU_DEP_2) | instskip(NEXT) | instid1(VALU_DEP_1)
	v_xor_b32_e32 v14, v7, v28
	v_cmp_ne_u16_e32 vcc_lo, 0x8000, v14
	s_delay_alu instid0(VALU_DEP_3) | instskip(SKIP_1) | instid1(VALU_DEP_2)
	v_lshlrev_b32_e32 v6, 4, v5
	v_lshrrev_b32_e32 v5, 2, v5
	v_and_or_b32 v6, 0x70, v6, v0
	s_delay_alu instid0(VALU_DEP_2) | instskip(NEXT) | instid1(VALU_DEP_1)
	v_and_b32_e32 v5, 0x3ffe, v5
	v_lshl_add_u32 v15, v6, 2, v5
	s_wait_alu 0xfffd
	v_cndmask_b32_e32 v5, 0x7fff, v14, vcc_lo
	ds_load_u16 v16, v15
	v_and_b32_e32 v5, 0xffff, v5
	s_delay_alu instid0(VALU_DEP_1) | instskip(NEXT) | instid1(VALU_DEP_1)
	v_and_b32_e32 v5, s16, v5
	v_lshlrev_b32_e32 v6, 4, v5
	v_lshrrev_b32_e32 v5, 2, v5
	s_delay_alu instid0(VALU_DEP_2) | instskip(NEXT) | instid1(VALU_DEP_2)
	v_and_or_b32 v6, 0x70, v6, v0
	v_and_b32_e32 v5, 0x3ffe, v5
	s_wait_dscnt 0x0
	v_add_nc_u16 v7, v16, 1
	s_delay_alu instid0(VALU_DEP_2)
	v_lshl_add_u32 v27, v6, 2, v5
	ds_store_b16 v15, v7
	ds_load_u16 v28, v27
	s_wait_dscnt 0x0
	v_add_nc_u16 v5, v28, 1
	ds_store_b16 v27, v5
	; wave barrier
	s_wait_loadcnt_dscnt 0x0
	global_inv scope:SCOPE_SE
	ds_load_b128 v[9:12], v25
	ds_load_b128 v[5:8], v25 offset:16
	s_wait_dscnt 0x1
	v_add_nc_u32_e32 v29, v10, v9
	s_delay_alu instid0(VALU_DEP_1) | instskip(SKIP_1) | instid1(VALU_DEP_1)
	v_add3_u32 v29, v29, v11, v12
	s_wait_dscnt 0x0
	v_add3_u32 v29, v29, v5, v6
	s_delay_alu instid0(VALU_DEP_1) | instskip(NEXT) | instid1(VALU_DEP_1)
	v_add3_u32 v8, v29, v7, v8
	v_mov_b32_dpp v29, v8 row_shr:1 row_mask:0xf bank_mask:0xf
	s_delay_alu instid0(VALU_DEP_1) | instskip(NEXT) | instid1(VALU_DEP_1)
	v_cndmask_b32_e64 v29, v29, 0, s5
	v_add_nc_u32_e32 v8, v29, v8
	s_delay_alu instid0(VALU_DEP_1) | instskip(NEXT) | instid1(VALU_DEP_1)
	v_mov_b32_dpp v29, v8 row_shr:2 row_mask:0xf bank_mask:0xf
	v_cndmask_b32_e64 v29, 0, v29, s3
	s_delay_alu instid0(VALU_DEP_1) | instskip(NEXT) | instid1(VALU_DEP_1)
	v_add_nc_u32_e32 v8, v8, v29
	v_mov_b32_dpp v29, v8 row_shr:4 row_mask:0xf bank_mask:0xf
	s_delay_alu instid0(VALU_DEP_1) | instskip(NEXT) | instid1(VALU_DEP_1)
	v_cndmask_b32_e64 v29, 0, v29, s6
	v_add_nc_u32_e32 v8, v8, v29
	s_delay_alu instid0(VALU_DEP_1) | instskip(NEXT) | instid1(VALU_DEP_1)
	v_mov_b32_dpp v29, v8 row_shr:8 row_mask:0xf bank_mask:0xf
	v_cndmask_b32_e64 v29, 0, v29, s4
	s_delay_alu instid0(VALU_DEP_1)
	v_add_nc_u32_e32 v8, v8, v29
	s_and_saveexec_b32 s16, s2
; %bb.69:
	v_mov_b32_e32 v29, 0
	ds_store_b32 v29, v8 offset:512
; %bb.70:
	s_wait_alu 0xfffe
	s_or_b32 exec_lo, exec_lo, s16
	ds_bpermute_b32 v29, v26, v8
	v_mov_b32_e32 v8, 0
	; wave barrier
	s_wait_loadcnt_dscnt 0x0
	global_inv scope:SCOPE_SE
	ds_load_b32 v30, v8 offset:512
	v_cndmask_b32_e64 v29, v29, 0, s11
	s_wait_dscnt 0x0
	s_delay_alu instid0(VALU_DEP_1) | instskip(NEXT) | instid1(VALU_DEP_1)
	v_lshl_add_u32 v29, v30, 16, v29
	v_add_nc_u32_e32 v30, v29, v9
	s_delay_alu instid0(VALU_DEP_1) | instskip(NEXT) | instid1(VALU_DEP_1)
	v_add_nc_u32_e32 v31, v30, v10
	v_add_nc_u32_e32 v32, v31, v11
	s_delay_alu instid0(VALU_DEP_1) | instskip(NEXT) | instid1(VALU_DEP_1)
	v_add_nc_u32_e32 v9, v32, v12
	;; [unrolled: 3-line block ×3, first 2 shown]
	v_add_nc_u32_e32 v12, v11, v7
	v_and_b32_e32 v7, 0xffff, v16
	ds_store_b128 v25, v[29:32]
	ds_store_b128 v25, v[9:12] offset:16
	; wave barrier
	s_wait_loadcnt_dscnt 0x0
	global_inv scope:SCOPE_SE
	ds_load_u16 v5, v15
	ds_load_u16 v6, v27
	v_and_b32_e32 v9, 0xffff, v28
	; wave barrier
	s_wait_loadcnt_dscnt 0x0
	global_inv scope:SCOPE_SE
	v_add_nc_u32_e32 v5, v5, v7
	v_add_nc_u32_e32 v6, v6, v9
	s_delay_alu instid0(VALU_DEP_2) | instskip(NEXT) | instid1(VALU_DEP_2)
	v_lshlrev_b32_e32 v7, 1, v5
	v_lshlrev_b32_e32 v9, 1, v6
	ds_store_b16 v7, v13
	ds_store_b16 v9, v14
	v_mad_u32_u24 v5, v5, 6, v7
	v_mad_u32_u24 v6, v6, 6, v9
	; wave barrier
	s_wait_loadcnt_dscnt 0x0
	global_inv scope:SCOPE_SE
	ds_load_b32 v13, v19
	; wave barrier
	s_wait_loadcnt_dscnt 0x0
	global_inv scope:SCOPE_SE
	ds_store_b64 v5, v[1:2]
	ds_store_b64 v6, v[3:4]
	; wave barrier
	s_wait_loadcnt_dscnt 0x0
	global_inv scope:SCOPE_SE
	ds_load_b128 v[1:4], v18
	; wave barrier
	s_wait_loadcnt_dscnt 0x0
	global_inv scope:SCOPE_SE
	s_and_saveexec_b32 s16, s7
	s_cbranch_execz .LBB229_79
; %bb.71:
	v_cmp_gt_u32_e32 vcc_lo, 0x70, v0
	ds_store_b32 v21, v8
	s_and_b32 exec_lo, exec_lo, vcc_lo
	s_cbranch_execz .LBB229_79
; %bb.72:
	v_mov_b32_e32 v5, 0
	v_cmp_gt_u32_e32 vcc_lo, 0x60, v0
	ds_store_b32 v21, v5 offset:64
	s_and_b32 exec_lo, exec_lo, vcc_lo
	s_cbranch_execz .LBB229_79
; %bb.73:
	v_cmp_gt_u32_e32 vcc_lo, 0x50, v0
	ds_store_b32 v21, v5 offset:128
	s_and_b32 exec_lo, exec_lo, vcc_lo
	s_cbranch_execz .LBB229_79
; %bb.74:
	v_mov_b32_e32 v5, 0
	v_cmp_gt_u32_e32 vcc_lo, 64, v0
	ds_store_b32 v21, v5 offset:192
	s_and_b32 exec_lo, exec_lo, vcc_lo
	s_cbranch_execz .LBB229_79
; %bb.75:
	v_cmp_gt_u32_e32 vcc_lo, 48, v0
	ds_store_b32 v21, v5 offset:256
	;; [unrolled: 11-line block ×3, first 2 shown]
	s_and_b32 exec_lo, exec_lo, vcc_lo
; %bb.78:
	v_mov_b32_e32 v5, 0
	ds_store_b32 v21, v5 offset:448
.LBB229_79:
	s_wait_alu 0xfffe
	s_or_b32 exec_lo, exec_lo, s16
	v_lshrrev_b16 v5, 4, v13
	v_cmp_ne_u16_e32 vcc_lo, 0x8000, v13
	s_min_u32 s16, s13, 12
	v_lshrrev_b32_e32 v14, 16, v13
	s_wait_alu 0xfffe
	s_lshl_b32 s16, -1, s16
	v_lshrrev_b32_e32 v7, 20, v13
	s_wait_alu 0xfffd
	v_cndmask_b32_e32 v5, 0x7ff, v5, vcc_lo
	s_wait_alu 0xfffe
	s_not_b32 s16, s16
	v_cmp_ne_u16_e32 vcc_lo, 0x8000, v14
	s_delay_alu instid0(VALU_DEP_2) | instskip(SKIP_1) | instid1(VALU_DEP_1)
	v_and_b32_e32 v5, 0xffff, v5
	s_wait_alu 0xfffe
	v_and_b32_e32 v5, s16, v5
	s_delay_alu instid0(VALU_DEP_1) | instskip(SKIP_1) | instid1(VALU_DEP_2)
	v_lshlrev_b32_e32 v6, 4, v5
	v_lshrrev_b32_e32 v5, 2, v5
	v_and_or_b32 v6, 0x70, v6, v0
	s_delay_alu instid0(VALU_DEP_2) | instskip(NEXT) | instid1(VALU_DEP_1)
	v_and_b32_e32 v5, 0x3fe, v5
	v_lshl_add_u32 v15, v6, 2, v5
	s_wait_alu 0xfffd
	v_cndmask_b32_e32 v5, 0x7ff, v7, vcc_lo
	ds_load_u16 v16, v15
	v_and_b32_e32 v5, 0xffff, v5
	s_delay_alu instid0(VALU_DEP_1) | instskip(NEXT) | instid1(VALU_DEP_1)
	v_and_b32_e32 v5, s16, v5
	v_lshlrev_b32_e32 v6, 4, v5
	v_lshrrev_b32_e32 v5, 2, v5
	s_delay_alu instid0(VALU_DEP_2) | instskip(NEXT) | instid1(VALU_DEP_2)
	v_and_or_b32 v6, 0x70, v6, v0
	v_and_b32_e32 v5, 0x3fe, v5
	s_wait_dscnt 0x0
	v_add_nc_u16 v7, v16, 1
	s_delay_alu instid0(VALU_DEP_2)
	v_lshl_add_u32 v27, v6, 2, v5
	ds_store_b16 v15, v7
	ds_load_u16 v28, v27
	s_wait_dscnt 0x0
	v_add_nc_u16 v5, v28, 1
	ds_store_b16 v27, v5
	; wave barrier
	s_wait_loadcnt_dscnt 0x0
	global_inv scope:SCOPE_SE
	ds_load_b128 v[9:12], v25
	ds_load_b128 v[5:8], v25 offset:16
	s_wait_dscnt 0x1
	v_add_nc_u32_e32 v29, v10, v9
	s_delay_alu instid0(VALU_DEP_1) | instskip(SKIP_1) | instid1(VALU_DEP_1)
	v_add3_u32 v29, v29, v11, v12
	s_wait_dscnt 0x0
	v_add3_u32 v29, v29, v5, v6
	s_delay_alu instid0(VALU_DEP_1) | instskip(NEXT) | instid1(VALU_DEP_1)
	v_add3_u32 v8, v29, v7, v8
	v_mov_b32_dpp v29, v8 row_shr:1 row_mask:0xf bank_mask:0xf
	s_delay_alu instid0(VALU_DEP_1) | instskip(NEXT) | instid1(VALU_DEP_1)
	v_cndmask_b32_e64 v29, v29, 0, s5
	v_add_nc_u32_e32 v8, v29, v8
	s_delay_alu instid0(VALU_DEP_1) | instskip(NEXT) | instid1(VALU_DEP_1)
	v_mov_b32_dpp v29, v8 row_shr:2 row_mask:0xf bank_mask:0xf
	v_cndmask_b32_e64 v29, 0, v29, s3
	s_delay_alu instid0(VALU_DEP_1) | instskip(NEXT) | instid1(VALU_DEP_1)
	v_add_nc_u32_e32 v8, v8, v29
	v_mov_b32_dpp v29, v8 row_shr:4 row_mask:0xf bank_mask:0xf
	s_delay_alu instid0(VALU_DEP_1) | instskip(NEXT) | instid1(VALU_DEP_1)
	v_cndmask_b32_e64 v29, 0, v29, s6
	v_add_nc_u32_e32 v8, v8, v29
	s_delay_alu instid0(VALU_DEP_1) | instskip(NEXT) | instid1(VALU_DEP_1)
	v_mov_b32_dpp v29, v8 row_shr:8 row_mask:0xf bank_mask:0xf
	v_cndmask_b32_e64 v29, 0, v29, s4
	s_delay_alu instid0(VALU_DEP_1)
	v_add_nc_u32_e32 v8, v8, v29
	s_and_saveexec_b32 s16, s2
; %bb.80:
	v_mov_b32_e32 v29, 0
	ds_store_b32 v29, v8 offset:512
; %bb.81:
	s_wait_alu 0xfffe
	s_or_b32 exec_lo, exec_lo, s16
	ds_bpermute_b32 v29, v26, v8
	v_mov_b32_e32 v8, 0
	; wave barrier
	s_wait_loadcnt_dscnt 0x0
	global_inv scope:SCOPE_SE
	ds_load_b32 v30, v8 offset:512
	v_cndmask_b32_e64 v29, v29, 0, s11
	s_wait_dscnt 0x0
	s_delay_alu instid0(VALU_DEP_1) | instskip(NEXT) | instid1(VALU_DEP_1)
	v_lshl_add_u32 v29, v30, 16, v29
	v_add_nc_u32_e32 v30, v29, v9
	s_delay_alu instid0(VALU_DEP_1) | instskip(NEXT) | instid1(VALU_DEP_1)
	v_add_nc_u32_e32 v31, v30, v10
	v_add_nc_u32_e32 v32, v31, v11
	s_delay_alu instid0(VALU_DEP_1) | instskip(NEXT) | instid1(VALU_DEP_1)
	v_add_nc_u32_e32 v9, v32, v12
	;; [unrolled: 3-line block ×3, first 2 shown]
	v_add_nc_u32_e32 v12, v11, v7
	v_and_b32_e32 v7, 0xffff, v16
	ds_store_b128 v25, v[29:32]
	ds_store_b128 v25, v[9:12] offset:16
	; wave barrier
	s_wait_loadcnt_dscnt 0x0
	global_inv scope:SCOPE_SE
	ds_load_u16 v5, v15
	ds_load_u16 v6, v27
	v_and_b32_e32 v9, 0xffff, v28
	; wave barrier
	s_wait_loadcnt_dscnt 0x0
	global_inv scope:SCOPE_SE
	v_add_nc_u32_e32 v5, v5, v7
	v_add_nc_u32_e32 v6, v6, v9
	s_delay_alu instid0(VALU_DEP_2) | instskip(NEXT) | instid1(VALU_DEP_2)
	v_lshlrev_b32_e32 v7, 1, v5
	v_lshlrev_b32_e32 v9, 1, v6
	ds_store_b16 v7, v13
	ds_store_b16 v9, v14
	v_mad_u32_u24 v5, v5, 6, v7
	v_mad_u32_u24 v6, v6, 6, v9
	; wave barrier
	s_wait_loadcnt_dscnt 0x0
	global_inv scope:SCOPE_SE
	ds_load_b32 v13, v19
	; wave barrier
	s_wait_loadcnt_dscnt 0x0
	global_inv scope:SCOPE_SE
	ds_store_b64 v5, v[1:2]
	ds_store_b64 v6, v[3:4]
	; wave barrier
	s_wait_loadcnt_dscnt 0x0
	global_inv scope:SCOPE_SE
	ds_load_b128 v[1:4], v18
	; wave barrier
	s_wait_loadcnt_dscnt 0x0
	global_inv scope:SCOPE_SE
	s_and_saveexec_b32 s16, s7
	s_cbranch_execz .LBB229_90
; %bb.82:
	v_cmp_gt_u32_e32 vcc_lo, 0x70, v0
	ds_store_b32 v21, v8
	s_and_b32 exec_lo, exec_lo, vcc_lo
	s_cbranch_execz .LBB229_90
; %bb.83:
	v_mov_b32_e32 v5, 0
	v_cmp_gt_u32_e32 vcc_lo, 0x60, v0
	ds_store_b32 v21, v5 offset:64
	s_and_b32 exec_lo, exec_lo, vcc_lo
	s_cbranch_execz .LBB229_90
; %bb.84:
	v_cmp_gt_u32_e32 vcc_lo, 0x50, v0
	ds_store_b32 v21, v5 offset:128
	s_and_b32 exec_lo, exec_lo, vcc_lo
	s_cbranch_execz .LBB229_90
; %bb.85:
	v_mov_b32_e32 v5, 0
	v_cmp_gt_u32_e32 vcc_lo, 64, v0
	ds_store_b32 v21, v5 offset:192
	s_and_b32 exec_lo, exec_lo, vcc_lo
	s_cbranch_execz .LBB229_90
; %bb.86:
	v_cmp_gt_u32_e32 vcc_lo, 48, v0
	ds_store_b32 v21, v5 offset:256
	;; [unrolled: 11-line block ×3, first 2 shown]
	s_and_b32 exec_lo, exec_lo, vcc_lo
; %bb.89:
	v_mov_b32_e32 v5, 0
	ds_store_b32 v21, v5 offset:448
.LBB229_90:
	s_wait_alu 0xfffe
	s_or_b32 exec_lo, exec_lo, s16
	v_lshrrev_b16 v5, 8, v13
	v_cmp_ne_u16_e32 vcc_lo, 0x8000, v13
	s_min_u32 s16, s13, 8
	v_lshrrev_b32_e32 v14, 16, v13
	s_wait_alu 0xfffe
	s_lshl_b32 s16, -1, s16
	v_lshrrev_b32_e32 v7, 24, v13
	s_wait_alu 0xfffd
	v_cndmask_b32_e32 v5, 0x7f, v5, vcc_lo
	s_wait_alu 0xfffe
	s_not_b32 s16, s16
	v_cmp_ne_u16_e32 vcc_lo, 0x8000, v14
	s_delay_alu instid0(VALU_DEP_2) | instskip(SKIP_1) | instid1(VALU_DEP_1)
	v_and_b32_e32 v5, 0xffff, v5
	s_wait_alu 0xfffe
	v_and_b32_e32 v5, s16, v5
	s_delay_alu instid0(VALU_DEP_1) | instskip(SKIP_1) | instid1(VALU_DEP_2)
	v_lshlrev_b32_e32 v6, 4, v5
	v_lshrrev_b32_e32 v5, 2, v5
	v_and_or_b32 v6, 0x70, v6, v0
	s_delay_alu instid0(VALU_DEP_2) | instskip(NEXT) | instid1(VALU_DEP_1)
	v_and_b32_e32 v5, 62, v5
	v_lshl_add_u32 v15, v6, 2, v5
	s_wait_alu 0xfffd
	v_cndmask_b32_e32 v5, 0x7f, v7, vcc_lo
	ds_load_u16 v16, v15
	v_and_b32_e32 v5, 0xffff, v5
	s_delay_alu instid0(VALU_DEP_1) | instskip(NEXT) | instid1(VALU_DEP_1)
	v_and_b32_e32 v5, s16, v5
	v_lshlrev_b32_e32 v6, 4, v5
	v_lshrrev_b32_e32 v5, 2, v5
	s_delay_alu instid0(VALU_DEP_2) | instskip(NEXT) | instid1(VALU_DEP_2)
	v_and_or_b32 v6, 0x70, v6, v0
	v_and_b32_e32 v5, 62, v5
	s_wait_dscnt 0x0
	v_add_nc_u16 v7, v16, 1
	s_delay_alu instid0(VALU_DEP_2)
	v_lshl_add_u32 v27, v6, 2, v5
	ds_store_b16 v15, v7
	ds_load_u16 v28, v27
	s_wait_dscnt 0x0
	v_add_nc_u16 v5, v28, 1
	ds_store_b16 v27, v5
	; wave barrier
	s_wait_loadcnt_dscnt 0x0
	global_inv scope:SCOPE_SE
	ds_load_b128 v[9:12], v25
	ds_load_b128 v[5:8], v25 offset:16
	s_wait_dscnt 0x1
	v_add_nc_u32_e32 v29, v10, v9
	s_delay_alu instid0(VALU_DEP_1) | instskip(SKIP_1) | instid1(VALU_DEP_1)
	v_add3_u32 v29, v29, v11, v12
	s_wait_dscnt 0x0
	v_add3_u32 v29, v29, v5, v6
	s_delay_alu instid0(VALU_DEP_1) | instskip(NEXT) | instid1(VALU_DEP_1)
	v_add3_u32 v8, v29, v7, v8
	v_mov_b32_dpp v29, v8 row_shr:1 row_mask:0xf bank_mask:0xf
	s_delay_alu instid0(VALU_DEP_1) | instskip(NEXT) | instid1(VALU_DEP_1)
	v_cndmask_b32_e64 v29, v29, 0, s5
	v_add_nc_u32_e32 v8, v29, v8
	s_delay_alu instid0(VALU_DEP_1) | instskip(NEXT) | instid1(VALU_DEP_1)
	v_mov_b32_dpp v29, v8 row_shr:2 row_mask:0xf bank_mask:0xf
	v_cndmask_b32_e64 v29, 0, v29, s3
	s_delay_alu instid0(VALU_DEP_1) | instskip(NEXT) | instid1(VALU_DEP_1)
	v_add_nc_u32_e32 v8, v8, v29
	v_mov_b32_dpp v29, v8 row_shr:4 row_mask:0xf bank_mask:0xf
	s_delay_alu instid0(VALU_DEP_1) | instskip(NEXT) | instid1(VALU_DEP_1)
	v_cndmask_b32_e64 v29, 0, v29, s6
	v_add_nc_u32_e32 v8, v8, v29
	s_delay_alu instid0(VALU_DEP_1) | instskip(NEXT) | instid1(VALU_DEP_1)
	v_mov_b32_dpp v29, v8 row_shr:8 row_mask:0xf bank_mask:0xf
	v_cndmask_b32_e64 v29, 0, v29, s4
	s_delay_alu instid0(VALU_DEP_1)
	v_add_nc_u32_e32 v8, v8, v29
	s_and_saveexec_b32 s16, s2
; %bb.91:
	v_mov_b32_e32 v29, 0
	ds_store_b32 v29, v8 offset:512
; %bb.92:
	s_wait_alu 0xfffe
	s_or_b32 exec_lo, exec_lo, s16
	ds_bpermute_b32 v29, v26, v8
	v_mov_b32_e32 v8, 0
	; wave barrier
	s_wait_loadcnt_dscnt 0x0
	global_inv scope:SCOPE_SE
	ds_load_b32 v30, v8 offset:512
	v_cndmask_b32_e64 v29, v29, 0, s11
	s_wait_dscnt 0x0
	s_delay_alu instid0(VALU_DEP_1) | instskip(NEXT) | instid1(VALU_DEP_1)
	v_lshl_add_u32 v29, v30, 16, v29
	v_add_nc_u32_e32 v30, v29, v9
	s_delay_alu instid0(VALU_DEP_1) | instskip(NEXT) | instid1(VALU_DEP_1)
	v_add_nc_u32_e32 v31, v30, v10
	v_add_nc_u32_e32 v32, v31, v11
	s_delay_alu instid0(VALU_DEP_1) | instskip(NEXT) | instid1(VALU_DEP_1)
	v_add_nc_u32_e32 v9, v32, v12
	;; [unrolled: 3-line block ×3, first 2 shown]
	v_add_nc_u32_e32 v12, v11, v7
	v_and_b32_e32 v7, 0xffff, v16
	ds_store_b128 v25, v[29:32]
	ds_store_b128 v25, v[9:12] offset:16
	; wave barrier
	s_wait_loadcnt_dscnt 0x0
	global_inv scope:SCOPE_SE
	ds_load_u16 v5, v15
	ds_load_u16 v6, v27
	v_and_b32_e32 v9, 0xffff, v28
	; wave barrier
	s_wait_loadcnt_dscnt 0x0
	global_inv scope:SCOPE_SE
	v_add_nc_u32_e32 v5, v5, v7
	v_add_nc_u32_e32 v6, v6, v9
	s_delay_alu instid0(VALU_DEP_2) | instskip(NEXT) | instid1(VALU_DEP_2)
	v_lshlrev_b32_e32 v7, 1, v5
	v_lshlrev_b32_e32 v9, 1, v6
	ds_store_b16 v7, v13
	ds_store_b16 v9, v14
	v_mad_u32_u24 v5, v5, 6, v7
	v_mad_u32_u24 v6, v6, 6, v9
	; wave barrier
	s_wait_loadcnt_dscnt 0x0
	global_inv scope:SCOPE_SE
	ds_load_b32 v13, v19
	; wave barrier
	s_wait_loadcnt_dscnt 0x0
	global_inv scope:SCOPE_SE
	ds_store_b64 v5, v[1:2]
	ds_store_b64 v6, v[3:4]
	; wave barrier
	s_wait_loadcnt_dscnt 0x0
	global_inv scope:SCOPE_SE
	ds_load_b128 v[1:4], v18
	; wave barrier
	s_wait_loadcnt_dscnt 0x0
	global_inv scope:SCOPE_SE
	s_and_saveexec_b32 s16, s7
	s_cbranch_execz .LBB229_101
; %bb.93:
	v_cmp_gt_u32_e32 vcc_lo, 0x70, v0
	ds_store_b32 v21, v8
	s_and_b32 exec_lo, exec_lo, vcc_lo
	s_cbranch_execz .LBB229_101
; %bb.94:
	v_mov_b32_e32 v5, 0
	v_cmp_gt_u32_e32 vcc_lo, 0x60, v0
	ds_store_b32 v21, v5 offset:64
	s_and_b32 exec_lo, exec_lo, vcc_lo
	s_cbranch_execz .LBB229_101
; %bb.95:
	v_cmp_gt_u32_e32 vcc_lo, 0x50, v0
	ds_store_b32 v21, v5 offset:128
	s_and_b32 exec_lo, exec_lo, vcc_lo
	s_cbranch_execz .LBB229_101
; %bb.96:
	v_mov_b32_e32 v5, 0
	v_cmp_gt_u32_e32 vcc_lo, 64, v0
	ds_store_b32 v21, v5 offset:192
	s_and_b32 exec_lo, exec_lo, vcc_lo
	s_cbranch_execz .LBB229_101
; %bb.97:
	v_cmp_gt_u32_e32 vcc_lo, 48, v0
	ds_store_b32 v21, v5 offset:256
	s_and_b32 exec_lo, exec_lo, vcc_lo
	s_cbranch_execz .LBB229_101
; %bb.98:
	v_mov_b32_e32 v5, 0
	v_cmp_gt_u32_e32 vcc_lo, 32, v0
	ds_store_b32 v21, v5 offset:320
	s_and_b32 exec_lo, exec_lo, vcc_lo
	s_cbranch_execz .LBB229_101
; %bb.99:
	v_cmp_gt_u32_e32 vcc_lo, 16, v0
	ds_store_b32 v21, v5 offset:384
	s_and_b32 exec_lo, exec_lo, vcc_lo
; %bb.100:
	v_mov_b32_e32 v5, 0
	ds_store_b32 v21, v5 offset:448
.LBB229_101:
	s_wait_alu 0xfffe
	s_or_b32 exec_lo, exec_lo, s16
	v_lshrrev_b16 v5, 12, v13
	v_cmp_ne_u16_e32 vcc_lo, 0x8000, v13
	s_min_u32 s7, s13, 4
	v_lshrrev_b32_e32 v14, 16, v13
	s_wait_alu 0xfffe
	s_lshl_b32 s7, -1, s7
	v_lshrrev_b32_e32 v7, 28, v13
	s_wait_alu 0xfffd
	v_cndmask_b32_e32 v5, 7, v5, vcc_lo
	s_wait_alu 0xfffe
	s_not_b32 s7, s7
	v_cmp_ne_u16_e32 vcc_lo, 0x8000, v14
	s_delay_alu instid0(VALU_DEP_2) | instskip(SKIP_1) | instid1(VALU_DEP_1)
	v_and_b32_e32 v5, 0xffff, v5
	s_wait_alu 0xfffe
	v_and_b32_e32 v5, s7, v5
	s_delay_alu instid0(VALU_DEP_1) | instskip(SKIP_1) | instid1(VALU_DEP_2)
	v_lshlrev_b32_e32 v6, 4, v5
	v_lshrrev_b32_e32 v5, 2, v5
	v_and_or_b32 v6, 0x70, v6, v0
	s_delay_alu instid0(VALU_DEP_2) | instskip(NEXT) | instid1(VALU_DEP_1)
	v_and_b32_e32 v5, 2, v5
	v_lshl_or_b32 v15, v6, 2, v5
	s_wait_alu 0xfffd
	v_cndmask_b32_e32 v5, 7, v7, vcc_lo
	ds_load_u16 v16, v15
	v_and_b32_e32 v5, 0xffff, v5
	s_delay_alu instid0(VALU_DEP_1) | instskip(NEXT) | instid1(VALU_DEP_1)
	v_and_b32_e32 v5, s7, v5
	v_lshlrev_b32_e32 v6, 4, v5
	v_lshrrev_b32_e32 v5, 2, v5
	s_delay_alu instid0(VALU_DEP_2) | instskip(NEXT) | instid1(VALU_DEP_2)
	v_and_or_b32 v0, 0x70, v6, v0
	v_and_b32_e32 v5, 2, v5
	s_wait_dscnt 0x0
	v_add_nc_u16 v6, v16, 1
	s_delay_alu instid0(VALU_DEP_2)
	v_lshl_or_b32 v0, v0, 2, v5
	ds_store_b16 v15, v6
	ds_load_u16 v27, v0
	s_wait_dscnt 0x0
	v_add_nc_u16 v5, v27, 1
	ds_store_b16 v0, v5
	; wave barrier
	s_wait_loadcnt_dscnt 0x0
	global_inv scope:SCOPE_SE
	ds_load_b128 v[9:12], v25
	ds_load_b128 v[5:8], v25 offset:16
	s_wait_dscnt 0x1
	v_add_nc_u32_e32 v28, v10, v9
	s_delay_alu instid0(VALU_DEP_1) | instskip(SKIP_1) | instid1(VALU_DEP_1)
	v_add3_u32 v28, v28, v11, v12
	s_wait_dscnt 0x0
	v_add3_u32 v28, v28, v5, v6
	s_delay_alu instid0(VALU_DEP_1) | instskip(NEXT) | instid1(VALU_DEP_1)
	v_add3_u32 v8, v28, v7, v8
	v_mov_b32_dpp v28, v8 row_shr:1 row_mask:0xf bank_mask:0xf
	s_delay_alu instid0(VALU_DEP_1) | instskip(NEXT) | instid1(VALU_DEP_1)
	v_cndmask_b32_e64 v28, v28, 0, s5
	v_add_nc_u32_e32 v8, v28, v8
	s_delay_alu instid0(VALU_DEP_1) | instskip(NEXT) | instid1(VALU_DEP_1)
	v_mov_b32_dpp v28, v8 row_shr:2 row_mask:0xf bank_mask:0xf
	v_cndmask_b32_e64 v28, 0, v28, s3
	s_delay_alu instid0(VALU_DEP_1) | instskip(NEXT) | instid1(VALU_DEP_1)
	v_add_nc_u32_e32 v8, v8, v28
	v_mov_b32_dpp v28, v8 row_shr:4 row_mask:0xf bank_mask:0xf
	s_delay_alu instid0(VALU_DEP_1) | instskip(NEXT) | instid1(VALU_DEP_1)
	v_cndmask_b32_e64 v28, 0, v28, s6
	v_add_nc_u32_e32 v8, v8, v28
	s_delay_alu instid0(VALU_DEP_1) | instskip(NEXT) | instid1(VALU_DEP_1)
	v_mov_b32_dpp v28, v8 row_shr:8 row_mask:0xf bank_mask:0xf
	v_cndmask_b32_e64 v28, 0, v28, s4
	s_delay_alu instid0(VALU_DEP_1)
	v_add_nc_u32_e32 v8, v8, v28
	s_and_saveexec_b32 s3, s2
; %bb.102:
	v_mov_b32_e32 v28, 0
	ds_store_b32 v28, v8 offset:512
; %bb.103:
	s_wait_alu 0xfffe
	s_or_b32 exec_lo, exec_lo, s3
	ds_bpermute_b32 v8, v26, v8
	v_mov_b32_e32 v26, 0
	; wave barrier
	s_wait_loadcnt_dscnt 0x0
	global_inv scope:SCOPE_SE
	ds_load_b32 v26, v26 offset:512
	v_cndmask_b32_e64 v8, v8, 0, s11
	s_wait_dscnt 0x0
	s_delay_alu instid0(VALU_DEP_1) | instskip(NEXT) | instid1(VALU_DEP_1)
	v_lshl_add_u32 v8, v26, 16, v8
	v_add_nc_u32_e32 v9, v8, v9
	s_delay_alu instid0(VALU_DEP_1) | instskip(NEXT) | instid1(VALU_DEP_1)
	v_add_nc_u32_e32 v10, v9, v10
	v_add_nc_u32_e32 v11, v10, v11
	s_delay_alu instid0(VALU_DEP_1) | instskip(NEXT) | instid1(VALU_DEP_1)
	v_add_nc_u32_e32 v28, v11, v12
	v_add_nc_u32_e32 v29, v28, v5
	s_delay_alu instid0(VALU_DEP_1) | instskip(SKIP_1) | instid1(VALU_DEP_2)
	v_add_nc_u32_e32 v30, v29, v6
	v_and_b32_e32 v6, 0xffff, v16
	v_add_nc_u32_e32 v31, v30, v7
	v_and_b32_e32 v7, 0xffff, v27
	ds_store_b128 v25, v[8:11]
	ds_store_b128 v25, v[28:31] offset:16
	; wave barrier
	s_wait_loadcnt_dscnt 0x0
	global_inv scope:SCOPE_SE
	ds_load_u16 v5, v15
	ds_load_u16 v0, v0
	; wave barrier
	s_wait_loadcnt_dscnt 0x0
	global_inv scope:SCOPE_SE
	v_add_nc_u32_e32 v5, v5, v6
	v_add_nc_u32_e32 v0, v0, v7
	s_delay_alu instid0(VALU_DEP_2) | instskip(NEXT) | instid1(VALU_DEP_2)
	v_lshlrev_b32_e32 v6, 1, v5
	v_lshlrev_b32_e32 v7, 1, v0
	ds_store_b16 v6, v13
	ds_store_b16 v7, v14
	; wave barrier
	s_wait_loadcnt_dscnt 0x0
	global_inv scope:SCOPE_SE
	ds_load_b32 v9, v19
	v_mad_u32_u24 v5, v5, 6, v6
	v_mad_u32_u24 v0, v0, 6, v7
	; wave barrier
	s_wait_loadcnt_dscnt 0x0
	global_inv scope:SCOPE_SE
	ds_store_b64 v5, v[1:2]
	ds_store_b64 v0, v[3:4]
	; wave barrier
	s_wait_loadcnt_dscnt 0x0
	global_inv scope:SCOPE_SE
	ds_load_b128 v[5:8], v18
	v_lshrrev_b32_e32 v0, 16, v9
	v_cmp_gt_i16_e32 vcc_lo, 0, v9
	s_wait_alu 0xfffd
	v_cndmask_b32_e64 v1, 0x7fff, 0, vcc_lo
	s_delay_alu instid0(VALU_DEP_3) | instskip(SKIP_2) | instid1(VALU_DEP_1)
	v_cmp_gt_i16_e32 vcc_lo, 0, v0
	s_wait_alu 0xfffd
	v_cndmask_b32_e64 v0, 0x7fff, 0, vcc_lo
	v_perm_b32 v0, v0, v1, 0x5040100
	s_delay_alu instid0(VALU_DEP_1)
	v_xor_b32_e32 v9, v0, v9
.LBB229_104:
	; wave barrier
	s_wait_loadcnt_dscnt 0x0
	global_inv scope:SCOPE_SE
	ds_store_b32 v21, v9
	; wave barrier
	s_wait_loadcnt_dscnt 0x0
	global_inv scope:SCOPE_SE
	ds_load_u16 v2, v22 offset:32
	v_mov_b32_e32 v21, 0
	s_delay_alu instid0(VALU_DEP_1) | instskip(NEXT) | instid1(VALU_DEP_1)
	v_lshlrev_b64_e32 v[0:1], 1, v[20:21]
	v_add_co_u32 v0, vcc_lo, s14, v0
	s_wait_alu 0xfffd
	s_delay_alu instid0(VALU_DEP_2)
	v_add_co_ci_u32_e64 v1, null, s15, v1, vcc_lo
	s_and_saveexec_b32 s2, s0
	s_cbranch_execz .LBB229_106
; %bb.105:
	ds_load_u16 v3, v22
	s_wait_dscnt 0x0
	global_store_b16 v[0:1], v3, off
.LBB229_106:
	s_wait_alu 0xfffe
	s_or_b32 exec_lo, exec_lo, s2
	s_and_saveexec_b32 s2, s1
	s_cbranch_execz .LBB229_108
; %bb.107:
	s_lshl_b32 s4, s10, 4
	s_mov_b32 s5, 0
	s_wait_alu 0xfffe
	s_lshl_b64 s[4:5], s[4:5], 1
	s_wait_alu 0xfffe
	v_add_co_u32 v0, vcc_lo, v0, s4
	s_wait_alu 0xfffd
	v_add_co_ci_u32_e64 v1, null, s5, v1, vcc_lo
	s_wait_dscnt 0x0
	global_store_b16 v[0:1], v2, off
.LBB229_108:
	s_wait_alu 0xfffe
	s_or_b32 exec_lo, exec_lo, s2
	s_wait_storecnt 0x0
	; wave barrier
	s_wait_loadcnt_dscnt 0x0
	global_inv scope:SCOPE_SE
	ds_store_2addr_b64 v24, v[5:6], v[7:8] offset1:1
	; wave barrier
	s_wait_loadcnt_dscnt 0x0
	global_inv scope:SCOPE_SE
	ds_load_b64 v[0:1], v23 offset:128
	v_mov_b32_e32 v18, 0
	s_delay_alu instid0(VALU_DEP_1) | instskip(NEXT) | instid1(VALU_DEP_1)
	v_lshlrev_b64_e32 v[2:3], 3, v[17:18]
	v_add_co_u32 v2, vcc_lo, s8, v2
	s_wait_alu 0xfffd
	s_delay_alu instid0(VALU_DEP_2)
	v_add_co_ci_u32_e64 v3, null, s9, v3, vcc_lo
	s_and_saveexec_b32 s2, s0
	s_cbranch_execz .LBB229_110
; %bb.109:
	ds_load_b64 v[4:5], v23
	s_wait_dscnt 0x0
	global_store_b64 v[2:3], v[4:5], off
.LBB229_110:
	s_wait_alu 0xfffe
	s_or_b32 exec_lo, exec_lo, s2
	s_and_saveexec_b32 s0, s1
	s_cbranch_execz .LBB229_112
; %bb.111:
	s_lshl_b32 s0, s12, 4
	s_mov_b32 s1, 0
	s_delay_alu instid0(SALU_CYCLE_1) | instskip(NEXT) | instid1(SALU_CYCLE_1)
	s_lshl_b64 s[0:1], s[0:1], 3
	v_add_co_u32 v2, vcc_lo, v2, s0
	s_wait_alu 0xfffd
	v_add_co_ci_u32_e64 v3, null, s1, v3, vcc_lo
	s_wait_dscnt 0x0
	global_store_b64 v[2:3], v[0:1], off
.LBB229_112:
	s_endpgm
	.section	.rodata,"a",@progbits
	.p2align	6, 0x0
	.amdhsa_kernel _ZN2at6native18radixSortKVInPlaceILi2ELin1ELi16ELi2EN3c104HalfEljEEvNS_4cuda6detail10TensorInfoIT3_T5_EES8_S8_S8_NS6_IT4_S8_EES8_b
		.amdhsa_group_segment_fixed_size 528
		.amdhsa_private_segment_fixed_size 0
		.amdhsa_kernarg_size 712
		.amdhsa_user_sgpr_count 2
		.amdhsa_user_sgpr_dispatch_ptr 0
		.amdhsa_user_sgpr_queue_ptr 0
		.amdhsa_user_sgpr_kernarg_segment_ptr 1
		.amdhsa_user_sgpr_dispatch_id 0
		.amdhsa_user_sgpr_private_segment_size 0
		.amdhsa_wavefront_size32 1
		.amdhsa_uses_dynamic_stack 0
		.amdhsa_enable_private_segment 0
		.amdhsa_system_sgpr_workgroup_id_x 1
		.amdhsa_system_sgpr_workgroup_id_y 1
		.amdhsa_system_sgpr_workgroup_id_z 1
		.amdhsa_system_sgpr_workgroup_info 0
		.amdhsa_system_vgpr_workitem_id 0
		.amdhsa_next_free_vgpr 39
		.amdhsa_next_free_sgpr 24
		.amdhsa_reserve_vcc 1
		.amdhsa_float_round_mode_32 0
		.amdhsa_float_round_mode_16_64 0
		.amdhsa_float_denorm_mode_32 3
		.amdhsa_float_denorm_mode_16_64 3
		.amdhsa_fp16_overflow 0
		.amdhsa_workgroup_processor_mode 1
		.amdhsa_memory_ordered 1
		.amdhsa_forward_progress 1
		.amdhsa_inst_pref_size 76
		.amdhsa_round_robin_scheduling 0
		.amdhsa_exception_fp_ieee_invalid_op 0
		.amdhsa_exception_fp_denorm_src 0
		.amdhsa_exception_fp_ieee_div_zero 0
		.amdhsa_exception_fp_ieee_overflow 0
		.amdhsa_exception_fp_ieee_underflow 0
		.amdhsa_exception_fp_ieee_inexact 0
		.amdhsa_exception_int_div_zero 0
	.end_amdhsa_kernel
	.section	.text._ZN2at6native18radixSortKVInPlaceILi2ELin1ELi16ELi2EN3c104HalfEljEEvNS_4cuda6detail10TensorInfoIT3_T5_EES8_S8_S8_NS6_IT4_S8_EES8_b,"axG",@progbits,_ZN2at6native18radixSortKVInPlaceILi2ELin1ELi16ELi2EN3c104HalfEljEEvNS_4cuda6detail10TensorInfoIT3_T5_EES8_S8_S8_NS6_IT4_S8_EES8_b,comdat
.Lfunc_end229:
	.size	_ZN2at6native18radixSortKVInPlaceILi2ELin1ELi16ELi2EN3c104HalfEljEEvNS_4cuda6detail10TensorInfoIT3_T5_EES8_S8_S8_NS6_IT4_S8_EES8_b, .Lfunc_end229-_ZN2at6native18radixSortKVInPlaceILi2ELin1ELi16ELi2EN3c104HalfEljEEvNS_4cuda6detail10TensorInfoIT3_T5_EES8_S8_S8_NS6_IT4_S8_EES8_b
                                        ; -- End function
	.set _ZN2at6native18radixSortKVInPlaceILi2ELin1ELi16ELi2EN3c104HalfEljEEvNS_4cuda6detail10TensorInfoIT3_T5_EES8_S8_S8_NS6_IT4_S8_EES8_b.num_vgpr, 39
	.set _ZN2at6native18radixSortKVInPlaceILi2ELin1ELi16ELi2EN3c104HalfEljEEvNS_4cuda6detail10TensorInfoIT3_T5_EES8_S8_S8_NS6_IT4_S8_EES8_b.num_agpr, 0
	.set _ZN2at6native18radixSortKVInPlaceILi2ELin1ELi16ELi2EN3c104HalfEljEEvNS_4cuda6detail10TensorInfoIT3_T5_EES8_S8_S8_NS6_IT4_S8_EES8_b.numbered_sgpr, 24
	.set _ZN2at6native18radixSortKVInPlaceILi2ELin1ELi16ELi2EN3c104HalfEljEEvNS_4cuda6detail10TensorInfoIT3_T5_EES8_S8_S8_NS6_IT4_S8_EES8_b.num_named_barrier, 0
	.set _ZN2at6native18radixSortKVInPlaceILi2ELin1ELi16ELi2EN3c104HalfEljEEvNS_4cuda6detail10TensorInfoIT3_T5_EES8_S8_S8_NS6_IT4_S8_EES8_b.private_seg_size, 0
	.set _ZN2at6native18radixSortKVInPlaceILi2ELin1ELi16ELi2EN3c104HalfEljEEvNS_4cuda6detail10TensorInfoIT3_T5_EES8_S8_S8_NS6_IT4_S8_EES8_b.uses_vcc, 1
	.set _ZN2at6native18radixSortKVInPlaceILi2ELin1ELi16ELi2EN3c104HalfEljEEvNS_4cuda6detail10TensorInfoIT3_T5_EES8_S8_S8_NS6_IT4_S8_EES8_b.uses_flat_scratch, 0
	.set _ZN2at6native18radixSortKVInPlaceILi2ELin1ELi16ELi2EN3c104HalfEljEEvNS_4cuda6detail10TensorInfoIT3_T5_EES8_S8_S8_NS6_IT4_S8_EES8_b.has_dyn_sized_stack, 0
	.set _ZN2at6native18radixSortKVInPlaceILi2ELin1ELi16ELi2EN3c104HalfEljEEvNS_4cuda6detail10TensorInfoIT3_T5_EES8_S8_S8_NS6_IT4_S8_EES8_b.has_recursion, 0
	.set _ZN2at6native18radixSortKVInPlaceILi2ELin1ELi16ELi2EN3c104HalfEljEEvNS_4cuda6detail10TensorInfoIT3_T5_EES8_S8_S8_NS6_IT4_S8_EES8_b.has_indirect_call, 0
	.section	.AMDGPU.csdata,"",@progbits
; Kernel info:
; codeLenInByte = 9656
; TotalNumSgprs: 26
; NumVgprs: 39
; ScratchSize: 0
; MemoryBound: 0
; FloatMode: 240
; IeeeMode: 1
; LDSByteSize: 528 bytes/workgroup (compile time only)
; SGPRBlocks: 0
; VGPRBlocks: 4
; NumSGPRsForWavesPerEU: 26
; NumVGPRsForWavesPerEU: 39
; Occupancy: 16
; WaveLimiterHint : 1
; COMPUTE_PGM_RSRC2:SCRATCH_EN: 0
; COMPUTE_PGM_RSRC2:USER_SGPR: 2
; COMPUTE_PGM_RSRC2:TRAP_HANDLER: 0
; COMPUTE_PGM_RSRC2:TGID_X_EN: 1
; COMPUTE_PGM_RSRC2:TGID_Y_EN: 1
; COMPUTE_PGM_RSRC2:TGID_Z_EN: 1
; COMPUTE_PGM_RSRC2:TIDIG_COMP_CNT: 0
	.section	.text._ZN2at6native18radixSortKVInPlaceILin1ELin1ELi512ELi8EN3c104HalfEljEEvNS_4cuda6detail10TensorInfoIT3_T5_EES8_S8_S8_NS6_IT4_S8_EES8_b,"axG",@progbits,_ZN2at6native18radixSortKVInPlaceILin1ELin1ELi512ELi8EN3c104HalfEljEEvNS_4cuda6detail10TensorInfoIT3_T5_EES8_S8_S8_NS6_IT4_S8_EES8_b,comdat
	.protected	_ZN2at6native18radixSortKVInPlaceILin1ELin1ELi512ELi8EN3c104HalfEljEEvNS_4cuda6detail10TensorInfoIT3_T5_EES8_S8_S8_NS6_IT4_S8_EES8_b ; -- Begin function _ZN2at6native18radixSortKVInPlaceILin1ELin1ELi512ELi8EN3c104HalfEljEEvNS_4cuda6detail10TensorInfoIT3_T5_EES8_S8_S8_NS6_IT4_S8_EES8_b
	.globl	_ZN2at6native18radixSortKVInPlaceILin1ELin1ELi512ELi8EN3c104HalfEljEEvNS_4cuda6detail10TensorInfoIT3_T5_EES8_S8_S8_NS6_IT4_S8_EES8_b
	.p2align	8
	.type	_ZN2at6native18radixSortKVInPlaceILin1ELin1ELi512ELi8EN3c104HalfEljEEvNS_4cuda6detail10TensorInfoIT3_T5_EES8_S8_S8_NS6_IT4_S8_EES8_b,@function
_ZN2at6native18radixSortKVInPlaceILin1ELin1ELi512ELi8EN3c104HalfEljEEvNS_4cuda6detail10TensorInfoIT3_T5_EES8_S8_S8_NS6_IT4_S8_EES8_b: ; @_ZN2at6native18radixSortKVInPlaceILin1ELin1ELi512ELi8EN3c104HalfEljEEvNS_4cuda6detail10TensorInfoIT3_T5_EES8_S8_S8_NS6_IT4_S8_EES8_b
; %bb.0:
	s_clause 0x1
	s_load_b64 s[2:3], s[0:1], 0x1c8
	s_load_b96 s[24:26], s[0:1], 0xd8
	s_lshr_b32 s4, ttmp7, 16
	s_wait_kmcnt 0x0
	s_mul_i32 s3, s3, s4
	s_and_b32 s4, ttmp7, 0xffff
	s_delay_alu instid0(SALU_CYCLE_1) | instskip(NEXT) | instid1(SALU_CYCLE_1)
	s_add_co_i32 s3, s3, s4
	s_mul_i32 s2, s3, s2
	s_delay_alu instid0(SALU_CYCLE_1) | instskip(NEXT) | instid1(SALU_CYCLE_1)
	s_add_co_i32 s13, s2, ttmp9
	s_cmp_ge_u32 s13, s24
	s_cbranch_scc1 .LBB230_149
; %bb.1:
	s_load_b32 s4, s[0:1], 0xd0
	s_mov_b32 s3, 0
	s_mov_b32 s2, s13
	s_wait_kmcnt 0x0
	s_cmp_lt_i32 s4, 2
	s_cbranch_scc1 .LBB230_4
; %bb.2:
	s_add_co_i32 s2, s4, -1
	s_delay_alu instid0(SALU_CYCLE_1)
	s_lshl_b64 s[6:7], s[2:3], 2
	s_mov_b32 s2, s13
	s_add_nc_u64 s[8:9], s[0:1], s[6:7]
	s_add_co_i32 s6, s4, 1
	s_add_nc_u64 s[4:5], s[8:9], 8
.LBB230_3:                              ; =>This Inner Loop Header: Depth=1
	s_clause 0x1
	s_load_b32 s7, s[4:5], 0x0
	s_load_b32 s8, s[4:5], 0x64
	s_mov_b32 s11, s2
	s_add_nc_u64 s[4:5], s[4:5], -4
	s_wait_kmcnt 0x0
	s_cvt_f32_u32 s9, s7
	s_sub_co_i32 s10, 0, s7
	s_wait_alu 0xfffe
	s_delay_alu instid0(SALU_CYCLE_1) | instskip(NEXT) | instid1(TRANS32_DEP_1)
	v_rcp_iflag_f32_e32 v1, s9
	v_readfirstlane_b32 s9, v1
	s_mul_f32 s9, s9, 0x4f7ffffe
	s_wait_alu 0xfffe
	s_delay_alu instid0(SALU_CYCLE_2) | instskip(SKIP_1) | instid1(SALU_CYCLE_2)
	s_cvt_u32_f32 s9, s9
	s_wait_alu 0xfffe
	s_mul_i32 s10, s10, s9
	s_delay_alu instid0(SALU_CYCLE_1) | instskip(NEXT) | instid1(SALU_CYCLE_1)
	s_mul_hi_u32 s10, s9, s10
	s_add_co_i32 s9, s9, s10
	s_wait_alu 0xfffe
	s_mul_hi_u32 s2, s2, s9
	s_delay_alu instid0(SALU_CYCLE_1)
	s_mul_i32 s9, s2, s7
	s_add_co_i32 s10, s2, 1
	s_wait_alu 0xfffe
	s_sub_co_i32 s9, s11, s9
	s_wait_alu 0xfffe
	s_sub_co_i32 s12, s9, s7
	s_cmp_ge_u32 s9, s7
	s_cselect_b32 s2, s10, s2
	s_cselect_b32 s9, s12, s9
	s_add_co_i32 s10, s2, 1
	s_wait_alu 0xfffe
	s_cmp_ge_u32 s9, s7
	s_cselect_b32 s2, s10, s2
	s_add_co_i32 s6, s6, -1
	s_mul_i32 s7, s2, s7
	s_delay_alu instid0(SALU_CYCLE_1) | instskip(NEXT) | instid1(SALU_CYCLE_1)
	s_sub_co_i32 s7, s11, s7
	s_mul_i32 s7, s8, s7
	s_delay_alu instid0(SALU_CYCLE_1)
	s_add_co_i32 s3, s7, s3
	s_cmp_gt_u32 s6, 2
	s_cbranch_scc1 .LBB230_3
.LBB230_4:
	s_load_b32 s4, s[0:1], 0x1b8
	s_add_nc_u64 s[34:35], s[0:1], 0x1c8
	s_mov_b32 s9, 0
	s_wait_kmcnt 0x0
	s_cmp_lt_i32 s4, 2
	s_cbranch_scc1 .LBB230_7
; %bb.5:
	s_add_co_i32 s8, s4, -1
	s_wait_alu 0xfffe
	s_lshl_b64 s[6:7], s[8:9], 2
	s_delay_alu instid0(SALU_CYCLE_1)
	s_add_nc_u64 s[10:11], s[0:1], s[6:7]
	s_add_co_i32 s6, s4, 1
	s_add_nc_u64 s[4:5], s[10:11], 0xf0
.LBB230_6:                              ; =>This Inner Loop Header: Depth=1
	s_clause 0x1
	s_load_b32 s7, s[4:5], 0x0
	s_load_b32 s8, s[4:5], 0x64
	s_mov_b32 s12, s13
	s_add_nc_u64 s[4:5], s[4:5], -4
	s_wait_kmcnt 0x0
	s_cvt_f32_u32 s10, s7
	s_sub_co_i32 s11, 0, s7
	s_wait_alu 0xfffe
	s_delay_alu instid0(SALU_CYCLE_1) | instskip(NEXT) | instid1(TRANS32_DEP_1)
	v_rcp_iflag_f32_e32 v1, s10
	v_readfirstlane_b32 s10, v1
	s_mul_f32 s10, s10, 0x4f7ffffe
	s_wait_alu 0xfffe
	s_delay_alu instid0(SALU_CYCLE_2) | instskip(SKIP_1) | instid1(SALU_CYCLE_2)
	s_cvt_u32_f32 s10, s10
	s_wait_alu 0xfffe
	s_mul_i32 s11, s11, s10
	s_wait_alu 0xfffe
	s_mul_hi_u32 s11, s10, s11
	s_wait_alu 0xfffe
	s_add_co_i32 s10, s10, s11
	s_wait_alu 0xfffe
	s_mul_hi_u32 s10, s13, s10
	s_wait_alu 0xfffe
	s_mul_i32 s11, s10, s7
	s_wait_alu 0xfffe
	s_sub_co_i32 s11, s13, s11
	s_add_co_i32 s13, s10, 1
	s_wait_alu 0xfffe
	s_sub_co_i32 s14, s11, s7
	s_cmp_ge_u32 s11, s7
	s_cselect_b32 s10, s13, s10
	s_cselect_b32 s11, s14, s11
	s_wait_alu 0xfffe
	s_add_co_i32 s13, s10, 1
	s_cmp_ge_u32 s11, s7
	s_cselect_b32 s13, s13, s10
	s_add_co_i32 s6, s6, -1
	s_mul_i32 s7, s13, s7
	s_delay_alu instid0(SALU_CYCLE_1) | instskip(NEXT) | instid1(SALU_CYCLE_1)
	s_sub_co_i32 s7, s12, s7
	s_mul_i32 s7, s8, s7
	s_delay_alu instid0(SALU_CYCLE_1)
	s_add_co_i32 s9, s7, s9
	s_cmp_gt_u32 s6, 2
	s_cbranch_scc1 .LBB230_6
.LBB230_7:
	s_clause 0x2
	s_load_b32 s4, s[0:1], 0x6c
	s_load_b64 s[28:29], s[0:1], 0x1c0
	s_load_b64 s[6:7], s[0:1], 0x0
	s_mov_b32 s5, 0
	s_wait_kmcnt 0x0
	s_mul_i32 s2, s4, s2
	s_delay_alu instid0(SALU_CYCLE_1) | instskip(SKIP_3) | instid1(SALU_CYCLE_1)
	s_add_co_i32 s4, s2, s3
	s_bitcmp1_b32 s29, 0
	s_mov_b32 s2, 0xffff
	s_cselect_b32 s12, -1, 0
	s_and_b32 s3, s12, exec_lo
	s_cselect_b32 s14, s2, 0x7fff
	s_delay_alu instid0(SALU_CYCLE_1) | instskip(SKIP_1) | instid1(SALU_CYCLE_1)
	v_dual_mov_b32 v1, s14 :: v_dual_and_b32 v46, 0x3ff, v0
	s_lshl_b64 s[4:5], s[4:5], 1
	s_add_nc_u64 s[30:31], s[6:7], s[4:5]
	s_delay_alu instid0(VALU_DEP_1)
	v_mul_lo_u32 v44, s26, v46
	v_cmp_gt_u32_e64 s2, s25, v46
	s_and_saveexec_b32 s3, s2
	s_cbranch_execz .LBB230_9
; %bb.8:
	v_mov_b32_e32 v45, 0
	s_delay_alu instid0(VALU_DEP_1) | instskip(NEXT) | instid1(VALU_DEP_1)
	v_lshlrev_b64_e32 v[1:2], 1, v[44:45]
	v_add_co_u32 v1, vcc_lo, s30, v1
	s_delay_alu instid0(VALU_DEP_1)
	v_add_co_ci_u32_e64 v2, null, s31, v2, vcc_lo
	global_load_u16 v1, v[1:2], off
.LBB230_9:
	s_or_b32 exec_lo, exec_lo, s3
	v_dual_mov_b32 v2, s14 :: v_dual_add_nc_u32 v15, 0x200, v46
	s_delay_alu instid0(VALU_DEP_1)
	v_cmp_gt_u32_e64 s3, s25, v15
	s_and_saveexec_b32 s4, s3
	s_cbranch_execz .LBB230_11
; %bb.10:
	v_mul_lo_u32 v2, s26, v15
	v_mov_b32_e32 v3, 0
	s_delay_alu instid0(VALU_DEP_1) | instskip(NEXT) | instid1(VALU_DEP_1)
	v_lshlrev_b64_e32 v[2:3], 1, v[2:3]
	v_add_co_u32 v2, vcc_lo, s30, v2
	s_wait_alu 0xfffd
	s_delay_alu instid0(VALU_DEP_2)
	v_add_co_ci_u32_e64 v3, null, s31, v3, vcc_lo
	global_load_u16 v2, v[2:3], off
.LBB230_11:
	s_or_b32 exec_lo, exec_lo, s4
	v_or_b32_e32 v16, 0x400, v46
	v_mov_b32_e32 v3, s14
	s_delay_alu instid0(VALU_DEP_2)
	v_cmp_gt_u32_e64 s4, s25, v16
	s_and_saveexec_b32 s5, s4
	s_cbranch_execz .LBB230_13
; %bb.12:
	v_mul_lo_u32 v3, s26, v16
	v_mov_b32_e32 v4, 0
	s_delay_alu instid0(VALU_DEP_1) | instskip(NEXT) | instid1(VALU_DEP_1)
	v_lshlrev_b64_e32 v[3:4], 1, v[3:4]
	v_add_co_u32 v3, vcc_lo, s30, v3
	s_wait_alu 0xfffd
	s_delay_alu instid0(VALU_DEP_2)
	v_add_co_ci_u32_e64 v4, null, s31, v4, vcc_lo
	global_load_u16 v3, v[3:4], off
.LBB230_13:
	s_or_b32 exec_lo, exec_lo, s5
	v_dual_mov_b32 v4, s14 :: v_dual_add_nc_u32 v17, 0x600, v46
	s_delay_alu instid0(VALU_DEP_1)
	v_cmp_gt_u32_e64 s5, s25, v17
	s_and_saveexec_b32 s6, s5
	s_cbranch_execz .LBB230_15
; %bb.14:
	v_mul_lo_u32 v4, s26, v17
	v_mov_b32_e32 v5, 0
	s_delay_alu instid0(VALU_DEP_1) | instskip(NEXT) | instid1(VALU_DEP_1)
	v_lshlrev_b64_e32 v[4:5], 1, v[4:5]
	v_add_co_u32 v4, vcc_lo, s30, v4
	s_wait_alu 0xfffd
	s_delay_alu instid0(VALU_DEP_2)
	v_add_co_ci_u32_e64 v5, null, s31, v5, vcc_lo
	global_load_u16 v4, v[4:5], off
.LBB230_15:
	s_or_b32 exec_lo, exec_lo, s6
	v_or_b32_e32 v18, 0x800, v46
	v_mov_b32_e32 v5, s14
	s_delay_alu instid0(VALU_DEP_2)
	v_cmp_gt_u32_e64 s6, s25, v18
	s_and_saveexec_b32 s7, s6
	s_cbranch_execz .LBB230_17
; %bb.16:
	v_mul_lo_u32 v5, s26, v18
	v_mov_b32_e32 v6, 0
	s_delay_alu instid0(VALU_DEP_1) | instskip(NEXT) | instid1(VALU_DEP_1)
	v_lshlrev_b64_e32 v[5:6], 1, v[5:6]
	v_add_co_u32 v5, vcc_lo, s30, v5
	s_wait_alu 0xfffd
	s_delay_alu instid0(VALU_DEP_2)
	v_add_co_ci_u32_e64 v6, null, s31, v6, vcc_lo
	global_load_u16 v5, v[5:6], off
.LBB230_17:
	s_or_b32 exec_lo, exec_lo, s7
	v_dual_mov_b32 v6, s14 :: v_dual_add_nc_u32 v19, 0xa00, v46
	s_delay_alu instid0(VALU_DEP_1)
	v_cmp_gt_u32_e64 s7, s25, v19
	s_and_saveexec_b32 s8, s7
	s_cbranch_execz .LBB230_19
; %bb.18:
	v_mul_lo_u32 v6, s26, v19
	v_mov_b32_e32 v7, 0
	s_delay_alu instid0(VALU_DEP_1) | instskip(NEXT) | instid1(VALU_DEP_1)
	v_lshlrev_b64_e32 v[6:7], 1, v[6:7]
	v_add_co_u32 v6, vcc_lo, s30, v6
	s_wait_alu 0xfffd
	s_delay_alu instid0(VALU_DEP_2)
	v_add_co_ci_u32_e64 v7, null, s31, v7, vcc_lo
	global_load_u16 v6, v[6:7], off
.LBB230_19:
	s_wait_alu 0xfffe
	s_or_b32 exec_lo, exec_lo, s8
	v_or_b32_e32 v20, 0xc00, v46
	v_mov_b32_e32 v7, s14
	s_delay_alu instid0(VALU_DEP_2)
	v_cmp_gt_u32_e64 s8, s25, v20
	s_and_saveexec_b32 s10, s8
	s_cbranch_execz .LBB230_21
; %bb.20:
	v_mul_lo_u32 v7, s26, v20
	v_mov_b32_e32 v8, 0
	s_delay_alu instid0(VALU_DEP_1) | instskip(NEXT) | instid1(VALU_DEP_1)
	v_lshlrev_b64_e32 v[7:8], 1, v[7:8]
	v_add_co_u32 v7, vcc_lo, s30, v7
	s_wait_alu 0xfffd
	s_delay_alu instid0(VALU_DEP_2)
	v_add_co_ci_u32_e64 v8, null, s31, v8, vcc_lo
	global_load_u16 v7, v[7:8], off
.LBB230_21:
	s_wait_alu 0xfffe
	s_or_b32 exec_lo, exec_lo, s10
	s_clause 0x1
	s_load_b32 s15, s[0:1], 0x154
	s_load_b64 s[10:11], s[0:1], 0xe8
	v_dual_mov_b32 v8, s14 :: v_dual_add_nc_u32 v21, 0xe00, v46
	s_delay_alu instid0(VALU_DEP_1)
	v_cmp_gt_u32_e64 s0, s25, v21
	s_and_saveexec_b32 s1, s0
	s_cbranch_execz .LBB230_23
; %bb.22:
	v_mul_lo_u32 v8, s26, v21
	v_mov_b32_e32 v9, 0
	s_delay_alu instid0(VALU_DEP_1) | instskip(NEXT) | instid1(VALU_DEP_1)
	v_lshlrev_b64_e32 v[8:9], 1, v[8:9]
	v_add_co_u32 v8, vcc_lo, s30, v8
	s_wait_alu 0xfffd
	s_delay_alu instid0(VALU_DEP_2)
	v_add_co_ci_u32_e64 v9, null, s31, v9, vcc_lo
	global_load_u16 v8, v[8:9], off
.LBB230_23:
	s_or_b32 exec_lo, exec_lo, s1
	v_lshrrev_b32_e32 v9, 4, v46
	v_lshrrev_b32_e32 v10, 4, v15
	;; [unrolled: 1-line block ×5, first 2 shown]
	v_dual_mov_b32 v42, 0 :: v_dual_and_b32 v9, 60, v9
	v_lshlrev_b32_e32 v12, 1, v46
	v_and_b32_e32 v10, 0x7c, v10
	v_and_b32_e32 v11, 0x7c, v11
	s_wait_kmcnt 0x0
	s_mul_i32 s1, s15, s13
	v_mov_b32_e32 v43, v42
	v_add_nc_u32_e32 v51, v9, v12
	v_add_nc_u32_e32 v45, v10, v12
	;; [unrolled: 1-line block ×3, first 2 shown]
	v_and_b32_e32 v9, 0xfc, v13
	v_lshrrev_b32_e32 v10, 4, v18
	v_lshrrev_b32_e32 v11, 4, v19
	;; [unrolled: 1-line block ×3, first 2 shown]
	v_mul_lo_u32 v41, s28, v46
	v_add_nc_u32_e32 v53, v9, v12
	v_and_b32_e32 v9, 0xbc, v10
	v_and_b32_e32 v10, 0xfc, v11
	v_and_b32_e32 v11, 0xfc, v13
	v_and_b32_e32 v13, 0x1fc, v14
	v_lshrrev_b32_e32 v14, 1, v46
	v_add_nc_u32_e32 v54, v9, v12
	v_add_nc_u32_e32 v55, v10, v12
	;; [unrolled: 1-line block ×4, first 2 shown]
	v_and_b32_e32 v9, 0x1fc, v14
	v_mov_b32_e32 v13, 0
	v_dual_mov_b32 v11, v42 :: v_dual_mov_b32 v12, v42
	v_mov_b32_e32 v14, 0
	s_delay_alu instid0(VALU_DEP_4)
	v_lshl_add_u32 v58, v46, 4, v9
	s_wait_loadcnt 0x0
	ds_store_b16 v51, v1
	ds_store_b16 v45, v2 offset:1024
	ds_store_b16 v52, v3 offset:2048
	;; [unrolled: 1-line block ×7, first 2 shown]
	s_wait_dscnt 0x0
	s_barrier_signal -1
	s_barrier_wait -1
	global_inv scope:SCOPE_SE
	ds_load_2addr_b32 v[49:50], v58 offset1:1
	ds_load_2addr_b32 v[47:48], v58 offset0:2 offset1:3
	s_add_co_i32 s14, s1, s9
	s_mov_b32 s15, 0
	v_dual_mov_b32 v9, v42 :: v_dual_mov_b32 v10, v42
	v_dual_mov_b32 v1, v42 :: v_dual_mov_b32 v2, v42
	;; [unrolled: 1-line block ×5, first 2 shown]
	s_wait_alu 0xfffe
	s_lshl_b64 s[14:15], s[14:15], 3
	s_wait_loadcnt_dscnt 0x0
	s_wait_alu 0xfffe
	s_add_nc_u64 s[24:25], s[10:11], s[14:15]
	s_barrier_signal -1
	s_barrier_wait -1
	global_inv scope:SCOPE_SE
	s_and_saveexec_b32 s1, s2
	s_cbranch_execnz .LBB230_79
; %bb.24:
	s_or_b32 exec_lo, exec_lo, s1
	s_and_saveexec_b32 s1, s3
	s_cbranch_execnz .LBB230_80
.LBB230_25:
	s_or_b32 exec_lo, exec_lo, s1
	s_and_saveexec_b32 s1, s4
	s_cbranch_execnz .LBB230_81
.LBB230_26:
	s_or_b32 exec_lo, exec_lo, s1
	s_and_saveexec_b32 s1, s5
	s_cbranch_execnz .LBB230_82
.LBB230_27:
	s_or_b32 exec_lo, exec_lo, s1
	s_and_saveexec_b32 s1, s6
	s_cbranch_execnz .LBB230_83
.LBB230_28:
	s_or_b32 exec_lo, exec_lo, s1
	s_and_saveexec_b32 s1, s7
	s_cbranch_execnz .LBB230_84
.LBB230_29:
	s_or_b32 exec_lo, exec_lo, s1
	s_and_saveexec_b32 s1, s8
	s_cbranch_execz .LBB230_31
.LBB230_30:
	v_mul_lo_u32 v5, s28, v20
	v_mov_b32_e32 v6, 0
	s_delay_alu instid0(VALU_DEP_1) | instskip(SKIP_1) | instid1(VALU_DEP_1)
	v_lshlrev_b64_e32 v[5:6], 3, v[5:6]
	s_wait_alu 0xfffe
	v_add_co_u32 v5, vcc_lo, s24, v5
	s_wait_alu 0xfffd
	s_delay_alu instid0(VALU_DEP_2)
	v_add_co_ci_u32_e64 v6, null, s25, v6, vcc_lo
	global_load_b64 v[5:6], v[5:6], off
.LBB230_31:
	s_or_b32 exec_lo, exec_lo, s1
	v_lshrrev_b32_e32 v68, 5, v46
	v_lshrrev_b32_e32 v25, 5, v15
	;; [unrolled: 1-line block ×8, first 2 shown]
	v_lshlrev_b32_e32 v66, 3, v46
	v_lshrrev_b32_e32 v15, 2, v46
	s_xor_b32 s1, s12, -1
	s_and_saveexec_b32 s9, s0
	s_cbranch_execz .LBB230_33
; %bb.32:
	v_mul_lo_u32 v7, s28, v21
	v_mov_b32_e32 v8, 0
	s_delay_alu instid0(VALU_DEP_1) | instskip(SKIP_1) | instid1(VALU_DEP_1)
	v_lshlrev_b64_e32 v[7:8], 3, v[7:8]
	s_wait_alu 0xfffe
	v_add_co_u32 v7, vcc_lo, s24, v7
	s_wait_alu 0xfffd
	s_delay_alu instid0(VALU_DEP_2)
	v_add_co_ci_u32_e64 v8, null, s25, v8, vcc_lo
	global_load_b64 v[7:8], v[7:8], off
.LBB230_33:
	s_wait_alu 0xfffe
	s_or_b32 exec_lo, exec_lo, s9
	v_lshl_add_u32 v59, v68, 3, v66
	v_lshl_add_u32 v60, v25, 3, v66
	v_lshl_add_u32 v61, v24, 3, v66
	v_lshl_add_u32 v62, v23, 3, v66
	v_lshl_add_u32 v63, v17, 3, v66
	s_wait_loadcnt 0x0
	ds_store_b64 v59, v[13:14]
	ds_store_b64 v60, v[42:43] offset:4096
	ds_store_b64 v61, v[9:10] offset:8192
	;; [unrolled: 1-line block ×3, first 2 shown]
	v_lshlrev_b32_e32 v9, 3, v66
	v_lshl_add_u32 v42, v22, 3, v66
	v_lshl_add_u32 v43, v18, 3, v66
	;; [unrolled: 1-line block ×3, first 2 shown]
	ds_store_b64 v42, v[1:2] offset:16384
	ds_store_b64 v43, v[3:4] offset:20480
	;; [unrolled: 1-line block ×4, first 2 shown]
	v_lshl_add_u32 v65, v15, 3, v9
	s_wait_dscnt 0x0
	s_barrier_signal -1
	s_barrier_wait -1
	global_inv scope:SCOPE_SE
	ds_load_2addr_b64 v[13:16], v65 offset1:1
	ds_load_2addr_b64 v[9:12], v65 offset0:2 offset1:3
	ds_load_2addr_b64 v[5:8], v65 offset0:4 offset1:5
	;; [unrolled: 1-line block ×3, first 2 shown]
	v_bfe_u32 v71, v0, 10, 10
	v_bfe_u32 v72, v0, 20, 10
	v_mbcnt_lo_u32_b32 v69, -1, 0
	v_and_b32_e32 v70, 0x3e0, v46
	v_lshlrev_b32_e32 v67, 2, v66
	s_and_b32 vcc_lo, exec_lo, s1
	s_wait_loadcnt_dscnt 0x0
	s_barrier_signal -1
	s_barrier_wait -1
	global_inv scope:SCOPE_SE
	s_wait_alu 0xfffe
	s_cbranch_vccz .LBB230_85
; %bb.34:
	v_pk_ashrrev_i16 v0, 15, v49 op_sel_hi:[0,1]
	v_pk_ashrrev_i16 v17, 15, v50 op_sel_hi:[0,1]
	;; [unrolled: 1-line block ×4, first 2 shown]
	v_or_b32_e32 v21, v69, v70
	v_or_b32_e32 v0, 0x80008000, v0
	;; [unrolled: 1-line block ×5, first 2 shown]
	v_and_or_b32 v84, 0x1f00, v66, v69
	s_mov_b32 s12, 0
	v_xor_b32_e32 v17, v0, v49
	v_xor_b32_e32 v18, v20, v50
	;; [unrolled: 1-line block ×4, first 2 shown]
	s_mov_b32 s13, s12
	s_mov_b32 s14, s12
	s_mov_b32 s15, s12
	v_lshlrev_b32_e32 v23, 4, v21
	v_lshlrev_b32_e32 v73, 1, v84
	s_getpc_b64 s[10:11]
	s_wait_alu 0xfffe
	s_sext_i32_i16 s11, s11
	s_add_co_u32 s10, s10, _ZN7rocprim17ROCPRIM_400000_NS16block_radix_sortI6__halfLj512ELj8ElLj1ELj1ELj0ELNS0_26block_radix_rank_algorithmE1ELNS0_18block_padding_hintE2ELNS0_4arch9wavefront6targetE0EE19radix_bits_per_passE@rel32@lo+12
	s_wait_alu 0xfffe
	s_add_co_ci_u32 s11, s11, _ZN7rocprim17ROCPRIM_400000_NS16block_radix_sortI6__halfLj512ELj8ElLj1ELj1ELj0ELNS0_26block_radix_rank_algorithmE1ELNS0_18block_padding_hintE2ELNS0_4arch9wavefront6targetE0EE19radix_bits_per_passE@rel32@hi+24
	s_load_b32 s17, s[10:11], 0x0
	ds_store_b128 v23, v[17:20]
	; wave barrier
	ds_load_u16 v74, v73
	v_mad_u32_u24 v0, v21, 48, v23
	ds_load_u16 v75, v73 offset:64
	ds_load_u16 v76, v73 offset:128
	;; [unrolled: 1-line block ×7, first 2 shown]
	s_wait_loadcnt_dscnt 0x0
	s_barrier_signal -1
	s_barrier_wait -1
	global_inv scope:SCOPE_SE
	ds_store_b128 v0, v[13:16]
	ds_store_b128 v0, v[9:12] offset:16
	ds_store_b128 v0, v[5:8] offset:32
	;; [unrolled: 1-line block ×3, first 2 shown]
	v_mad_u32_u24 v29, v84, 6, v73
	; wave barrier
	s_wait_kmcnt 0x0
	s_min_u32 s1, s17, 16
	s_delay_alu instid0(SALU_CYCLE_1) | instskip(SKIP_4) | instid1(VALU_DEP_1)
	s_lshl_b32 s1, -1, s1
	v_cmp_ne_u16_e32 vcc_lo, 0x7fff, v74
	s_not_b32 s9, s1
	s_wait_alu 0xfffd
	v_cndmask_b32_e32 v17, 0xffff8000, v74, vcc_lo
	v_and_b32_e32 v17, 0xffff, v17
	s_wait_alu 0xfffe
	s_delay_alu instid0(VALU_DEP_1)
	v_and_b32_e32 v40, s9, v17
	ds_load_2addr_b64 v[17:20], v29 offset1:32
	ds_load_2addr_b64 v[25:28], v29 offset0:64 offset1:96
	ds_load_2addr_b64 v[21:24], v29 offset0:128 offset1:160
	;; [unrolled: 1-line block ×3, first 2 shown]
	s_wait_loadcnt_dscnt 0x0
	v_and_b32_e32 v0, 1, v40
	v_lshlrev_b32_e32 v33, 30, v40
	v_lshlrev_b32_e32 v36, 28, v40
	s_barrier_signal -1
	s_barrier_wait -1
	v_add_co_u32 v0, s1, v0, -1
	s_delay_alu instid0(VALU_DEP_1)
	v_cndmask_b32_e64 v34, 0, 1, s1
	v_not_b32_e32 v35, v33
	v_cmp_gt_i32_e64 s1, 0, v33
	global_inv scope:SCOPE_SE
	v_cmp_ne_u32_e32 vcc_lo, 0, v34
	v_lshlrev_b32_e32 v34, 29, v40
	v_ashrrev_i32_e32 v33, 31, v35
	s_wait_alu 0xfffd
	v_xor_b32_e32 v0, vcc_lo, v0
	s_delay_alu instid0(VALU_DEP_3)
	v_not_b32_e32 v35, v34
	s_wait_alu 0xf1ff
	v_xor_b32_e32 v33, s1, v33
	v_cmp_gt_i32_e32 vcc_lo, 0, v34
	s_load_b32 s1, s[34:35], 0xc
	v_and_b32_e32 v0, exec_lo, v0
	v_ashrrev_i32_e32 v34, 31, v35
	v_not_b32_e32 v35, v36
	s_delay_alu instid0(VALU_DEP_3) | instskip(SKIP_1) | instid1(VALU_DEP_4)
	v_and_b32_e32 v0, v0, v33
	v_lshlrev_b32_e32 v33, 27, v40
	v_xor_b32_e32 v34, vcc_lo, v34
	v_cmp_gt_i32_e32 vcc_lo, 0, v36
	v_ashrrev_i32_e32 v35, 31, v35
	s_delay_alu instid0(VALU_DEP_4) | instskip(NEXT) | instid1(VALU_DEP_4)
	v_not_b32_e32 v36, v33
	v_and_b32_e32 v0, v0, v34
	v_lshlrev_b32_e32 v34, 26, v40
	s_wait_alu 0xfffd
	v_xor_b32_e32 v35, vcc_lo, v35
	v_cmp_gt_i32_e32 vcc_lo, 0, v33
	v_ashrrev_i32_e32 v33, 31, v36
	v_not_b32_e32 v36, v34
	s_delay_alu instid0(VALU_DEP_4)
	v_and_b32_e32 v0, v0, v35
	v_lshlrev_b32_e32 v35, 25, v40
	s_wait_alu 0xfffd
	v_xor_b32_e32 v33, vcc_lo, v33
	v_cmp_gt_i32_e32 vcc_lo, 0, v34
	v_ashrrev_i32_e32 v34, 31, v36
	s_wait_kmcnt 0x0
	s_lshr_b32 s10, s1, 16
	v_not_b32_e32 v36, v35
	v_and_b32_e32 v0, v0, v33
	v_lshlrev_b32_e32 v33, 24, v40
	s_wait_alu 0xfffd
	v_xor_b32_e32 v34, vcc_lo, v34
	v_cmp_gt_i32_e32 vcc_lo, 0, v35
	v_ashrrev_i32_e32 v35, 31, v36
	s_wait_alu 0xfffe
	v_mad_u32_u24 v37, v72, s10, v71
	v_not_b32_e32 v36, v33
	v_and_b32_e32 v0, v0, v34
	s_and_b32 s1, s1, 0xffff
	s_wait_alu 0xfffd
	v_xor_b32_e32 v34, vcc_lo, v35
	v_cmp_gt_i32_e32 vcc_lo, 0, v33
	v_ashrrev_i32_e32 v33, 31, v36
	s_wait_alu 0xfffe
	v_mad_co_u64_u32 v[38:39], null, v37, s1, v[46:47]
	v_dual_mov_b32 v37, s15 :: v_dual_and_b32 v0, v0, v34
	s_wait_alu 0xfffd
	v_xor_b32_e32 v33, vcc_lo, v33
	v_dual_mov_b32 v36, s14 :: v_dual_mov_b32 v35, s13
	v_mov_b32_e32 v34, s12
	ds_store_b128 v67, v[34:37] offset:64
	ds_store_b128 v67, v[34:37] offset:80
	v_and_b32_e32 v33, v0, v33
	v_lshrrev_b32_e32 v0, 5, v38
	v_lshlrev_b32_e32 v34, 6, v40
	s_wait_loadcnt_dscnt 0x0
	s_barrier_signal -1
	v_mbcnt_lo_u32_b32 v86, v33, 0
	v_lshlrev_b32_e32 v0, 2, v0
	v_cmp_ne_u32_e64 s1, 0, v33
	s_barrier_wait -1
	global_inv scope:SCOPE_SE
	v_cmp_eq_u32_e32 vcc_lo, 0, v86
	v_add_nc_u32_e32 v87, v0, v34
	; wave barrier
	s_and_b32 s10, s1, vcc_lo
	s_wait_alu 0xfffe
	s_and_saveexec_b32 s1, s10
; %bb.35:
	v_bcnt_u32_b32 v33, v33, 0
	ds_store_b32 v87, v33 offset:64
; %bb.36:
	s_wait_alu 0xfffe
	s_or_b32 exec_lo, exec_lo, s1
	v_cmp_ne_u16_e32 vcc_lo, 0x7fff, v75
	; wave barrier
	s_wait_alu 0xfffd
	v_cndmask_b32_e32 v33, 0xffff8000, v75, vcc_lo
	s_delay_alu instid0(VALU_DEP_1) | instskip(NEXT) | instid1(VALU_DEP_1)
	v_and_b32_e32 v33, 0xffff, v33
	v_and_b32_e32 v33, s9, v33
	s_delay_alu instid0(VALU_DEP_1)
	v_and_b32_e32 v34, 1, v33
	v_lshlrev_b32_e32 v35, 30, v33
	v_lshlrev_b32_e32 v36, 29, v33
	;; [unrolled: 1-line block ×4, first 2 shown]
	v_add_co_u32 v34, s1, v34, -1
	s_wait_alu 0xf1ff
	v_cndmask_b32_e64 v38, 0, 1, s1
	v_not_b32_e32 v83, v35
	v_cmp_gt_i32_e64 s1, 0, v35
	v_not_b32_e32 v35, v36
	v_lshlrev_b32_e32 v40, 26, v33
	v_cmp_ne_u32_e32 vcc_lo, 0, v38
	v_ashrrev_i32_e32 v83, 31, v83
	v_lshlrev_b32_e32 v82, 25, v33
	v_ashrrev_i32_e32 v35, 31, v35
	v_lshlrev_b32_e32 v38, 24, v33
	s_wait_alu 0xfffd
	v_xor_b32_e32 v34, vcc_lo, v34
	v_cmp_gt_i32_e32 vcc_lo, 0, v36
	v_not_b32_e32 v36, v37
	s_wait_alu 0xf1ff
	v_xor_b32_e32 v83, s1, v83
	v_cmp_gt_i32_e64 s1, 0, v37
	v_and_b32_e32 v34, exec_lo, v34
	v_not_b32_e32 v37, v39
	v_ashrrev_i32_e32 v36, 31, v36
	s_wait_alu 0xfffd
	v_xor_b32_e32 v35, vcc_lo, v35
	v_cmp_gt_i32_e32 vcc_lo, 0, v39
	v_and_b32_e32 v34, v34, v83
	v_not_b32_e32 v39, v40
	v_ashrrev_i32_e32 v37, 31, v37
	s_wait_alu 0xf1ff
	v_xor_b32_e32 v36, s1, v36
	v_cmp_gt_i32_e64 s1, 0, v40
	v_and_b32_e32 v34, v34, v35
	v_not_b32_e32 v35, v82
	v_ashrrev_i32_e32 v39, 31, v39
	s_wait_alu 0xfffd
	v_xor_b32_e32 v37, vcc_lo, v37
	v_cmp_gt_i32_e32 vcc_lo, 0, v82
	v_and_b32_e32 v34, v34, v36
	v_not_b32_e32 v36, v38
	v_ashrrev_i32_e32 v35, 31, v35
	s_wait_alu 0xf1ff
	v_xor_b32_e32 v39, s1, v39
	v_lshlrev_b32_e32 v33, 6, v33
	v_and_b32_e32 v34, v34, v37
	v_cmp_gt_i32_e64 s1, 0, v38
	v_ashrrev_i32_e32 v36, 31, v36
	s_wait_alu 0xfffd
	v_xor_b32_e32 v35, vcc_lo, v35
	v_add_nc_u32_e32 v90, v0, v33
	v_and_b32_e32 v34, v34, v39
	s_wait_alu 0xf1ff
	v_xor_b32_e32 v33, s1, v36
	ds_load_b32 v88, v90 offset:64
	v_and_b32_e32 v34, v34, v35
	; wave barrier
	s_delay_alu instid0(VALU_DEP_1) | instskip(NEXT) | instid1(VALU_DEP_1)
	v_and_b32_e32 v33, v34, v33
	v_mbcnt_lo_u32_b32 v89, v33, 0
	v_cmp_ne_u32_e64 s1, 0, v33
	s_delay_alu instid0(VALU_DEP_2)
	v_cmp_eq_u32_e32 vcc_lo, 0, v89
	s_and_b32 s10, s1, vcc_lo
	s_wait_alu 0xfffe
	s_and_saveexec_b32 s1, s10
	s_cbranch_execz .LBB230_38
; %bb.37:
	s_wait_dscnt 0x0
	v_bcnt_u32_b32 v33, v33, v88
	ds_store_b32 v90, v33 offset:64
.LBB230_38:
	s_wait_alu 0xfffe
	s_or_b32 exec_lo, exec_lo, s1
	v_cmp_ne_u16_e32 vcc_lo, 0x7fff, v76
	; wave barrier
	s_wait_alu 0xfffd
	v_cndmask_b32_e32 v33, 0xffff8000, v76, vcc_lo
	s_delay_alu instid0(VALU_DEP_1) | instskip(NEXT) | instid1(VALU_DEP_1)
	v_and_b32_e32 v33, 0xffff, v33
	v_and_b32_e32 v33, s9, v33
	s_delay_alu instid0(VALU_DEP_1)
	v_and_b32_e32 v34, 1, v33
	v_lshlrev_b32_e32 v35, 30, v33
	v_lshlrev_b32_e32 v36, 29, v33
	;; [unrolled: 1-line block ×4, first 2 shown]
	v_add_co_u32 v34, s1, v34, -1
	s_wait_alu 0xf1ff
	v_cndmask_b32_e64 v38, 0, 1, s1
	v_not_b32_e32 v83, v35
	v_cmp_gt_i32_e64 s1, 0, v35
	v_not_b32_e32 v35, v36
	v_lshlrev_b32_e32 v40, 26, v33
	v_cmp_ne_u32_e32 vcc_lo, 0, v38
	v_ashrrev_i32_e32 v83, 31, v83
	v_lshlrev_b32_e32 v82, 25, v33
	v_ashrrev_i32_e32 v35, 31, v35
	v_lshlrev_b32_e32 v38, 24, v33
	s_wait_alu 0xfffd
	v_xor_b32_e32 v34, vcc_lo, v34
	v_cmp_gt_i32_e32 vcc_lo, 0, v36
	v_not_b32_e32 v36, v37
	s_wait_alu 0xf1ff
	v_xor_b32_e32 v83, s1, v83
	v_cmp_gt_i32_e64 s1, 0, v37
	v_and_b32_e32 v34, exec_lo, v34
	v_not_b32_e32 v37, v39
	v_ashrrev_i32_e32 v36, 31, v36
	s_wait_alu 0xfffd
	v_xor_b32_e32 v35, vcc_lo, v35
	v_cmp_gt_i32_e32 vcc_lo, 0, v39
	v_and_b32_e32 v34, v34, v83
	v_not_b32_e32 v39, v40
	v_ashrrev_i32_e32 v37, 31, v37
	s_wait_alu 0xf1ff
	v_xor_b32_e32 v36, s1, v36
	v_cmp_gt_i32_e64 s1, 0, v40
	v_and_b32_e32 v34, v34, v35
	v_not_b32_e32 v35, v82
	v_ashrrev_i32_e32 v39, 31, v39
	s_wait_alu 0xfffd
	v_xor_b32_e32 v37, vcc_lo, v37
	v_cmp_gt_i32_e32 vcc_lo, 0, v82
	v_and_b32_e32 v34, v34, v36
	v_not_b32_e32 v36, v38
	v_ashrrev_i32_e32 v35, 31, v35
	s_wait_alu 0xf1ff
	v_xor_b32_e32 v39, s1, v39
	v_lshlrev_b32_e32 v33, 6, v33
	v_and_b32_e32 v34, v34, v37
	v_cmp_gt_i32_e64 s1, 0, v38
	v_ashrrev_i32_e32 v36, 31, v36
	s_wait_alu 0xfffd
	v_xor_b32_e32 v35, vcc_lo, v35
	v_add_nc_u32_e32 v93, v0, v33
	v_and_b32_e32 v34, v34, v39
	s_wait_alu 0xf1ff
	v_xor_b32_e32 v33, s1, v36
	ds_load_b32 v91, v93 offset:64
	v_and_b32_e32 v34, v34, v35
	; wave barrier
	s_delay_alu instid0(VALU_DEP_1) | instskip(NEXT) | instid1(VALU_DEP_1)
	v_and_b32_e32 v33, v34, v33
	v_mbcnt_lo_u32_b32 v92, v33, 0
	v_cmp_ne_u32_e64 s1, 0, v33
	s_delay_alu instid0(VALU_DEP_2)
	v_cmp_eq_u32_e32 vcc_lo, 0, v92
	s_and_b32 s10, s1, vcc_lo
	s_wait_alu 0xfffe
	s_and_saveexec_b32 s1, s10
	s_cbranch_execz .LBB230_40
; %bb.39:
	s_wait_dscnt 0x0
	v_bcnt_u32_b32 v33, v33, v91
	ds_store_b32 v93, v33 offset:64
.LBB230_40:
	s_wait_alu 0xfffe
	s_or_b32 exec_lo, exec_lo, s1
	v_cmp_ne_u16_e32 vcc_lo, 0x7fff, v77
	; wave barrier
	s_wait_alu 0xfffd
	v_cndmask_b32_e32 v33, 0xffff8000, v77, vcc_lo
	s_delay_alu instid0(VALU_DEP_1) | instskip(NEXT) | instid1(VALU_DEP_1)
	v_and_b32_e32 v33, 0xffff, v33
	v_and_b32_e32 v33, s9, v33
	s_delay_alu instid0(VALU_DEP_1)
	v_and_b32_e32 v34, 1, v33
	v_lshlrev_b32_e32 v35, 30, v33
	v_lshlrev_b32_e32 v36, 29, v33
	;; [unrolled: 1-line block ×4, first 2 shown]
	v_add_co_u32 v34, s1, v34, -1
	s_wait_alu 0xf1ff
	v_cndmask_b32_e64 v38, 0, 1, s1
	v_not_b32_e32 v83, v35
	v_cmp_gt_i32_e64 s1, 0, v35
	v_not_b32_e32 v35, v36
	v_lshlrev_b32_e32 v40, 26, v33
	v_cmp_ne_u32_e32 vcc_lo, 0, v38
	v_ashrrev_i32_e32 v83, 31, v83
	v_lshlrev_b32_e32 v82, 25, v33
	v_ashrrev_i32_e32 v35, 31, v35
	v_lshlrev_b32_e32 v38, 24, v33
	s_wait_alu 0xfffd
	v_xor_b32_e32 v34, vcc_lo, v34
	v_cmp_gt_i32_e32 vcc_lo, 0, v36
	v_not_b32_e32 v36, v37
	s_wait_alu 0xf1ff
	v_xor_b32_e32 v83, s1, v83
	v_cmp_gt_i32_e64 s1, 0, v37
	v_and_b32_e32 v34, exec_lo, v34
	v_not_b32_e32 v37, v39
	v_ashrrev_i32_e32 v36, 31, v36
	s_wait_alu 0xfffd
	v_xor_b32_e32 v35, vcc_lo, v35
	v_cmp_gt_i32_e32 vcc_lo, 0, v39
	v_and_b32_e32 v34, v34, v83
	v_not_b32_e32 v39, v40
	v_ashrrev_i32_e32 v37, 31, v37
	s_wait_alu 0xf1ff
	v_xor_b32_e32 v36, s1, v36
	v_cmp_gt_i32_e64 s1, 0, v40
	v_and_b32_e32 v34, v34, v35
	v_not_b32_e32 v35, v82
	v_ashrrev_i32_e32 v39, 31, v39
	s_wait_alu 0xfffd
	v_xor_b32_e32 v37, vcc_lo, v37
	v_cmp_gt_i32_e32 vcc_lo, 0, v82
	v_and_b32_e32 v34, v34, v36
	v_not_b32_e32 v36, v38
	v_ashrrev_i32_e32 v35, 31, v35
	s_wait_alu 0xf1ff
	v_xor_b32_e32 v39, s1, v39
	v_lshlrev_b32_e32 v33, 6, v33
	v_and_b32_e32 v34, v34, v37
	v_cmp_gt_i32_e64 s1, 0, v38
	v_ashrrev_i32_e32 v36, 31, v36
	s_wait_alu 0xfffd
	v_xor_b32_e32 v35, vcc_lo, v35
	v_add_nc_u32_e32 v96, v0, v33
	v_and_b32_e32 v34, v34, v39
	s_wait_alu 0xf1ff
	v_xor_b32_e32 v33, s1, v36
	ds_load_b32 v94, v96 offset:64
	v_and_b32_e32 v34, v34, v35
	; wave barrier
	s_delay_alu instid0(VALU_DEP_1) | instskip(NEXT) | instid1(VALU_DEP_1)
	v_and_b32_e32 v33, v34, v33
	v_mbcnt_lo_u32_b32 v95, v33, 0
	v_cmp_ne_u32_e64 s1, 0, v33
	s_delay_alu instid0(VALU_DEP_2)
	v_cmp_eq_u32_e32 vcc_lo, 0, v95
	s_and_b32 s10, s1, vcc_lo
	s_wait_alu 0xfffe
	s_and_saveexec_b32 s1, s10
	s_cbranch_execz .LBB230_42
; %bb.41:
	s_wait_dscnt 0x0
	v_bcnt_u32_b32 v33, v33, v94
	ds_store_b32 v96, v33 offset:64
.LBB230_42:
	s_wait_alu 0xfffe
	s_or_b32 exec_lo, exec_lo, s1
	v_cmp_ne_u16_e32 vcc_lo, 0x7fff, v78
	; wave barrier
	s_wait_alu 0xfffd
	v_cndmask_b32_e32 v33, 0xffff8000, v78, vcc_lo
	s_delay_alu instid0(VALU_DEP_1) | instskip(NEXT) | instid1(VALU_DEP_1)
	v_and_b32_e32 v33, 0xffff, v33
	v_and_b32_e32 v33, s9, v33
	s_delay_alu instid0(VALU_DEP_1)
	v_and_b32_e32 v34, 1, v33
	v_lshlrev_b32_e32 v35, 30, v33
	v_lshlrev_b32_e32 v36, 29, v33
	;; [unrolled: 1-line block ×4, first 2 shown]
	v_add_co_u32 v34, s1, v34, -1
	s_wait_alu 0xf1ff
	v_cndmask_b32_e64 v38, 0, 1, s1
	v_not_b32_e32 v83, v35
	v_cmp_gt_i32_e64 s1, 0, v35
	v_not_b32_e32 v35, v36
	v_lshlrev_b32_e32 v40, 26, v33
	v_cmp_ne_u32_e32 vcc_lo, 0, v38
	v_ashrrev_i32_e32 v83, 31, v83
	v_lshlrev_b32_e32 v82, 25, v33
	v_ashrrev_i32_e32 v35, 31, v35
	v_lshlrev_b32_e32 v38, 24, v33
	s_wait_alu 0xfffd
	v_xor_b32_e32 v34, vcc_lo, v34
	v_cmp_gt_i32_e32 vcc_lo, 0, v36
	v_not_b32_e32 v36, v37
	s_wait_alu 0xf1ff
	v_xor_b32_e32 v83, s1, v83
	v_cmp_gt_i32_e64 s1, 0, v37
	v_and_b32_e32 v34, exec_lo, v34
	v_not_b32_e32 v37, v39
	v_ashrrev_i32_e32 v36, 31, v36
	s_wait_alu 0xfffd
	v_xor_b32_e32 v35, vcc_lo, v35
	v_cmp_gt_i32_e32 vcc_lo, 0, v39
	v_and_b32_e32 v34, v34, v83
	v_not_b32_e32 v39, v40
	v_ashrrev_i32_e32 v37, 31, v37
	s_wait_alu 0xf1ff
	v_xor_b32_e32 v36, s1, v36
	v_cmp_gt_i32_e64 s1, 0, v40
	v_and_b32_e32 v34, v34, v35
	v_not_b32_e32 v35, v82
	v_ashrrev_i32_e32 v39, 31, v39
	s_wait_alu 0xfffd
	v_xor_b32_e32 v37, vcc_lo, v37
	v_cmp_gt_i32_e32 vcc_lo, 0, v82
	v_and_b32_e32 v34, v34, v36
	v_not_b32_e32 v36, v38
	v_ashrrev_i32_e32 v35, 31, v35
	s_wait_alu 0xf1ff
	v_xor_b32_e32 v39, s1, v39
	v_lshlrev_b32_e32 v33, 6, v33
	v_and_b32_e32 v34, v34, v37
	v_cmp_gt_i32_e64 s1, 0, v38
	v_ashrrev_i32_e32 v36, 31, v36
	s_wait_alu 0xfffd
	v_xor_b32_e32 v35, vcc_lo, v35
	v_add_nc_u32_e32 v99, v0, v33
	v_and_b32_e32 v34, v34, v39
	s_wait_alu 0xf1ff
	v_xor_b32_e32 v33, s1, v36
	ds_load_b32 v97, v99 offset:64
	v_and_b32_e32 v34, v34, v35
	; wave barrier
	s_delay_alu instid0(VALU_DEP_1) | instskip(NEXT) | instid1(VALU_DEP_1)
	v_and_b32_e32 v33, v34, v33
	v_mbcnt_lo_u32_b32 v98, v33, 0
	v_cmp_ne_u32_e64 s1, 0, v33
	s_delay_alu instid0(VALU_DEP_2)
	v_cmp_eq_u32_e32 vcc_lo, 0, v98
	s_and_b32 s10, s1, vcc_lo
	s_wait_alu 0xfffe
	s_and_saveexec_b32 s1, s10
	s_cbranch_execz .LBB230_44
; %bb.43:
	s_wait_dscnt 0x0
	v_bcnt_u32_b32 v33, v33, v97
	ds_store_b32 v99, v33 offset:64
.LBB230_44:
	s_wait_alu 0xfffe
	s_or_b32 exec_lo, exec_lo, s1
	v_cmp_ne_u16_e32 vcc_lo, 0x7fff, v79
	; wave barrier
	s_wait_alu 0xfffd
	v_cndmask_b32_e32 v33, 0xffff8000, v79, vcc_lo
	s_delay_alu instid0(VALU_DEP_1) | instskip(NEXT) | instid1(VALU_DEP_1)
	v_and_b32_e32 v33, 0xffff, v33
	v_and_b32_e32 v33, s9, v33
	s_delay_alu instid0(VALU_DEP_1)
	v_and_b32_e32 v34, 1, v33
	v_lshlrev_b32_e32 v35, 30, v33
	v_lshlrev_b32_e32 v36, 29, v33
	;; [unrolled: 1-line block ×4, first 2 shown]
	v_add_co_u32 v34, s1, v34, -1
	s_wait_alu 0xf1ff
	v_cndmask_b32_e64 v38, 0, 1, s1
	v_not_b32_e32 v83, v35
	v_cmp_gt_i32_e64 s1, 0, v35
	v_not_b32_e32 v35, v36
	v_lshlrev_b32_e32 v40, 26, v33
	v_cmp_ne_u32_e32 vcc_lo, 0, v38
	v_ashrrev_i32_e32 v83, 31, v83
	v_lshlrev_b32_e32 v82, 25, v33
	v_ashrrev_i32_e32 v35, 31, v35
	v_lshlrev_b32_e32 v38, 24, v33
	s_wait_alu 0xfffd
	v_xor_b32_e32 v34, vcc_lo, v34
	v_cmp_gt_i32_e32 vcc_lo, 0, v36
	v_not_b32_e32 v36, v37
	s_wait_alu 0xf1ff
	v_xor_b32_e32 v83, s1, v83
	v_cmp_gt_i32_e64 s1, 0, v37
	v_and_b32_e32 v34, exec_lo, v34
	v_not_b32_e32 v37, v39
	v_ashrrev_i32_e32 v36, 31, v36
	s_wait_alu 0xfffd
	v_xor_b32_e32 v35, vcc_lo, v35
	v_cmp_gt_i32_e32 vcc_lo, 0, v39
	v_and_b32_e32 v34, v34, v83
	v_not_b32_e32 v39, v40
	v_ashrrev_i32_e32 v37, 31, v37
	s_wait_alu 0xf1ff
	v_xor_b32_e32 v36, s1, v36
	v_cmp_gt_i32_e64 s1, 0, v40
	v_and_b32_e32 v34, v34, v35
	v_not_b32_e32 v35, v82
	v_ashrrev_i32_e32 v39, 31, v39
	s_wait_alu 0xfffd
	v_xor_b32_e32 v37, vcc_lo, v37
	v_cmp_gt_i32_e32 vcc_lo, 0, v82
	v_and_b32_e32 v34, v34, v36
	v_not_b32_e32 v36, v38
	v_ashrrev_i32_e32 v35, 31, v35
	s_wait_alu 0xf1ff
	v_xor_b32_e32 v39, s1, v39
	v_lshlrev_b32_e32 v33, 6, v33
	v_and_b32_e32 v34, v34, v37
	v_cmp_gt_i32_e64 s1, 0, v38
	v_ashrrev_i32_e32 v36, 31, v36
	s_wait_alu 0xfffd
	v_xor_b32_e32 v35, vcc_lo, v35
	v_add_nc_u32_e32 v102, v0, v33
	v_and_b32_e32 v34, v34, v39
	s_wait_alu 0xf1ff
	v_xor_b32_e32 v33, s1, v36
	ds_load_b32 v100, v102 offset:64
	v_and_b32_e32 v34, v34, v35
	; wave barrier
	s_delay_alu instid0(VALU_DEP_1) | instskip(NEXT) | instid1(VALU_DEP_1)
	v_and_b32_e32 v33, v34, v33
	v_mbcnt_lo_u32_b32 v101, v33, 0
	v_cmp_ne_u32_e64 s1, 0, v33
	s_delay_alu instid0(VALU_DEP_2)
	v_cmp_eq_u32_e32 vcc_lo, 0, v101
	s_and_b32 s10, s1, vcc_lo
	s_wait_alu 0xfffe
	s_and_saveexec_b32 s1, s10
	s_cbranch_execz .LBB230_46
; %bb.45:
	s_wait_dscnt 0x0
	v_bcnt_u32_b32 v33, v33, v100
	ds_store_b32 v102, v33 offset:64
.LBB230_46:
	s_wait_alu 0xfffe
	s_or_b32 exec_lo, exec_lo, s1
	v_cmp_ne_u16_e32 vcc_lo, 0x7fff, v80
	; wave barrier
	s_wait_alu 0xfffd
	v_cndmask_b32_e32 v33, 0xffff8000, v80, vcc_lo
	s_delay_alu instid0(VALU_DEP_1) | instskip(NEXT) | instid1(VALU_DEP_1)
	v_and_b32_e32 v33, 0xffff, v33
	v_and_b32_e32 v33, s9, v33
	s_delay_alu instid0(VALU_DEP_1)
	v_and_b32_e32 v34, 1, v33
	v_lshlrev_b32_e32 v35, 30, v33
	v_lshlrev_b32_e32 v36, 29, v33
	;; [unrolled: 1-line block ×4, first 2 shown]
	v_add_co_u32 v34, s1, v34, -1
	s_wait_alu 0xf1ff
	v_cndmask_b32_e64 v38, 0, 1, s1
	v_not_b32_e32 v83, v35
	v_cmp_gt_i32_e64 s1, 0, v35
	v_not_b32_e32 v35, v36
	v_lshlrev_b32_e32 v40, 26, v33
	v_cmp_ne_u32_e32 vcc_lo, 0, v38
	v_ashrrev_i32_e32 v83, 31, v83
	v_lshlrev_b32_e32 v82, 25, v33
	v_ashrrev_i32_e32 v35, 31, v35
	v_lshlrev_b32_e32 v38, 24, v33
	s_wait_alu 0xfffd
	v_xor_b32_e32 v34, vcc_lo, v34
	v_cmp_gt_i32_e32 vcc_lo, 0, v36
	v_not_b32_e32 v36, v37
	s_wait_alu 0xf1ff
	v_xor_b32_e32 v83, s1, v83
	v_cmp_gt_i32_e64 s1, 0, v37
	v_and_b32_e32 v34, exec_lo, v34
	v_not_b32_e32 v37, v39
	v_ashrrev_i32_e32 v36, 31, v36
	s_wait_alu 0xfffd
	v_xor_b32_e32 v35, vcc_lo, v35
	v_cmp_gt_i32_e32 vcc_lo, 0, v39
	v_and_b32_e32 v34, v34, v83
	v_not_b32_e32 v39, v40
	v_ashrrev_i32_e32 v37, 31, v37
	s_wait_alu 0xf1ff
	v_xor_b32_e32 v36, s1, v36
	v_cmp_gt_i32_e64 s1, 0, v40
	v_and_b32_e32 v34, v34, v35
	v_not_b32_e32 v35, v82
	v_ashrrev_i32_e32 v39, 31, v39
	s_wait_alu 0xfffd
	v_xor_b32_e32 v37, vcc_lo, v37
	v_cmp_gt_i32_e32 vcc_lo, 0, v82
	v_and_b32_e32 v34, v34, v36
	v_not_b32_e32 v36, v38
	v_ashrrev_i32_e32 v35, 31, v35
	s_wait_alu 0xf1ff
	v_xor_b32_e32 v39, s1, v39
	v_lshlrev_b32_e32 v33, 6, v33
	v_and_b32_e32 v34, v34, v37
	v_cmp_gt_i32_e64 s1, 0, v38
	v_ashrrev_i32_e32 v36, 31, v36
	s_wait_alu 0xfffd
	v_xor_b32_e32 v35, vcc_lo, v35
	v_add_nc_u32_e32 v105, v0, v33
	v_and_b32_e32 v34, v34, v39
	s_wait_alu 0xf1ff
	v_xor_b32_e32 v33, s1, v36
	ds_load_b32 v103, v105 offset:64
	v_and_b32_e32 v34, v34, v35
	; wave barrier
	s_delay_alu instid0(VALU_DEP_1) | instskip(NEXT) | instid1(VALU_DEP_1)
	v_and_b32_e32 v33, v34, v33
	v_mbcnt_lo_u32_b32 v104, v33, 0
	v_cmp_ne_u32_e64 s1, 0, v33
	s_delay_alu instid0(VALU_DEP_2)
	v_cmp_eq_u32_e32 vcc_lo, 0, v104
	s_and_b32 s10, s1, vcc_lo
	s_wait_alu 0xfffe
	s_and_saveexec_b32 s1, s10
	s_cbranch_execz .LBB230_48
; %bb.47:
	s_wait_dscnt 0x0
	v_bcnt_u32_b32 v33, v33, v103
	ds_store_b32 v105, v33 offset:64
.LBB230_48:
	s_wait_alu 0xfffe
	s_or_b32 exec_lo, exec_lo, s1
	v_cmp_ne_u16_e32 vcc_lo, 0x7fff, v81
	; wave barrier
	s_wait_alu 0xfffd
	v_cndmask_b32_e32 v33, 0xffff8000, v81, vcc_lo
	s_delay_alu instid0(VALU_DEP_1) | instskip(NEXT) | instid1(VALU_DEP_1)
	v_and_b32_e32 v33, 0xffff, v33
	v_and_b32_e32 v33, s9, v33
	s_delay_alu instid0(VALU_DEP_1)
	v_and_b32_e32 v34, 1, v33
	v_lshlrev_b32_e32 v35, 30, v33
	v_lshlrev_b32_e32 v36, 29, v33
	;; [unrolled: 1-line block ×4, first 2 shown]
	v_add_co_u32 v34, s1, v34, -1
	s_wait_alu 0xf1ff
	v_cndmask_b32_e64 v38, 0, 1, s1
	v_not_b32_e32 v83, v35
	v_cmp_gt_i32_e64 s1, 0, v35
	v_not_b32_e32 v35, v36
	v_lshlrev_b32_e32 v40, 26, v33
	v_cmp_ne_u32_e32 vcc_lo, 0, v38
	v_ashrrev_i32_e32 v83, 31, v83
	v_lshlrev_b32_e32 v82, 25, v33
	v_ashrrev_i32_e32 v35, 31, v35
	v_lshlrev_b32_e32 v38, 24, v33
	s_wait_alu 0xfffd
	v_xor_b32_e32 v34, vcc_lo, v34
	v_cmp_gt_i32_e32 vcc_lo, 0, v36
	v_not_b32_e32 v36, v37
	s_wait_alu 0xf1ff
	v_xor_b32_e32 v83, s1, v83
	v_cmp_gt_i32_e64 s1, 0, v37
	v_and_b32_e32 v34, exec_lo, v34
	v_not_b32_e32 v37, v39
	v_ashrrev_i32_e32 v36, 31, v36
	s_wait_alu 0xfffd
	v_xor_b32_e32 v35, vcc_lo, v35
	v_cmp_gt_i32_e32 vcc_lo, 0, v39
	v_and_b32_e32 v34, v34, v83
	v_not_b32_e32 v39, v40
	v_ashrrev_i32_e32 v37, 31, v37
	s_wait_alu 0xf1ff
	v_xor_b32_e32 v36, s1, v36
	v_cmp_gt_i32_e64 s1, 0, v40
	v_and_b32_e32 v34, v34, v35
	v_not_b32_e32 v35, v82
	v_ashrrev_i32_e32 v39, 31, v39
	s_wait_alu 0xfffd
	v_xor_b32_e32 v37, vcc_lo, v37
	v_cmp_gt_i32_e32 vcc_lo, 0, v82
	v_and_b32_e32 v34, v34, v36
	v_not_b32_e32 v36, v38
	v_ashrrev_i32_e32 v35, 31, v35
	s_wait_alu 0xf1ff
	v_xor_b32_e32 v39, s1, v39
	v_lshlrev_b32_e32 v33, 6, v33
	v_and_b32_e32 v34, v34, v37
	v_cmp_gt_i32_e64 s1, 0, v38
	v_ashrrev_i32_e32 v36, 31, v36
	s_wait_alu 0xfffd
	v_xor_b32_e32 v35, vcc_lo, v35
	v_add_nc_u32_e32 v108, v0, v33
	v_and_b32_e32 v34, v34, v39
	v_min_u32_e32 v82, 0x1e0, v70
	s_wait_alu 0xf1ff
	v_xor_b32_e32 v33, s1, v36
	ds_load_b32 v106, v108 offset:64
	v_and_b32_e32 v34, v34, v35
	; wave barrier
	s_delay_alu instid0(VALU_DEP_1) | instskip(NEXT) | instid1(VALU_DEP_1)
	v_and_b32_e32 v33, v34, v33
	v_mbcnt_lo_u32_b32 v107, v33, 0
	v_cmp_ne_u32_e64 s1, 0, v33
	s_delay_alu instid0(VALU_DEP_2)
	v_cmp_eq_u32_e32 vcc_lo, 0, v107
	s_and_b32 s9, s1, vcc_lo
	s_wait_alu 0xfffe
	s_and_saveexec_b32 s1, s9
	s_cbranch_execz .LBB230_50
; %bb.49:
	s_wait_dscnt 0x0
	v_bcnt_u32_b32 v33, v33, v106
	ds_store_b32 v108, v33 offset:64
.LBB230_50:
	s_wait_alu 0xfffe
	s_or_b32 exec_lo, exec_lo, s1
	; wave barrier
	s_wait_loadcnt_dscnt 0x0
	s_barrier_signal -1
	s_barrier_wait -1
	global_inv scope:SCOPE_SE
	ds_load_b128 v[37:40], v67 offset:64
	ds_load_b128 v[33:36], v67 offset:80
	v_and_b32_e32 v109, 16, v69
	v_or_b32_e32 v82, 31, v82
	s_delay_alu instid0(VALU_DEP_2) | instskip(NEXT) | instid1(VALU_DEP_2)
	v_cmp_eq_u32_e64 s15, 0, v109
	v_cmp_eq_u32_e64 s13, v46, v82
	s_wait_dscnt 0x1
	v_add_nc_u32_e32 v83, v38, v37
	s_delay_alu instid0(VALU_DEP_1) | instskip(SKIP_1) | instid1(VALU_DEP_1)
	v_add3_u32 v83, v83, v39, v40
	s_wait_dscnt 0x0
	v_add3_u32 v83, v83, v33, v34
	s_delay_alu instid0(VALU_DEP_1) | instskip(SKIP_1) | instid1(VALU_DEP_2)
	v_add3_u32 v36, v83, v35, v36
	v_and_b32_e32 v83, 15, v69
	v_mov_b32_dpp v85, v36 row_shr:1 row_mask:0xf bank_mask:0xf
	s_delay_alu instid0(VALU_DEP_2)
	v_cmp_eq_u32_e32 vcc_lo, 0, v83
	v_cmp_lt_u32_e64 s1, 1, v83
	v_cmp_lt_u32_e64 s9, 3, v83
	;; [unrolled: 1-line block ×3, first 2 shown]
	s_wait_alu 0xfffd
	v_cndmask_b32_e64 v85, v85, 0, vcc_lo
	s_delay_alu instid0(VALU_DEP_1) | instskip(NEXT) | instid1(VALU_DEP_1)
	v_add_nc_u32_e32 v36, v85, v36
	v_mov_b32_dpp v85, v36 row_shr:2 row_mask:0xf bank_mask:0xf
	s_wait_alu 0xf1ff
	s_delay_alu instid0(VALU_DEP_1) | instskip(NEXT) | instid1(VALU_DEP_1)
	v_cndmask_b32_e64 v85, 0, v85, s1
	v_add_nc_u32_e32 v36, v36, v85
	s_delay_alu instid0(VALU_DEP_1) | instskip(NEXT) | instid1(VALU_DEP_1)
	v_mov_b32_dpp v85, v36 row_shr:4 row_mask:0xf bank_mask:0xf
	v_cndmask_b32_e64 v85, 0, v85, s9
	s_delay_alu instid0(VALU_DEP_1) | instskip(NEXT) | instid1(VALU_DEP_1)
	v_add_nc_u32_e32 v36, v36, v85
	v_mov_b32_dpp v85, v36 row_shr:8 row_mask:0xf bank_mask:0xf
	s_delay_alu instid0(VALU_DEP_1) | instskip(NEXT) | instid1(VALU_DEP_1)
	v_cndmask_b32_e64 v83, 0, v85, s10
	v_add_nc_u32_e32 v85, v36, v83
	v_bfe_i32 v83, v69, 4, 1
	ds_swizzle_b32 v36, v85 offset:swizzle(BROADCAST,32,15)
	s_wait_dscnt 0x0
	v_and_b32_e32 v110, v83, v36
	v_mul_i32_i24_e32 v36, 0xffffffe4, v46
	v_lshlrev_b32_e32 v83, 2, v68
	s_delay_alu instid0(VALU_DEP_3)
	v_add_nc_u32_e32 v85, v85, v110
	s_and_saveexec_b32 s11, s13
; %bb.51:
	ds_store_b32 v83, v85
; %bb.52:
	s_wait_alu 0xfffe
	s_or_b32 exec_lo, exec_lo, s11
	v_cmp_gt_u32_e64 s12, 16, v46
	v_add_nc_u32_e32 v82, v67, v36
	s_wait_loadcnt_dscnt 0x0
	s_barrier_signal -1
	s_barrier_wait -1
	global_inv scope:SCOPE_SE
	s_and_saveexec_b32 s11, s12
	s_cbranch_execz .LBB230_54
; %bb.53:
	ds_load_b32 v36, v82
	s_wait_dscnt 0x0
	v_mov_b32_dpp v109, v36 row_shr:1 row_mask:0xf bank_mask:0xf
	s_delay_alu instid0(VALU_DEP_1) | instskip(NEXT) | instid1(VALU_DEP_1)
	v_cndmask_b32_e64 v109, v109, 0, vcc_lo
	v_add_nc_u32_e32 v36, v109, v36
	s_delay_alu instid0(VALU_DEP_1) | instskip(NEXT) | instid1(VALU_DEP_1)
	v_mov_b32_dpp v109, v36 row_shr:2 row_mask:0xf bank_mask:0xf
	v_cndmask_b32_e64 v109, 0, v109, s1
	s_delay_alu instid0(VALU_DEP_1) | instskip(NEXT) | instid1(VALU_DEP_1)
	v_add_nc_u32_e32 v36, v36, v109
	v_mov_b32_dpp v109, v36 row_shr:4 row_mask:0xf bank_mask:0xf
	s_delay_alu instid0(VALU_DEP_1) | instskip(NEXT) | instid1(VALU_DEP_1)
	v_cndmask_b32_e64 v109, 0, v109, s9
	v_add_nc_u32_e32 v36, v36, v109
	s_delay_alu instid0(VALU_DEP_1) | instskip(NEXT) | instid1(VALU_DEP_1)
	v_mov_b32_dpp v109, v36 row_shr:8 row_mask:0xf bank_mask:0xf
	v_cndmask_b32_e64 v109, 0, v109, s10
	s_delay_alu instid0(VALU_DEP_1)
	v_add_nc_u32_e32 v36, v36, v109
	ds_store_b32 v82, v36
.LBB230_54:
	s_wait_alu 0xfffe
	s_or_b32 exec_lo, exec_lo, s11
	v_mul_u32_u24_e32 v36, 6, v84
	v_sub_co_u32 v109, s11, v69, 1
	v_cmp_lt_u32_e64 s14, 31, v46
	v_add_nc_u32_e32 v84, -4, v83
	v_mov_b32_e32 v110, 0
	s_wait_loadcnt_dscnt 0x0
	s_barrier_signal -1
	s_barrier_wait -1
	global_inv scope:SCOPE_SE
	s_and_saveexec_b32 s16, s14
; %bb.55:
	ds_load_b32 v110, v84
; %bb.56:
	s_or_b32 exec_lo, exec_lo, s16
	v_cmp_gt_i32_e64 s16, 0, v109
	s_mov_b32 s20, 0
	s_min_u32 s17, s17, 8
	s_mov_b32 s21, s20
	s_mov_b32 s22, s20
	v_cndmask_b32_e64 v109, v109, v69, s16
	s_mov_b32 s23, s20
	s_wait_dscnt 0x0
	v_add_nc_u32_e32 v111, v110, v85
	v_cmp_eq_u32_e64 s16, 0, v46
	s_lshl_b32 s17, -1, s17
	v_lshlrev_b32_e32 v85, 2, v109
	s_wait_alu 0xfffe
	s_not_b32 s19, s17
	ds_bpermute_b32 v109, v85, v111
	s_wait_dscnt 0x0
	v_cndmask_b32_e64 v109, v109, v110, s11
	s_delay_alu instid0(VALU_DEP_1) | instskip(NEXT) | instid1(VALU_DEP_1)
	v_cndmask_b32_e64 v109, v109, 0, s16
	v_add_nc_u32_e32 v110, v109, v37
	s_delay_alu instid0(VALU_DEP_1) | instskip(NEXT) | instid1(VALU_DEP_1)
	v_add_nc_u32_e32 v111, v110, v38
	v_add_nc_u32_e32 v112, v111, v39
	s_delay_alu instid0(VALU_DEP_1) | instskip(NEXT) | instid1(VALU_DEP_1)
	v_add_nc_u32_e32 v37, v112, v40
	;; [unrolled: 3-line block ×3, first 2 shown]
	v_add_nc_u32_e32 v40, v39, v35
	ds_store_b128 v67, v[109:112] offset:64
	ds_store_b128 v67, v[37:40] offset:80
	s_wait_loadcnt_dscnt 0x0
	s_barrier_signal -1
	s_barrier_wait -1
	global_inv scope:SCOPE_SE
	ds_load_b32 v33, v87 offset:64
	ds_load_b32 v34, v90 offset:64
	;; [unrolled: 1-line block ×8, first 2 shown]
	v_add_nc_u32_e32 v90, v73, v36
	s_wait_loadcnt_dscnt 0x0
	s_barrier_signal -1
	s_barrier_wait -1
	global_inv scope:SCOPE_SE
	v_add_nc_u32_e32 v86, v33, v86
	v_add3_u32 v88, v89, v88, v34
	v_add3_u32 v89, v92, v91, v35
	;; [unrolled: 1-line block ×7, first 2 shown]
	v_lshlrev_b32_e32 v33, 1, v86
	v_lshlrev_b32_e32 v34, 1, v88
	;; [unrolled: 1-line block ×8, first 2 shown]
	ds_store_b16 v33, v74
	ds_store_b16 v34, v75
	;; [unrolled: 1-line block ×8, first 2 shown]
	s_wait_loadcnt_dscnt 0x0
	s_barrier_signal -1
	s_barrier_wait -1
	global_inv scope:SCOPE_SE
	ds_load_u16 v74, v73
	ds_load_u16 v75, v73 offset:64
	ds_load_u16 v76, v73 offset:128
	;; [unrolled: 1-line block ×7, first 2 shown]
	v_mad_co_u64_u32 v[86:87], null, v86, 6, v[33:34]
	v_mad_co_u64_u32 v[33:34], null, v88, 6, v[34:35]
	;; [unrolled: 1-line block ×3, first 2 shown]
	s_wait_loadcnt_dscnt 0x0
	s_barrier_signal -1
	s_barrier_wait -1
	global_inv scope:SCOPE_SE
	v_mad_co_u64_u32 v[35:36], null, v91, 6, v[36:37]
	v_lshrrev_b16 v81, 8, v74
	v_cmp_ne_u16_e64 s17, 0x7fff, v74
	ds_store_b64 v86, v[17:18]
	v_mad_co_u64_u32 v[36:37], null, v92, 6, v[37:38]
	v_mad_co_u64_u32 v[37:38], null, v93, 6, v[38:39]
	s_wait_alu 0xf1ff
	v_cndmask_b32_e64 v81, 0x80, v81, s17
	v_mad_co_u64_u32 v[38:39], null, v94, 6, v[39:40]
	v_mad_co_u64_u32 v[39:40], null, v95, 6, v[40:41]
	s_delay_alu instid0(VALU_DEP_3)
	v_and_b32_e32 v17, 0xffff, v81
	ds_store_b64 v33, v[19:20]
	ds_store_b64 v34, v[25:26]
	;; [unrolled: 1-line block ×7, first 2 shown]
	v_and_b32_e32 v40, s19, v17
	s_wait_loadcnt_dscnt 0x0
	s_barrier_signal -1
	s_barrier_wait -1
	global_inv scope:SCOPE_SE
	v_and_b32_e32 v17, 1, v40
	v_lshlrev_b32_e32 v18, 30, v40
	v_lshlrev_b32_e32 v19, 29, v40
	;; [unrolled: 1-line block ×4, first 2 shown]
	v_add_co_u32 v17, s17, v17, -1
	s_wait_alu 0xf1ff
	v_cndmask_b32_e64 v21, 0, 1, s17
	v_not_b32_e32 v25, v18
	v_cmp_gt_i32_e64 s18, 0, v18
	v_not_b32_e32 v18, v19
	v_lshlrev_b32_e32 v23, 26, v40
	v_cmp_ne_u32_e64 s17, 0, v21
	v_ashrrev_i32_e32 v25, 31, v25
	v_lshlrev_b32_e32 v24, 25, v40
	v_ashrrev_i32_e32 v18, 31, v18
	v_lshlrev_b32_e32 v21, 24, v40
	s_wait_alu 0xf1ff
	v_xor_b32_e32 v17, s17, v17
	v_cmp_gt_i32_e64 s17, 0, v19
	v_not_b32_e32 v19, v20
	v_xor_b32_e32 v25, s18, v25
	v_cmp_gt_i32_e64 s18, 0, v20
	v_and_b32_e32 v17, exec_lo, v17
	v_not_b32_e32 v20, v22
	v_ashrrev_i32_e32 v19, 31, v19
	s_wait_alu 0xf1ff
	v_xor_b32_e32 v18, s17, v18
	v_cmp_gt_i32_e64 s17, 0, v22
	v_and_b32_e32 v17, v17, v25
	v_not_b32_e32 v22, v23
	v_ashrrev_i32_e32 v20, 31, v20
	v_xor_b32_e32 v19, s18, v19
	v_cmp_gt_i32_e64 s18, 0, v23
	v_and_b32_e32 v17, v17, v18
	v_not_b32_e32 v18, v24
	v_ashrrev_i32_e32 v22, 31, v22
	s_wait_alu 0xf1ff
	v_xor_b32_e32 v20, s17, v20
	v_cmp_gt_i32_e64 s17, 0, v24
	v_and_b32_e32 v17, v17, v19
	v_not_b32_e32 v19, v21
	v_ashrrev_i32_e32 v18, 31, v18
	v_xor_b32_e32 v22, s18, v22
	v_cmp_gt_i32_e64 s18, 0, v21
	v_and_b32_e32 v17, v17, v20
	v_ashrrev_i32_e32 v19, 31, v19
	s_wait_alu 0xf1ff
	v_xor_b32_e32 v18, s17, v18
	v_dual_mov_b32 v37, s23 :: v_dual_mov_b32 v36, s22
	v_and_b32_e32 v17, v17, v22
	v_xor_b32_e32 v33, s18, v19
	ds_load_2addr_b64 v[21:24], v90 offset1:32
	v_dual_mov_b32 v35, s21 :: v_dual_mov_b32 v34, s20
	v_and_b32_e32 v38, v17, v18
	ds_load_2addr_b64 v[29:32], v90 offset0:64 offset1:96
	ds_load_2addr_b64 v[25:28], v90 offset0:128 offset1:160
	;; [unrolled: 1-line block ×3, first 2 shown]
	v_lshl_add_u32 v86, v40, 6, v0
	s_wait_loadcnt_dscnt 0x0
	s_barrier_signal -1
	v_and_b32_e32 v33, v38, v33
	s_barrier_wait -1
	global_inv scope:SCOPE_SE
	ds_store_b128 v67, v[34:37] offset:64
	ds_store_b128 v67, v[34:37] offset:80
	s_wait_loadcnt_dscnt 0x0
	v_mbcnt_lo_u32_b32 v81, v33, 0
	v_cmp_ne_u32_e64 s18, 0, v33
	s_barrier_signal -1
	s_barrier_wait -1
	global_inv scope:SCOPE_SE
	v_cmp_eq_u32_e64 s17, 0, v81
	; wave barrier
	s_and_b32 s18, s18, s17
	s_wait_alu 0xfffe
	s_and_saveexec_b32 s17, s18
; %bb.57:
	v_bcnt_u32_b32 v33, v33, 0
	ds_store_b32 v86, v33 offset:64
; %bb.58:
	s_wait_alu 0xfffe
	s_or_b32 exec_lo, exec_lo, s17
	v_lshrrev_b16 v33, 8, v75
	v_cmp_ne_u16_e64 s17, 0x7fff, v75
	; wave barrier
	s_wait_alu 0xf1ff
	s_delay_alu instid0(VALU_DEP_1) | instskip(NEXT) | instid1(VALU_DEP_1)
	v_cndmask_b32_e64 v33, 0x80, v33, s17
	v_and_b32_e32 v33, s19, v33
	s_delay_alu instid0(VALU_DEP_1)
	v_and_b32_e32 v34, 1, v33
	v_lshlrev_b32_e32 v35, 30, v33
	v_lshlrev_b32_e32 v36, 29, v33
	;; [unrolled: 1-line block ×4, first 2 shown]
	v_add_co_u32 v34, s17, v34, -1
	s_wait_alu 0xf1ff
	v_cndmask_b32_e64 v38, 0, 1, s17
	v_not_b32_e32 v88, v35
	v_cmp_gt_i32_e64 s18, 0, v35
	v_not_b32_e32 v35, v36
	v_lshlrev_b32_e32 v40, 26, v33
	v_cmp_ne_u32_e64 s17, 0, v38
	v_ashrrev_i32_e32 v88, 31, v88
	v_lshlrev_b32_e32 v87, 25, v33
	v_ashrrev_i32_e32 v35, 31, v35
	v_lshlrev_b32_e32 v38, 24, v33
	s_wait_alu 0xf1ff
	v_xor_b32_e32 v34, s17, v34
	v_cmp_gt_i32_e64 s17, 0, v36
	v_not_b32_e32 v36, v37
	v_xor_b32_e32 v88, s18, v88
	v_cmp_gt_i32_e64 s18, 0, v37
	v_and_b32_e32 v34, exec_lo, v34
	v_not_b32_e32 v37, v39
	v_ashrrev_i32_e32 v36, 31, v36
	s_wait_alu 0xf1ff
	v_xor_b32_e32 v35, s17, v35
	v_cmp_gt_i32_e64 s17, 0, v39
	v_and_b32_e32 v34, v34, v88
	v_not_b32_e32 v39, v40
	v_ashrrev_i32_e32 v37, 31, v37
	v_xor_b32_e32 v36, s18, v36
	v_cmp_gt_i32_e64 s18, 0, v40
	v_and_b32_e32 v34, v34, v35
	v_not_b32_e32 v35, v87
	v_ashrrev_i32_e32 v39, 31, v39
	s_wait_alu 0xf1ff
	v_xor_b32_e32 v37, s17, v37
	v_cmp_gt_i32_e64 s17, 0, v87
	v_and_b32_e32 v34, v34, v36
	v_not_b32_e32 v36, v38
	v_ashrrev_i32_e32 v35, 31, v35
	v_xor_b32_e32 v39, s18, v39
	v_cmp_gt_i32_e64 s18, 0, v38
	v_and_b32_e32 v34, v34, v37
	v_ashrrev_i32_e32 v36, 31, v36
	s_wait_alu 0xf1ff
	v_xor_b32_e32 v35, s17, v35
	v_lshl_add_u32 v89, v33, 6, v0
	v_and_b32_e32 v34, v34, v39
	v_xor_b32_e32 v33, s18, v36
	ds_load_b32 v87, v89 offset:64
	v_and_b32_e32 v34, v34, v35
	; wave barrier
	s_delay_alu instid0(VALU_DEP_1) | instskip(NEXT) | instid1(VALU_DEP_1)
	v_and_b32_e32 v33, v34, v33
	v_mbcnt_lo_u32_b32 v88, v33, 0
	v_cmp_ne_u32_e64 s18, 0, v33
	s_delay_alu instid0(VALU_DEP_2)
	v_cmp_eq_u32_e64 s17, 0, v88
	s_and_b32 s18, s18, s17
	s_wait_alu 0xfffe
	s_and_saveexec_b32 s17, s18
	s_cbranch_execz .LBB230_60
; %bb.59:
	s_wait_dscnt 0x0
	v_bcnt_u32_b32 v33, v33, v87
	ds_store_b32 v89, v33 offset:64
.LBB230_60:
	s_wait_alu 0xfffe
	s_or_b32 exec_lo, exec_lo, s17
	v_lshrrev_b16 v33, 8, v76
	v_cmp_ne_u16_e64 s17, 0x7fff, v76
	; wave barrier
	s_wait_alu 0xf1ff
	s_delay_alu instid0(VALU_DEP_1) | instskip(NEXT) | instid1(VALU_DEP_1)
	v_cndmask_b32_e64 v33, 0x80, v33, s17
	v_and_b32_e32 v33, s19, v33
	s_delay_alu instid0(VALU_DEP_1)
	v_and_b32_e32 v34, 1, v33
	v_lshlrev_b32_e32 v35, 30, v33
	v_lshlrev_b32_e32 v36, 29, v33
	;; [unrolled: 1-line block ×4, first 2 shown]
	v_add_co_u32 v34, s17, v34, -1
	s_wait_alu 0xf1ff
	v_cndmask_b32_e64 v38, 0, 1, s17
	v_not_b32_e32 v91, v35
	v_cmp_gt_i32_e64 s18, 0, v35
	v_not_b32_e32 v35, v36
	v_lshlrev_b32_e32 v40, 26, v33
	v_cmp_ne_u32_e64 s17, 0, v38
	v_ashrrev_i32_e32 v91, 31, v91
	v_lshlrev_b32_e32 v90, 25, v33
	v_ashrrev_i32_e32 v35, 31, v35
	v_lshlrev_b32_e32 v38, 24, v33
	s_wait_alu 0xf1ff
	v_xor_b32_e32 v34, s17, v34
	v_cmp_gt_i32_e64 s17, 0, v36
	v_not_b32_e32 v36, v37
	v_xor_b32_e32 v91, s18, v91
	v_cmp_gt_i32_e64 s18, 0, v37
	v_and_b32_e32 v34, exec_lo, v34
	v_not_b32_e32 v37, v39
	v_ashrrev_i32_e32 v36, 31, v36
	s_wait_alu 0xf1ff
	v_xor_b32_e32 v35, s17, v35
	v_cmp_gt_i32_e64 s17, 0, v39
	v_and_b32_e32 v34, v34, v91
	v_not_b32_e32 v39, v40
	v_ashrrev_i32_e32 v37, 31, v37
	v_xor_b32_e32 v36, s18, v36
	v_cmp_gt_i32_e64 s18, 0, v40
	v_and_b32_e32 v34, v34, v35
	v_not_b32_e32 v35, v90
	v_ashrrev_i32_e32 v39, 31, v39
	s_wait_alu 0xf1ff
	v_xor_b32_e32 v37, s17, v37
	v_cmp_gt_i32_e64 s17, 0, v90
	v_and_b32_e32 v34, v34, v36
	v_not_b32_e32 v36, v38
	v_ashrrev_i32_e32 v35, 31, v35
	v_xor_b32_e32 v39, s18, v39
	v_cmp_gt_i32_e64 s18, 0, v38
	v_and_b32_e32 v34, v34, v37
	v_ashrrev_i32_e32 v36, 31, v36
	s_wait_alu 0xf1ff
	v_xor_b32_e32 v35, s17, v35
	v_lshl_add_u32 v92, v33, 6, v0
	v_and_b32_e32 v34, v34, v39
	v_xor_b32_e32 v33, s18, v36
	ds_load_b32 v90, v92 offset:64
	v_and_b32_e32 v34, v34, v35
	; wave barrier
	s_delay_alu instid0(VALU_DEP_1) | instskip(NEXT) | instid1(VALU_DEP_1)
	v_and_b32_e32 v33, v34, v33
	v_mbcnt_lo_u32_b32 v91, v33, 0
	v_cmp_ne_u32_e64 s18, 0, v33
	s_delay_alu instid0(VALU_DEP_2)
	v_cmp_eq_u32_e64 s17, 0, v91
	s_and_b32 s18, s18, s17
	s_wait_alu 0xfffe
	s_and_saveexec_b32 s17, s18
	s_cbranch_execz .LBB230_62
; %bb.61:
	s_wait_dscnt 0x0
	v_bcnt_u32_b32 v33, v33, v90
	ds_store_b32 v92, v33 offset:64
.LBB230_62:
	s_wait_alu 0xfffe
	s_or_b32 exec_lo, exec_lo, s17
	v_lshrrev_b16 v33, 8, v77
	v_cmp_ne_u16_e64 s17, 0x7fff, v77
	; wave barrier
	s_wait_alu 0xf1ff
	s_delay_alu instid0(VALU_DEP_1) | instskip(NEXT) | instid1(VALU_DEP_1)
	v_cndmask_b32_e64 v33, 0x80, v33, s17
	v_and_b32_e32 v33, s19, v33
	s_delay_alu instid0(VALU_DEP_1)
	v_and_b32_e32 v34, 1, v33
	v_lshlrev_b32_e32 v35, 30, v33
	v_lshlrev_b32_e32 v36, 29, v33
	;; [unrolled: 1-line block ×4, first 2 shown]
	v_add_co_u32 v34, s17, v34, -1
	s_wait_alu 0xf1ff
	v_cndmask_b32_e64 v38, 0, 1, s17
	v_not_b32_e32 v94, v35
	v_cmp_gt_i32_e64 s18, 0, v35
	v_not_b32_e32 v35, v36
	v_lshlrev_b32_e32 v40, 26, v33
	v_cmp_ne_u32_e64 s17, 0, v38
	v_ashrrev_i32_e32 v94, 31, v94
	v_lshlrev_b32_e32 v93, 25, v33
	v_ashrrev_i32_e32 v35, 31, v35
	v_lshlrev_b32_e32 v38, 24, v33
	s_wait_alu 0xf1ff
	v_xor_b32_e32 v34, s17, v34
	v_cmp_gt_i32_e64 s17, 0, v36
	v_not_b32_e32 v36, v37
	v_xor_b32_e32 v94, s18, v94
	v_cmp_gt_i32_e64 s18, 0, v37
	v_and_b32_e32 v34, exec_lo, v34
	v_not_b32_e32 v37, v39
	v_ashrrev_i32_e32 v36, 31, v36
	s_wait_alu 0xf1ff
	v_xor_b32_e32 v35, s17, v35
	v_cmp_gt_i32_e64 s17, 0, v39
	v_and_b32_e32 v34, v34, v94
	v_not_b32_e32 v39, v40
	v_ashrrev_i32_e32 v37, 31, v37
	v_xor_b32_e32 v36, s18, v36
	v_cmp_gt_i32_e64 s18, 0, v40
	v_and_b32_e32 v34, v34, v35
	v_not_b32_e32 v35, v93
	v_ashrrev_i32_e32 v39, 31, v39
	s_wait_alu 0xf1ff
	v_xor_b32_e32 v37, s17, v37
	v_cmp_gt_i32_e64 s17, 0, v93
	v_and_b32_e32 v34, v34, v36
	v_not_b32_e32 v36, v38
	v_ashrrev_i32_e32 v35, 31, v35
	v_xor_b32_e32 v39, s18, v39
	v_cmp_gt_i32_e64 s18, 0, v38
	v_and_b32_e32 v34, v34, v37
	v_ashrrev_i32_e32 v36, 31, v36
	s_wait_alu 0xf1ff
	v_xor_b32_e32 v35, s17, v35
	v_lshl_add_u32 v95, v33, 6, v0
	v_and_b32_e32 v34, v34, v39
	v_xor_b32_e32 v33, s18, v36
	ds_load_b32 v93, v95 offset:64
	v_and_b32_e32 v34, v34, v35
	; wave barrier
	s_delay_alu instid0(VALU_DEP_1) | instskip(NEXT) | instid1(VALU_DEP_1)
	v_and_b32_e32 v33, v34, v33
	v_mbcnt_lo_u32_b32 v94, v33, 0
	v_cmp_ne_u32_e64 s18, 0, v33
	s_delay_alu instid0(VALU_DEP_2)
	v_cmp_eq_u32_e64 s17, 0, v94
	s_and_b32 s18, s18, s17
	s_wait_alu 0xfffe
	s_and_saveexec_b32 s17, s18
	s_cbranch_execz .LBB230_64
; %bb.63:
	s_wait_dscnt 0x0
	v_bcnt_u32_b32 v33, v33, v93
	ds_store_b32 v95, v33 offset:64
.LBB230_64:
	s_wait_alu 0xfffe
	s_or_b32 exec_lo, exec_lo, s17
	v_lshrrev_b16 v33, 8, v78
	v_cmp_ne_u16_e64 s17, 0x7fff, v78
	; wave barrier
	s_wait_alu 0xf1ff
	s_delay_alu instid0(VALU_DEP_1) | instskip(NEXT) | instid1(VALU_DEP_1)
	v_cndmask_b32_e64 v33, 0x80, v33, s17
	v_and_b32_e32 v33, s19, v33
	s_delay_alu instid0(VALU_DEP_1)
	v_and_b32_e32 v34, 1, v33
	v_lshlrev_b32_e32 v35, 30, v33
	v_lshlrev_b32_e32 v36, 29, v33
	;; [unrolled: 1-line block ×4, first 2 shown]
	v_add_co_u32 v34, s17, v34, -1
	s_wait_alu 0xf1ff
	v_cndmask_b32_e64 v38, 0, 1, s17
	v_not_b32_e32 v97, v35
	v_cmp_gt_i32_e64 s18, 0, v35
	v_not_b32_e32 v35, v36
	v_lshlrev_b32_e32 v40, 26, v33
	v_cmp_ne_u32_e64 s17, 0, v38
	v_ashrrev_i32_e32 v97, 31, v97
	v_lshlrev_b32_e32 v96, 25, v33
	v_ashrrev_i32_e32 v35, 31, v35
	v_lshlrev_b32_e32 v38, 24, v33
	s_wait_alu 0xf1ff
	v_xor_b32_e32 v34, s17, v34
	v_cmp_gt_i32_e64 s17, 0, v36
	v_not_b32_e32 v36, v37
	v_xor_b32_e32 v97, s18, v97
	v_cmp_gt_i32_e64 s18, 0, v37
	v_and_b32_e32 v34, exec_lo, v34
	v_not_b32_e32 v37, v39
	v_ashrrev_i32_e32 v36, 31, v36
	s_wait_alu 0xf1ff
	v_xor_b32_e32 v35, s17, v35
	v_cmp_gt_i32_e64 s17, 0, v39
	v_and_b32_e32 v34, v34, v97
	v_not_b32_e32 v39, v40
	v_ashrrev_i32_e32 v37, 31, v37
	v_xor_b32_e32 v36, s18, v36
	v_cmp_gt_i32_e64 s18, 0, v40
	v_and_b32_e32 v34, v34, v35
	v_not_b32_e32 v35, v96
	v_ashrrev_i32_e32 v39, 31, v39
	s_wait_alu 0xf1ff
	v_xor_b32_e32 v37, s17, v37
	v_cmp_gt_i32_e64 s17, 0, v96
	v_and_b32_e32 v34, v34, v36
	v_not_b32_e32 v36, v38
	v_ashrrev_i32_e32 v35, 31, v35
	v_xor_b32_e32 v39, s18, v39
	v_cmp_gt_i32_e64 s18, 0, v38
	v_and_b32_e32 v34, v34, v37
	v_ashrrev_i32_e32 v36, 31, v36
	s_wait_alu 0xf1ff
	v_xor_b32_e32 v35, s17, v35
	v_lshl_add_u32 v98, v33, 6, v0
	v_and_b32_e32 v34, v34, v39
	v_xor_b32_e32 v33, s18, v36
	ds_load_b32 v96, v98 offset:64
	v_and_b32_e32 v34, v34, v35
	; wave barrier
	s_delay_alu instid0(VALU_DEP_1) | instskip(NEXT) | instid1(VALU_DEP_1)
	v_and_b32_e32 v33, v34, v33
	v_mbcnt_lo_u32_b32 v97, v33, 0
	v_cmp_ne_u32_e64 s18, 0, v33
	s_delay_alu instid0(VALU_DEP_2)
	v_cmp_eq_u32_e64 s17, 0, v97
	s_and_b32 s18, s18, s17
	s_wait_alu 0xfffe
	s_and_saveexec_b32 s17, s18
	s_cbranch_execz .LBB230_66
; %bb.65:
	s_wait_dscnt 0x0
	v_bcnt_u32_b32 v33, v33, v96
	ds_store_b32 v98, v33 offset:64
.LBB230_66:
	s_wait_alu 0xfffe
	s_or_b32 exec_lo, exec_lo, s17
	v_lshrrev_b16 v33, 8, v79
	v_cmp_ne_u16_e64 s17, 0x7fff, v79
	; wave barrier
	s_wait_alu 0xf1ff
	s_delay_alu instid0(VALU_DEP_1) | instskip(NEXT) | instid1(VALU_DEP_1)
	v_cndmask_b32_e64 v33, 0x80, v33, s17
	v_and_b32_e32 v33, s19, v33
	s_delay_alu instid0(VALU_DEP_1)
	v_and_b32_e32 v34, 1, v33
	v_lshlrev_b32_e32 v35, 30, v33
	v_lshlrev_b32_e32 v36, 29, v33
	;; [unrolled: 1-line block ×4, first 2 shown]
	v_add_co_u32 v34, s17, v34, -1
	s_wait_alu 0xf1ff
	v_cndmask_b32_e64 v38, 0, 1, s17
	v_not_b32_e32 v100, v35
	v_cmp_gt_i32_e64 s18, 0, v35
	v_not_b32_e32 v35, v36
	v_lshlrev_b32_e32 v40, 26, v33
	v_cmp_ne_u32_e64 s17, 0, v38
	v_ashrrev_i32_e32 v100, 31, v100
	v_lshlrev_b32_e32 v99, 25, v33
	v_ashrrev_i32_e32 v35, 31, v35
	v_lshlrev_b32_e32 v38, 24, v33
	s_wait_alu 0xf1ff
	v_xor_b32_e32 v34, s17, v34
	v_cmp_gt_i32_e64 s17, 0, v36
	v_not_b32_e32 v36, v37
	v_xor_b32_e32 v100, s18, v100
	v_cmp_gt_i32_e64 s18, 0, v37
	v_and_b32_e32 v34, exec_lo, v34
	v_not_b32_e32 v37, v39
	v_ashrrev_i32_e32 v36, 31, v36
	s_wait_alu 0xf1ff
	v_xor_b32_e32 v35, s17, v35
	v_cmp_gt_i32_e64 s17, 0, v39
	v_and_b32_e32 v34, v34, v100
	v_not_b32_e32 v39, v40
	v_ashrrev_i32_e32 v37, 31, v37
	v_xor_b32_e32 v36, s18, v36
	v_cmp_gt_i32_e64 s18, 0, v40
	v_and_b32_e32 v34, v34, v35
	v_not_b32_e32 v35, v99
	v_ashrrev_i32_e32 v39, 31, v39
	s_wait_alu 0xf1ff
	v_xor_b32_e32 v37, s17, v37
	v_cmp_gt_i32_e64 s17, 0, v99
	v_and_b32_e32 v34, v34, v36
	v_not_b32_e32 v36, v38
	v_ashrrev_i32_e32 v35, 31, v35
	v_xor_b32_e32 v39, s18, v39
	v_cmp_gt_i32_e64 s18, 0, v38
	v_and_b32_e32 v34, v34, v37
	v_ashrrev_i32_e32 v36, 31, v36
	s_wait_alu 0xf1ff
	v_xor_b32_e32 v35, s17, v35
	v_lshl_add_u32 v101, v33, 6, v0
	v_and_b32_e32 v34, v34, v39
	v_xor_b32_e32 v33, s18, v36
	ds_load_b32 v99, v101 offset:64
	v_and_b32_e32 v34, v34, v35
	; wave barrier
	s_delay_alu instid0(VALU_DEP_1) | instskip(NEXT) | instid1(VALU_DEP_1)
	v_and_b32_e32 v33, v34, v33
	v_mbcnt_lo_u32_b32 v100, v33, 0
	v_cmp_ne_u32_e64 s18, 0, v33
	s_delay_alu instid0(VALU_DEP_2)
	v_cmp_eq_u32_e64 s17, 0, v100
	s_and_b32 s18, s18, s17
	s_wait_alu 0xfffe
	s_and_saveexec_b32 s17, s18
	s_cbranch_execz .LBB230_68
; %bb.67:
	s_wait_dscnt 0x0
	v_bcnt_u32_b32 v33, v33, v99
	ds_store_b32 v101, v33 offset:64
.LBB230_68:
	s_wait_alu 0xfffe
	s_or_b32 exec_lo, exec_lo, s17
	v_lshrrev_b16 v33, 8, v80
	v_cmp_ne_u16_e64 s17, 0x7fff, v80
	; wave barrier
	s_wait_alu 0xf1ff
	s_delay_alu instid0(VALU_DEP_1) | instskip(NEXT) | instid1(VALU_DEP_1)
	v_cndmask_b32_e64 v33, 0x80, v33, s17
	v_and_b32_e32 v33, s19, v33
	s_delay_alu instid0(VALU_DEP_1)
	v_and_b32_e32 v34, 1, v33
	v_lshlrev_b32_e32 v35, 30, v33
	v_lshlrev_b32_e32 v36, 29, v33
	;; [unrolled: 1-line block ×4, first 2 shown]
	v_add_co_u32 v34, s17, v34, -1
	s_wait_alu 0xf1ff
	v_cndmask_b32_e64 v38, 0, 1, s17
	v_not_b32_e32 v103, v35
	v_cmp_gt_i32_e64 s18, 0, v35
	v_not_b32_e32 v35, v36
	v_lshlrev_b32_e32 v40, 26, v33
	v_cmp_ne_u32_e64 s17, 0, v38
	v_ashrrev_i32_e32 v103, 31, v103
	v_lshlrev_b32_e32 v102, 25, v33
	v_ashrrev_i32_e32 v35, 31, v35
	v_lshlrev_b32_e32 v38, 24, v33
	s_wait_alu 0xf1ff
	v_xor_b32_e32 v34, s17, v34
	v_cmp_gt_i32_e64 s17, 0, v36
	v_not_b32_e32 v36, v37
	v_xor_b32_e32 v103, s18, v103
	v_cmp_gt_i32_e64 s18, 0, v37
	v_and_b32_e32 v34, exec_lo, v34
	v_not_b32_e32 v37, v39
	v_ashrrev_i32_e32 v36, 31, v36
	s_wait_alu 0xf1ff
	v_xor_b32_e32 v35, s17, v35
	v_cmp_gt_i32_e64 s17, 0, v39
	v_and_b32_e32 v34, v34, v103
	v_not_b32_e32 v39, v40
	v_ashrrev_i32_e32 v37, 31, v37
	v_xor_b32_e32 v36, s18, v36
	v_cmp_gt_i32_e64 s18, 0, v40
	v_and_b32_e32 v34, v34, v35
	v_not_b32_e32 v35, v102
	v_ashrrev_i32_e32 v39, 31, v39
	s_wait_alu 0xf1ff
	v_xor_b32_e32 v37, s17, v37
	v_cmp_gt_i32_e64 s17, 0, v102
	v_and_b32_e32 v34, v34, v36
	v_not_b32_e32 v36, v38
	v_ashrrev_i32_e32 v35, 31, v35
	v_xor_b32_e32 v39, s18, v39
	v_cmp_gt_i32_e64 s18, 0, v38
	v_and_b32_e32 v34, v34, v37
	v_ashrrev_i32_e32 v36, 31, v36
	s_wait_alu 0xf1ff
	v_xor_b32_e32 v35, s17, v35
	v_lshl_add_u32 v104, v33, 6, v0
	v_and_b32_e32 v34, v34, v39
	v_xor_b32_e32 v33, s18, v36
	ds_load_b32 v102, v104 offset:64
	v_and_b32_e32 v34, v34, v35
	; wave barrier
	s_delay_alu instid0(VALU_DEP_1) | instskip(NEXT) | instid1(VALU_DEP_1)
	v_and_b32_e32 v33, v34, v33
	v_mbcnt_lo_u32_b32 v103, v33, 0
	v_cmp_ne_u32_e64 s18, 0, v33
	s_delay_alu instid0(VALU_DEP_2)
	v_cmp_eq_u32_e64 s17, 0, v103
	s_and_b32 s18, s18, s17
	s_wait_alu 0xfffe
	s_and_saveexec_b32 s17, s18
	s_cbranch_execz .LBB230_70
; %bb.69:
	s_wait_dscnt 0x0
	v_bcnt_u32_b32 v33, v33, v102
	ds_store_b32 v104, v33 offset:64
.LBB230_70:
	s_wait_alu 0xfffe
	s_or_b32 exec_lo, exec_lo, s17
	v_lshrrev_b16 v33, 8, v73
	v_cmp_ne_u16_e64 s17, 0x7fff, v73
	; wave barrier
	s_wait_alu 0xf1ff
	s_delay_alu instid0(VALU_DEP_1) | instskip(NEXT) | instid1(VALU_DEP_1)
	v_cndmask_b32_e64 v33, 0x80, v33, s17
	v_and_b32_e32 v33, s19, v33
	s_delay_alu instid0(VALU_DEP_1)
	v_and_b32_e32 v34, 1, v33
	v_lshlrev_b32_e32 v35, 30, v33
	v_lshlrev_b32_e32 v36, 29, v33
	;; [unrolled: 1-line block ×4, first 2 shown]
	v_add_co_u32 v34, s17, v34, -1
	s_wait_alu 0xf1ff
	v_cndmask_b32_e64 v38, 0, 1, s17
	v_not_b32_e32 v106, v35
	v_cmp_gt_i32_e64 s18, 0, v35
	v_not_b32_e32 v35, v36
	v_lshlrev_b32_e32 v40, 26, v33
	v_cmp_ne_u32_e64 s17, 0, v38
	v_ashrrev_i32_e32 v106, 31, v106
	v_lshlrev_b32_e32 v105, 25, v33
	v_ashrrev_i32_e32 v35, 31, v35
	v_lshlrev_b32_e32 v38, 24, v33
	s_wait_alu 0xf1ff
	v_xor_b32_e32 v34, s17, v34
	v_cmp_gt_i32_e64 s17, 0, v36
	v_not_b32_e32 v36, v37
	v_xor_b32_e32 v106, s18, v106
	v_cmp_gt_i32_e64 s18, 0, v37
	v_and_b32_e32 v34, exec_lo, v34
	v_not_b32_e32 v37, v39
	v_ashrrev_i32_e32 v36, 31, v36
	s_wait_alu 0xf1ff
	v_xor_b32_e32 v35, s17, v35
	v_cmp_gt_i32_e64 s17, 0, v39
	v_and_b32_e32 v34, v34, v106
	v_not_b32_e32 v39, v40
	v_ashrrev_i32_e32 v37, 31, v37
	v_xor_b32_e32 v36, s18, v36
	v_cmp_gt_i32_e64 s18, 0, v40
	v_and_b32_e32 v34, v34, v35
	v_not_b32_e32 v35, v105
	v_ashrrev_i32_e32 v39, 31, v39
	s_wait_alu 0xf1ff
	v_xor_b32_e32 v37, s17, v37
	v_cmp_gt_i32_e64 s17, 0, v105
	v_and_b32_e32 v34, v34, v36
	v_not_b32_e32 v36, v38
	v_ashrrev_i32_e32 v35, 31, v35
	v_xor_b32_e32 v39, s18, v39
	v_cmp_gt_i32_e64 s18, 0, v38
	v_and_b32_e32 v34, v34, v37
	v_ashrrev_i32_e32 v36, 31, v36
	s_wait_alu 0xf1ff
	v_xor_b32_e32 v35, s17, v35
	v_lshl_add_u32 v106, v33, 6, v0
	v_and_b32_e32 v34, v34, v39
	v_xor_b32_e32 v33, s18, v36
	ds_load_b32 v0, v106 offset:64
	v_and_b32_e32 v34, v34, v35
	; wave barrier
	s_delay_alu instid0(VALU_DEP_1) | instskip(NEXT) | instid1(VALU_DEP_1)
	v_and_b32_e32 v33, v34, v33
	v_mbcnt_lo_u32_b32 v105, v33, 0
	v_cmp_ne_u32_e64 s18, 0, v33
	s_delay_alu instid0(VALU_DEP_2)
	v_cmp_eq_u32_e64 s17, 0, v105
	s_and_b32 s18, s18, s17
	s_wait_alu 0xfffe
	s_and_saveexec_b32 s17, s18
	s_cbranch_execz .LBB230_72
; %bb.71:
	s_wait_dscnt 0x0
	v_bcnt_u32_b32 v33, v33, v0
	ds_store_b32 v106, v33 offset:64
.LBB230_72:
	s_wait_alu 0xfffe
	s_or_b32 exec_lo, exec_lo, s17
	; wave barrier
	s_wait_loadcnt_dscnt 0x0
	s_barrier_signal -1
	s_barrier_wait -1
	global_inv scope:SCOPE_SE
	ds_load_b128 v[37:40], v67 offset:64
	ds_load_b128 v[33:36], v67 offset:80
	s_wait_dscnt 0x1
	v_add_nc_u32_e32 v107, v38, v37
	s_delay_alu instid0(VALU_DEP_1) | instskip(SKIP_1) | instid1(VALU_DEP_1)
	v_add3_u32 v107, v107, v39, v40
	s_wait_dscnt 0x0
	v_add3_u32 v107, v107, v33, v34
	s_delay_alu instid0(VALU_DEP_1) | instskip(NEXT) | instid1(VALU_DEP_1)
	v_add3_u32 v36, v107, v35, v36
	v_mov_b32_dpp v107, v36 row_shr:1 row_mask:0xf bank_mask:0xf
	s_delay_alu instid0(VALU_DEP_1) | instskip(NEXT) | instid1(VALU_DEP_1)
	v_cndmask_b32_e64 v107, v107, 0, vcc_lo
	v_add_nc_u32_e32 v36, v107, v36
	s_delay_alu instid0(VALU_DEP_1) | instskip(NEXT) | instid1(VALU_DEP_1)
	v_mov_b32_dpp v107, v36 row_shr:2 row_mask:0xf bank_mask:0xf
	v_cndmask_b32_e64 v107, 0, v107, s1
	s_delay_alu instid0(VALU_DEP_1) | instskip(NEXT) | instid1(VALU_DEP_1)
	v_add_nc_u32_e32 v36, v36, v107
	v_mov_b32_dpp v107, v36 row_shr:4 row_mask:0xf bank_mask:0xf
	s_delay_alu instid0(VALU_DEP_1) | instskip(NEXT) | instid1(VALU_DEP_1)
	v_cndmask_b32_e64 v107, 0, v107, s9
	v_add_nc_u32_e32 v36, v36, v107
	s_delay_alu instid0(VALU_DEP_1) | instskip(NEXT) | instid1(VALU_DEP_1)
	v_mov_b32_dpp v107, v36 row_shr:8 row_mask:0xf bank_mask:0xf
	v_cndmask_b32_e64 v107, 0, v107, s10
	s_delay_alu instid0(VALU_DEP_1) | instskip(SKIP_3) | instid1(VALU_DEP_1)
	v_add_nc_u32_e32 v36, v36, v107
	ds_swizzle_b32 v107, v36 offset:swizzle(BROADCAST,32,15)
	s_wait_dscnt 0x0
	v_cndmask_b32_e64 v107, v107, 0, s15
	v_add_nc_u32_e32 v36, v36, v107
	s_and_saveexec_b32 s15, s13
; %bb.73:
	ds_store_b32 v83, v36
; %bb.74:
	s_wait_alu 0xfffe
	s_or_b32 exec_lo, exec_lo, s15
	s_wait_loadcnt_dscnt 0x0
	s_barrier_signal -1
	s_barrier_wait -1
	global_inv scope:SCOPE_SE
	s_and_saveexec_b32 s13, s12
	s_cbranch_execz .LBB230_76
; %bb.75:
	ds_load_b32 v83, v82
	s_wait_dscnt 0x0
	v_mov_b32_dpp v107, v83 row_shr:1 row_mask:0xf bank_mask:0xf
	s_delay_alu instid0(VALU_DEP_1) | instskip(NEXT) | instid1(VALU_DEP_1)
	v_cndmask_b32_e64 v107, v107, 0, vcc_lo
	v_add_nc_u32_e32 v83, v107, v83
	s_delay_alu instid0(VALU_DEP_1) | instskip(NEXT) | instid1(VALU_DEP_1)
	v_mov_b32_dpp v107, v83 row_shr:2 row_mask:0xf bank_mask:0xf
	v_cndmask_b32_e64 v107, 0, v107, s1
	s_delay_alu instid0(VALU_DEP_1) | instskip(NEXT) | instid1(VALU_DEP_1)
	v_add_nc_u32_e32 v83, v83, v107
	v_mov_b32_dpp v107, v83 row_shr:4 row_mask:0xf bank_mask:0xf
	s_delay_alu instid0(VALU_DEP_1) | instskip(NEXT) | instid1(VALU_DEP_1)
	v_cndmask_b32_e64 v107, 0, v107, s9
	v_add_nc_u32_e32 v83, v83, v107
	s_delay_alu instid0(VALU_DEP_1) | instskip(NEXT) | instid1(VALU_DEP_1)
	v_mov_b32_dpp v107, v83 row_shr:8 row_mask:0xf bank_mask:0xf
	v_cndmask_b32_e64 v107, 0, v107, s10
	s_delay_alu instid0(VALU_DEP_1)
	v_add_nc_u32_e32 v83, v83, v107
	ds_store_b32 v82, v83
.LBB230_76:
	s_wait_alu 0xfffe
	s_or_b32 exec_lo, exec_lo, s13
	v_mov_b32_e32 v82, 0
	s_wait_loadcnt_dscnt 0x0
	s_barrier_signal -1
	s_barrier_wait -1
	global_inv scope:SCOPE_SE
	s_and_saveexec_b32 s1, s14
; %bb.77:
	ds_load_b32 v82, v84
; %bb.78:
	s_wait_alu 0xfffe
	s_or_b32 exec_lo, exec_lo, s1
	s_wait_dscnt 0x0
	v_add_nc_u32_e32 v36, v82, v36
	ds_bpermute_b32 v36, v85, v36
	s_wait_dscnt 0x0
	v_cndmask_b32_e64 v36, v36, v82, s11
	s_delay_alu instid0(VALU_DEP_1) | instskip(NEXT) | instid1(VALU_DEP_1)
	v_cndmask_b32_e64 v36, v36, 0, s16
	v_add_nc_u32_e32 v37, v36, v37
	s_delay_alu instid0(VALU_DEP_1) | instskip(NEXT) | instid1(VALU_DEP_1)
	v_add_nc_u32_e32 v38, v37, v38
	v_add_nc_u32_e32 v39, v38, v39
	s_delay_alu instid0(VALU_DEP_1) | instskip(NEXT) | instid1(VALU_DEP_1)
	v_add_nc_u32_e32 v82, v39, v40
	;; [unrolled: 3-line block ×3, first 2 shown]
	v_add_nc_u32_e32 v85, v84, v35
	ds_store_b128 v67, v[36:39] offset:64
	ds_store_b128 v67, v[82:85] offset:80
	s_wait_loadcnt_dscnt 0x0
	s_barrier_signal -1
	s_barrier_wait -1
	global_inv scope:SCOPE_SE
	ds_load_b32 v33, v106 offset:64
	ds_load_b32 v34, v104 offset:64
	;; [unrolled: 1-line block ×8, first 2 shown]
	v_lshlrev_b32_e32 v82, 1, v66
	s_wait_loadcnt_dscnt 0x0
	s_barrier_signal -1
	s_barrier_wait -1
	global_inv scope:SCOPE_SE
	v_mad_u32_u24 v83, v46, 48, v82
	v_add3_u32 v84, v105, v0, v33
	v_add3_u32 v85, v103, v102, v34
	;; [unrolled: 1-line block ×3, first 2 shown]
	v_add_nc_u32_e32 v81, v36, v81
	v_add3_u32 v87, v88, v87, v37
	v_add3_u32 v88, v91, v90, v38
	;; [unrolled: 1-line block ×4, first 2 shown]
	v_lshlrev_b32_e32 v0, 1, v81
	v_lshlrev_b32_e32 v33, 1, v87
	;; [unrolled: 1-line block ×8, first 2 shown]
	ds_store_b16 v0, v74
	ds_store_b16 v33, v75
	;; [unrolled: 1-line block ×8, first 2 shown]
	v_mad_co_u64_u32 v[73:74], null, v81, 6, v[0:1]
	v_mad_co_u64_u32 v[74:75], null, v87, 6, v[33:34]
	;; [unrolled: 1-line block ×4, first 2 shown]
	s_wait_loadcnt_dscnt 0x0
	s_barrier_signal -1
	s_barrier_wait -1
	global_inv scope:SCOPE_SE
	v_mad_co_u64_u32 v[77:78], null, v40, 6, v[36:37]
	ds_load_b128 v[33:36], v82
	v_mad_co_u64_u32 v[78:79], null, v86, 6, v[37:38]
	v_mad_co_u64_u32 v[37:38], null, v85, 6, v[38:39]
	;; [unrolled: 1-line block ×3, first 2 shown]
	s_wait_loadcnt_dscnt 0x0
	s_barrier_signal -1
	s_barrier_wait -1
	global_inv scope:SCOPE_SE
	ds_store_b64 v73, v[21:22]
	ds_store_b64 v74, v[23:24]
	ds_store_b64 v75, v[29:30]
	ds_store_b64 v76, v[31:32]
	ds_store_b64 v77, v[25:26]
	ds_store_b64 v78, v[27:28]
	ds_store_b64 v37, v[17:18]
	ds_store_b64 v38, v[19:20]
	s_wait_loadcnt_dscnt 0x0
	s_barrier_signal -1
	s_barrier_wait -1
	global_inv scope:SCOPE_SE
	ds_load_b128 v[29:32], v83
	ds_load_b128 v[25:28], v83 offset:16
	ds_load_b128 v[21:24], v83 offset:32
	;; [unrolled: 1-line block ×3, first 2 shown]
	v_cmp_lt_i16_e32 vcc_lo, -1, v33
	v_lshrrev_b32_e32 v0, 16, v33
	v_lshrrev_b32_e32 v38, 16, v34
	;; [unrolled: 1-line block ×4, first 2 shown]
	s_wait_alu 0xfffd
	v_cndmask_b32_e64 v37, 0xffff8000, -1, vcc_lo
	v_cmp_lt_i16_e32 vcc_lo, -1, v34
	s_wait_alu 0xfffd
	v_cndmask_b32_e64 v39, 0xffff8000, -1, vcc_lo
	v_cmp_lt_i16_e32 vcc_lo, -1, v35
	;; [unrolled: 3-line block ×5, first 2 shown]
	s_delay_alu instid0(VALU_DEP_2) | instskip(SKIP_3) | instid1(VALU_DEP_3)
	v_perm_b32 v0, v0, v37, 0x5040100
	s_wait_alu 0xfffd
	v_cndmask_b32_e64 v38, 0xffff8000, -1, vcc_lo
	v_cmp_lt_i16_e32 vcc_lo, -1, v40
	v_xor_b32_e32 v0, v0, v33
	s_delay_alu instid0(VALU_DEP_3) | instskip(SKIP_3) | instid1(VALU_DEP_3)
	v_perm_b32 v37, v38, v39, 0x5040100
	s_wait_alu 0xfffd
	v_cndmask_b32_e64 v40, 0xffff8000, -1, vcc_lo
	v_cmp_lt_i16_e32 vcc_lo, -1, v74
	v_xor_b32_e32 v34, v37, v34
	s_delay_alu instid0(VALU_DEP_3) | instskip(SKIP_2) | instid1(VALU_DEP_2)
	v_perm_b32 v38, v40, v73, 0x5040100
	s_wait_alu 0xfffd
	v_cndmask_b32_e64 v74, 0xffff8000, -1, vcc_lo
	v_xor_b32_e32 v33, v38, v35
	s_delay_alu instid0(VALU_DEP_2) | instskip(NEXT) | instid1(VALU_DEP_1)
	v_perm_b32 v39, v74, v75, 0x5040100
	v_xor_b32_e32 v35, v39, v36
	s_branch .LBB230_131
.LBB230_79:
	v_lshlrev_b64_e32 v[1:2], 3, v[41:42]
	v_dual_mov_b32 v43, v42 :: v_dual_mov_b32 v10, v42
	v_dual_mov_b32 v9, v42 :: v_dual_mov_b32 v12, v42
	v_mov_b32_e32 v11, v42
	s_wait_alu 0xfffe
	s_delay_alu instid0(VALU_DEP_4)
	v_add_co_u32 v1, vcc_lo, s24, v1
	s_wait_alu 0xfffd
	v_add_co_ci_u32_e64 v2, null, s25, v2, vcc_lo
	v_dual_mov_b32 v3, v42 :: v_dual_mov_b32 v6, v42
	v_dual_mov_b32 v5, v42 :: v_dual_mov_b32 v8, v42
	global_load_b64 v[13:14], v[1:2], off
	v_dual_mov_b32 v1, v42 :: v_dual_mov_b32 v4, v42
	v_dual_mov_b32 v2, v42 :: v_dual_mov_b32 v7, v42
	s_or_b32 exec_lo, exec_lo, s1
	s_and_saveexec_b32 s1, s3
	s_cbranch_execz .LBB230_25
.LBB230_80:
	v_mul_lo_u32 v22, s28, v15
	v_mov_b32_e32 v23, 0
	s_delay_alu instid0(VALU_DEP_1) | instskip(SKIP_1) | instid1(VALU_DEP_1)
	v_lshlrev_b64_e32 v[22:23], 3, v[22:23]
	s_wait_alu 0xfffe
	v_add_co_u32 v22, vcc_lo, s24, v22
	s_wait_alu 0xfffd
	s_delay_alu instid0(VALU_DEP_2)
	v_add_co_ci_u32_e64 v23, null, s25, v23, vcc_lo
	global_load_b64 v[42:43], v[22:23], off
	s_or_b32 exec_lo, exec_lo, s1
	s_and_saveexec_b32 s1, s4
	s_cbranch_execz .LBB230_26
.LBB230_81:
	v_mul_lo_u32 v9, s28, v16
	v_mov_b32_e32 v10, 0
	s_delay_alu instid0(VALU_DEP_1) | instskip(SKIP_1) | instid1(VALU_DEP_1)
	v_lshlrev_b64_e32 v[9:10], 3, v[9:10]
	s_wait_alu 0xfffe
	v_add_co_u32 v9, vcc_lo, s24, v9
	s_wait_alu 0xfffd
	s_delay_alu instid0(VALU_DEP_2)
	v_add_co_ci_u32_e64 v10, null, s25, v10, vcc_lo
	global_load_b64 v[9:10], v[9:10], off
	s_or_b32 exec_lo, exec_lo, s1
	s_and_saveexec_b32 s1, s5
	s_cbranch_execz .LBB230_27
.LBB230_82:
	v_mul_lo_u32 v11, s28, v17
	v_mov_b32_e32 v12, 0
	s_delay_alu instid0(VALU_DEP_1) | instskip(SKIP_1) | instid1(VALU_DEP_1)
	v_lshlrev_b64_e32 v[11:12], 3, v[11:12]
	s_wait_alu 0xfffe
	v_add_co_u32 v11, vcc_lo, s24, v11
	s_wait_alu 0xfffd
	s_delay_alu instid0(VALU_DEP_2)
	v_add_co_ci_u32_e64 v12, null, s25, v12, vcc_lo
	global_load_b64 v[11:12], v[11:12], off
	s_or_b32 exec_lo, exec_lo, s1
	s_and_saveexec_b32 s1, s6
	s_cbranch_execz .LBB230_28
.LBB230_83:
	v_mul_lo_u32 v1, s28, v18
	v_mov_b32_e32 v2, 0
	s_delay_alu instid0(VALU_DEP_1) | instskip(SKIP_1) | instid1(VALU_DEP_1)
	v_lshlrev_b64_e32 v[1:2], 3, v[1:2]
	s_wait_alu 0xfffe
	v_add_co_u32 v1, vcc_lo, s24, v1
	s_wait_alu 0xfffd
	s_delay_alu instid0(VALU_DEP_2)
	v_add_co_ci_u32_e64 v2, null, s25, v2, vcc_lo
	global_load_b64 v[1:2], v[1:2], off
	s_or_b32 exec_lo, exec_lo, s1
	s_and_saveexec_b32 s1, s7
	s_cbranch_execz .LBB230_29
.LBB230_84:
	v_mul_lo_u32 v3, s28, v19
	v_mov_b32_e32 v4, 0
	s_delay_alu instid0(VALU_DEP_1) | instskip(SKIP_1) | instid1(VALU_DEP_1)
	v_lshlrev_b64_e32 v[3:4], 3, v[3:4]
	s_wait_alu 0xfffe
	v_add_co_u32 v3, vcc_lo, s24, v3
	s_wait_alu 0xfffd
	s_delay_alu instid0(VALU_DEP_2)
	v_add_co_ci_u32_e64 v4, null, s25, v4, vcc_lo
	global_load_b64 v[3:4], v[3:4], off
	s_or_b32 exec_lo, exec_lo, s1
	s_and_saveexec_b32 s1, s8
	s_cbranch_execnz .LBB230_30
	s_branch .LBB230_31
.LBB230_85:
                                        ; implicit-def: $vgpr19_vgpr20
                                        ; implicit-def: $vgpr23_vgpr24
                                        ; implicit-def: $vgpr27_vgpr28
                                        ; implicit-def: $vgpr31_vgpr32
                                        ; implicit-def: $vgpr35
                                        ; implicit-def: $vgpr33
                                        ; implicit-def: $vgpr34
                                        ; implicit-def: $vgpr0
	s_cbranch_execz .LBB230_131
; %bb.86:
	v_lshrrev_b32_e32 v0, 16, v49
	v_cmp_gt_i16_e32 vcc_lo, 0, v49
	s_wait_dscnt 0x0
	v_lshrrev_b32_e32 v17, 16, v50
	v_lshrrev_b32_e32 v18, 16, v47
	;; [unrolled: 1-line block ×3, first 2 shown]
	v_or_b32_e32 v21, v69, v70
	s_wait_alu 0xfffd
	v_cndmask_b32_e64 v20, 0x7fff, 0, vcc_lo
	v_cmp_gt_i16_e32 vcc_lo, 0, v0
	v_and_or_b32 v36, 0x1f00, v66, v69
	s_mov_b32 s12, 0
	s_getpc_b64 s[10:11]
	s_wait_alu 0xfffe
	s_sext_i32_i16 s11, s11
	s_add_co_u32 s10, s10, _ZN7rocprim17ROCPRIM_400000_NS16block_radix_sortI6__halfLj512ELj8ElLj1ELj1ELj0ELNS0_26block_radix_rank_algorithmE1ELNS0_18block_padding_hintE2ELNS0_4arch9wavefront6targetE0EE19radix_bits_per_passE@rel32@lo+12
	s_wait_alu 0xfffe
	s_add_co_ci_u32 s11, s11, _ZN7rocprim17ROCPRIM_400000_NS16block_radix_sortI6__halfLj512ELj8ElLj1ELj1ELj0ELNS0_26block_radix_rank_algorithmE1ELNS0_18block_padding_hintE2ELNS0_4arch9wavefront6targetE0EE19radix_bits_per_passE@rel32@hi+24
	s_mov_b32 s13, s12
	s_wait_alu 0xfffd
	v_cndmask_b32_e64 v0, 0x7fff, 0, vcc_lo
	v_cmp_gt_i16_e32 vcc_lo, 0, v50
	s_mov_b32 s14, s12
	s_mov_b32 s15, s12
	v_lshlrev_b32_e32 v25, 1, v36
	v_perm_b32 v0, v0, v20, 0x5040100
	s_wait_alu 0xfffd
	v_cndmask_b32_e64 v22, 0x7fff, 0, vcc_lo
	v_cmp_gt_i16_e32 vcc_lo, 0, v17
	s_load_b32 s17, s[10:11], 0x0
	v_cndmask_b32_e64 v17, 0x7fff, 0, vcc_lo
	v_cmp_gt_i16_e32 vcc_lo, 0, v47
	s_delay_alu instid0(VALU_DEP_2)
	v_perm_b32 v20, v17, v22, 0x5040100
	s_wait_alu 0xfffd
	v_cndmask_b32_e64 v23, 0x7fff, 0, vcc_lo
	v_cmp_gt_i16_e32 vcc_lo, 0, v18
	v_xor_b32_e32 v17, v0, v49
	s_wait_alu 0xfffd
	v_cndmask_b32_e64 v18, 0x7fff, 0, vcc_lo
	v_cmp_gt_i16_e32 vcc_lo, 0, v48
	s_wait_kmcnt 0x0
	s_min_u32 s1, s17, 16
	s_delay_alu instid0(VALU_DEP_2)
	v_perm_b32 v22, v18, v23, 0x5040100
	s_wait_alu 0xfffd
	v_cndmask_b32_e64 v24, 0x7fff, 0, vcc_lo
	v_cmp_gt_i16_e32 vcc_lo, 0, v19
	v_lshlrev_b32_e32 v23, 4, v21
	v_xor_b32_e32 v18, v20, v50
	s_lshl_b32 s1, -1, s1
	s_wait_alu 0xfffd
	v_cndmask_b32_e64 v19, 0x7fff, 0, vcc_lo
	s_not_b32 s9, s1
	s_delay_alu instid0(VALU_DEP_1) | instskip(SKIP_1) | instid1(VALU_DEP_2)
	v_perm_b32 v24, v19, v24, 0x5040100
	v_xor_b32_e32 v19, v22, v47
	v_xor_b32_e32 v20, v24, v48
	ds_store_b128 v23, v[17:20]
	; wave barrier
	ds_load_u16 v26, v25
	ds_load_u16 v27, v25 offset:64
	ds_load_u16 v28, v25 offset:128
	ds_load_u16 v29, v25 offset:192
	ds_load_u16 v30, v25 offset:256
	ds_load_u16 v31, v25 offset:320
	ds_load_u16 v32, v25 offset:384
	ds_load_u16 v33, v25 offset:448
	s_wait_loadcnt_dscnt 0x0
	s_barrier_signal -1
	s_barrier_wait -1
	global_inv scope:SCOPE_SE
	v_cmp_ne_u16_e32 vcc_lo, 0x8000, v26
	s_wait_alu 0xfffd
	v_cndmask_b32_e32 v0, 0x7fff, v26, vcc_lo
	v_mad_u32_u24 v17, v21, 48, v23
	ds_store_b128 v17, v[13:16]
	ds_store_b128 v17, v[9:12] offset:16
	v_and_b32_e32 v0, 0xffff, v0
	ds_store_b128 v17, v[5:8] offset:32
	ds_store_b128 v17, v[1:4] offset:48
	v_mad_u32_u24 v12, v36, 6, v25
	; wave barrier
	s_wait_alu 0xfffe
	v_and_b32_e32 v23, s9, v0
	ds_load_2addr_b64 v[8:11], v12 offset1:32
	ds_load_2addr_b64 v[0:3], v12 offset0:64 offset1:96
	v_and_b32_e32 v4, 1, v23
	v_lshlrev_b32_e32 v18, 30, v23
	v_lshlrev_b32_e32 v19, 29, v23
	;; [unrolled: 1-line block ×3, first 2 shown]
	s_delay_alu instid0(VALU_DEP_4) | instskip(NEXT) | instid1(VALU_DEP_1)
	v_add_co_u32 v16, s1, v4, -1
	v_cndmask_b32_e64 v17, 0, 1, s1
	ds_load_2addr_b64 v[4:7], v12 offset0:128 offset1:160
	ds_load_2addr_b64 v[12:15], v12 offset0:192 offset1:224
	s_wait_loadcnt_dscnt 0x0
	s_barrier_signal -1
	v_cmp_ne_u32_e32 vcc_lo, 0, v17
	v_not_b32_e32 v17, v18
	s_barrier_wait -1
	global_inv scope:SCOPE_SE
	s_load_b32 s1, s[34:35], 0xc
	v_xor_b32_e32 v16, vcc_lo, v16
	v_cmp_gt_i32_e32 vcc_lo, 0, v18
	v_ashrrev_i32_e32 v17, 31, v17
	v_not_b32_e32 v18, v19
	s_delay_alu instid0(VALU_DEP_4) | instskip(SKIP_1) | instid1(VALU_DEP_3)
	v_and_b32_e32 v16, exec_lo, v16
	s_wait_alu 0xfffd
	v_xor_b32_e32 v17, vcc_lo, v17
	v_cmp_gt_i32_e32 vcc_lo, 0, v19
	v_ashrrev_i32_e32 v18, 31, v18
	v_not_b32_e32 v19, v20
	s_delay_alu instid0(VALU_DEP_4)
	v_and_b32_e32 v16, v16, v17
	v_lshlrev_b32_e32 v17, 27, v23
	s_wait_alu 0xfffd
	v_xor_b32_e32 v18, vcc_lo, v18
	v_cmp_gt_i32_e32 vcc_lo, 0, v20
	v_ashrrev_i32_e32 v19, 31, v19
	v_not_b32_e32 v20, v17
	s_delay_alu instid0(VALU_DEP_4)
	v_and_b32_e32 v16, v16, v18
	v_lshlrev_b32_e32 v18, 26, v23
	s_wait_alu 0xfffd
	v_xor_b32_e32 v19, vcc_lo, v19
	v_cmp_gt_i32_e32 vcc_lo, 0, v17
	v_ashrrev_i32_e32 v17, 31, v20
	s_wait_kmcnt 0x0
	s_lshr_b32 s10, s1, 16
	v_not_b32_e32 v20, v18
	v_and_b32_e32 v16, v16, v19
	v_lshlrev_b32_e32 v19, 25, v23
	s_wait_alu 0xfffd
	v_xor_b32_e32 v17, vcc_lo, v17
	v_cmp_gt_i32_e32 vcc_lo, 0, v18
	v_ashrrev_i32_e32 v18, 31, v20
	s_wait_alu 0xfffe
	v_mad_u32_u24 v21, v72, s10, v71
	v_not_b32_e32 v20, v19
	v_and_b32_e32 v16, v16, v17
	v_lshlrev_b32_e32 v17, 24, v23
	s_wait_alu 0xfffd
	v_xor_b32_e32 v18, vcc_lo, v18
	v_cmp_gt_i32_e32 vcc_lo, 0, v19
	v_ashrrev_i32_e32 v19, 31, v20
	s_and_b32 s1, s1, 0xffff
	v_not_b32_e32 v20, v17
	v_and_b32_e32 v16, v16, v18
	s_wait_alu 0xfffe
	v_mad_co_u64_u32 v[21:22], null, v21, s1, v[46:47]
	s_wait_alu 0xfffd
	v_xor_b32_e32 v18, vcc_lo, v19
	v_cmp_gt_i32_e32 vcc_lo, 0, v17
	v_ashrrev_i32_e32 v17, 31, v20
	s_delay_alu instid0(VALU_DEP_3) | instskip(SKIP_2) | instid1(VALU_DEP_3)
	v_and_b32_e32 v16, v16, v18
	v_lshrrev_b32_e32 v21, 5, v21
	s_wait_alu 0xfffd
	v_xor_b32_e32 v22, vcc_lo, v17
	v_dual_mov_b32 v20, s15 :: v_dual_mov_b32 v19, s14
	v_dual_mov_b32 v18, s13 :: v_dual_mov_b32 v17, s12
	s_delay_alu instid0(VALU_DEP_3)
	v_and_b32_e32 v16, v16, v22
	ds_store_b128 v67, v[17:20] offset:64
	ds_store_b128 v67, v[17:20] offset:80
	v_mbcnt_lo_u32_b32 v38, v16, 0
	v_lshlrev_b32_e32 v24, 2, v21
	v_lshlrev_b32_e32 v17, 6, v23
	v_cmp_ne_u32_e64 s1, 0, v16
	s_wait_loadcnt_dscnt 0x0
	v_cmp_eq_u32_e32 vcc_lo, 0, v38
	s_barrier_signal -1
	v_add_nc_u32_e32 v39, v24, v17
	s_barrier_wait -1
	global_inv scope:SCOPE_SE
	s_and_b32 s10, s1, vcc_lo
	; wave barrier
	s_wait_alu 0xfffe
	s_and_saveexec_b32 s1, s10
; %bb.87:
	v_bcnt_u32_b32 v16, v16, 0
	ds_store_b32 v39, v16 offset:64
; %bb.88:
	s_wait_alu 0xfffe
	s_or_b32 exec_lo, exec_lo, s1
	v_cmp_ne_u16_e32 vcc_lo, 0x8000, v27
	; wave barrier
	s_wait_alu 0xfffd
	v_cndmask_b32_e32 v16, 0x7fff, v27, vcc_lo
	s_delay_alu instid0(VALU_DEP_1) | instskip(NEXT) | instid1(VALU_DEP_1)
	v_and_b32_e32 v16, 0xffff, v16
	v_and_b32_e32 v16, s9, v16
	s_delay_alu instid0(VALU_DEP_1)
	v_and_b32_e32 v17, 1, v16
	v_lshlrev_b32_e32 v18, 30, v16
	v_lshlrev_b32_e32 v19, 29, v16
	;; [unrolled: 1-line block ×4, first 2 shown]
	v_add_co_u32 v17, s1, v17, -1
	s_wait_alu 0xf1ff
	v_cndmask_b32_e64 v21, 0, 1, s1
	v_not_b32_e32 v35, v18
	v_cmp_gt_i32_e64 s1, 0, v18
	v_not_b32_e32 v18, v19
	v_lshlrev_b32_e32 v23, 26, v16
	v_cmp_ne_u32_e32 vcc_lo, 0, v21
	v_ashrrev_i32_e32 v35, 31, v35
	v_lshlrev_b32_e32 v34, 25, v16
	v_ashrrev_i32_e32 v18, 31, v18
	v_lshlrev_b32_e32 v21, 24, v16
	s_wait_alu 0xfffd
	v_xor_b32_e32 v17, vcc_lo, v17
	v_cmp_gt_i32_e32 vcc_lo, 0, v19
	v_not_b32_e32 v19, v20
	s_wait_alu 0xf1ff
	v_xor_b32_e32 v35, s1, v35
	v_cmp_gt_i32_e64 s1, 0, v20
	v_and_b32_e32 v17, exec_lo, v17
	v_not_b32_e32 v20, v22
	v_ashrrev_i32_e32 v19, 31, v19
	s_wait_alu 0xfffd
	v_xor_b32_e32 v18, vcc_lo, v18
	v_cmp_gt_i32_e32 vcc_lo, 0, v22
	v_and_b32_e32 v17, v17, v35
	v_not_b32_e32 v22, v23
	v_ashrrev_i32_e32 v20, 31, v20
	s_wait_alu 0xf1ff
	v_xor_b32_e32 v19, s1, v19
	v_cmp_gt_i32_e64 s1, 0, v23
	v_and_b32_e32 v17, v17, v18
	v_not_b32_e32 v18, v34
	v_ashrrev_i32_e32 v22, 31, v22
	s_wait_alu 0xfffd
	v_xor_b32_e32 v20, vcc_lo, v20
	v_cmp_gt_i32_e32 vcc_lo, 0, v34
	v_and_b32_e32 v17, v17, v19
	v_not_b32_e32 v19, v21
	v_ashrrev_i32_e32 v18, 31, v18
	s_wait_alu 0xf1ff
	v_xor_b32_e32 v22, s1, v22
	v_lshlrev_b32_e32 v16, 6, v16
	v_and_b32_e32 v17, v17, v20
	v_cmp_gt_i32_e64 s1, 0, v21
	v_ashrrev_i32_e32 v19, 31, v19
	s_wait_alu 0xfffd
	v_xor_b32_e32 v18, vcc_lo, v18
	v_add_nc_u32_e32 v48, v24, v16
	v_and_b32_e32 v17, v17, v22
	s_wait_alu 0xf1ff
	v_xor_b32_e32 v16, s1, v19
	ds_load_b32 v40, v48 offset:64
	v_and_b32_e32 v17, v17, v18
	; wave barrier
	s_delay_alu instid0(VALU_DEP_1) | instskip(NEXT) | instid1(VALU_DEP_1)
	v_and_b32_e32 v16, v17, v16
	v_mbcnt_lo_u32_b32 v47, v16, 0
	v_cmp_ne_u32_e64 s1, 0, v16
	s_delay_alu instid0(VALU_DEP_2)
	v_cmp_eq_u32_e32 vcc_lo, 0, v47
	s_and_b32 s10, s1, vcc_lo
	s_wait_alu 0xfffe
	s_and_saveexec_b32 s1, s10
	s_cbranch_execz .LBB230_90
; %bb.89:
	s_wait_dscnt 0x0
	v_bcnt_u32_b32 v16, v16, v40
	ds_store_b32 v48, v16 offset:64
.LBB230_90:
	s_wait_alu 0xfffe
	s_or_b32 exec_lo, exec_lo, s1
	v_cmp_ne_u16_e32 vcc_lo, 0x8000, v28
	; wave barrier
	s_wait_alu 0xfffd
	v_cndmask_b32_e32 v16, 0x7fff, v28, vcc_lo
	s_delay_alu instid0(VALU_DEP_1) | instskip(NEXT) | instid1(VALU_DEP_1)
	v_and_b32_e32 v16, 0xffff, v16
	v_and_b32_e32 v16, s9, v16
	s_delay_alu instid0(VALU_DEP_1)
	v_and_b32_e32 v17, 1, v16
	v_lshlrev_b32_e32 v18, 30, v16
	v_lshlrev_b32_e32 v19, 29, v16
	;; [unrolled: 1-line block ×4, first 2 shown]
	v_add_co_u32 v17, s1, v17, -1
	s_wait_alu 0xf1ff
	v_cndmask_b32_e64 v21, 0, 1, s1
	v_not_b32_e32 v35, v18
	v_cmp_gt_i32_e64 s1, 0, v18
	v_not_b32_e32 v18, v19
	v_lshlrev_b32_e32 v23, 26, v16
	v_cmp_ne_u32_e32 vcc_lo, 0, v21
	v_ashrrev_i32_e32 v35, 31, v35
	v_lshlrev_b32_e32 v34, 25, v16
	v_ashrrev_i32_e32 v18, 31, v18
	v_lshlrev_b32_e32 v21, 24, v16
	s_wait_alu 0xfffd
	v_xor_b32_e32 v17, vcc_lo, v17
	v_cmp_gt_i32_e32 vcc_lo, 0, v19
	v_not_b32_e32 v19, v20
	s_wait_alu 0xf1ff
	v_xor_b32_e32 v35, s1, v35
	v_cmp_gt_i32_e64 s1, 0, v20
	v_and_b32_e32 v17, exec_lo, v17
	v_not_b32_e32 v20, v22
	v_ashrrev_i32_e32 v19, 31, v19
	s_wait_alu 0xfffd
	v_xor_b32_e32 v18, vcc_lo, v18
	v_cmp_gt_i32_e32 vcc_lo, 0, v22
	v_and_b32_e32 v17, v17, v35
	v_not_b32_e32 v22, v23
	v_ashrrev_i32_e32 v20, 31, v20
	s_wait_alu 0xf1ff
	v_xor_b32_e32 v19, s1, v19
	v_cmp_gt_i32_e64 s1, 0, v23
	v_and_b32_e32 v17, v17, v18
	v_not_b32_e32 v18, v34
	v_ashrrev_i32_e32 v22, 31, v22
	s_wait_alu 0xfffd
	v_xor_b32_e32 v20, vcc_lo, v20
	v_cmp_gt_i32_e32 vcc_lo, 0, v34
	v_and_b32_e32 v17, v17, v19
	v_not_b32_e32 v19, v21
	v_ashrrev_i32_e32 v18, 31, v18
	s_wait_alu 0xf1ff
	v_xor_b32_e32 v22, s1, v22
	v_lshlrev_b32_e32 v16, 6, v16
	v_and_b32_e32 v17, v17, v20
	v_cmp_gt_i32_e64 s1, 0, v21
	v_ashrrev_i32_e32 v19, 31, v19
	s_wait_alu 0xfffd
	v_xor_b32_e32 v18, vcc_lo, v18
	v_add_nc_u32_e32 v71, v24, v16
	v_and_b32_e32 v17, v17, v22
	s_wait_alu 0xf1ff
	v_xor_b32_e32 v16, s1, v19
	ds_load_b32 v49, v71 offset:64
	v_and_b32_e32 v17, v17, v18
	; wave barrier
	s_delay_alu instid0(VALU_DEP_1) | instskip(NEXT) | instid1(VALU_DEP_1)
	v_and_b32_e32 v16, v17, v16
	v_mbcnt_lo_u32_b32 v50, v16, 0
	v_cmp_ne_u32_e64 s1, 0, v16
	s_delay_alu instid0(VALU_DEP_2)
	v_cmp_eq_u32_e32 vcc_lo, 0, v50
	s_and_b32 s10, s1, vcc_lo
	s_wait_alu 0xfffe
	s_and_saveexec_b32 s1, s10
	s_cbranch_execz .LBB230_92
; %bb.91:
	s_wait_dscnt 0x0
	v_bcnt_u32_b32 v16, v16, v49
	ds_store_b32 v71, v16 offset:64
.LBB230_92:
	s_wait_alu 0xfffe
	s_or_b32 exec_lo, exec_lo, s1
	v_cmp_ne_u16_e32 vcc_lo, 0x8000, v29
	; wave barrier
	s_wait_alu 0xfffd
	v_cndmask_b32_e32 v16, 0x7fff, v29, vcc_lo
	s_delay_alu instid0(VALU_DEP_1) | instskip(NEXT) | instid1(VALU_DEP_1)
	v_and_b32_e32 v16, 0xffff, v16
	v_and_b32_e32 v16, s9, v16
	s_delay_alu instid0(VALU_DEP_1)
	v_and_b32_e32 v17, 1, v16
	v_lshlrev_b32_e32 v18, 30, v16
	v_lshlrev_b32_e32 v19, 29, v16
	;; [unrolled: 1-line block ×4, first 2 shown]
	v_add_co_u32 v17, s1, v17, -1
	s_wait_alu 0xf1ff
	v_cndmask_b32_e64 v21, 0, 1, s1
	v_not_b32_e32 v35, v18
	v_cmp_gt_i32_e64 s1, 0, v18
	v_not_b32_e32 v18, v19
	v_lshlrev_b32_e32 v23, 26, v16
	v_cmp_ne_u32_e32 vcc_lo, 0, v21
	v_ashrrev_i32_e32 v35, 31, v35
	v_lshlrev_b32_e32 v34, 25, v16
	v_ashrrev_i32_e32 v18, 31, v18
	v_lshlrev_b32_e32 v21, 24, v16
	s_wait_alu 0xfffd
	v_xor_b32_e32 v17, vcc_lo, v17
	v_cmp_gt_i32_e32 vcc_lo, 0, v19
	v_not_b32_e32 v19, v20
	s_wait_alu 0xf1ff
	v_xor_b32_e32 v35, s1, v35
	v_cmp_gt_i32_e64 s1, 0, v20
	v_and_b32_e32 v17, exec_lo, v17
	v_not_b32_e32 v20, v22
	v_ashrrev_i32_e32 v19, 31, v19
	s_wait_alu 0xfffd
	v_xor_b32_e32 v18, vcc_lo, v18
	v_cmp_gt_i32_e32 vcc_lo, 0, v22
	v_and_b32_e32 v17, v17, v35
	v_not_b32_e32 v22, v23
	v_ashrrev_i32_e32 v20, 31, v20
	s_wait_alu 0xf1ff
	v_xor_b32_e32 v19, s1, v19
	v_cmp_gt_i32_e64 s1, 0, v23
	v_and_b32_e32 v17, v17, v18
	v_not_b32_e32 v18, v34
	v_ashrrev_i32_e32 v22, 31, v22
	s_wait_alu 0xfffd
	v_xor_b32_e32 v20, vcc_lo, v20
	v_cmp_gt_i32_e32 vcc_lo, 0, v34
	v_and_b32_e32 v17, v17, v19
	v_not_b32_e32 v19, v21
	v_ashrrev_i32_e32 v18, 31, v18
	s_wait_alu 0xf1ff
	v_xor_b32_e32 v22, s1, v22
	v_lshlrev_b32_e32 v16, 6, v16
	v_and_b32_e32 v17, v17, v20
	v_cmp_gt_i32_e64 s1, 0, v21
	v_ashrrev_i32_e32 v19, 31, v19
	s_wait_alu 0xfffd
	v_xor_b32_e32 v18, vcc_lo, v18
	v_add_nc_u32_e32 v74, v24, v16
	v_and_b32_e32 v17, v17, v22
	s_wait_alu 0xf1ff
	v_xor_b32_e32 v16, s1, v19
	ds_load_b32 v72, v74 offset:64
	v_and_b32_e32 v17, v17, v18
	; wave barrier
	s_delay_alu instid0(VALU_DEP_1) | instskip(NEXT) | instid1(VALU_DEP_1)
	v_and_b32_e32 v16, v17, v16
	v_mbcnt_lo_u32_b32 v73, v16, 0
	v_cmp_ne_u32_e64 s1, 0, v16
	s_delay_alu instid0(VALU_DEP_2)
	v_cmp_eq_u32_e32 vcc_lo, 0, v73
	s_and_b32 s10, s1, vcc_lo
	s_wait_alu 0xfffe
	s_and_saveexec_b32 s1, s10
	s_cbranch_execz .LBB230_94
; %bb.93:
	s_wait_dscnt 0x0
	v_bcnt_u32_b32 v16, v16, v72
	ds_store_b32 v74, v16 offset:64
.LBB230_94:
	s_wait_alu 0xfffe
	s_or_b32 exec_lo, exec_lo, s1
	v_cmp_ne_u16_e32 vcc_lo, 0x8000, v30
	; wave barrier
	s_wait_alu 0xfffd
	v_cndmask_b32_e32 v16, 0x7fff, v30, vcc_lo
	s_delay_alu instid0(VALU_DEP_1) | instskip(NEXT) | instid1(VALU_DEP_1)
	v_and_b32_e32 v16, 0xffff, v16
	v_and_b32_e32 v16, s9, v16
	s_delay_alu instid0(VALU_DEP_1)
	v_and_b32_e32 v17, 1, v16
	v_lshlrev_b32_e32 v18, 30, v16
	v_lshlrev_b32_e32 v19, 29, v16
	;; [unrolled: 1-line block ×4, first 2 shown]
	v_add_co_u32 v17, s1, v17, -1
	s_wait_alu 0xf1ff
	v_cndmask_b32_e64 v21, 0, 1, s1
	v_not_b32_e32 v35, v18
	v_cmp_gt_i32_e64 s1, 0, v18
	v_not_b32_e32 v18, v19
	v_lshlrev_b32_e32 v23, 26, v16
	v_cmp_ne_u32_e32 vcc_lo, 0, v21
	v_ashrrev_i32_e32 v35, 31, v35
	v_lshlrev_b32_e32 v34, 25, v16
	v_ashrrev_i32_e32 v18, 31, v18
	v_lshlrev_b32_e32 v21, 24, v16
	s_wait_alu 0xfffd
	v_xor_b32_e32 v17, vcc_lo, v17
	v_cmp_gt_i32_e32 vcc_lo, 0, v19
	v_not_b32_e32 v19, v20
	s_wait_alu 0xf1ff
	v_xor_b32_e32 v35, s1, v35
	v_cmp_gt_i32_e64 s1, 0, v20
	v_and_b32_e32 v17, exec_lo, v17
	v_not_b32_e32 v20, v22
	v_ashrrev_i32_e32 v19, 31, v19
	s_wait_alu 0xfffd
	v_xor_b32_e32 v18, vcc_lo, v18
	v_cmp_gt_i32_e32 vcc_lo, 0, v22
	v_and_b32_e32 v17, v17, v35
	v_not_b32_e32 v22, v23
	v_ashrrev_i32_e32 v20, 31, v20
	s_wait_alu 0xf1ff
	v_xor_b32_e32 v19, s1, v19
	v_cmp_gt_i32_e64 s1, 0, v23
	v_and_b32_e32 v17, v17, v18
	v_not_b32_e32 v18, v34
	v_ashrrev_i32_e32 v22, 31, v22
	s_wait_alu 0xfffd
	v_xor_b32_e32 v20, vcc_lo, v20
	v_cmp_gt_i32_e32 vcc_lo, 0, v34
	v_and_b32_e32 v17, v17, v19
	v_not_b32_e32 v19, v21
	v_ashrrev_i32_e32 v18, 31, v18
	s_wait_alu 0xf1ff
	v_xor_b32_e32 v22, s1, v22
	v_lshlrev_b32_e32 v16, 6, v16
	v_and_b32_e32 v17, v17, v20
	v_cmp_gt_i32_e64 s1, 0, v21
	v_ashrrev_i32_e32 v19, 31, v19
	s_wait_alu 0xfffd
	v_xor_b32_e32 v18, vcc_lo, v18
	v_add_nc_u32_e32 v77, v24, v16
	v_and_b32_e32 v17, v17, v22
	s_wait_alu 0xf1ff
	v_xor_b32_e32 v16, s1, v19
	ds_load_b32 v75, v77 offset:64
	v_and_b32_e32 v17, v17, v18
	; wave barrier
	s_delay_alu instid0(VALU_DEP_1) | instskip(NEXT) | instid1(VALU_DEP_1)
	v_and_b32_e32 v16, v17, v16
	v_mbcnt_lo_u32_b32 v76, v16, 0
	v_cmp_ne_u32_e64 s1, 0, v16
	s_delay_alu instid0(VALU_DEP_2)
	v_cmp_eq_u32_e32 vcc_lo, 0, v76
	s_and_b32 s10, s1, vcc_lo
	s_wait_alu 0xfffe
	s_and_saveexec_b32 s1, s10
	s_cbranch_execz .LBB230_96
; %bb.95:
	s_wait_dscnt 0x0
	v_bcnt_u32_b32 v16, v16, v75
	ds_store_b32 v77, v16 offset:64
.LBB230_96:
	s_wait_alu 0xfffe
	s_or_b32 exec_lo, exec_lo, s1
	v_cmp_ne_u16_e32 vcc_lo, 0x8000, v31
	; wave barrier
	s_wait_alu 0xfffd
	v_cndmask_b32_e32 v16, 0x7fff, v31, vcc_lo
	s_delay_alu instid0(VALU_DEP_1) | instskip(NEXT) | instid1(VALU_DEP_1)
	v_and_b32_e32 v16, 0xffff, v16
	v_and_b32_e32 v16, s9, v16
	s_delay_alu instid0(VALU_DEP_1)
	v_and_b32_e32 v17, 1, v16
	v_lshlrev_b32_e32 v18, 30, v16
	v_lshlrev_b32_e32 v19, 29, v16
	;; [unrolled: 1-line block ×4, first 2 shown]
	v_add_co_u32 v17, s1, v17, -1
	s_wait_alu 0xf1ff
	v_cndmask_b32_e64 v21, 0, 1, s1
	v_not_b32_e32 v35, v18
	v_cmp_gt_i32_e64 s1, 0, v18
	v_not_b32_e32 v18, v19
	v_lshlrev_b32_e32 v23, 26, v16
	v_cmp_ne_u32_e32 vcc_lo, 0, v21
	v_ashrrev_i32_e32 v35, 31, v35
	v_lshlrev_b32_e32 v34, 25, v16
	v_ashrrev_i32_e32 v18, 31, v18
	v_lshlrev_b32_e32 v21, 24, v16
	s_wait_alu 0xfffd
	v_xor_b32_e32 v17, vcc_lo, v17
	v_cmp_gt_i32_e32 vcc_lo, 0, v19
	v_not_b32_e32 v19, v20
	s_wait_alu 0xf1ff
	v_xor_b32_e32 v35, s1, v35
	v_cmp_gt_i32_e64 s1, 0, v20
	v_and_b32_e32 v17, exec_lo, v17
	v_not_b32_e32 v20, v22
	v_ashrrev_i32_e32 v19, 31, v19
	s_wait_alu 0xfffd
	v_xor_b32_e32 v18, vcc_lo, v18
	v_cmp_gt_i32_e32 vcc_lo, 0, v22
	v_and_b32_e32 v17, v17, v35
	v_not_b32_e32 v22, v23
	v_ashrrev_i32_e32 v20, 31, v20
	s_wait_alu 0xf1ff
	v_xor_b32_e32 v19, s1, v19
	v_cmp_gt_i32_e64 s1, 0, v23
	v_and_b32_e32 v17, v17, v18
	v_not_b32_e32 v18, v34
	v_ashrrev_i32_e32 v22, 31, v22
	s_wait_alu 0xfffd
	v_xor_b32_e32 v20, vcc_lo, v20
	v_cmp_gt_i32_e32 vcc_lo, 0, v34
	v_and_b32_e32 v17, v17, v19
	v_not_b32_e32 v19, v21
	v_ashrrev_i32_e32 v18, 31, v18
	s_wait_alu 0xf1ff
	v_xor_b32_e32 v22, s1, v22
	v_lshlrev_b32_e32 v16, 6, v16
	v_and_b32_e32 v17, v17, v20
	v_cmp_gt_i32_e64 s1, 0, v21
	v_ashrrev_i32_e32 v19, 31, v19
	s_wait_alu 0xfffd
	v_xor_b32_e32 v18, vcc_lo, v18
	v_add_nc_u32_e32 v80, v24, v16
	v_and_b32_e32 v17, v17, v22
	s_wait_alu 0xf1ff
	v_xor_b32_e32 v16, s1, v19
	ds_load_b32 v78, v80 offset:64
	v_and_b32_e32 v17, v17, v18
	; wave barrier
	s_delay_alu instid0(VALU_DEP_1) | instskip(NEXT) | instid1(VALU_DEP_1)
	v_and_b32_e32 v16, v17, v16
	v_mbcnt_lo_u32_b32 v79, v16, 0
	v_cmp_ne_u32_e64 s1, 0, v16
	s_delay_alu instid0(VALU_DEP_2)
	v_cmp_eq_u32_e32 vcc_lo, 0, v79
	s_and_b32 s10, s1, vcc_lo
	s_wait_alu 0xfffe
	s_and_saveexec_b32 s1, s10
	s_cbranch_execz .LBB230_98
; %bb.97:
	s_wait_dscnt 0x0
	v_bcnt_u32_b32 v16, v16, v78
	ds_store_b32 v80, v16 offset:64
.LBB230_98:
	s_wait_alu 0xfffe
	s_or_b32 exec_lo, exec_lo, s1
	v_cmp_ne_u16_e32 vcc_lo, 0x8000, v32
	; wave barrier
	s_wait_alu 0xfffd
	v_cndmask_b32_e32 v16, 0x7fff, v32, vcc_lo
	s_delay_alu instid0(VALU_DEP_1) | instskip(NEXT) | instid1(VALU_DEP_1)
	v_and_b32_e32 v16, 0xffff, v16
	v_and_b32_e32 v16, s9, v16
	s_delay_alu instid0(VALU_DEP_1)
	v_and_b32_e32 v17, 1, v16
	v_lshlrev_b32_e32 v18, 30, v16
	v_lshlrev_b32_e32 v19, 29, v16
	;; [unrolled: 1-line block ×4, first 2 shown]
	v_add_co_u32 v17, s1, v17, -1
	s_wait_alu 0xf1ff
	v_cndmask_b32_e64 v21, 0, 1, s1
	v_not_b32_e32 v35, v18
	v_cmp_gt_i32_e64 s1, 0, v18
	v_not_b32_e32 v18, v19
	v_lshlrev_b32_e32 v23, 26, v16
	v_cmp_ne_u32_e32 vcc_lo, 0, v21
	v_ashrrev_i32_e32 v35, 31, v35
	v_lshlrev_b32_e32 v34, 25, v16
	v_ashrrev_i32_e32 v18, 31, v18
	v_lshlrev_b32_e32 v21, 24, v16
	s_wait_alu 0xfffd
	v_xor_b32_e32 v17, vcc_lo, v17
	v_cmp_gt_i32_e32 vcc_lo, 0, v19
	v_not_b32_e32 v19, v20
	s_wait_alu 0xf1ff
	v_xor_b32_e32 v35, s1, v35
	v_cmp_gt_i32_e64 s1, 0, v20
	v_and_b32_e32 v17, exec_lo, v17
	v_not_b32_e32 v20, v22
	v_ashrrev_i32_e32 v19, 31, v19
	s_wait_alu 0xfffd
	v_xor_b32_e32 v18, vcc_lo, v18
	v_cmp_gt_i32_e32 vcc_lo, 0, v22
	v_and_b32_e32 v17, v17, v35
	v_not_b32_e32 v22, v23
	v_ashrrev_i32_e32 v20, 31, v20
	s_wait_alu 0xf1ff
	v_xor_b32_e32 v19, s1, v19
	v_cmp_gt_i32_e64 s1, 0, v23
	v_and_b32_e32 v17, v17, v18
	v_not_b32_e32 v18, v34
	v_ashrrev_i32_e32 v22, 31, v22
	s_wait_alu 0xfffd
	v_xor_b32_e32 v20, vcc_lo, v20
	v_cmp_gt_i32_e32 vcc_lo, 0, v34
	v_and_b32_e32 v17, v17, v19
	v_not_b32_e32 v19, v21
	v_ashrrev_i32_e32 v18, 31, v18
	s_wait_alu 0xf1ff
	v_xor_b32_e32 v22, s1, v22
	v_lshlrev_b32_e32 v16, 6, v16
	v_and_b32_e32 v17, v17, v20
	v_cmp_gt_i32_e64 s1, 0, v21
	v_ashrrev_i32_e32 v19, 31, v19
	s_wait_alu 0xfffd
	v_xor_b32_e32 v18, vcc_lo, v18
	v_add_nc_u32_e32 v83, v24, v16
	v_and_b32_e32 v17, v17, v22
	s_wait_alu 0xf1ff
	v_xor_b32_e32 v16, s1, v19
	ds_load_b32 v81, v83 offset:64
	v_and_b32_e32 v17, v17, v18
	; wave barrier
	s_delay_alu instid0(VALU_DEP_1) | instskip(NEXT) | instid1(VALU_DEP_1)
	v_and_b32_e32 v16, v17, v16
	v_mbcnt_lo_u32_b32 v82, v16, 0
	v_cmp_ne_u32_e64 s1, 0, v16
	s_delay_alu instid0(VALU_DEP_2)
	v_cmp_eq_u32_e32 vcc_lo, 0, v82
	s_and_b32 s10, s1, vcc_lo
	s_wait_alu 0xfffe
	s_and_saveexec_b32 s1, s10
	s_cbranch_execz .LBB230_100
; %bb.99:
	s_wait_dscnt 0x0
	v_bcnt_u32_b32 v16, v16, v81
	ds_store_b32 v83, v16 offset:64
.LBB230_100:
	s_wait_alu 0xfffe
	s_or_b32 exec_lo, exec_lo, s1
	v_cmp_ne_u16_e32 vcc_lo, 0x8000, v33
	; wave barrier
	s_wait_alu 0xfffd
	v_cndmask_b32_e32 v16, 0x7fff, v33, vcc_lo
	s_delay_alu instid0(VALU_DEP_1) | instskip(NEXT) | instid1(VALU_DEP_1)
	v_and_b32_e32 v16, 0xffff, v16
	v_and_b32_e32 v16, s9, v16
	s_delay_alu instid0(VALU_DEP_1)
	v_and_b32_e32 v17, 1, v16
	v_lshlrev_b32_e32 v18, 30, v16
	v_lshlrev_b32_e32 v19, 29, v16
	;; [unrolled: 1-line block ×4, first 2 shown]
	v_add_co_u32 v17, s1, v17, -1
	s_wait_alu 0xf1ff
	v_cndmask_b32_e64 v21, 0, 1, s1
	v_not_b32_e32 v35, v18
	v_cmp_gt_i32_e64 s1, 0, v18
	v_not_b32_e32 v18, v19
	v_lshlrev_b32_e32 v23, 26, v16
	v_cmp_ne_u32_e32 vcc_lo, 0, v21
	v_ashrrev_i32_e32 v35, 31, v35
	v_lshlrev_b32_e32 v34, 25, v16
	v_ashrrev_i32_e32 v18, 31, v18
	v_lshlrev_b32_e32 v21, 24, v16
	s_wait_alu 0xfffd
	v_xor_b32_e32 v17, vcc_lo, v17
	v_cmp_gt_i32_e32 vcc_lo, 0, v19
	v_not_b32_e32 v19, v20
	s_wait_alu 0xf1ff
	v_xor_b32_e32 v35, s1, v35
	v_cmp_gt_i32_e64 s1, 0, v20
	v_and_b32_e32 v17, exec_lo, v17
	v_not_b32_e32 v20, v22
	v_ashrrev_i32_e32 v19, 31, v19
	s_wait_alu 0xfffd
	v_xor_b32_e32 v18, vcc_lo, v18
	v_cmp_gt_i32_e32 vcc_lo, 0, v22
	v_and_b32_e32 v17, v17, v35
	v_not_b32_e32 v22, v23
	v_ashrrev_i32_e32 v20, 31, v20
	s_wait_alu 0xf1ff
	v_xor_b32_e32 v19, s1, v19
	v_cmp_gt_i32_e64 s1, 0, v23
	v_and_b32_e32 v17, v17, v18
	v_not_b32_e32 v18, v34
	v_ashrrev_i32_e32 v22, 31, v22
	s_wait_alu 0xfffd
	v_xor_b32_e32 v20, vcc_lo, v20
	v_cmp_gt_i32_e32 vcc_lo, 0, v34
	v_and_b32_e32 v17, v17, v19
	v_not_b32_e32 v19, v21
	v_ashrrev_i32_e32 v18, 31, v18
	s_wait_alu 0xf1ff
	v_xor_b32_e32 v22, s1, v22
	v_lshlrev_b32_e32 v16, 6, v16
	v_and_b32_e32 v17, v17, v20
	v_cmp_gt_i32_e64 s1, 0, v21
	v_ashrrev_i32_e32 v19, 31, v19
	s_wait_alu 0xfffd
	v_xor_b32_e32 v18, vcc_lo, v18
	v_add_nc_u32_e32 v86, v24, v16
	v_and_b32_e32 v17, v17, v22
	v_min_u32_e32 v34, 0x1e0, v70
	s_wait_alu 0xf1ff
	v_xor_b32_e32 v16, s1, v19
	ds_load_b32 v84, v86 offset:64
	v_and_b32_e32 v17, v17, v18
	; wave barrier
	s_delay_alu instid0(VALU_DEP_1) | instskip(NEXT) | instid1(VALU_DEP_1)
	v_and_b32_e32 v16, v17, v16
	v_mbcnt_lo_u32_b32 v85, v16, 0
	v_cmp_ne_u32_e64 s1, 0, v16
	s_delay_alu instid0(VALU_DEP_2)
	v_cmp_eq_u32_e32 vcc_lo, 0, v85
	s_and_b32 s9, s1, vcc_lo
	s_wait_alu 0xfffe
	s_and_saveexec_b32 s1, s9
	s_cbranch_execz .LBB230_102
; %bb.101:
	s_wait_dscnt 0x0
	v_bcnt_u32_b32 v16, v16, v84
	ds_store_b32 v86, v16 offset:64
.LBB230_102:
	s_wait_alu 0xfffe
	s_or_b32 exec_lo, exec_lo, s1
	; wave barrier
	s_wait_loadcnt_dscnt 0x0
	s_barrier_signal -1
	s_barrier_wait -1
	global_inv scope:SCOPE_SE
	ds_load_b128 v[20:23], v67 offset:64
	ds_load_b128 v[16:19], v67 offset:80
	v_and_b32_e32 v70, 16, v69
	v_or_b32_e32 v34, 31, v34
	s_delay_alu instid0(VALU_DEP_2) | instskip(NEXT) | instid1(VALU_DEP_2)
	v_cmp_eq_u32_e64 s15, 0, v70
	v_cmp_eq_u32_e64 s13, v46, v34
	s_wait_dscnt 0x1
	v_add_nc_u32_e32 v35, v21, v20
	s_delay_alu instid0(VALU_DEP_1) | instskip(SKIP_1) | instid1(VALU_DEP_1)
	v_add3_u32 v35, v35, v22, v23
	s_wait_dscnt 0x0
	v_add3_u32 v35, v35, v16, v17
	s_delay_alu instid0(VALU_DEP_1) | instskip(SKIP_1) | instid1(VALU_DEP_2)
	v_add3_u32 v19, v35, v18, v19
	v_and_b32_e32 v35, 15, v69
	v_mov_b32_dpp v37, v19 row_shr:1 row_mask:0xf bank_mask:0xf
	s_delay_alu instid0(VALU_DEP_2)
	v_cmp_eq_u32_e32 vcc_lo, 0, v35
	v_cmp_lt_u32_e64 s1, 1, v35
	v_cmp_lt_u32_e64 s9, 3, v35
	;; [unrolled: 1-line block ×3, first 2 shown]
	s_wait_alu 0xfffd
	v_cndmask_b32_e64 v37, v37, 0, vcc_lo
	s_delay_alu instid0(VALU_DEP_1) | instskip(NEXT) | instid1(VALU_DEP_1)
	v_add_nc_u32_e32 v19, v37, v19
	v_mov_b32_dpp v37, v19 row_shr:2 row_mask:0xf bank_mask:0xf
	s_wait_alu 0xf1ff
	s_delay_alu instid0(VALU_DEP_1) | instskip(NEXT) | instid1(VALU_DEP_1)
	v_cndmask_b32_e64 v37, 0, v37, s1
	v_add_nc_u32_e32 v19, v19, v37
	s_delay_alu instid0(VALU_DEP_1) | instskip(NEXT) | instid1(VALU_DEP_1)
	v_mov_b32_dpp v37, v19 row_shr:4 row_mask:0xf bank_mask:0xf
	v_cndmask_b32_e64 v37, 0, v37, s9
	s_delay_alu instid0(VALU_DEP_1) | instskip(NEXT) | instid1(VALU_DEP_1)
	v_add_nc_u32_e32 v19, v19, v37
	v_mov_b32_dpp v37, v19 row_shr:8 row_mask:0xf bank_mask:0xf
	s_delay_alu instid0(VALU_DEP_1) | instskip(NEXT) | instid1(VALU_DEP_1)
	v_cndmask_b32_e64 v35, 0, v37, s10
	v_add_nc_u32_e32 v37, v19, v35
	v_bfe_i32 v35, v69, 4, 1
	ds_swizzle_b32 v19, v37 offset:swizzle(BROADCAST,32,15)
	s_wait_dscnt 0x0
	v_and_b32_e32 v87, v35, v19
	v_mul_i32_i24_e32 v19, 0xffffffe4, v46
	v_lshlrev_b32_e32 v35, 2, v68
	s_delay_alu instid0(VALU_DEP_3)
	v_add_nc_u32_e32 v37, v37, v87
	s_and_saveexec_b32 s11, s13
; %bb.103:
	ds_store_b32 v35, v37
; %bb.104:
	s_wait_alu 0xfffe
	s_or_b32 exec_lo, exec_lo, s11
	v_cmp_gt_u32_e64 s12, 16, v46
	v_add_nc_u32_e32 v34, v67, v19
	s_wait_loadcnt_dscnt 0x0
	s_barrier_signal -1
	s_barrier_wait -1
	global_inv scope:SCOPE_SE
	s_and_saveexec_b32 s11, s12
	s_cbranch_execz .LBB230_106
; %bb.105:
	ds_load_b32 v19, v34
	s_wait_dscnt 0x0
	v_mov_b32_dpp v68, v19 row_shr:1 row_mask:0xf bank_mask:0xf
	s_delay_alu instid0(VALU_DEP_1) | instskip(NEXT) | instid1(VALU_DEP_1)
	v_cndmask_b32_e64 v68, v68, 0, vcc_lo
	v_add_nc_u32_e32 v19, v68, v19
	s_delay_alu instid0(VALU_DEP_1) | instskip(NEXT) | instid1(VALU_DEP_1)
	v_mov_b32_dpp v68, v19 row_shr:2 row_mask:0xf bank_mask:0xf
	v_cndmask_b32_e64 v68, 0, v68, s1
	s_delay_alu instid0(VALU_DEP_1) | instskip(NEXT) | instid1(VALU_DEP_1)
	v_add_nc_u32_e32 v19, v19, v68
	v_mov_b32_dpp v68, v19 row_shr:4 row_mask:0xf bank_mask:0xf
	s_delay_alu instid0(VALU_DEP_1) | instskip(NEXT) | instid1(VALU_DEP_1)
	v_cndmask_b32_e64 v68, 0, v68, s9
	v_add_nc_u32_e32 v19, v19, v68
	s_delay_alu instid0(VALU_DEP_1) | instskip(NEXT) | instid1(VALU_DEP_1)
	v_mov_b32_dpp v68, v19 row_shr:8 row_mask:0xf bank_mask:0xf
	v_cndmask_b32_e64 v68, 0, v68, s10
	s_delay_alu instid0(VALU_DEP_1)
	v_add_nc_u32_e32 v19, v19, v68
	ds_store_b32 v34, v19
.LBB230_106:
	s_wait_alu 0xfffe
	s_or_b32 exec_lo, exec_lo, s11
	v_mul_u32_u24_e32 v19, 6, v36
	v_sub_co_u32 v68, s11, v69, 1
	v_cmp_lt_u32_e64 s14, 31, v46
	v_add_nc_u32_e32 v36, -4, v35
	v_mov_b32_e32 v70, 0
	s_wait_loadcnt_dscnt 0x0
	s_barrier_signal -1
	s_barrier_wait -1
	global_inv scope:SCOPE_SE
	s_and_saveexec_b32 s16, s14
; %bb.107:
	ds_load_b32 v70, v36
; %bb.108:
	s_or_b32 exec_lo, exec_lo, s16
	v_cmp_gt_i32_e64 s16, 0, v68
	s_mov_b32 s20, 0
	s_min_u32 s17, s17, 8
	s_mov_b32 s21, s20
	s_mov_b32 s22, s20
	v_cndmask_b32_e64 v68, v68, v69, s16
	s_mov_b32 s23, s20
	s_wait_dscnt 0x0
	v_add_nc_u32_e32 v69, v70, v37
	v_cmp_eq_u32_e64 s16, 0, v46
	s_lshl_b32 s17, -1, s17
	v_lshlrev_b32_e32 v37, 2, v68
	s_wait_alu 0xfffe
	s_not_b32 s19, s17
	ds_bpermute_b32 v68, v37, v69
	s_wait_dscnt 0x0
	v_cndmask_b32_e64 v68, v68, v70, s11
	s_delay_alu instid0(VALU_DEP_1) | instskip(NEXT) | instid1(VALU_DEP_1)
	v_cndmask_b32_e64 v87, v68, 0, s16
	v_add_nc_u32_e32 v88, v87, v20
	s_delay_alu instid0(VALU_DEP_1) | instskip(NEXT) | instid1(VALU_DEP_1)
	v_add_nc_u32_e32 v89, v88, v21
	v_add_nc_u32_e32 v90, v89, v22
	s_delay_alu instid0(VALU_DEP_1) | instskip(NEXT) | instid1(VALU_DEP_1)
	v_add_nc_u32_e32 v20, v90, v23
	;; [unrolled: 3-line block ×3, first 2 shown]
	v_add_nc_u32_e32 v23, v22, v18
	ds_store_b128 v67, v[87:90] offset:64
	ds_store_b128 v67, v[20:23] offset:80
	s_wait_loadcnt_dscnt 0x0
	s_barrier_signal -1
	s_barrier_wait -1
	global_inv scope:SCOPE_SE
	ds_load_b32 v16, v39 offset:64
	ds_load_b32 v17, v48 offset:64
	;; [unrolled: 1-line block ×8, first 2 shown]
	v_add_nc_u32_e32 v48, v25, v19
	s_wait_loadcnt_dscnt 0x0
	s_barrier_signal -1
	s_barrier_wait -1
	global_inv scope:SCOPE_SE
	v_add_nc_u32_e32 v38, v16, v38
	v_add3_u32 v40, v47, v40, v17
	v_add3_u32 v47, v50, v49, v18
	;; [unrolled: 1-line block ×7, first 2 shown]
	v_lshlrev_b32_e32 v16, 1, v38
	v_lshlrev_b32_e32 v17, 1, v40
	;; [unrolled: 1-line block ×8, first 2 shown]
	ds_store_b16 v16, v26
	ds_store_b16 v17, v27
	;; [unrolled: 1-line block ×8, first 2 shown]
	s_wait_loadcnt_dscnt 0x0
	s_barrier_signal -1
	s_barrier_wait -1
	global_inv scope:SCOPE_SE
	ds_load_u16 v26, v25
	ds_load_u16 v27, v25 offset:64
	ds_load_u16 v28, v25 offset:128
	ds_load_u16 v29, v25 offset:192
	ds_load_u16 v30, v25 offset:256
	ds_load_u16 v31, v25 offset:320
	ds_load_u16 v32, v25 offset:384
	ds_load_u16 v25, v25 offset:448
	v_mad_co_u64_u32 v[38:39], null, v38, 6, v[16:17]
	v_mad_co_u64_u32 v[16:17], null, v40, 6, v[17:18]
	;; [unrolled: 1-line block ×3, first 2 shown]
	s_wait_loadcnt_dscnt 0x0
	s_barrier_signal -1
	s_barrier_wait -1
	global_inv scope:SCOPE_SE
	v_mad_co_u64_u32 v[18:19], null, v49, 6, v[19:20]
	v_lshrrev_b16 v33, 8, v26
	v_cmp_ne_u16_e64 s17, 0x8000, v26
	ds_store_b64 v38, v[8:9]
	v_mad_co_u64_u32 v[19:20], null, v50, 6, v[20:21]
	v_mad_co_u64_u32 v[20:21], null, v68, 6, v[21:22]
	s_wait_alu 0xf1ff
	v_cndmask_b32_e64 v33, 0x7f, v33, s17
	v_mad_co_u64_u32 v[21:22], null, v69, 6, v[22:23]
	v_mad_co_u64_u32 v[22:23], null, v70, 6, v[23:24]
	s_delay_alu instid0(VALU_DEP_3)
	v_and_b32_e32 v8, 0xffff, v33
	ds_store_b64 v16, v[10:11]
	ds_store_b64 v17, v[0:1]
	;; [unrolled: 1-line block ×7, first 2 shown]
	v_and_b32_e32 v23, s19, v8
	s_wait_loadcnt_dscnt 0x0
	s_barrier_signal -1
	s_barrier_wait -1
	global_inv scope:SCOPE_SE
	v_and_b32_e32 v0, 1, v23
	v_lshlrev_b32_e32 v1, 30, v23
	v_lshlrev_b32_e32 v2, 29, v23
	;; [unrolled: 1-line block ×4, first 2 shown]
	v_add_co_u32 v0, s17, v0, -1
	s_wait_alu 0xf1ff
	v_cndmask_b32_e64 v4, 0, 1, s17
	v_not_b32_e32 v8, v1
	v_cmp_gt_i32_e64 s18, 0, v1
	v_not_b32_e32 v1, v2
	v_lshlrev_b32_e32 v6, 26, v23
	v_cmp_ne_u32_e64 s17, 0, v4
	v_ashrrev_i32_e32 v8, 31, v8
	v_lshlrev_b32_e32 v7, 25, v23
	v_ashrrev_i32_e32 v1, 31, v1
	v_lshlrev_b32_e32 v4, 24, v23
	s_wait_alu 0xf1ff
	v_xor_b32_e32 v0, s17, v0
	v_cmp_gt_i32_e64 s17, 0, v2
	v_not_b32_e32 v2, v3
	v_xor_b32_e32 v8, s18, v8
	v_cmp_gt_i32_e64 s18, 0, v3
	v_and_b32_e32 v0, exec_lo, v0
	v_not_b32_e32 v3, v5
	v_ashrrev_i32_e32 v2, 31, v2
	s_wait_alu 0xf1ff
	v_xor_b32_e32 v1, s17, v1
	v_cmp_gt_i32_e64 s17, 0, v5
	v_and_b32_e32 v0, v0, v8
	v_not_b32_e32 v5, v6
	v_ashrrev_i32_e32 v3, 31, v3
	v_xor_b32_e32 v2, s18, v2
	v_cmp_gt_i32_e64 s18, 0, v6
	v_and_b32_e32 v0, v0, v1
	v_not_b32_e32 v1, v7
	v_ashrrev_i32_e32 v5, 31, v5
	s_wait_alu 0xf1ff
	v_xor_b32_e32 v3, s17, v3
	v_cmp_gt_i32_e64 s17, 0, v7
	v_and_b32_e32 v0, v0, v2
	v_not_b32_e32 v2, v4
	v_ashrrev_i32_e32 v1, 31, v1
	v_xor_b32_e32 v5, s18, v5
	v_cmp_gt_i32_e64 s18, 0, v4
	v_and_b32_e32 v0, v0, v3
	v_ashrrev_i32_e32 v2, 31, v2
	s_wait_alu 0xf1ff
	v_xor_b32_e32 v1, s17, v1
	v_dual_mov_b32 v17, s20 :: v_dual_mov_b32 v18, s21
	v_and_b32_e32 v0, v0, v5
	v_xor_b32_e32 v16, s18, v2
	ds_load_2addr_b64 v[4:7], v48 offset1:32
	v_dual_mov_b32 v19, s22 :: v_dual_mov_b32 v20, s23
	v_and_b32_e32 v21, v0, v1
	ds_load_2addr_b64 v[12:15], v48 offset0:64 offset1:96
	ds_load_2addr_b64 v[8:11], v48 offset0:128 offset1:160
	;; [unrolled: 1-line block ×3, first 2 shown]
	v_lshl_add_u32 v38, v23, 6, v24
	s_wait_loadcnt_dscnt 0x0
	s_barrier_signal -1
	v_and_b32_e32 v16, v21, v16
	s_barrier_wait -1
	global_inv scope:SCOPE_SE
	ds_store_b128 v67, v[17:20] offset:64
	ds_store_b128 v67, v[17:20] offset:80
	s_wait_loadcnt_dscnt 0x0
	v_mbcnt_lo_u32_b32 v33, v16, 0
	v_cmp_ne_u32_e64 s18, 0, v16
	s_barrier_signal -1
	s_barrier_wait -1
	global_inv scope:SCOPE_SE
	v_cmp_eq_u32_e64 s17, 0, v33
	; wave barrier
	s_and_b32 s18, s18, s17
	s_wait_alu 0xfffe
	s_and_saveexec_b32 s17, s18
; %bb.109:
	v_bcnt_u32_b32 v16, v16, 0
	ds_store_b32 v38, v16 offset:64
; %bb.110:
	s_wait_alu 0xfffe
	s_or_b32 exec_lo, exec_lo, s17
	v_lshrrev_b16 v16, 8, v27
	v_cmp_ne_u16_e64 s17, 0x8000, v27
	; wave barrier
	s_wait_alu 0xf1ff
	s_delay_alu instid0(VALU_DEP_1) | instskip(NEXT) | instid1(VALU_DEP_1)
	v_cndmask_b32_e64 v16, 0x7f, v16, s17
	v_and_b32_e32 v16, s19, v16
	s_delay_alu instid0(VALU_DEP_1)
	v_and_b32_e32 v17, 1, v16
	v_lshlrev_b32_e32 v18, 30, v16
	v_lshlrev_b32_e32 v19, 29, v16
	;; [unrolled: 1-line block ×4, first 2 shown]
	v_add_co_u32 v17, s17, v17, -1
	s_wait_alu 0xf1ff
	v_cndmask_b32_e64 v21, 0, 1, s17
	v_not_b32_e32 v40, v18
	v_cmp_gt_i32_e64 s18, 0, v18
	v_not_b32_e32 v18, v19
	v_lshlrev_b32_e32 v23, 26, v16
	v_cmp_ne_u32_e64 s17, 0, v21
	v_ashrrev_i32_e32 v40, 31, v40
	v_lshlrev_b32_e32 v39, 25, v16
	v_ashrrev_i32_e32 v18, 31, v18
	v_lshlrev_b32_e32 v21, 24, v16
	s_wait_alu 0xf1ff
	v_xor_b32_e32 v17, s17, v17
	v_cmp_gt_i32_e64 s17, 0, v19
	v_not_b32_e32 v19, v20
	v_xor_b32_e32 v40, s18, v40
	v_cmp_gt_i32_e64 s18, 0, v20
	v_and_b32_e32 v17, exec_lo, v17
	v_not_b32_e32 v20, v22
	v_ashrrev_i32_e32 v19, 31, v19
	s_wait_alu 0xf1ff
	v_xor_b32_e32 v18, s17, v18
	v_cmp_gt_i32_e64 s17, 0, v22
	v_and_b32_e32 v17, v17, v40
	v_not_b32_e32 v22, v23
	v_ashrrev_i32_e32 v20, 31, v20
	v_xor_b32_e32 v19, s18, v19
	v_cmp_gt_i32_e64 s18, 0, v23
	v_and_b32_e32 v17, v17, v18
	v_not_b32_e32 v18, v39
	v_ashrrev_i32_e32 v22, 31, v22
	s_wait_alu 0xf1ff
	v_xor_b32_e32 v20, s17, v20
	v_cmp_gt_i32_e64 s17, 0, v39
	v_and_b32_e32 v17, v17, v19
	v_not_b32_e32 v19, v21
	v_ashrrev_i32_e32 v18, 31, v18
	v_xor_b32_e32 v22, s18, v22
	v_cmp_gt_i32_e64 s18, 0, v21
	v_and_b32_e32 v17, v17, v20
	v_ashrrev_i32_e32 v19, 31, v19
	s_wait_alu 0xf1ff
	v_xor_b32_e32 v18, s17, v18
	v_lshl_add_u32 v47, v16, 6, v24
	v_and_b32_e32 v17, v17, v22
	v_xor_b32_e32 v16, s18, v19
	ds_load_b32 v39, v47 offset:64
	v_and_b32_e32 v17, v17, v18
	; wave barrier
	s_delay_alu instid0(VALU_DEP_1) | instskip(NEXT) | instid1(VALU_DEP_1)
	v_and_b32_e32 v16, v17, v16
	v_mbcnt_lo_u32_b32 v40, v16, 0
	v_cmp_ne_u32_e64 s18, 0, v16
	s_delay_alu instid0(VALU_DEP_2)
	v_cmp_eq_u32_e64 s17, 0, v40
	s_and_b32 s18, s18, s17
	s_wait_alu 0xfffe
	s_and_saveexec_b32 s17, s18
	s_cbranch_execz .LBB230_112
; %bb.111:
	s_wait_dscnt 0x0
	v_bcnt_u32_b32 v16, v16, v39
	ds_store_b32 v47, v16 offset:64
.LBB230_112:
	s_wait_alu 0xfffe
	s_or_b32 exec_lo, exec_lo, s17
	v_lshrrev_b16 v16, 8, v28
	v_cmp_ne_u16_e64 s17, 0x8000, v28
	; wave barrier
	s_wait_alu 0xf1ff
	s_delay_alu instid0(VALU_DEP_1) | instskip(NEXT) | instid1(VALU_DEP_1)
	v_cndmask_b32_e64 v16, 0x7f, v16, s17
	v_and_b32_e32 v16, s19, v16
	s_delay_alu instid0(VALU_DEP_1)
	v_and_b32_e32 v17, 1, v16
	v_lshlrev_b32_e32 v18, 30, v16
	v_lshlrev_b32_e32 v19, 29, v16
	;; [unrolled: 1-line block ×4, first 2 shown]
	v_add_co_u32 v17, s17, v17, -1
	s_wait_alu 0xf1ff
	v_cndmask_b32_e64 v21, 0, 1, s17
	v_not_b32_e32 v49, v18
	v_cmp_gt_i32_e64 s18, 0, v18
	v_not_b32_e32 v18, v19
	v_lshlrev_b32_e32 v23, 26, v16
	v_cmp_ne_u32_e64 s17, 0, v21
	v_ashrrev_i32_e32 v49, 31, v49
	v_lshlrev_b32_e32 v48, 25, v16
	v_ashrrev_i32_e32 v18, 31, v18
	v_lshlrev_b32_e32 v21, 24, v16
	s_wait_alu 0xf1ff
	v_xor_b32_e32 v17, s17, v17
	v_cmp_gt_i32_e64 s17, 0, v19
	v_not_b32_e32 v19, v20
	v_xor_b32_e32 v49, s18, v49
	v_cmp_gt_i32_e64 s18, 0, v20
	v_and_b32_e32 v17, exec_lo, v17
	v_not_b32_e32 v20, v22
	v_ashrrev_i32_e32 v19, 31, v19
	s_wait_alu 0xf1ff
	v_xor_b32_e32 v18, s17, v18
	v_cmp_gt_i32_e64 s17, 0, v22
	v_and_b32_e32 v17, v17, v49
	v_not_b32_e32 v22, v23
	v_ashrrev_i32_e32 v20, 31, v20
	v_xor_b32_e32 v19, s18, v19
	v_cmp_gt_i32_e64 s18, 0, v23
	v_and_b32_e32 v17, v17, v18
	v_not_b32_e32 v18, v48
	v_ashrrev_i32_e32 v22, 31, v22
	s_wait_alu 0xf1ff
	v_xor_b32_e32 v20, s17, v20
	v_cmp_gt_i32_e64 s17, 0, v48
	v_and_b32_e32 v17, v17, v19
	v_not_b32_e32 v19, v21
	v_ashrrev_i32_e32 v18, 31, v18
	v_xor_b32_e32 v22, s18, v22
	v_cmp_gt_i32_e64 s18, 0, v21
	v_and_b32_e32 v17, v17, v20
	v_ashrrev_i32_e32 v19, 31, v19
	s_wait_alu 0xf1ff
	v_xor_b32_e32 v18, s17, v18
	v_lshl_add_u32 v50, v16, 6, v24
	v_and_b32_e32 v17, v17, v22
	v_xor_b32_e32 v16, s18, v19
	ds_load_b32 v48, v50 offset:64
	v_and_b32_e32 v17, v17, v18
	; wave barrier
	s_delay_alu instid0(VALU_DEP_1) | instskip(NEXT) | instid1(VALU_DEP_1)
	v_and_b32_e32 v16, v17, v16
	v_mbcnt_lo_u32_b32 v49, v16, 0
	v_cmp_ne_u32_e64 s18, 0, v16
	s_delay_alu instid0(VALU_DEP_2)
	v_cmp_eq_u32_e64 s17, 0, v49
	s_and_b32 s18, s18, s17
	s_wait_alu 0xfffe
	s_and_saveexec_b32 s17, s18
	s_cbranch_execz .LBB230_114
; %bb.113:
	s_wait_dscnt 0x0
	v_bcnt_u32_b32 v16, v16, v48
	ds_store_b32 v50, v16 offset:64
.LBB230_114:
	s_wait_alu 0xfffe
	s_or_b32 exec_lo, exec_lo, s17
	v_lshrrev_b16 v16, 8, v29
	v_cmp_ne_u16_e64 s17, 0x8000, v29
	; wave barrier
	s_wait_alu 0xf1ff
	s_delay_alu instid0(VALU_DEP_1) | instskip(NEXT) | instid1(VALU_DEP_1)
	v_cndmask_b32_e64 v16, 0x7f, v16, s17
	v_and_b32_e32 v16, s19, v16
	s_delay_alu instid0(VALU_DEP_1)
	v_and_b32_e32 v17, 1, v16
	v_lshlrev_b32_e32 v18, 30, v16
	v_lshlrev_b32_e32 v19, 29, v16
	;; [unrolled: 1-line block ×4, first 2 shown]
	v_add_co_u32 v17, s17, v17, -1
	s_wait_alu 0xf1ff
	v_cndmask_b32_e64 v21, 0, 1, s17
	v_not_b32_e32 v69, v18
	v_cmp_gt_i32_e64 s18, 0, v18
	v_not_b32_e32 v18, v19
	v_lshlrev_b32_e32 v23, 26, v16
	v_cmp_ne_u32_e64 s17, 0, v21
	v_ashrrev_i32_e32 v69, 31, v69
	v_lshlrev_b32_e32 v68, 25, v16
	v_ashrrev_i32_e32 v18, 31, v18
	v_lshlrev_b32_e32 v21, 24, v16
	s_wait_alu 0xf1ff
	v_xor_b32_e32 v17, s17, v17
	v_cmp_gt_i32_e64 s17, 0, v19
	v_not_b32_e32 v19, v20
	v_xor_b32_e32 v69, s18, v69
	v_cmp_gt_i32_e64 s18, 0, v20
	v_and_b32_e32 v17, exec_lo, v17
	v_not_b32_e32 v20, v22
	v_ashrrev_i32_e32 v19, 31, v19
	s_wait_alu 0xf1ff
	v_xor_b32_e32 v18, s17, v18
	v_cmp_gt_i32_e64 s17, 0, v22
	v_and_b32_e32 v17, v17, v69
	v_not_b32_e32 v22, v23
	v_ashrrev_i32_e32 v20, 31, v20
	v_xor_b32_e32 v19, s18, v19
	v_cmp_gt_i32_e64 s18, 0, v23
	v_and_b32_e32 v17, v17, v18
	v_not_b32_e32 v18, v68
	v_ashrrev_i32_e32 v22, 31, v22
	s_wait_alu 0xf1ff
	v_xor_b32_e32 v20, s17, v20
	v_cmp_gt_i32_e64 s17, 0, v68
	v_and_b32_e32 v17, v17, v19
	v_not_b32_e32 v19, v21
	v_ashrrev_i32_e32 v18, 31, v18
	v_xor_b32_e32 v22, s18, v22
	v_cmp_gt_i32_e64 s18, 0, v21
	v_and_b32_e32 v17, v17, v20
	v_ashrrev_i32_e32 v19, 31, v19
	s_wait_alu 0xf1ff
	v_xor_b32_e32 v18, s17, v18
	v_lshl_add_u32 v70, v16, 6, v24
	v_and_b32_e32 v17, v17, v22
	v_xor_b32_e32 v16, s18, v19
	ds_load_b32 v68, v70 offset:64
	v_and_b32_e32 v17, v17, v18
	; wave barrier
	s_delay_alu instid0(VALU_DEP_1) | instskip(NEXT) | instid1(VALU_DEP_1)
	v_and_b32_e32 v16, v17, v16
	v_mbcnt_lo_u32_b32 v69, v16, 0
	v_cmp_ne_u32_e64 s18, 0, v16
	s_delay_alu instid0(VALU_DEP_2)
	v_cmp_eq_u32_e64 s17, 0, v69
	s_and_b32 s18, s18, s17
	s_wait_alu 0xfffe
	s_and_saveexec_b32 s17, s18
	s_cbranch_execz .LBB230_116
; %bb.115:
	s_wait_dscnt 0x0
	v_bcnt_u32_b32 v16, v16, v68
	ds_store_b32 v70, v16 offset:64
.LBB230_116:
	s_wait_alu 0xfffe
	s_or_b32 exec_lo, exec_lo, s17
	v_lshrrev_b16 v16, 8, v30
	v_cmp_ne_u16_e64 s17, 0x8000, v30
	; wave barrier
	s_wait_alu 0xf1ff
	s_delay_alu instid0(VALU_DEP_1) | instskip(NEXT) | instid1(VALU_DEP_1)
	v_cndmask_b32_e64 v16, 0x7f, v16, s17
	v_and_b32_e32 v16, s19, v16
	s_delay_alu instid0(VALU_DEP_1)
	v_and_b32_e32 v17, 1, v16
	v_lshlrev_b32_e32 v18, 30, v16
	v_lshlrev_b32_e32 v19, 29, v16
	;; [unrolled: 1-line block ×4, first 2 shown]
	v_add_co_u32 v17, s17, v17, -1
	s_wait_alu 0xf1ff
	v_cndmask_b32_e64 v21, 0, 1, s17
	v_not_b32_e32 v72, v18
	v_cmp_gt_i32_e64 s18, 0, v18
	v_not_b32_e32 v18, v19
	v_lshlrev_b32_e32 v23, 26, v16
	v_cmp_ne_u32_e64 s17, 0, v21
	v_ashrrev_i32_e32 v72, 31, v72
	v_lshlrev_b32_e32 v71, 25, v16
	v_ashrrev_i32_e32 v18, 31, v18
	v_lshlrev_b32_e32 v21, 24, v16
	s_wait_alu 0xf1ff
	v_xor_b32_e32 v17, s17, v17
	v_cmp_gt_i32_e64 s17, 0, v19
	v_not_b32_e32 v19, v20
	v_xor_b32_e32 v72, s18, v72
	v_cmp_gt_i32_e64 s18, 0, v20
	v_and_b32_e32 v17, exec_lo, v17
	v_not_b32_e32 v20, v22
	v_ashrrev_i32_e32 v19, 31, v19
	s_wait_alu 0xf1ff
	v_xor_b32_e32 v18, s17, v18
	v_cmp_gt_i32_e64 s17, 0, v22
	v_and_b32_e32 v17, v17, v72
	v_not_b32_e32 v22, v23
	v_ashrrev_i32_e32 v20, 31, v20
	v_xor_b32_e32 v19, s18, v19
	v_cmp_gt_i32_e64 s18, 0, v23
	v_and_b32_e32 v17, v17, v18
	v_not_b32_e32 v18, v71
	v_ashrrev_i32_e32 v22, 31, v22
	s_wait_alu 0xf1ff
	v_xor_b32_e32 v20, s17, v20
	v_cmp_gt_i32_e64 s17, 0, v71
	v_and_b32_e32 v17, v17, v19
	v_not_b32_e32 v19, v21
	v_ashrrev_i32_e32 v18, 31, v18
	v_xor_b32_e32 v22, s18, v22
	v_cmp_gt_i32_e64 s18, 0, v21
	v_and_b32_e32 v17, v17, v20
	v_ashrrev_i32_e32 v19, 31, v19
	s_wait_alu 0xf1ff
	v_xor_b32_e32 v18, s17, v18
	v_lshl_add_u32 v73, v16, 6, v24
	v_and_b32_e32 v17, v17, v22
	v_xor_b32_e32 v16, s18, v19
	ds_load_b32 v71, v73 offset:64
	v_and_b32_e32 v17, v17, v18
	; wave barrier
	s_delay_alu instid0(VALU_DEP_1) | instskip(NEXT) | instid1(VALU_DEP_1)
	v_and_b32_e32 v16, v17, v16
	v_mbcnt_lo_u32_b32 v72, v16, 0
	v_cmp_ne_u32_e64 s18, 0, v16
	s_delay_alu instid0(VALU_DEP_2)
	v_cmp_eq_u32_e64 s17, 0, v72
	s_and_b32 s18, s18, s17
	s_wait_alu 0xfffe
	s_and_saveexec_b32 s17, s18
	s_cbranch_execz .LBB230_118
; %bb.117:
	s_wait_dscnt 0x0
	v_bcnt_u32_b32 v16, v16, v71
	ds_store_b32 v73, v16 offset:64
.LBB230_118:
	s_wait_alu 0xfffe
	s_or_b32 exec_lo, exec_lo, s17
	v_lshrrev_b16 v16, 8, v31
	v_cmp_ne_u16_e64 s17, 0x8000, v31
	; wave barrier
	s_wait_alu 0xf1ff
	s_delay_alu instid0(VALU_DEP_1) | instskip(NEXT) | instid1(VALU_DEP_1)
	v_cndmask_b32_e64 v16, 0x7f, v16, s17
	v_and_b32_e32 v16, s19, v16
	s_delay_alu instid0(VALU_DEP_1)
	v_and_b32_e32 v17, 1, v16
	v_lshlrev_b32_e32 v18, 30, v16
	v_lshlrev_b32_e32 v19, 29, v16
	v_lshlrev_b32_e32 v20, 28, v16
	v_lshlrev_b32_e32 v22, 27, v16
	v_add_co_u32 v17, s17, v17, -1
	s_wait_alu 0xf1ff
	v_cndmask_b32_e64 v21, 0, 1, s17
	v_not_b32_e32 v75, v18
	v_cmp_gt_i32_e64 s18, 0, v18
	v_not_b32_e32 v18, v19
	v_lshlrev_b32_e32 v23, 26, v16
	v_cmp_ne_u32_e64 s17, 0, v21
	v_ashrrev_i32_e32 v75, 31, v75
	v_lshlrev_b32_e32 v74, 25, v16
	v_ashrrev_i32_e32 v18, 31, v18
	v_lshlrev_b32_e32 v21, 24, v16
	s_wait_alu 0xf1ff
	v_xor_b32_e32 v17, s17, v17
	v_cmp_gt_i32_e64 s17, 0, v19
	v_not_b32_e32 v19, v20
	v_xor_b32_e32 v75, s18, v75
	v_cmp_gt_i32_e64 s18, 0, v20
	v_and_b32_e32 v17, exec_lo, v17
	v_not_b32_e32 v20, v22
	v_ashrrev_i32_e32 v19, 31, v19
	s_wait_alu 0xf1ff
	v_xor_b32_e32 v18, s17, v18
	v_cmp_gt_i32_e64 s17, 0, v22
	v_and_b32_e32 v17, v17, v75
	v_not_b32_e32 v22, v23
	v_ashrrev_i32_e32 v20, 31, v20
	v_xor_b32_e32 v19, s18, v19
	v_cmp_gt_i32_e64 s18, 0, v23
	v_and_b32_e32 v17, v17, v18
	v_not_b32_e32 v18, v74
	v_ashrrev_i32_e32 v22, 31, v22
	s_wait_alu 0xf1ff
	v_xor_b32_e32 v20, s17, v20
	v_cmp_gt_i32_e64 s17, 0, v74
	v_and_b32_e32 v17, v17, v19
	v_not_b32_e32 v19, v21
	v_ashrrev_i32_e32 v18, 31, v18
	v_xor_b32_e32 v22, s18, v22
	v_cmp_gt_i32_e64 s18, 0, v21
	v_and_b32_e32 v17, v17, v20
	v_ashrrev_i32_e32 v19, 31, v19
	s_wait_alu 0xf1ff
	v_xor_b32_e32 v18, s17, v18
	v_lshl_add_u32 v76, v16, 6, v24
	v_and_b32_e32 v17, v17, v22
	v_xor_b32_e32 v16, s18, v19
	ds_load_b32 v74, v76 offset:64
	v_and_b32_e32 v17, v17, v18
	; wave barrier
	s_delay_alu instid0(VALU_DEP_1) | instskip(NEXT) | instid1(VALU_DEP_1)
	v_and_b32_e32 v16, v17, v16
	v_mbcnt_lo_u32_b32 v75, v16, 0
	v_cmp_ne_u32_e64 s18, 0, v16
	s_delay_alu instid0(VALU_DEP_2)
	v_cmp_eq_u32_e64 s17, 0, v75
	s_and_b32 s18, s18, s17
	s_wait_alu 0xfffe
	s_and_saveexec_b32 s17, s18
	s_cbranch_execz .LBB230_120
; %bb.119:
	s_wait_dscnt 0x0
	v_bcnt_u32_b32 v16, v16, v74
	ds_store_b32 v76, v16 offset:64
.LBB230_120:
	s_wait_alu 0xfffe
	s_or_b32 exec_lo, exec_lo, s17
	v_lshrrev_b16 v16, 8, v32
	v_cmp_ne_u16_e64 s17, 0x8000, v32
	; wave barrier
	s_wait_alu 0xf1ff
	s_delay_alu instid0(VALU_DEP_1) | instskip(NEXT) | instid1(VALU_DEP_1)
	v_cndmask_b32_e64 v16, 0x7f, v16, s17
	v_and_b32_e32 v16, s19, v16
	s_delay_alu instid0(VALU_DEP_1)
	v_and_b32_e32 v17, 1, v16
	v_lshlrev_b32_e32 v18, 30, v16
	v_lshlrev_b32_e32 v19, 29, v16
	;; [unrolled: 1-line block ×4, first 2 shown]
	v_add_co_u32 v17, s17, v17, -1
	s_wait_alu 0xf1ff
	v_cndmask_b32_e64 v21, 0, 1, s17
	v_not_b32_e32 v78, v18
	v_cmp_gt_i32_e64 s18, 0, v18
	v_not_b32_e32 v18, v19
	v_lshlrev_b32_e32 v23, 26, v16
	v_cmp_ne_u32_e64 s17, 0, v21
	v_ashrrev_i32_e32 v78, 31, v78
	v_lshlrev_b32_e32 v77, 25, v16
	v_ashrrev_i32_e32 v18, 31, v18
	v_lshlrev_b32_e32 v21, 24, v16
	s_wait_alu 0xf1ff
	v_xor_b32_e32 v17, s17, v17
	v_cmp_gt_i32_e64 s17, 0, v19
	v_not_b32_e32 v19, v20
	v_xor_b32_e32 v78, s18, v78
	v_cmp_gt_i32_e64 s18, 0, v20
	v_and_b32_e32 v17, exec_lo, v17
	v_not_b32_e32 v20, v22
	v_ashrrev_i32_e32 v19, 31, v19
	s_wait_alu 0xf1ff
	v_xor_b32_e32 v18, s17, v18
	v_cmp_gt_i32_e64 s17, 0, v22
	v_and_b32_e32 v17, v17, v78
	v_not_b32_e32 v22, v23
	v_ashrrev_i32_e32 v20, 31, v20
	v_xor_b32_e32 v19, s18, v19
	v_cmp_gt_i32_e64 s18, 0, v23
	v_and_b32_e32 v17, v17, v18
	v_not_b32_e32 v18, v77
	v_ashrrev_i32_e32 v22, 31, v22
	s_wait_alu 0xf1ff
	v_xor_b32_e32 v20, s17, v20
	v_cmp_gt_i32_e64 s17, 0, v77
	v_and_b32_e32 v17, v17, v19
	v_not_b32_e32 v19, v21
	v_ashrrev_i32_e32 v18, 31, v18
	v_xor_b32_e32 v22, s18, v22
	v_cmp_gt_i32_e64 s18, 0, v21
	v_and_b32_e32 v17, v17, v20
	v_ashrrev_i32_e32 v19, 31, v19
	s_wait_alu 0xf1ff
	v_xor_b32_e32 v18, s17, v18
	v_lshl_add_u32 v79, v16, 6, v24
	v_and_b32_e32 v17, v17, v22
	v_xor_b32_e32 v16, s18, v19
	ds_load_b32 v77, v79 offset:64
	v_and_b32_e32 v17, v17, v18
	; wave barrier
	s_delay_alu instid0(VALU_DEP_1) | instskip(NEXT) | instid1(VALU_DEP_1)
	v_and_b32_e32 v16, v17, v16
	v_mbcnt_lo_u32_b32 v78, v16, 0
	v_cmp_ne_u32_e64 s18, 0, v16
	s_delay_alu instid0(VALU_DEP_2)
	v_cmp_eq_u32_e64 s17, 0, v78
	s_and_b32 s18, s18, s17
	s_wait_alu 0xfffe
	s_and_saveexec_b32 s17, s18
	s_cbranch_execz .LBB230_122
; %bb.121:
	s_wait_dscnt 0x0
	v_bcnt_u32_b32 v16, v16, v77
	ds_store_b32 v79, v16 offset:64
.LBB230_122:
	s_wait_alu 0xfffe
	s_or_b32 exec_lo, exec_lo, s17
	v_lshrrev_b16 v16, 8, v25
	v_cmp_ne_u16_e64 s17, 0x8000, v25
	; wave barrier
	s_wait_alu 0xf1ff
	s_delay_alu instid0(VALU_DEP_1) | instskip(NEXT) | instid1(VALU_DEP_1)
	v_cndmask_b32_e64 v16, 0x7f, v16, s17
	v_and_b32_e32 v16, s19, v16
	s_delay_alu instid0(VALU_DEP_1)
	v_and_b32_e32 v17, 1, v16
	v_lshlrev_b32_e32 v18, 30, v16
	v_lshlrev_b32_e32 v19, 29, v16
	;; [unrolled: 1-line block ×4, first 2 shown]
	v_add_co_u32 v17, s17, v17, -1
	s_wait_alu 0xf1ff
	v_cndmask_b32_e64 v21, 0, 1, s17
	v_not_b32_e32 v81, v18
	v_cmp_gt_i32_e64 s18, 0, v18
	v_not_b32_e32 v18, v19
	v_lshlrev_b32_e32 v23, 26, v16
	v_cmp_ne_u32_e64 s17, 0, v21
	v_ashrrev_i32_e32 v81, 31, v81
	v_lshlrev_b32_e32 v80, 25, v16
	v_ashrrev_i32_e32 v18, 31, v18
	v_lshlrev_b32_e32 v21, 24, v16
	s_wait_alu 0xf1ff
	v_xor_b32_e32 v17, s17, v17
	v_cmp_gt_i32_e64 s17, 0, v19
	v_not_b32_e32 v19, v20
	v_xor_b32_e32 v81, s18, v81
	v_cmp_gt_i32_e64 s18, 0, v20
	v_and_b32_e32 v17, exec_lo, v17
	v_not_b32_e32 v20, v22
	v_ashrrev_i32_e32 v19, 31, v19
	s_wait_alu 0xf1ff
	v_xor_b32_e32 v18, s17, v18
	v_cmp_gt_i32_e64 s17, 0, v22
	v_and_b32_e32 v17, v17, v81
	v_not_b32_e32 v22, v23
	v_ashrrev_i32_e32 v20, 31, v20
	v_xor_b32_e32 v19, s18, v19
	v_cmp_gt_i32_e64 s18, 0, v23
	v_and_b32_e32 v17, v17, v18
	v_not_b32_e32 v18, v80
	v_ashrrev_i32_e32 v22, 31, v22
	s_wait_alu 0xf1ff
	v_xor_b32_e32 v20, s17, v20
	v_cmp_gt_i32_e64 s17, 0, v80
	v_and_b32_e32 v17, v17, v19
	v_not_b32_e32 v19, v21
	v_ashrrev_i32_e32 v18, 31, v18
	v_xor_b32_e32 v22, s18, v22
	v_cmp_gt_i32_e64 s18, 0, v21
	v_and_b32_e32 v17, v17, v20
	v_ashrrev_i32_e32 v19, 31, v19
	s_wait_alu 0xf1ff
	v_xor_b32_e32 v18, s17, v18
	v_lshl_add_u32 v81, v16, 6, v24
	v_and_b32_e32 v17, v17, v22
	v_xor_b32_e32 v16, s18, v19
	ds_load_b32 v24, v81 offset:64
	v_and_b32_e32 v17, v17, v18
	; wave barrier
	s_delay_alu instid0(VALU_DEP_1) | instskip(NEXT) | instid1(VALU_DEP_1)
	v_and_b32_e32 v16, v17, v16
	v_mbcnt_lo_u32_b32 v80, v16, 0
	v_cmp_ne_u32_e64 s18, 0, v16
	s_delay_alu instid0(VALU_DEP_2)
	v_cmp_eq_u32_e64 s17, 0, v80
	s_and_b32 s18, s18, s17
	s_wait_alu 0xfffe
	s_and_saveexec_b32 s17, s18
	s_cbranch_execz .LBB230_124
; %bb.123:
	s_wait_dscnt 0x0
	v_bcnt_u32_b32 v16, v16, v24
	ds_store_b32 v81, v16 offset:64
.LBB230_124:
	s_wait_alu 0xfffe
	s_or_b32 exec_lo, exec_lo, s17
	; wave barrier
	s_wait_loadcnt_dscnt 0x0
	s_barrier_signal -1
	s_barrier_wait -1
	global_inv scope:SCOPE_SE
	ds_load_b128 v[20:23], v67 offset:64
	ds_load_b128 v[16:19], v67 offset:80
	s_wait_dscnt 0x1
	v_add_nc_u32_e32 v82, v21, v20
	s_delay_alu instid0(VALU_DEP_1) | instskip(SKIP_1) | instid1(VALU_DEP_1)
	v_add3_u32 v82, v82, v22, v23
	s_wait_dscnt 0x0
	v_add3_u32 v82, v82, v16, v17
	s_delay_alu instid0(VALU_DEP_1) | instskip(NEXT) | instid1(VALU_DEP_1)
	v_add3_u32 v19, v82, v18, v19
	v_mov_b32_dpp v82, v19 row_shr:1 row_mask:0xf bank_mask:0xf
	s_delay_alu instid0(VALU_DEP_1) | instskip(NEXT) | instid1(VALU_DEP_1)
	v_cndmask_b32_e64 v82, v82, 0, vcc_lo
	v_add_nc_u32_e32 v19, v82, v19
	s_delay_alu instid0(VALU_DEP_1) | instskip(NEXT) | instid1(VALU_DEP_1)
	v_mov_b32_dpp v82, v19 row_shr:2 row_mask:0xf bank_mask:0xf
	v_cndmask_b32_e64 v82, 0, v82, s1
	s_delay_alu instid0(VALU_DEP_1) | instskip(NEXT) | instid1(VALU_DEP_1)
	v_add_nc_u32_e32 v19, v19, v82
	v_mov_b32_dpp v82, v19 row_shr:4 row_mask:0xf bank_mask:0xf
	s_delay_alu instid0(VALU_DEP_1) | instskip(NEXT) | instid1(VALU_DEP_1)
	v_cndmask_b32_e64 v82, 0, v82, s9
	v_add_nc_u32_e32 v19, v19, v82
	s_delay_alu instid0(VALU_DEP_1) | instskip(NEXT) | instid1(VALU_DEP_1)
	v_mov_b32_dpp v82, v19 row_shr:8 row_mask:0xf bank_mask:0xf
	v_cndmask_b32_e64 v82, 0, v82, s10
	s_delay_alu instid0(VALU_DEP_1) | instskip(SKIP_3) | instid1(VALU_DEP_1)
	v_add_nc_u32_e32 v19, v19, v82
	ds_swizzle_b32 v82, v19 offset:swizzle(BROADCAST,32,15)
	s_wait_dscnt 0x0
	v_cndmask_b32_e64 v82, v82, 0, s15
	v_add_nc_u32_e32 v19, v19, v82
	s_and_saveexec_b32 s15, s13
; %bb.125:
	ds_store_b32 v35, v19
; %bb.126:
	s_wait_alu 0xfffe
	s_or_b32 exec_lo, exec_lo, s15
	s_wait_loadcnt_dscnt 0x0
	s_barrier_signal -1
	s_barrier_wait -1
	global_inv scope:SCOPE_SE
	s_and_saveexec_b32 s13, s12
	s_cbranch_execz .LBB230_128
; %bb.127:
	ds_load_b32 v35, v34
	s_wait_dscnt 0x0
	v_mov_b32_dpp v82, v35 row_shr:1 row_mask:0xf bank_mask:0xf
	s_delay_alu instid0(VALU_DEP_1) | instskip(NEXT) | instid1(VALU_DEP_1)
	v_cndmask_b32_e64 v82, v82, 0, vcc_lo
	v_add_nc_u32_e32 v35, v82, v35
	s_delay_alu instid0(VALU_DEP_1) | instskip(NEXT) | instid1(VALU_DEP_1)
	v_mov_b32_dpp v82, v35 row_shr:2 row_mask:0xf bank_mask:0xf
	v_cndmask_b32_e64 v82, 0, v82, s1
	s_delay_alu instid0(VALU_DEP_1) | instskip(NEXT) | instid1(VALU_DEP_1)
	v_add_nc_u32_e32 v35, v35, v82
	v_mov_b32_dpp v82, v35 row_shr:4 row_mask:0xf bank_mask:0xf
	s_delay_alu instid0(VALU_DEP_1) | instskip(NEXT) | instid1(VALU_DEP_1)
	v_cndmask_b32_e64 v82, 0, v82, s9
	v_add_nc_u32_e32 v35, v35, v82
	s_delay_alu instid0(VALU_DEP_1) | instskip(NEXT) | instid1(VALU_DEP_1)
	v_mov_b32_dpp v82, v35 row_shr:8 row_mask:0xf bank_mask:0xf
	v_cndmask_b32_e64 v82, 0, v82, s10
	s_delay_alu instid0(VALU_DEP_1)
	v_add_nc_u32_e32 v35, v35, v82
	ds_store_b32 v34, v35
.LBB230_128:
	s_wait_alu 0xfffe
	s_or_b32 exec_lo, exec_lo, s13
	v_mov_b32_e32 v34, 0
	s_wait_loadcnt_dscnt 0x0
	s_barrier_signal -1
	s_barrier_wait -1
	global_inv scope:SCOPE_SE
	s_and_saveexec_b32 s1, s14
; %bb.129:
	ds_load_b32 v34, v36
; %bb.130:
	s_wait_alu 0xfffe
	s_or_b32 exec_lo, exec_lo, s1
	s_wait_dscnt 0x0
	v_add_nc_u32_e32 v19, v34, v19
	ds_bpermute_b32 v19, v37, v19
	s_wait_dscnt 0x0
	v_cndmask_b32_e64 v19, v19, v34, s11
	s_delay_alu instid0(VALU_DEP_1) | instskip(NEXT) | instid1(VALU_DEP_1)
	v_cndmask_b32_e64 v19, v19, 0, s16
	v_add_nc_u32_e32 v20, v19, v20
	s_delay_alu instid0(VALU_DEP_1) | instskip(NEXT) | instid1(VALU_DEP_1)
	v_add_nc_u32_e32 v21, v20, v21
	v_add_nc_u32_e32 v22, v21, v22
	s_delay_alu instid0(VALU_DEP_1) | instskip(NEXT) | instid1(VALU_DEP_1)
	v_add_nc_u32_e32 v34, v22, v23
	;; [unrolled: 3-line block ×3, first 2 shown]
	v_add_nc_u32_e32 v37, v36, v18
	ds_store_b128 v67, v[19:22] offset:64
	ds_store_b128 v67, v[34:37] offset:80
	s_wait_loadcnt_dscnt 0x0
	s_barrier_signal -1
	s_barrier_wait -1
	global_inv scope:SCOPE_SE
	ds_load_b32 v16, v81 offset:64
	ds_load_b32 v17, v79 offset:64
	;; [unrolled: 1-line block ×8, first 2 shown]
	v_lshlrev_b32_e32 v34, 1, v66
	s_wait_loadcnt_dscnt 0x0
	s_barrier_signal -1
	s_barrier_wait -1
	global_inv scope:SCOPE_SE
	v_mad_u32_u24 v37, v46, 48, v34
	v_add3_u32 v35, v80, v24, v16
	v_add3_u32 v36, v78, v77, v17
	;; [unrolled: 1-line block ×3, first 2 shown]
	v_add_nc_u32_e32 v24, v19, v33
	v_add3_u32 v33, v40, v39, v20
	v_add3_u32 v39, v49, v48, v21
	;; [unrolled: 1-line block ×4, first 2 shown]
	v_lshlrev_b32_e32 v16, 1, v24
	v_lshlrev_b32_e32 v17, 1, v33
	;; [unrolled: 1-line block ×8, first 2 shown]
	ds_store_b16 v16, v26
	ds_store_b16 v17, v27
	;; [unrolled: 1-line block ×8, first 2 shown]
	v_mad_co_u64_u32 v[24:25], null, v24, 6, v[16:17]
	v_mad_co_u64_u32 v[16:17], null, v33, 6, v[17:18]
	;; [unrolled: 1-line block ×7, first 2 shown]
	s_wait_loadcnt_dscnt 0x0
	s_barrier_signal -1
	s_barrier_wait -1
	global_inv scope:SCOPE_SE
	v_mad_co_u64_u32 v[22:23], null, v35, 6, v[23:24]
	ds_load_b128 v[33:36], v34
	s_wait_loadcnt_dscnt 0x0
	s_barrier_signal -1
	s_barrier_wait -1
	global_inv scope:SCOPE_SE
	ds_store_b64 v24, v[4:5]
	ds_store_b64 v16, v[6:7]
	ds_store_b64 v17, v[12:13]
	ds_store_b64 v18, v[14:15]
	ds_store_b64 v19, v[8:9]
	ds_store_b64 v20, v[10:11]
	ds_store_b64 v21, v[0:1]
	ds_store_b64 v22, v[2:3]
	s_wait_loadcnt_dscnt 0x0
	s_barrier_signal -1
	s_barrier_wait -1
	global_inv scope:SCOPE_SE
	ds_load_b128 v[29:32], v37
	ds_load_b128 v[25:28], v37 offset:16
	ds_load_b128 v[21:24], v37 offset:32
	;; [unrolled: 1-line block ×3, first 2 shown]
	v_cmp_gt_i16_e32 vcc_lo, 0, v33
	v_lshrrev_b32_e32 v0, 16, v33
	v_lshrrev_b32_e32 v2, 16, v34
	;; [unrolled: 1-line block ×4, first 2 shown]
	s_wait_alu 0xfffd
	v_cndmask_b32_e64 v1, 0x7fff, 0, vcc_lo
	v_cmp_gt_i16_e32 vcc_lo, 0, v34
	s_wait_alu 0xfffd
	v_cndmask_b32_e64 v3, 0x7fff, 0, vcc_lo
	v_cmp_gt_i16_e32 vcc_lo, 0, v35
	;; [unrolled: 3-line block ×5, first 2 shown]
	s_delay_alu instid0(VALU_DEP_2) | instskip(SKIP_3) | instid1(VALU_DEP_3)
	v_perm_b32 v0, v0, v1, 0x5040100
	s_wait_alu 0xfffd
	v_cndmask_b32_e64 v2, 0x7fff, 0, vcc_lo
	v_cmp_gt_i16_e32 vcc_lo, 0, v4
	v_xor_b32_e32 v0, v0, v33
	s_delay_alu instid0(VALU_DEP_3) | instskip(SKIP_3) | instid1(VALU_DEP_3)
	v_perm_b32 v1, v2, v3, 0x5040100
	s_wait_alu 0xfffd
	v_cndmask_b32_e64 v4, 0x7fff, 0, vcc_lo
	v_cmp_gt_i16_e32 vcc_lo, 0, v6
	v_xor_b32_e32 v34, v1, v34
	s_delay_alu instid0(VALU_DEP_3) | instskip(SKIP_2) | instid1(VALU_DEP_2)
	v_perm_b32 v2, v4, v5, 0x5040100
	s_wait_alu 0xfffd
	v_cndmask_b32_e64 v6, 0x7fff, 0, vcc_lo
	v_xor_b32_e32 v33, v2, v35
	s_delay_alu instid0(VALU_DEP_2) | instskip(NEXT) | instid1(VALU_DEP_1)
	v_perm_b32 v3, v6, v7, 0x5040100
	v_xor_b32_e32 v35, v3, v36
.LBB230_131:
	s_wait_loadcnt_dscnt 0x0
	s_barrier_signal -1
	s_barrier_wait -1
	global_inv scope:SCOPE_SE
	ds_store_2addr_b32 v58, v0, v34 offset1:1
	ds_store_2addr_b32 v58, v33, v35 offset0:2 offset1:3
	s_wait_loadcnt_dscnt 0x0
	s_barrier_signal -1
	s_barrier_wait -1
	global_inv scope:SCOPE_SE
	ds_load_u16 v8, v45 offset:1024
	ds_load_u16 v7, v52 offset:2048
	;; [unrolled: 1-line block ×7, first 2 shown]
	v_mov_b32_e32 v45, 0
	s_delay_alu instid0(VALU_DEP_1) | instskip(NEXT) | instid1(VALU_DEP_1)
	v_lshlrev_b64_e32 v[0:1], 1, v[44:45]
	v_add_co_u32 v0, vcc_lo, s30, v0
	s_wait_alu 0xfffd
	s_delay_alu instid0(VALU_DEP_2)
	v_add_co_ci_u32_e64 v1, null, s31, v1, vcc_lo
	s_and_saveexec_b32 s1, s2
	s_cbranch_execnz .LBB230_150
; %bb.132:
	s_wait_alu 0xfffe
	s_or_b32 exec_lo, exec_lo, s1
	s_and_saveexec_b32 s1, s3
	s_cbranch_execnz .LBB230_151
.LBB230_133:
	s_wait_alu 0xfffe
	s_or_b32 exec_lo, exec_lo, s1
	s_and_saveexec_b32 s1, s4
	s_cbranch_execnz .LBB230_152
.LBB230_134:
	s_wait_alu 0xfffe
	s_or_b32 exec_lo, exec_lo, s1
	s_and_saveexec_b32 s1, s5
	s_cbranch_execnz .LBB230_153
.LBB230_135:
	s_wait_alu 0xfffe
	s_or_b32 exec_lo, exec_lo, s1
	s_and_saveexec_b32 s1, s6
	s_cbranch_execnz .LBB230_154
.LBB230_136:
	s_wait_alu 0xfffe
	s_or_b32 exec_lo, exec_lo, s1
	s_and_saveexec_b32 s1, s7
	s_cbranch_execnz .LBB230_155
.LBB230_137:
	s_wait_alu 0xfffe
	s_or_b32 exec_lo, exec_lo, s1
	s_and_saveexec_b32 s1, s8
	s_cbranch_execnz .LBB230_156
.LBB230_138:
	s_wait_alu 0xfffe
	s_or_b32 exec_lo, exec_lo, s1
	s_and_saveexec_b32 s1, s0
	s_cbranch_execz .LBB230_140
.LBB230_139:
	s_mul_i32 s10, s26, 0xe00
	s_mov_b32 s11, 0
	s_wait_alu 0xfffe
	s_lshl_b64 s[10:11], s[10:11], 1
	s_wait_alu 0xfffe
	v_add_co_u32 v0, vcc_lo, v0, s10
	s_wait_alu 0xfffd
	v_add_co_ci_u32_e64 v1, null, s11, v1, vcc_lo
	s_wait_dscnt 0x0
	global_store_b16 v[0:1], v2, off
.LBB230_140:
	s_wait_alu 0xfffe
	s_or_b32 exec_lo, exec_lo, s1
	s_wait_storecnt 0x0
	s_wait_loadcnt_dscnt 0x0
	s_barrier_signal -1
	s_barrier_wait -1
	global_inv scope:SCOPE_SE
	ds_store_2addr_b64 v65, v[29:30], v[31:32] offset1:1
	ds_store_2addr_b64 v65, v[25:26], v[27:28] offset0:2 offset1:3
	ds_store_2addr_b64 v65, v[21:22], v[23:24] offset0:4 offset1:5
	;; [unrolled: 1-line block ×3, first 2 shown]
	s_wait_loadcnt_dscnt 0x0
	s_barrier_signal -1
	s_barrier_wait -1
	global_inv scope:SCOPE_SE
	ds_load_b64 v[14:15], v60 offset:4096
	ds_load_b64 v[12:13], v61 offset:8192
	;; [unrolled: 1-line block ×7, first 2 shown]
	v_mov_b32_e32 v42, 0
	s_delay_alu instid0(VALU_DEP_1) | instskip(NEXT) | instid1(VALU_DEP_1)
	v_lshlrev_b64_e32 v[2:3], 3, v[41:42]
	v_add_co_u32 v2, vcc_lo, s24, v2
	s_wait_alu 0xfffd
	s_delay_alu instid0(VALU_DEP_2)
	v_add_co_ci_u32_e64 v3, null, s25, v3, vcc_lo
	s_and_saveexec_b32 s1, s2
	s_cbranch_execnz .LBB230_157
; %bb.141:
	s_wait_alu 0xfffe
	s_or_b32 exec_lo, exec_lo, s1
	s_and_saveexec_b32 s1, s3
	s_cbranch_execnz .LBB230_158
.LBB230_142:
	s_wait_alu 0xfffe
	s_or_b32 exec_lo, exec_lo, s1
	s_and_saveexec_b32 s1, s4
	s_cbranch_execnz .LBB230_159
.LBB230_143:
	s_wait_alu 0xfffe
	s_or_b32 exec_lo, exec_lo, s1
	s_and_saveexec_b32 s1, s5
	s_cbranch_execnz .LBB230_160
.LBB230_144:
	s_wait_alu 0xfffe
	s_or_b32 exec_lo, exec_lo, s1
	s_and_saveexec_b32 s1, s6
	s_cbranch_execnz .LBB230_161
.LBB230_145:
	s_wait_alu 0xfffe
	s_or_b32 exec_lo, exec_lo, s1
	s_and_saveexec_b32 s1, s7
	s_cbranch_execnz .LBB230_162
.LBB230_146:
	s_wait_alu 0xfffe
	s_or_b32 exec_lo, exec_lo, s1
	s_and_saveexec_b32 s1, s8
	s_cbranch_execnz .LBB230_163
.LBB230_147:
	s_wait_alu 0xfffe
	s_or_b32 exec_lo, exec_lo, s1
	s_and_saveexec_b32 s1, s0
	s_cbranch_execz .LBB230_149
.LBB230_148:
	s_mul_i32 s0, s28, 0xe00
	s_mov_b32 s1, 0
	s_wait_alu 0xfffe
	s_lshl_b64 s[0:1], s[0:1], 3
	s_wait_alu 0xfffe
	v_add_co_u32 v2, vcc_lo, v2, s0
	s_wait_alu 0xfffd
	v_add_co_ci_u32_e64 v3, null, s1, v3, vcc_lo
	s_wait_dscnt 0x0
	global_store_b64 v[2:3], v[0:1], off
.LBB230_149:
	s_nop 0
	s_sendmsg sendmsg(MSG_DEALLOC_VGPRS)
	s_endpgm
.LBB230_150:
	ds_load_u16 v9, v51
	s_wait_dscnt 0x0
	global_store_b16 v[0:1], v9, off
	s_wait_alu 0xfffe
	s_or_b32 exec_lo, exec_lo, s1
	s_and_saveexec_b32 s1, s3
	s_cbranch_execz .LBB230_133
.LBB230_151:
	s_lshl_b32 s10, s26, 9
	s_mov_b32 s11, 0
	s_wait_alu 0xfffe
	s_lshl_b64 s[10:11], s[10:11], 1
	s_wait_alu 0xfffe
	v_add_co_u32 v9, vcc_lo, v0, s10
	s_wait_alu 0xfffd
	v_add_co_ci_u32_e64 v10, null, s11, v1, vcc_lo
	s_wait_dscnt 0x6
	global_store_b16 v[9:10], v8, off
	s_or_b32 exec_lo, exec_lo, s1
	s_and_saveexec_b32 s1, s4
	s_cbranch_execz .LBB230_134
.LBB230_152:
	s_lshl_b32 s10, s26, 10
	s_mov_b32 s11, 0
	s_wait_alu 0xfffe
	s_lshl_b64 s[10:11], s[10:11], 1
	s_wait_dscnt 0x6
	s_wait_alu 0xfffe
	v_add_co_u32 v8, vcc_lo, v0, s10
	s_wait_alu 0xfffd
	v_add_co_ci_u32_e64 v9, null, s11, v1, vcc_lo
	s_wait_dscnt 0x5
	global_store_b16 v[8:9], v7, off
	s_or_b32 exec_lo, exec_lo, s1
	s_and_saveexec_b32 s1, s5
	s_cbranch_execz .LBB230_135
.LBB230_153:
	s_mul_i32 s10, s26, 0x600
	s_mov_b32 s11, 0
	s_wait_alu 0xfffe
	s_lshl_b64 s[10:11], s[10:11], 1
	s_wait_dscnt 0x5
	s_wait_alu 0xfffe
	v_add_co_u32 v7, vcc_lo, v0, s10
	s_wait_alu 0xfffd
	v_add_co_ci_u32_e64 v8, null, s11, v1, vcc_lo
	s_wait_dscnt 0x4
	global_store_b16 v[7:8], v6, off
	s_or_b32 exec_lo, exec_lo, s1
	s_and_saveexec_b32 s1, s6
	s_cbranch_execz .LBB230_136
.LBB230_154:
	s_lshl_b32 s10, s26, 11
	s_mov_b32 s11, 0
	s_wait_alu 0xfffe
	s_lshl_b64 s[10:11], s[10:11], 1
	s_wait_dscnt 0x4
	s_wait_alu 0xfffe
	v_add_co_u32 v6, vcc_lo, v0, s10
	s_wait_alu 0xfffd
	v_add_co_ci_u32_e64 v7, null, s11, v1, vcc_lo
	s_wait_dscnt 0x3
	global_store_b16 v[6:7], v5, off
	s_or_b32 exec_lo, exec_lo, s1
	s_and_saveexec_b32 s1, s7
	s_cbranch_execz .LBB230_137
.LBB230_155:
	s_mul_i32 s10, s26, 0xa00
	s_mov_b32 s11, 0
	s_wait_alu 0xfffe
	s_lshl_b64 s[10:11], s[10:11], 1
	s_wait_dscnt 0x3
	s_wait_alu 0xfffe
	v_add_co_u32 v5, vcc_lo, v0, s10
	s_wait_alu 0xfffd
	v_add_co_ci_u32_e64 v6, null, s11, v1, vcc_lo
	s_wait_dscnt 0x2
	global_store_b16 v[5:6], v4, off
	s_or_b32 exec_lo, exec_lo, s1
	s_and_saveexec_b32 s1, s8
	s_cbranch_execz .LBB230_138
.LBB230_156:
	s_mul_i32 s10, s26, 0xc00
	s_mov_b32 s11, 0
	s_wait_alu 0xfffe
	s_lshl_b64 s[10:11], s[10:11], 1
	s_wait_dscnt 0x2
	s_wait_alu 0xfffe
	v_add_co_u32 v4, vcc_lo, v0, s10
	s_wait_alu 0xfffd
	v_add_co_ci_u32_e64 v5, null, s11, v1, vcc_lo
	s_wait_dscnt 0x1
	global_store_b16 v[4:5], v3, off
	s_or_b32 exec_lo, exec_lo, s1
	s_and_saveexec_b32 s1, s0
	s_cbranch_execnz .LBB230_139
	s_branch .LBB230_140
.LBB230_157:
	ds_load_b64 v[16:17], v59
	s_wait_dscnt 0x0
	global_store_b64 v[2:3], v[16:17], off
	s_wait_alu 0xfffe
	s_or_b32 exec_lo, exec_lo, s1
	s_and_saveexec_b32 s1, s3
	s_cbranch_execz .LBB230_142
.LBB230_158:
	s_lshl_b32 s2, s28, 9
	s_mov_b32 s3, 0
	s_delay_alu instid0(SALU_CYCLE_1) | instskip(NEXT) | instid1(SALU_CYCLE_1)
	s_lshl_b64 s[2:3], s[2:3], 3
	v_add_co_u32 v16, vcc_lo, v2, s2
	s_wait_alu 0xfffd
	v_add_co_ci_u32_e64 v17, null, s3, v3, vcc_lo
	s_wait_dscnt 0x6
	global_store_b64 v[16:17], v[14:15], off
	s_wait_alu 0xfffe
	s_or_b32 exec_lo, exec_lo, s1
	s_and_saveexec_b32 s1, s4
	s_cbranch_execz .LBB230_143
.LBB230_159:
	s_lshl_b32 s2, s28, 10
	s_mov_b32 s3, 0
	s_wait_alu 0xfffe
	s_lshl_b64 s[2:3], s[2:3], 3
	s_wait_dscnt 0x6
	s_wait_alu 0xfffe
	v_add_co_u32 v14, vcc_lo, v2, s2
	s_wait_alu 0xfffd
	v_add_co_ci_u32_e64 v15, null, s3, v3, vcc_lo
	s_wait_dscnt 0x5
	global_store_b64 v[14:15], v[12:13], off
	s_or_b32 exec_lo, exec_lo, s1
	s_and_saveexec_b32 s1, s5
	s_cbranch_execz .LBB230_144
.LBB230_160:
	s_mul_i32 s2, s28, 0x600
	s_mov_b32 s3, 0
	s_wait_alu 0xfffe
	s_lshl_b64 s[2:3], s[2:3], 3
	s_wait_dscnt 0x5
	s_wait_alu 0xfffe
	v_add_co_u32 v12, vcc_lo, v2, s2
	s_wait_alu 0xfffd
	v_add_co_ci_u32_e64 v13, null, s3, v3, vcc_lo
	s_wait_dscnt 0x4
	global_store_b64 v[12:13], v[10:11], off
	s_or_b32 exec_lo, exec_lo, s1
	s_and_saveexec_b32 s1, s6
	s_cbranch_execz .LBB230_145
.LBB230_161:
	s_lshl_b32 s2, s28, 11
	s_mov_b32 s3, 0
	s_wait_alu 0xfffe
	s_lshl_b64 s[2:3], s[2:3], 3
	s_wait_dscnt 0x4
	s_wait_alu 0xfffe
	v_add_co_u32 v10, vcc_lo, v2, s2
	s_wait_alu 0xfffd
	v_add_co_ci_u32_e64 v11, null, s3, v3, vcc_lo
	s_wait_dscnt 0x3
	global_store_b64 v[10:11], v[8:9], off
	s_or_b32 exec_lo, exec_lo, s1
	s_and_saveexec_b32 s1, s7
	s_cbranch_execz .LBB230_146
.LBB230_162:
	s_mul_i32 s2, s28, 0xa00
	s_mov_b32 s3, 0
	s_wait_alu 0xfffe
	s_lshl_b64 s[2:3], s[2:3], 3
	s_wait_dscnt 0x3
	s_wait_alu 0xfffe
	v_add_co_u32 v8, vcc_lo, v2, s2
	s_wait_alu 0xfffd
	v_add_co_ci_u32_e64 v9, null, s3, v3, vcc_lo
	s_wait_dscnt 0x2
	global_store_b64 v[8:9], v[6:7], off
	s_or_b32 exec_lo, exec_lo, s1
	s_and_saveexec_b32 s1, s8
	s_cbranch_execz .LBB230_147
.LBB230_163:
	s_mul_i32 s2, s28, 0xc00
	s_mov_b32 s3, 0
	s_wait_alu 0xfffe
	s_lshl_b64 s[2:3], s[2:3], 3
	s_wait_dscnt 0x2
	s_wait_alu 0xfffe
	v_add_co_u32 v6, vcc_lo, v2, s2
	s_wait_alu 0xfffd
	v_add_co_ci_u32_e64 v7, null, s3, v3, vcc_lo
	s_wait_dscnt 0x1
	global_store_b64 v[6:7], v[4:5], off
	s_or_b32 exec_lo, exec_lo, s1
	s_and_saveexec_b32 s1, s0
	s_cbranch_execnz .LBB230_148
	s_branch .LBB230_149
	.section	.rodata,"a",@progbits
	.p2align	6, 0x0
	.amdhsa_kernel _ZN2at6native18radixSortKVInPlaceILin1ELin1ELi512ELi8EN3c104HalfEljEEvNS_4cuda6detail10TensorInfoIT3_T5_EES8_S8_S8_NS6_IT4_S8_EES8_b
		.amdhsa_group_segment_fixed_size 33792
		.amdhsa_private_segment_fixed_size 0
		.amdhsa_kernarg_size 712
		.amdhsa_user_sgpr_count 2
		.amdhsa_user_sgpr_dispatch_ptr 0
		.amdhsa_user_sgpr_queue_ptr 0
		.amdhsa_user_sgpr_kernarg_segment_ptr 1
		.amdhsa_user_sgpr_dispatch_id 0
		.amdhsa_user_sgpr_private_segment_size 0
		.amdhsa_wavefront_size32 1
		.amdhsa_uses_dynamic_stack 0
		.amdhsa_enable_private_segment 0
		.amdhsa_system_sgpr_workgroup_id_x 1
		.amdhsa_system_sgpr_workgroup_id_y 1
		.amdhsa_system_sgpr_workgroup_id_z 1
		.amdhsa_system_sgpr_workgroup_info 0
		.amdhsa_system_vgpr_workitem_id 2
		.amdhsa_next_free_vgpr 113
		.amdhsa_next_free_sgpr 36
		.amdhsa_reserve_vcc 1
		.amdhsa_float_round_mode_32 0
		.amdhsa_float_round_mode_16_64 0
		.amdhsa_float_denorm_mode_32 3
		.amdhsa_float_denorm_mode_16_64 3
		.amdhsa_fp16_overflow 0
		.amdhsa_workgroup_processor_mode 1
		.amdhsa_memory_ordered 1
		.amdhsa_forward_progress 1
		.amdhsa_inst_pref_size 183
		.amdhsa_round_robin_scheduling 0
		.amdhsa_exception_fp_ieee_invalid_op 0
		.amdhsa_exception_fp_denorm_src 0
		.amdhsa_exception_fp_ieee_div_zero 0
		.amdhsa_exception_fp_ieee_overflow 0
		.amdhsa_exception_fp_ieee_underflow 0
		.amdhsa_exception_fp_ieee_inexact 0
		.amdhsa_exception_int_div_zero 0
	.end_amdhsa_kernel
	.section	.text._ZN2at6native18radixSortKVInPlaceILin1ELin1ELi512ELi8EN3c104HalfEljEEvNS_4cuda6detail10TensorInfoIT3_T5_EES8_S8_S8_NS6_IT4_S8_EES8_b,"axG",@progbits,_ZN2at6native18radixSortKVInPlaceILin1ELin1ELi512ELi8EN3c104HalfEljEEvNS_4cuda6detail10TensorInfoIT3_T5_EES8_S8_S8_NS6_IT4_S8_EES8_b,comdat
.Lfunc_end230:
	.size	_ZN2at6native18radixSortKVInPlaceILin1ELin1ELi512ELi8EN3c104HalfEljEEvNS_4cuda6detail10TensorInfoIT3_T5_EES8_S8_S8_NS6_IT4_S8_EES8_b, .Lfunc_end230-_ZN2at6native18radixSortKVInPlaceILin1ELin1ELi512ELi8EN3c104HalfEljEEvNS_4cuda6detail10TensorInfoIT3_T5_EES8_S8_S8_NS6_IT4_S8_EES8_b
                                        ; -- End function
	.set _ZN2at6native18radixSortKVInPlaceILin1ELin1ELi512ELi8EN3c104HalfEljEEvNS_4cuda6detail10TensorInfoIT3_T5_EES8_S8_S8_NS6_IT4_S8_EES8_b.num_vgpr, 113
	.set _ZN2at6native18radixSortKVInPlaceILin1ELin1ELi512ELi8EN3c104HalfEljEEvNS_4cuda6detail10TensorInfoIT3_T5_EES8_S8_S8_NS6_IT4_S8_EES8_b.num_agpr, 0
	.set _ZN2at6native18radixSortKVInPlaceILin1ELin1ELi512ELi8EN3c104HalfEljEEvNS_4cuda6detail10TensorInfoIT3_T5_EES8_S8_S8_NS6_IT4_S8_EES8_b.numbered_sgpr, 36
	.set _ZN2at6native18radixSortKVInPlaceILin1ELin1ELi512ELi8EN3c104HalfEljEEvNS_4cuda6detail10TensorInfoIT3_T5_EES8_S8_S8_NS6_IT4_S8_EES8_b.num_named_barrier, 0
	.set _ZN2at6native18radixSortKVInPlaceILin1ELin1ELi512ELi8EN3c104HalfEljEEvNS_4cuda6detail10TensorInfoIT3_T5_EES8_S8_S8_NS6_IT4_S8_EES8_b.private_seg_size, 0
	.set _ZN2at6native18radixSortKVInPlaceILin1ELin1ELi512ELi8EN3c104HalfEljEEvNS_4cuda6detail10TensorInfoIT3_T5_EES8_S8_S8_NS6_IT4_S8_EES8_b.uses_vcc, 1
	.set _ZN2at6native18radixSortKVInPlaceILin1ELin1ELi512ELi8EN3c104HalfEljEEvNS_4cuda6detail10TensorInfoIT3_T5_EES8_S8_S8_NS6_IT4_S8_EES8_b.uses_flat_scratch, 0
	.set _ZN2at6native18radixSortKVInPlaceILin1ELin1ELi512ELi8EN3c104HalfEljEEvNS_4cuda6detail10TensorInfoIT3_T5_EES8_S8_S8_NS6_IT4_S8_EES8_b.has_dyn_sized_stack, 0
	.set _ZN2at6native18radixSortKVInPlaceILin1ELin1ELi512ELi8EN3c104HalfEljEEvNS_4cuda6detail10TensorInfoIT3_T5_EES8_S8_S8_NS6_IT4_S8_EES8_b.has_recursion, 0
	.set _ZN2at6native18radixSortKVInPlaceILin1ELin1ELi512ELi8EN3c104HalfEljEEvNS_4cuda6detail10TensorInfoIT3_T5_EES8_S8_S8_NS6_IT4_S8_EES8_b.has_indirect_call, 0
	.section	.AMDGPU.csdata,"",@progbits
; Kernel info:
; codeLenInByte = 23312
; TotalNumSgprs: 38
; NumVgprs: 113
; ScratchSize: 0
; MemoryBound: 0
; FloatMode: 240
; IeeeMode: 1
; LDSByteSize: 33792 bytes/workgroup (compile time only)
; SGPRBlocks: 0
; VGPRBlocks: 14
; NumSGPRsForWavesPerEU: 38
; NumVGPRsForWavesPerEU: 113
; Occupancy: 12
; WaveLimiterHint : 1
; COMPUTE_PGM_RSRC2:SCRATCH_EN: 0
; COMPUTE_PGM_RSRC2:USER_SGPR: 2
; COMPUTE_PGM_RSRC2:TRAP_HANDLER: 0
; COMPUTE_PGM_RSRC2:TGID_X_EN: 1
; COMPUTE_PGM_RSRC2:TGID_Y_EN: 1
; COMPUTE_PGM_RSRC2:TGID_Z_EN: 1
; COMPUTE_PGM_RSRC2:TIDIG_COMP_CNT: 2
	.section	.text._ZN2at6native18radixSortKVInPlaceILin1ELin1ELi256ELi8EN3c104HalfEljEEvNS_4cuda6detail10TensorInfoIT3_T5_EES8_S8_S8_NS6_IT4_S8_EES8_b,"axG",@progbits,_ZN2at6native18radixSortKVInPlaceILin1ELin1ELi256ELi8EN3c104HalfEljEEvNS_4cuda6detail10TensorInfoIT3_T5_EES8_S8_S8_NS6_IT4_S8_EES8_b,comdat
	.protected	_ZN2at6native18radixSortKVInPlaceILin1ELin1ELi256ELi8EN3c104HalfEljEEvNS_4cuda6detail10TensorInfoIT3_T5_EES8_S8_S8_NS6_IT4_S8_EES8_b ; -- Begin function _ZN2at6native18radixSortKVInPlaceILin1ELin1ELi256ELi8EN3c104HalfEljEEvNS_4cuda6detail10TensorInfoIT3_T5_EES8_S8_S8_NS6_IT4_S8_EES8_b
	.globl	_ZN2at6native18radixSortKVInPlaceILin1ELin1ELi256ELi8EN3c104HalfEljEEvNS_4cuda6detail10TensorInfoIT3_T5_EES8_S8_S8_NS6_IT4_S8_EES8_b
	.p2align	8
	.type	_ZN2at6native18radixSortKVInPlaceILin1ELin1ELi256ELi8EN3c104HalfEljEEvNS_4cuda6detail10TensorInfoIT3_T5_EES8_S8_S8_NS6_IT4_S8_EES8_b,@function
_ZN2at6native18radixSortKVInPlaceILin1ELin1ELi256ELi8EN3c104HalfEljEEvNS_4cuda6detail10TensorInfoIT3_T5_EES8_S8_S8_NS6_IT4_S8_EES8_b: ; @_ZN2at6native18radixSortKVInPlaceILin1ELin1ELi256ELi8EN3c104HalfEljEEvNS_4cuda6detail10TensorInfoIT3_T5_EES8_S8_S8_NS6_IT4_S8_EES8_b
; %bb.0:
	s_clause 0x1
	s_load_b64 s[2:3], s[0:1], 0x1c8
	s_load_b96 s[20:22], s[0:1], 0xd8
	s_lshr_b32 s4, ttmp7, 16
	s_wait_kmcnt 0x0
	s_mul_i32 s3, s3, s4
	s_and_b32 s4, ttmp7, 0xffff
	s_delay_alu instid0(SALU_CYCLE_1) | instskip(NEXT) | instid1(SALU_CYCLE_1)
	s_add_co_i32 s3, s3, s4
	s_mul_i32 s2, s3, s2
	s_delay_alu instid0(SALU_CYCLE_1) | instskip(NEXT) | instid1(SALU_CYCLE_1)
	s_add_co_i32 s13, s2, ttmp9
	s_cmp_ge_u32 s13, s20
	s_cbranch_scc1 .LBB231_149
; %bb.1:
	s_load_b32 s4, s[0:1], 0xd0
	s_mov_b32 s3, 0
	s_mov_b32 s2, s13
	s_wait_kmcnt 0x0
	s_cmp_lt_i32 s4, 2
	s_cbranch_scc1 .LBB231_4
; %bb.2:
	s_add_co_i32 s2, s4, -1
	s_delay_alu instid0(SALU_CYCLE_1)
	s_lshl_b64 s[6:7], s[2:3], 2
	s_mov_b32 s2, s13
	s_add_nc_u64 s[8:9], s[0:1], s[6:7]
	s_add_co_i32 s6, s4, 1
	s_add_nc_u64 s[4:5], s[8:9], 8
.LBB231_3:                              ; =>This Inner Loop Header: Depth=1
	s_clause 0x1
	s_load_b32 s7, s[4:5], 0x0
	s_load_b32 s8, s[4:5], 0x64
	s_mov_b32 s11, s2
	s_add_nc_u64 s[4:5], s[4:5], -4
	s_wait_kmcnt 0x0
	s_cvt_f32_u32 s9, s7
	s_sub_co_i32 s10, 0, s7
	s_wait_alu 0xfffe
	s_delay_alu instid0(SALU_CYCLE_1) | instskip(NEXT) | instid1(TRANS32_DEP_1)
	v_rcp_iflag_f32_e32 v1, s9
	v_readfirstlane_b32 s9, v1
	s_mul_f32 s9, s9, 0x4f7ffffe
	s_wait_alu 0xfffe
	s_delay_alu instid0(SALU_CYCLE_2) | instskip(SKIP_1) | instid1(SALU_CYCLE_2)
	s_cvt_u32_f32 s9, s9
	s_wait_alu 0xfffe
	s_mul_i32 s10, s10, s9
	s_delay_alu instid0(SALU_CYCLE_1) | instskip(NEXT) | instid1(SALU_CYCLE_1)
	s_mul_hi_u32 s10, s9, s10
	s_add_co_i32 s9, s9, s10
	s_wait_alu 0xfffe
	s_mul_hi_u32 s2, s2, s9
	s_delay_alu instid0(SALU_CYCLE_1)
	s_mul_i32 s9, s2, s7
	s_add_co_i32 s10, s2, 1
	s_wait_alu 0xfffe
	s_sub_co_i32 s9, s11, s9
	s_wait_alu 0xfffe
	s_sub_co_i32 s12, s9, s7
	s_cmp_ge_u32 s9, s7
	s_cselect_b32 s2, s10, s2
	s_cselect_b32 s9, s12, s9
	s_add_co_i32 s10, s2, 1
	s_wait_alu 0xfffe
	s_cmp_ge_u32 s9, s7
	s_cselect_b32 s2, s10, s2
	s_add_co_i32 s6, s6, -1
	s_mul_i32 s7, s2, s7
	s_delay_alu instid0(SALU_CYCLE_1) | instskip(NEXT) | instid1(SALU_CYCLE_1)
	s_sub_co_i32 s7, s11, s7
	s_mul_i32 s7, s8, s7
	s_delay_alu instid0(SALU_CYCLE_1)
	s_add_co_i32 s3, s7, s3
	s_cmp_gt_u32 s6, 2
	s_cbranch_scc1 .LBB231_3
.LBB231_4:
	s_load_b32 s4, s[0:1], 0x1b8
	s_add_nc_u64 s[36:37], s[0:1], 0x1c8
	s_mov_b32 s9, 0
	s_wait_kmcnt 0x0
	s_cmp_lt_i32 s4, 2
	s_cbranch_scc1 .LBB231_7
; %bb.5:
	s_add_co_i32 s8, s4, -1
	s_wait_alu 0xfffe
	s_lshl_b64 s[6:7], s[8:9], 2
	s_delay_alu instid0(SALU_CYCLE_1)
	s_add_nc_u64 s[10:11], s[0:1], s[6:7]
	s_add_co_i32 s6, s4, 1
	s_add_nc_u64 s[4:5], s[10:11], 0xf0
.LBB231_6:                              ; =>This Inner Loop Header: Depth=1
	s_clause 0x1
	s_load_b32 s7, s[4:5], 0x0
	s_load_b32 s8, s[4:5], 0x64
	s_mov_b32 s12, s13
	s_add_nc_u64 s[4:5], s[4:5], -4
	s_wait_kmcnt 0x0
	s_cvt_f32_u32 s10, s7
	s_sub_co_i32 s11, 0, s7
	s_wait_alu 0xfffe
	s_delay_alu instid0(SALU_CYCLE_1) | instskip(NEXT) | instid1(TRANS32_DEP_1)
	v_rcp_iflag_f32_e32 v1, s10
	v_readfirstlane_b32 s10, v1
	s_mul_f32 s10, s10, 0x4f7ffffe
	s_wait_alu 0xfffe
	s_delay_alu instid0(SALU_CYCLE_2) | instskip(SKIP_1) | instid1(SALU_CYCLE_2)
	s_cvt_u32_f32 s10, s10
	s_wait_alu 0xfffe
	s_mul_i32 s11, s11, s10
	s_wait_alu 0xfffe
	s_mul_hi_u32 s11, s10, s11
	s_wait_alu 0xfffe
	s_add_co_i32 s10, s10, s11
	s_wait_alu 0xfffe
	s_mul_hi_u32 s10, s13, s10
	s_wait_alu 0xfffe
	s_mul_i32 s11, s10, s7
	s_wait_alu 0xfffe
	s_sub_co_i32 s11, s13, s11
	s_add_co_i32 s13, s10, 1
	s_wait_alu 0xfffe
	s_sub_co_i32 s14, s11, s7
	s_cmp_ge_u32 s11, s7
	s_cselect_b32 s10, s13, s10
	s_cselect_b32 s11, s14, s11
	s_wait_alu 0xfffe
	s_add_co_i32 s13, s10, 1
	s_cmp_ge_u32 s11, s7
	s_cselect_b32 s13, s13, s10
	s_add_co_i32 s6, s6, -1
	s_mul_i32 s7, s13, s7
	s_delay_alu instid0(SALU_CYCLE_1) | instskip(NEXT) | instid1(SALU_CYCLE_1)
	s_sub_co_i32 s7, s12, s7
	s_mul_i32 s7, s8, s7
	s_delay_alu instid0(SALU_CYCLE_1)
	s_add_co_i32 s9, s7, s9
	s_cmp_gt_u32 s6, 2
	s_cbranch_scc1 .LBB231_6
.LBB231_7:
	s_clause 0x2
	s_load_b32 s4, s[0:1], 0x6c
	s_load_b64 s[28:29], s[0:1], 0x1c0
	s_load_b64 s[6:7], s[0:1], 0x0
	s_mov_b32 s5, 0
	s_wait_kmcnt 0x0
	s_mul_i32 s2, s4, s2
	s_delay_alu instid0(SALU_CYCLE_1) | instskip(SKIP_3) | instid1(SALU_CYCLE_1)
	s_add_co_i32 s4, s2, s3
	s_bitcmp1_b32 s29, 0
	s_mov_b32 s2, 0xffff
	s_cselect_b32 s12, -1, 0
	s_and_b32 s3, s12, exec_lo
	s_cselect_b32 s14, s2, 0x7fff
	s_delay_alu instid0(SALU_CYCLE_1) | instskip(SKIP_1) | instid1(SALU_CYCLE_1)
	v_dual_mov_b32 v1, s14 :: v_dual_and_b32 v46, 0x3ff, v0
	s_lshl_b64 s[4:5], s[4:5], 1
	s_add_nc_u64 s[30:31], s[6:7], s[4:5]
	s_delay_alu instid0(VALU_DEP_1)
	v_mul_lo_u32 v44, s22, v46
	v_cmp_gt_u32_e64 s2, s21, v46
	s_and_saveexec_b32 s3, s2
	s_cbranch_execz .LBB231_9
; %bb.8:
	v_mov_b32_e32 v45, 0
	s_delay_alu instid0(VALU_DEP_1) | instskip(NEXT) | instid1(VALU_DEP_1)
	v_lshlrev_b64_e32 v[1:2], 1, v[44:45]
	v_add_co_u32 v1, vcc_lo, s30, v1
	s_delay_alu instid0(VALU_DEP_1)
	v_add_co_ci_u32_e64 v2, null, s31, v2, vcc_lo
	global_load_u16 v1, v[1:2], off
.LBB231_9:
	s_or_b32 exec_lo, exec_lo, s3
	v_dual_mov_b32 v2, s14 :: v_dual_add_nc_u32 v15, 0x100, v46
	s_delay_alu instid0(VALU_DEP_1)
	v_cmp_gt_u32_e64 s3, s21, v15
	s_and_saveexec_b32 s4, s3
	s_cbranch_execz .LBB231_11
; %bb.10:
	v_mul_lo_u32 v2, s22, v15
	v_mov_b32_e32 v3, 0
	s_delay_alu instid0(VALU_DEP_1) | instskip(NEXT) | instid1(VALU_DEP_1)
	v_lshlrev_b64_e32 v[2:3], 1, v[2:3]
	v_add_co_u32 v2, vcc_lo, s30, v2
	s_wait_alu 0xfffd
	s_delay_alu instid0(VALU_DEP_2)
	v_add_co_ci_u32_e64 v3, null, s31, v3, vcc_lo
	global_load_u16 v2, v[2:3], off
.LBB231_11:
	s_or_b32 exec_lo, exec_lo, s4
	v_dual_mov_b32 v3, s14 :: v_dual_add_nc_u32 v16, 0x200, v46
	s_delay_alu instid0(VALU_DEP_1)
	v_cmp_gt_u32_e64 s4, s21, v16
	s_and_saveexec_b32 s5, s4
	s_cbranch_execz .LBB231_13
; %bb.12:
	v_mul_lo_u32 v3, s22, v16
	v_mov_b32_e32 v4, 0
	s_delay_alu instid0(VALU_DEP_1) | instskip(NEXT) | instid1(VALU_DEP_1)
	v_lshlrev_b64_e32 v[3:4], 1, v[3:4]
	v_add_co_u32 v3, vcc_lo, s30, v3
	s_wait_alu 0xfffd
	s_delay_alu instid0(VALU_DEP_2)
	v_add_co_ci_u32_e64 v4, null, s31, v4, vcc_lo
	global_load_u16 v3, v[3:4], off
.LBB231_13:
	;; [unrolled: 17-line block ×3, first 2 shown]
	s_or_b32 exec_lo, exec_lo, s6
	v_or_b32_e32 v18, 0x400, v46
	v_mov_b32_e32 v5, s14
	s_delay_alu instid0(VALU_DEP_2)
	v_cmp_gt_u32_e64 s6, s21, v18
	s_and_saveexec_b32 s7, s6
	s_cbranch_execz .LBB231_17
; %bb.16:
	v_mul_lo_u32 v5, s22, v18
	v_mov_b32_e32 v6, 0
	s_delay_alu instid0(VALU_DEP_1) | instskip(NEXT) | instid1(VALU_DEP_1)
	v_lshlrev_b64_e32 v[5:6], 1, v[5:6]
	v_add_co_u32 v5, vcc_lo, s30, v5
	s_wait_alu 0xfffd
	s_delay_alu instid0(VALU_DEP_2)
	v_add_co_ci_u32_e64 v6, null, s31, v6, vcc_lo
	global_load_u16 v5, v[5:6], off
.LBB231_17:
	s_or_b32 exec_lo, exec_lo, s7
	v_dual_mov_b32 v6, s14 :: v_dual_add_nc_u32 v19, 0x500, v46
	s_delay_alu instid0(VALU_DEP_1)
	v_cmp_gt_u32_e64 s7, s21, v19
	s_and_saveexec_b32 s8, s7
	s_cbranch_execz .LBB231_19
; %bb.18:
	v_mul_lo_u32 v6, s22, v19
	v_mov_b32_e32 v7, 0
	s_delay_alu instid0(VALU_DEP_1) | instskip(NEXT) | instid1(VALU_DEP_1)
	v_lshlrev_b64_e32 v[6:7], 1, v[6:7]
	v_add_co_u32 v6, vcc_lo, s30, v6
	s_wait_alu 0xfffd
	s_delay_alu instid0(VALU_DEP_2)
	v_add_co_ci_u32_e64 v7, null, s31, v7, vcc_lo
	global_load_u16 v6, v[6:7], off
.LBB231_19:
	s_wait_alu 0xfffe
	s_or_b32 exec_lo, exec_lo, s8
	v_dual_mov_b32 v7, s14 :: v_dual_add_nc_u32 v20, 0x600, v46
	s_delay_alu instid0(VALU_DEP_1)
	v_cmp_gt_u32_e64 s8, s21, v20
	s_and_saveexec_b32 s10, s8
	s_cbranch_execz .LBB231_21
; %bb.20:
	v_mul_lo_u32 v7, s22, v20
	v_mov_b32_e32 v8, 0
	s_delay_alu instid0(VALU_DEP_1) | instskip(NEXT) | instid1(VALU_DEP_1)
	v_lshlrev_b64_e32 v[7:8], 1, v[7:8]
	v_add_co_u32 v7, vcc_lo, s30, v7
	s_wait_alu 0xfffd
	s_delay_alu instid0(VALU_DEP_2)
	v_add_co_ci_u32_e64 v8, null, s31, v8, vcc_lo
	global_load_u16 v7, v[7:8], off
.LBB231_21:
	s_wait_alu 0xfffe
	s_or_b32 exec_lo, exec_lo, s10
	s_clause 0x1
	s_load_b32 s15, s[0:1], 0x154
	s_load_b64 s[10:11], s[0:1], 0xe8
	v_dual_mov_b32 v8, s14 :: v_dual_add_nc_u32 v21, 0x700, v46
	s_delay_alu instid0(VALU_DEP_1)
	v_cmp_gt_u32_e64 s0, s21, v21
	s_and_saveexec_b32 s1, s0
	s_cbranch_execz .LBB231_23
; %bb.22:
	v_mul_lo_u32 v8, s22, v21
	v_mov_b32_e32 v9, 0
	s_delay_alu instid0(VALU_DEP_1) | instskip(NEXT) | instid1(VALU_DEP_1)
	v_lshlrev_b64_e32 v[8:9], 1, v[8:9]
	v_add_co_u32 v8, vcc_lo, s30, v8
	s_wait_alu 0xfffd
	s_delay_alu instid0(VALU_DEP_2)
	v_add_co_ci_u32_e64 v9, null, s31, v9, vcc_lo
	global_load_u16 v8, v[8:9], off
.LBB231_23:
	s_or_b32 exec_lo, exec_lo, s1
	v_lshrrev_b32_e32 v9, 4, v46
	v_lshrrev_b32_e32 v10, 4, v15
	;; [unrolled: 1-line block ×5, first 2 shown]
	v_dual_mov_b32 v42, 0 :: v_dual_and_b32 v9, 60, v9
	v_lshlrev_b32_e32 v12, 1, v46
	v_and_b32_e32 v10, 0x7c, v10
	v_and_b32_e32 v11, 0x7c, v11
	s_wait_kmcnt 0x0
	s_mul_i32 s1, s15, s13
	v_mov_b32_e32 v43, v42
	v_add_nc_u32_e32 v51, v9, v12
	v_add_nc_u32_e32 v45, v10, v12
	;; [unrolled: 1-line block ×3, first 2 shown]
	v_and_b32_e32 v9, 0x7c, v13
	v_lshrrev_b32_e32 v10, 4, v18
	v_lshrrev_b32_e32 v11, 4, v19
	;; [unrolled: 1-line block ×3, first 2 shown]
	v_mul_lo_u32 v41, s28, v46
	v_add_nc_u32_e32 v53, v9, v12
	v_and_b32_e32 v9, 0x7c, v10
	v_and_b32_e32 v10, 0xfc, v11
	;; [unrolled: 1-line block ×4, first 2 shown]
	v_lshrrev_b32_e32 v14, 1, v46
	v_add_nc_u32_e32 v54, v9, v12
	v_add_nc_u32_e32 v55, v10, v12
	;; [unrolled: 1-line block ×4, first 2 shown]
	v_and_b32_e32 v9, 0x1fc, v14
	v_mov_b32_e32 v13, 0
	v_dual_mov_b32 v11, v42 :: v_dual_mov_b32 v12, v42
	v_mov_b32_e32 v14, 0
	s_delay_alu instid0(VALU_DEP_4)
	v_lshl_add_u32 v58, v46, 4, v9
	s_wait_loadcnt 0x0
	ds_store_b16 v51, v1
	ds_store_b16 v45, v2 offset:512
	ds_store_b16 v52, v3 offset:1024
	;; [unrolled: 1-line block ×7, first 2 shown]
	s_wait_dscnt 0x0
	s_barrier_signal -1
	s_barrier_wait -1
	global_inv scope:SCOPE_SE
	ds_load_2addr_b32 v[49:50], v58 offset1:1
	ds_load_2addr_b32 v[47:48], v58 offset0:2 offset1:3
	s_add_co_i32 s14, s1, s9
	s_mov_b32 s15, 0
	v_dual_mov_b32 v9, v42 :: v_dual_mov_b32 v10, v42
	v_dual_mov_b32 v1, v42 :: v_dual_mov_b32 v2, v42
	;; [unrolled: 1-line block ×5, first 2 shown]
	s_wait_alu 0xfffe
	s_lshl_b64 s[14:15], s[14:15], 3
	s_wait_loadcnt_dscnt 0x0
	s_wait_alu 0xfffe
	s_add_nc_u64 s[34:35], s[10:11], s[14:15]
	s_barrier_signal -1
	s_barrier_wait -1
	global_inv scope:SCOPE_SE
	s_and_saveexec_b32 s1, s2
	s_cbranch_execnz .LBB231_79
; %bb.24:
	s_or_b32 exec_lo, exec_lo, s1
	s_and_saveexec_b32 s1, s3
	s_cbranch_execnz .LBB231_80
.LBB231_25:
	s_or_b32 exec_lo, exec_lo, s1
	s_and_saveexec_b32 s1, s4
	s_cbranch_execnz .LBB231_81
.LBB231_26:
	s_or_b32 exec_lo, exec_lo, s1
	s_and_saveexec_b32 s1, s5
	s_cbranch_execnz .LBB231_82
.LBB231_27:
	s_or_b32 exec_lo, exec_lo, s1
	s_and_saveexec_b32 s1, s6
	s_cbranch_execnz .LBB231_83
.LBB231_28:
	s_or_b32 exec_lo, exec_lo, s1
	s_and_saveexec_b32 s1, s7
	s_cbranch_execnz .LBB231_84
.LBB231_29:
	s_or_b32 exec_lo, exec_lo, s1
	s_and_saveexec_b32 s1, s8
	s_cbranch_execz .LBB231_31
.LBB231_30:
	v_mul_lo_u32 v5, s28, v20
	v_mov_b32_e32 v6, 0
	s_delay_alu instid0(VALU_DEP_1) | instskip(NEXT) | instid1(VALU_DEP_1)
	v_lshlrev_b64_e32 v[5:6], 3, v[5:6]
	v_add_co_u32 v5, vcc_lo, s34, v5
	s_wait_alu 0xfffd
	s_delay_alu instid0(VALU_DEP_2)
	v_add_co_ci_u32_e64 v6, null, s35, v6, vcc_lo
	global_load_b64 v[5:6], v[5:6], off
.LBB231_31:
	s_or_b32 exec_lo, exec_lo, s1
	v_lshrrev_b32_e32 v68, 5, v46
	v_lshrrev_b32_e32 v25, 5, v15
	;; [unrolled: 1-line block ×8, first 2 shown]
	v_lshlrev_b32_e32 v66, 3, v46
	v_lshrrev_b32_e32 v15, 2, v46
	s_xor_b32 s1, s12, -1
	s_and_saveexec_b32 s9, s0
	s_cbranch_execz .LBB231_33
; %bb.32:
	v_mul_lo_u32 v7, s28, v21
	v_mov_b32_e32 v8, 0
	s_delay_alu instid0(VALU_DEP_1) | instskip(NEXT) | instid1(VALU_DEP_1)
	v_lshlrev_b64_e32 v[7:8], 3, v[7:8]
	v_add_co_u32 v7, vcc_lo, s34, v7
	s_wait_alu 0xfffd
	s_delay_alu instid0(VALU_DEP_2)
	v_add_co_ci_u32_e64 v8, null, s35, v8, vcc_lo
	global_load_b64 v[7:8], v[7:8], off
.LBB231_33:
	s_wait_alu 0xfffe
	s_or_b32 exec_lo, exec_lo, s9
	v_lshl_add_u32 v59, v68, 3, v66
	v_lshl_add_u32 v60, v25, 3, v66
	;; [unrolled: 1-line block ×5, first 2 shown]
	s_wait_loadcnt 0x0
	ds_store_b64 v59, v[13:14]
	ds_store_b64 v60, v[42:43] offset:2048
	ds_store_b64 v61, v[9:10] offset:4096
	ds_store_b64 v62, v[11:12] offset:6144
	v_lshlrev_b32_e32 v9, 3, v66
	v_lshl_add_u32 v42, v22, 3, v66
	v_lshl_add_u32 v43, v18, 3, v66
	;; [unrolled: 1-line block ×3, first 2 shown]
	ds_store_b64 v42, v[1:2] offset:8192
	ds_store_b64 v43, v[3:4] offset:10240
	;; [unrolled: 1-line block ×4, first 2 shown]
	v_lshl_add_u32 v65, v15, 3, v9
	s_wait_dscnt 0x0
	s_barrier_signal -1
	s_barrier_wait -1
	global_inv scope:SCOPE_SE
	ds_load_2addr_b64 v[13:16], v65 offset1:1
	ds_load_2addr_b64 v[9:12], v65 offset0:2 offset1:3
	ds_load_2addr_b64 v[5:8], v65 offset0:4 offset1:5
	;; [unrolled: 1-line block ×3, first 2 shown]
	v_bfe_u32 v71, v0, 10, 10
	v_bfe_u32 v72, v0, 20, 10
	v_mbcnt_lo_u32_b32 v69, -1, 0
	v_and_b32_e32 v70, 0x3e0, v46
	v_lshlrev_b32_e32 v67, 2, v66
	s_and_b32 vcc_lo, exec_lo, s1
	s_wait_loadcnt_dscnt 0x0
	s_barrier_signal -1
	s_barrier_wait -1
	global_inv scope:SCOPE_SE
	s_wait_alu 0xfffe
	s_cbranch_vccz .LBB231_85
; %bb.34:
	v_pk_ashrrev_i16 v0, 15, v49 op_sel_hi:[0,1]
	v_pk_ashrrev_i16 v17, 15, v50 op_sel_hi:[0,1]
	;; [unrolled: 1-line block ×4, first 2 shown]
	v_or_b32_e32 v21, v69, v70
	v_or_b32_e32 v0, 0x80008000, v0
	;; [unrolled: 1-line block ×5, first 2 shown]
	v_and_or_b32 v84, 0x1f00, v66, v69
	s_mov_b32 s12, 0
	v_xor_b32_e32 v17, v0, v49
	v_xor_b32_e32 v18, v20, v50
	;; [unrolled: 1-line block ×4, first 2 shown]
	s_mov_b32 s13, s12
	s_mov_b32 s14, s12
	;; [unrolled: 1-line block ×3, first 2 shown]
	v_lshlrev_b32_e32 v23, 4, v21
	v_lshlrev_b32_e32 v73, 1, v84
	s_getpc_b64 s[10:11]
	s_wait_alu 0xfffe
	s_sext_i32_i16 s11, s11
	s_add_co_u32 s10, s10, _ZN7rocprim17ROCPRIM_400000_NS16block_radix_sortI6__halfLj256ELj8ElLj1ELj1ELj0ELNS0_26block_radix_rank_algorithmE1ELNS0_18block_padding_hintE2ELNS0_4arch9wavefront6targetE0EE19radix_bits_per_passE@rel32@lo+12
	s_wait_alu 0xfffe
	s_add_co_ci_u32 s11, s11, _ZN7rocprim17ROCPRIM_400000_NS16block_radix_sortI6__halfLj256ELj8ElLj1ELj1ELj0ELNS0_26block_radix_rank_algorithmE1ELNS0_18block_padding_hintE2ELNS0_4arch9wavefront6targetE0EE19radix_bits_per_passE@rel32@hi+24
	s_load_b32 s20, s[10:11], 0x0
	ds_store_b128 v23, v[17:20]
	; wave barrier
	ds_load_u16 v74, v73
	v_mad_u32_u24 v0, v21, 48, v23
	ds_load_u16 v75, v73 offset:64
	ds_load_u16 v76, v73 offset:128
	;; [unrolled: 1-line block ×7, first 2 shown]
	s_wait_loadcnt_dscnt 0x0
	s_barrier_signal -1
	s_barrier_wait -1
	global_inv scope:SCOPE_SE
	ds_store_b128 v0, v[13:16]
	ds_store_b128 v0, v[9:12] offset:16
	ds_store_b128 v0, v[5:8] offset:32
	;; [unrolled: 1-line block ×3, first 2 shown]
	v_mad_u32_u24 v29, v84, 6, v73
	; wave barrier
	s_wait_kmcnt 0x0
	s_min_u32 s1, s20, 16
	s_delay_alu instid0(SALU_CYCLE_1) | instskip(SKIP_4) | instid1(VALU_DEP_1)
	s_lshl_b32 s1, -1, s1
	v_cmp_ne_u16_e32 vcc_lo, 0x7fff, v74
	s_not_b32 s9, s1
	s_wait_alu 0xfffd
	v_cndmask_b32_e32 v17, 0xffff8000, v74, vcc_lo
	v_and_b32_e32 v17, 0xffff, v17
	s_wait_alu 0xfffe
	s_delay_alu instid0(VALU_DEP_1)
	v_and_b32_e32 v40, s9, v17
	ds_load_2addr_b64 v[17:20], v29 offset1:32
	ds_load_2addr_b64 v[25:28], v29 offset0:64 offset1:96
	ds_load_2addr_b64 v[21:24], v29 offset0:128 offset1:160
	ds_load_2addr_b64 v[29:32], v29 offset0:192 offset1:224
	s_wait_loadcnt_dscnt 0x0
	v_and_b32_e32 v0, 1, v40
	v_lshlrev_b32_e32 v33, 30, v40
	v_lshlrev_b32_e32 v36, 28, v40
	s_barrier_signal -1
	s_barrier_wait -1
	v_add_co_u32 v0, s1, v0, -1
	s_delay_alu instid0(VALU_DEP_1)
	v_cndmask_b32_e64 v34, 0, 1, s1
	v_not_b32_e32 v35, v33
	v_cmp_gt_i32_e64 s1, 0, v33
	global_inv scope:SCOPE_SE
	v_cmp_ne_u32_e32 vcc_lo, 0, v34
	v_lshlrev_b32_e32 v34, 29, v40
	v_ashrrev_i32_e32 v33, 31, v35
	s_wait_alu 0xfffd
	v_xor_b32_e32 v0, vcc_lo, v0
	s_delay_alu instid0(VALU_DEP_3)
	v_not_b32_e32 v35, v34
	s_wait_alu 0xf1ff
	v_xor_b32_e32 v33, s1, v33
	v_cmp_gt_i32_e32 vcc_lo, 0, v34
	s_load_b32 s1, s[36:37], 0xc
	v_and_b32_e32 v0, exec_lo, v0
	v_ashrrev_i32_e32 v34, 31, v35
	v_not_b32_e32 v35, v36
	s_delay_alu instid0(VALU_DEP_3) | instskip(SKIP_1) | instid1(VALU_DEP_4)
	v_and_b32_e32 v0, v0, v33
	v_lshlrev_b32_e32 v33, 27, v40
	v_xor_b32_e32 v34, vcc_lo, v34
	v_cmp_gt_i32_e32 vcc_lo, 0, v36
	v_ashrrev_i32_e32 v35, 31, v35
	s_delay_alu instid0(VALU_DEP_4) | instskip(NEXT) | instid1(VALU_DEP_4)
	v_not_b32_e32 v36, v33
	v_and_b32_e32 v0, v0, v34
	v_lshlrev_b32_e32 v34, 26, v40
	s_wait_alu 0xfffd
	v_xor_b32_e32 v35, vcc_lo, v35
	v_cmp_gt_i32_e32 vcc_lo, 0, v33
	v_ashrrev_i32_e32 v33, 31, v36
	v_not_b32_e32 v36, v34
	s_delay_alu instid0(VALU_DEP_4)
	v_and_b32_e32 v0, v0, v35
	v_lshlrev_b32_e32 v35, 25, v40
	s_wait_alu 0xfffd
	v_xor_b32_e32 v33, vcc_lo, v33
	v_cmp_gt_i32_e32 vcc_lo, 0, v34
	v_ashrrev_i32_e32 v34, 31, v36
	s_wait_kmcnt 0x0
	s_lshr_b32 s10, s1, 16
	v_not_b32_e32 v36, v35
	v_and_b32_e32 v0, v0, v33
	v_lshlrev_b32_e32 v33, 24, v40
	s_wait_alu 0xfffd
	v_xor_b32_e32 v34, vcc_lo, v34
	v_cmp_gt_i32_e32 vcc_lo, 0, v35
	v_ashrrev_i32_e32 v35, 31, v36
	s_wait_alu 0xfffe
	v_mad_u32_u24 v37, v72, s10, v71
	v_not_b32_e32 v36, v33
	v_and_b32_e32 v0, v0, v34
	s_and_b32 s1, s1, 0xffff
	s_wait_alu 0xfffd
	v_xor_b32_e32 v34, vcc_lo, v35
	v_cmp_gt_i32_e32 vcc_lo, 0, v33
	v_ashrrev_i32_e32 v33, 31, v36
	s_wait_alu 0xfffe
	v_mad_co_u64_u32 v[38:39], null, v37, s1, v[46:47]
	v_dual_mov_b32 v37, s15 :: v_dual_and_b32 v0, v0, v34
	s_wait_alu 0xfffd
	v_xor_b32_e32 v33, vcc_lo, v33
	v_dual_mov_b32 v36, s14 :: v_dual_mov_b32 v35, s13
	v_mov_b32_e32 v34, s12
	ds_store_b128 v67, v[34:37] offset:32
	ds_store_b128 v67, v[34:37] offset:48
	v_and_b32_e32 v33, v0, v33
	v_lshrrev_b32_e32 v0, 5, v38
	v_lshlrev_b32_e32 v34, 5, v40
	s_wait_loadcnt_dscnt 0x0
	s_barrier_signal -1
	v_mbcnt_lo_u32_b32 v86, v33, 0
	v_lshlrev_b32_e32 v0, 2, v0
	v_cmp_ne_u32_e64 s1, 0, v33
	s_barrier_wait -1
	global_inv scope:SCOPE_SE
	v_cmp_eq_u32_e32 vcc_lo, 0, v86
	v_add_nc_u32_e32 v87, v0, v34
	; wave barrier
	s_and_b32 s10, s1, vcc_lo
	s_wait_alu 0xfffe
	s_and_saveexec_b32 s1, s10
; %bb.35:
	v_bcnt_u32_b32 v33, v33, 0
	ds_store_b32 v87, v33 offset:32
; %bb.36:
	s_wait_alu 0xfffe
	s_or_b32 exec_lo, exec_lo, s1
	v_cmp_ne_u16_e32 vcc_lo, 0x7fff, v75
	; wave barrier
	s_wait_alu 0xfffd
	v_cndmask_b32_e32 v33, 0xffff8000, v75, vcc_lo
	s_delay_alu instid0(VALU_DEP_1) | instskip(NEXT) | instid1(VALU_DEP_1)
	v_and_b32_e32 v33, 0xffff, v33
	v_and_b32_e32 v33, s9, v33
	s_delay_alu instid0(VALU_DEP_1)
	v_and_b32_e32 v34, 1, v33
	v_lshlrev_b32_e32 v35, 30, v33
	v_lshlrev_b32_e32 v36, 29, v33
	;; [unrolled: 1-line block ×4, first 2 shown]
	v_add_co_u32 v34, s1, v34, -1
	s_wait_alu 0xf1ff
	v_cndmask_b32_e64 v38, 0, 1, s1
	v_not_b32_e32 v83, v35
	v_cmp_gt_i32_e64 s1, 0, v35
	v_not_b32_e32 v35, v36
	v_lshlrev_b32_e32 v40, 26, v33
	v_cmp_ne_u32_e32 vcc_lo, 0, v38
	v_ashrrev_i32_e32 v83, 31, v83
	v_lshlrev_b32_e32 v82, 25, v33
	v_ashrrev_i32_e32 v35, 31, v35
	v_lshlrev_b32_e32 v38, 24, v33
	s_wait_alu 0xfffd
	v_xor_b32_e32 v34, vcc_lo, v34
	v_cmp_gt_i32_e32 vcc_lo, 0, v36
	v_not_b32_e32 v36, v37
	s_wait_alu 0xf1ff
	v_xor_b32_e32 v83, s1, v83
	v_cmp_gt_i32_e64 s1, 0, v37
	v_and_b32_e32 v34, exec_lo, v34
	v_not_b32_e32 v37, v39
	v_ashrrev_i32_e32 v36, 31, v36
	s_wait_alu 0xfffd
	v_xor_b32_e32 v35, vcc_lo, v35
	v_cmp_gt_i32_e32 vcc_lo, 0, v39
	v_and_b32_e32 v34, v34, v83
	v_not_b32_e32 v39, v40
	v_ashrrev_i32_e32 v37, 31, v37
	s_wait_alu 0xf1ff
	v_xor_b32_e32 v36, s1, v36
	v_cmp_gt_i32_e64 s1, 0, v40
	v_and_b32_e32 v34, v34, v35
	v_not_b32_e32 v35, v82
	v_ashrrev_i32_e32 v39, 31, v39
	s_wait_alu 0xfffd
	v_xor_b32_e32 v37, vcc_lo, v37
	v_cmp_gt_i32_e32 vcc_lo, 0, v82
	v_and_b32_e32 v34, v34, v36
	v_not_b32_e32 v36, v38
	v_ashrrev_i32_e32 v35, 31, v35
	s_wait_alu 0xf1ff
	v_xor_b32_e32 v39, s1, v39
	v_lshlrev_b32_e32 v33, 5, v33
	v_and_b32_e32 v34, v34, v37
	v_cmp_gt_i32_e64 s1, 0, v38
	v_ashrrev_i32_e32 v36, 31, v36
	s_wait_alu 0xfffd
	v_xor_b32_e32 v35, vcc_lo, v35
	v_add_nc_u32_e32 v90, v0, v33
	v_and_b32_e32 v34, v34, v39
	s_wait_alu 0xf1ff
	v_xor_b32_e32 v33, s1, v36
	ds_load_b32 v88, v90 offset:32
	v_and_b32_e32 v34, v34, v35
	; wave barrier
	s_delay_alu instid0(VALU_DEP_1) | instskip(NEXT) | instid1(VALU_DEP_1)
	v_and_b32_e32 v33, v34, v33
	v_mbcnt_lo_u32_b32 v89, v33, 0
	v_cmp_ne_u32_e64 s1, 0, v33
	s_delay_alu instid0(VALU_DEP_2)
	v_cmp_eq_u32_e32 vcc_lo, 0, v89
	s_and_b32 s10, s1, vcc_lo
	s_wait_alu 0xfffe
	s_and_saveexec_b32 s1, s10
	s_cbranch_execz .LBB231_38
; %bb.37:
	s_wait_dscnt 0x0
	v_bcnt_u32_b32 v33, v33, v88
	ds_store_b32 v90, v33 offset:32
.LBB231_38:
	s_wait_alu 0xfffe
	s_or_b32 exec_lo, exec_lo, s1
	v_cmp_ne_u16_e32 vcc_lo, 0x7fff, v76
	; wave barrier
	s_wait_alu 0xfffd
	v_cndmask_b32_e32 v33, 0xffff8000, v76, vcc_lo
	s_delay_alu instid0(VALU_DEP_1) | instskip(NEXT) | instid1(VALU_DEP_1)
	v_and_b32_e32 v33, 0xffff, v33
	v_and_b32_e32 v33, s9, v33
	s_delay_alu instid0(VALU_DEP_1)
	v_and_b32_e32 v34, 1, v33
	v_lshlrev_b32_e32 v35, 30, v33
	v_lshlrev_b32_e32 v36, 29, v33
	;; [unrolled: 1-line block ×4, first 2 shown]
	v_add_co_u32 v34, s1, v34, -1
	s_wait_alu 0xf1ff
	v_cndmask_b32_e64 v38, 0, 1, s1
	v_not_b32_e32 v83, v35
	v_cmp_gt_i32_e64 s1, 0, v35
	v_not_b32_e32 v35, v36
	v_lshlrev_b32_e32 v40, 26, v33
	v_cmp_ne_u32_e32 vcc_lo, 0, v38
	v_ashrrev_i32_e32 v83, 31, v83
	v_lshlrev_b32_e32 v82, 25, v33
	v_ashrrev_i32_e32 v35, 31, v35
	v_lshlrev_b32_e32 v38, 24, v33
	s_wait_alu 0xfffd
	v_xor_b32_e32 v34, vcc_lo, v34
	v_cmp_gt_i32_e32 vcc_lo, 0, v36
	v_not_b32_e32 v36, v37
	s_wait_alu 0xf1ff
	v_xor_b32_e32 v83, s1, v83
	v_cmp_gt_i32_e64 s1, 0, v37
	v_and_b32_e32 v34, exec_lo, v34
	v_not_b32_e32 v37, v39
	v_ashrrev_i32_e32 v36, 31, v36
	s_wait_alu 0xfffd
	v_xor_b32_e32 v35, vcc_lo, v35
	v_cmp_gt_i32_e32 vcc_lo, 0, v39
	v_and_b32_e32 v34, v34, v83
	v_not_b32_e32 v39, v40
	v_ashrrev_i32_e32 v37, 31, v37
	s_wait_alu 0xf1ff
	v_xor_b32_e32 v36, s1, v36
	v_cmp_gt_i32_e64 s1, 0, v40
	v_and_b32_e32 v34, v34, v35
	v_not_b32_e32 v35, v82
	v_ashrrev_i32_e32 v39, 31, v39
	s_wait_alu 0xfffd
	v_xor_b32_e32 v37, vcc_lo, v37
	v_cmp_gt_i32_e32 vcc_lo, 0, v82
	v_and_b32_e32 v34, v34, v36
	v_not_b32_e32 v36, v38
	v_ashrrev_i32_e32 v35, 31, v35
	s_wait_alu 0xf1ff
	v_xor_b32_e32 v39, s1, v39
	v_lshlrev_b32_e32 v33, 5, v33
	v_and_b32_e32 v34, v34, v37
	v_cmp_gt_i32_e64 s1, 0, v38
	v_ashrrev_i32_e32 v36, 31, v36
	s_wait_alu 0xfffd
	v_xor_b32_e32 v35, vcc_lo, v35
	v_add_nc_u32_e32 v93, v0, v33
	v_and_b32_e32 v34, v34, v39
	s_wait_alu 0xf1ff
	v_xor_b32_e32 v33, s1, v36
	ds_load_b32 v91, v93 offset:32
	v_and_b32_e32 v34, v34, v35
	; wave barrier
	s_delay_alu instid0(VALU_DEP_1) | instskip(NEXT) | instid1(VALU_DEP_1)
	v_and_b32_e32 v33, v34, v33
	v_mbcnt_lo_u32_b32 v92, v33, 0
	v_cmp_ne_u32_e64 s1, 0, v33
	s_delay_alu instid0(VALU_DEP_2)
	v_cmp_eq_u32_e32 vcc_lo, 0, v92
	s_and_b32 s10, s1, vcc_lo
	s_wait_alu 0xfffe
	s_and_saveexec_b32 s1, s10
	s_cbranch_execz .LBB231_40
; %bb.39:
	s_wait_dscnt 0x0
	v_bcnt_u32_b32 v33, v33, v91
	ds_store_b32 v93, v33 offset:32
.LBB231_40:
	s_wait_alu 0xfffe
	s_or_b32 exec_lo, exec_lo, s1
	v_cmp_ne_u16_e32 vcc_lo, 0x7fff, v77
	; wave barrier
	s_wait_alu 0xfffd
	v_cndmask_b32_e32 v33, 0xffff8000, v77, vcc_lo
	s_delay_alu instid0(VALU_DEP_1) | instskip(NEXT) | instid1(VALU_DEP_1)
	v_and_b32_e32 v33, 0xffff, v33
	v_and_b32_e32 v33, s9, v33
	s_delay_alu instid0(VALU_DEP_1)
	v_and_b32_e32 v34, 1, v33
	v_lshlrev_b32_e32 v35, 30, v33
	v_lshlrev_b32_e32 v36, 29, v33
	;; [unrolled: 1-line block ×4, first 2 shown]
	v_add_co_u32 v34, s1, v34, -1
	s_wait_alu 0xf1ff
	v_cndmask_b32_e64 v38, 0, 1, s1
	v_not_b32_e32 v83, v35
	v_cmp_gt_i32_e64 s1, 0, v35
	v_not_b32_e32 v35, v36
	v_lshlrev_b32_e32 v40, 26, v33
	v_cmp_ne_u32_e32 vcc_lo, 0, v38
	v_ashrrev_i32_e32 v83, 31, v83
	v_lshlrev_b32_e32 v82, 25, v33
	v_ashrrev_i32_e32 v35, 31, v35
	v_lshlrev_b32_e32 v38, 24, v33
	s_wait_alu 0xfffd
	v_xor_b32_e32 v34, vcc_lo, v34
	v_cmp_gt_i32_e32 vcc_lo, 0, v36
	v_not_b32_e32 v36, v37
	s_wait_alu 0xf1ff
	v_xor_b32_e32 v83, s1, v83
	v_cmp_gt_i32_e64 s1, 0, v37
	v_and_b32_e32 v34, exec_lo, v34
	v_not_b32_e32 v37, v39
	v_ashrrev_i32_e32 v36, 31, v36
	s_wait_alu 0xfffd
	v_xor_b32_e32 v35, vcc_lo, v35
	v_cmp_gt_i32_e32 vcc_lo, 0, v39
	v_and_b32_e32 v34, v34, v83
	v_not_b32_e32 v39, v40
	v_ashrrev_i32_e32 v37, 31, v37
	s_wait_alu 0xf1ff
	v_xor_b32_e32 v36, s1, v36
	v_cmp_gt_i32_e64 s1, 0, v40
	v_and_b32_e32 v34, v34, v35
	v_not_b32_e32 v35, v82
	v_ashrrev_i32_e32 v39, 31, v39
	s_wait_alu 0xfffd
	v_xor_b32_e32 v37, vcc_lo, v37
	v_cmp_gt_i32_e32 vcc_lo, 0, v82
	v_and_b32_e32 v34, v34, v36
	v_not_b32_e32 v36, v38
	v_ashrrev_i32_e32 v35, 31, v35
	s_wait_alu 0xf1ff
	v_xor_b32_e32 v39, s1, v39
	v_lshlrev_b32_e32 v33, 5, v33
	v_and_b32_e32 v34, v34, v37
	v_cmp_gt_i32_e64 s1, 0, v38
	v_ashrrev_i32_e32 v36, 31, v36
	s_wait_alu 0xfffd
	v_xor_b32_e32 v35, vcc_lo, v35
	v_add_nc_u32_e32 v96, v0, v33
	v_and_b32_e32 v34, v34, v39
	s_wait_alu 0xf1ff
	v_xor_b32_e32 v33, s1, v36
	ds_load_b32 v94, v96 offset:32
	v_and_b32_e32 v34, v34, v35
	; wave barrier
	s_delay_alu instid0(VALU_DEP_1) | instskip(NEXT) | instid1(VALU_DEP_1)
	v_and_b32_e32 v33, v34, v33
	v_mbcnt_lo_u32_b32 v95, v33, 0
	v_cmp_ne_u32_e64 s1, 0, v33
	s_delay_alu instid0(VALU_DEP_2)
	v_cmp_eq_u32_e32 vcc_lo, 0, v95
	s_and_b32 s10, s1, vcc_lo
	s_wait_alu 0xfffe
	s_and_saveexec_b32 s1, s10
	s_cbranch_execz .LBB231_42
; %bb.41:
	s_wait_dscnt 0x0
	v_bcnt_u32_b32 v33, v33, v94
	ds_store_b32 v96, v33 offset:32
.LBB231_42:
	s_wait_alu 0xfffe
	s_or_b32 exec_lo, exec_lo, s1
	v_cmp_ne_u16_e32 vcc_lo, 0x7fff, v78
	; wave barrier
	s_wait_alu 0xfffd
	v_cndmask_b32_e32 v33, 0xffff8000, v78, vcc_lo
	s_delay_alu instid0(VALU_DEP_1) | instskip(NEXT) | instid1(VALU_DEP_1)
	v_and_b32_e32 v33, 0xffff, v33
	v_and_b32_e32 v33, s9, v33
	s_delay_alu instid0(VALU_DEP_1)
	v_and_b32_e32 v34, 1, v33
	v_lshlrev_b32_e32 v35, 30, v33
	v_lshlrev_b32_e32 v36, 29, v33
	;; [unrolled: 1-line block ×4, first 2 shown]
	v_add_co_u32 v34, s1, v34, -1
	s_wait_alu 0xf1ff
	v_cndmask_b32_e64 v38, 0, 1, s1
	v_not_b32_e32 v83, v35
	v_cmp_gt_i32_e64 s1, 0, v35
	v_not_b32_e32 v35, v36
	v_lshlrev_b32_e32 v40, 26, v33
	v_cmp_ne_u32_e32 vcc_lo, 0, v38
	v_ashrrev_i32_e32 v83, 31, v83
	v_lshlrev_b32_e32 v82, 25, v33
	v_ashrrev_i32_e32 v35, 31, v35
	v_lshlrev_b32_e32 v38, 24, v33
	s_wait_alu 0xfffd
	v_xor_b32_e32 v34, vcc_lo, v34
	v_cmp_gt_i32_e32 vcc_lo, 0, v36
	v_not_b32_e32 v36, v37
	s_wait_alu 0xf1ff
	v_xor_b32_e32 v83, s1, v83
	v_cmp_gt_i32_e64 s1, 0, v37
	v_and_b32_e32 v34, exec_lo, v34
	v_not_b32_e32 v37, v39
	v_ashrrev_i32_e32 v36, 31, v36
	s_wait_alu 0xfffd
	v_xor_b32_e32 v35, vcc_lo, v35
	v_cmp_gt_i32_e32 vcc_lo, 0, v39
	v_and_b32_e32 v34, v34, v83
	v_not_b32_e32 v39, v40
	v_ashrrev_i32_e32 v37, 31, v37
	s_wait_alu 0xf1ff
	v_xor_b32_e32 v36, s1, v36
	v_cmp_gt_i32_e64 s1, 0, v40
	v_and_b32_e32 v34, v34, v35
	v_not_b32_e32 v35, v82
	v_ashrrev_i32_e32 v39, 31, v39
	s_wait_alu 0xfffd
	v_xor_b32_e32 v37, vcc_lo, v37
	v_cmp_gt_i32_e32 vcc_lo, 0, v82
	v_and_b32_e32 v34, v34, v36
	v_not_b32_e32 v36, v38
	v_ashrrev_i32_e32 v35, 31, v35
	s_wait_alu 0xf1ff
	v_xor_b32_e32 v39, s1, v39
	v_lshlrev_b32_e32 v33, 5, v33
	v_and_b32_e32 v34, v34, v37
	v_cmp_gt_i32_e64 s1, 0, v38
	v_ashrrev_i32_e32 v36, 31, v36
	s_wait_alu 0xfffd
	v_xor_b32_e32 v35, vcc_lo, v35
	v_add_nc_u32_e32 v99, v0, v33
	v_and_b32_e32 v34, v34, v39
	s_wait_alu 0xf1ff
	v_xor_b32_e32 v33, s1, v36
	ds_load_b32 v97, v99 offset:32
	v_and_b32_e32 v34, v34, v35
	; wave barrier
	s_delay_alu instid0(VALU_DEP_1) | instskip(NEXT) | instid1(VALU_DEP_1)
	v_and_b32_e32 v33, v34, v33
	v_mbcnt_lo_u32_b32 v98, v33, 0
	v_cmp_ne_u32_e64 s1, 0, v33
	s_delay_alu instid0(VALU_DEP_2)
	v_cmp_eq_u32_e32 vcc_lo, 0, v98
	s_and_b32 s10, s1, vcc_lo
	s_wait_alu 0xfffe
	s_and_saveexec_b32 s1, s10
	s_cbranch_execz .LBB231_44
; %bb.43:
	s_wait_dscnt 0x0
	v_bcnt_u32_b32 v33, v33, v97
	ds_store_b32 v99, v33 offset:32
.LBB231_44:
	s_wait_alu 0xfffe
	s_or_b32 exec_lo, exec_lo, s1
	v_cmp_ne_u16_e32 vcc_lo, 0x7fff, v79
	; wave barrier
	s_wait_alu 0xfffd
	v_cndmask_b32_e32 v33, 0xffff8000, v79, vcc_lo
	s_delay_alu instid0(VALU_DEP_1) | instskip(NEXT) | instid1(VALU_DEP_1)
	v_and_b32_e32 v33, 0xffff, v33
	v_and_b32_e32 v33, s9, v33
	s_delay_alu instid0(VALU_DEP_1)
	v_and_b32_e32 v34, 1, v33
	v_lshlrev_b32_e32 v35, 30, v33
	v_lshlrev_b32_e32 v36, 29, v33
	;; [unrolled: 1-line block ×4, first 2 shown]
	v_add_co_u32 v34, s1, v34, -1
	s_wait_alu 0xf1ff
	v_cndmask_b32_e64 v38, 0, 1, s1
	v_not_b32_e32 v83, v35
	v_cmp_gt_i32_e64 s1, 0, v35
	v_not_b32_e32 v35, v36
	v_lshlrev_b32_e32 v40, 26, v33
	v_cmp_ne_u32_e32 vcc_lo, 0, v38
	v_ashrrev_i32_e32 v83, 31, v83
	v_lshlrev_b32_e32 v82, 25, v33
	v_ashrrev_i32_e32 v35, 31, v35
	v_lshlrev_b32_e32 v38, 24, v33
	s_wait_alu 0xfffd
	v_xor_b32_e32 v34, vcc_lo, v34
	v_cmp_gt_i32_e32 vcc_lo, 0, v36
	v_not_b32_e32 v36, v37
	s_wait_alu 0xf1ff
	v_xor_b32_e32 v83, s1, v83
	v_cmp_gt_i32_e64 s1, 0, v37
	v_and_b32_e32 v34, exec_lo, v34
	v_not_b32_e32 v37, v39
	v_ashrrev_i32_e32 v36, 31, v36
	s_wait_alu 0xfffd
	v_xor_b32_e32 v35, vcc_lo, v35
	v_cmp_gt_i32_e32 vcc_lo, 0, v39
	v_and_b32_e32 v34, v34, v83
	v_not_b32_e32 v39, v40
	v_ashrrev_i32_e32 v37, 31, v37
	s_wait_alu 0xf1ff
	v_xor_b32_e32 v36, s1, v36
	v_cmp_gt_i32_e64 s1, 0, v40
	v_and_b32_e32 v34, v34, v35
	v_not_b32_e32 v35, v82
	v_ashrrev_i32_e32 v39, 31, v39
	s_wait_alu 0xfffd
	v_xor_b32_e32 v37, vcc_lo, v37
	v_cmp_gt_i32_e32 vcc_lo, 0, v82
	v_and_b32_e32 v34, v34, v36
	v_not_b32_e32 v36, v38
	v_ashrrev_i32_e32 v35, 31, v35
	s_wait_alu 0xf1ff
	v_xor_b32_e32 v39, s1, v39
	v_lshlrev_b32_e32 v33, 5, v33
	v_and_b32_e32 v34, v34, v37
	v_cmp_gt_i32_e64 s1, 0, v38
	v_ashrrev_i32_e32 v36, 31, v36
	s_wait_alu 0xfffd
	v_xor_b32_e32 v35, vcc_lo, v35
	v_add_nc_u32_e32 v102, v0, v33
	v_and_b32_e32 v34, v34, v39
	s_wait_alu 0xf1ff
	v_xor_b32_e32 v33, s1, v36
	ds_load_b32 v100, v102 offset:32
	v_and_b32_e32 v34, v34, v35
	; wave barrier
	s_delay_alu instid0(VALU_DEP_1) | instskip(NEXT) | instid1(VALU_DEP_1)
	v_and_b32_e32 v33, v34, v33
	v_mbcnt_lo_u32_b32 v101, v33, 0
	v_cmp_ne_u32_e64 s1, 0, v33
	s_delay_alu instid0(VALU_DEP_2)
	v_cmp_eq_u32_e32 vcc_lo, 0, v101
	s_and_b32 s10, s1, vcc_lo
	s_wait_alu 0xfffe
	s_and_saveexec_b32 s1, s10
	s_cbranch_execz .LBB231_46
; %bb.45:
	s_wait_dscnt 0x0
	v_bcnt_u32_b32 v33, v33, v100
	ds_store_b32 v102, v33 offset:32
.LBB231_46:
	s_wait_alu 0xfffe
	s_or_b32 exec_lo, exec_lo, s1
	v_cmp_ne_u16_e32 vcc_lo, 0x7fff, v80
	; wave barrier
	s_wait_alu 0xfffd
	v_cndmask_b32_e32 v33, 0xffff8000, v80, vcc_lo
	s_delay_alu instid0(VALU_DEP_1) | instskip(NEXT) | instid1(VALU_DEP_1)
	v_and_b32_e32 v33, 0xffff, v33
	v_and_b32_e32 v33, s9, v33
	s_delay_alu instid0(VALU_DEP_1)
	v_and_b32_e32 v34, 1, v33
	v_lshlrev_b32_e32 v35, 30, v33
	v_lshlrev_b32_e32 v36, 29, v33
	;; [unrolled: 1-line block ×4, first 2 shown]
	v_add_co_u32 v34, s1, v34, -1
	s_wait_alu 0xf1ff
	v_cndmask_b32_e64 v38, 0, 1, s1
	v_not_b32_e32 v83, v35
	v_cmp_gt_i32_e64 s1, 0, v35
	v_not_b32_e32 v35, v36
	v_lshlrev_b32_e32 v40, 26, v33
	v_cmp_ne_u32_e32 vcc_lo, 0, v38
	v_ashrrev_i32_e32 v83, 31, v83
	v_lshlrev_b32_e32 v82, 25, v33
	v_ashrrev_i32_e32 v35, 31, v35
	v_lshlrev_b32_e32 v38, 24, v33
	s_wait_alu 0xfffd
	v_xor_b32_e32 v34, vcc_lo, v34
	v_cmp_gt_i32_e32 vcc_lo, 0, v36
	v_not_b32_e32 v36, v37
	s_wait_alu 0xf1ff
	v_xor_b32_e32 v83, s1, v83
	v_cmp_gt_i32_e64 s1, 0, v37
	v_and_b32_e32 v34, exec_lo, v34
	v_not_b32_e32 v37, v39
	v_ashrrev_i32_e32 v36, 31, v36
	s_wait_alu 0xfffd
	v_xor_b32_e32 v35, vcc_lo, v35
	v_cmp_gt_i32_e32 vcc_lo, 0, v39
	v_and_b32_e32 v34, v34, v83
	v_not_b32_e32 v39, v40
	v_ashrrev_i32_e32 v37, 31, v37
	s_wait_alu 0xf1ff
	v_xor_b32_e32 v36, s1, v36
	v_cmp_gt_i32_e64 s1, 0, v40
	v_and_b32_e32 v34, v34, v35
	v_not_b32_e32 v35, v82
	v_ashrrev_i32_e32 v39, 31, v39
	s_wait_alu 0xfffd
	v_xor_b32_e32 v37, vcc_lo, v37
	v_cmp_gt_i32_e32 vcc_lo, 0, v82
	v_and_b32_e32 v34, v34, v36
	v_not_b32_e32 v36, v38
	v_ashrrev_i32_e32 v35, 31, v35
	s_wait_alu 0xf1ff
	v_xor_b32_e32 v39, s1, v39
	v_lshlrev_b32_e32 v33, 5, v33
	v_and_b32_e32 v34, v34, v37
	v_cmp_gt_i32_e64 s1, 0, v38
	v_ashrrev_i32_e32 v36, 31, v36
	s_wait_alu 0xfffd
	v_xor_b32_e32 v35, vcc_lo, v35
	v_add_nc_u32_e32 v105, v0, v33
	v_and_b32_e32 v34, v34, v39
	s_wait_alu 0xf1ff
	v_xor_b32_e32 v33, s1, v36
	ds_load_b32 v103, v105 offset:32
	v_and_b32_e32 v34, v34, v35
	; wave barrier
	s_delay_alu instid0(VALU_DEP_1) | instskip(NEXT) | instid1(VALU_DEP_1)
	v_and_b32_e32 v33, v34, v33
	v_mbcnt_lo_u32_b32 v104, v33, 0
	v_cmp_ne_u32_e64 s1, 0, v33
	s_delay_alu instid0(VALU_DEP_2)
	v_cmp_eq_u32_e32 vcc_lo, 0, v104
	s_and_b32 s10, s1, vcc_lo
	s_wait_alu 0xfffe
	s_and_saveexec_b32 s1, s10
	s_cbranch_execz .LBB231_48
; %bb.47:
	s_wait_dscnt 0x0
	v_bcnt_u32_b32 v33, v33, v103
	ds_store_b32 v105, v33 offset:32
.LBB231_48:
	s_wait_alu 0xfffe
	s_or_b32 exec_lo, exec_lo, s1
	v_cmp_ne_u16_e32 vcc_lo, 0x7fff, v81
	; wave barrier
	s_wait_alu 0xfffd
	v_cndmask_b32_e32 v33, 0xffff8000, v81, vcc_lo
	s_delay_alu instid0(VALU_DEP_1) | instskip(NEXT) | instid1(VALU_DEP_1)
	v_and_b32_e32 v33, 0xffff, v33
	v_and_b32_e32 v33, s9, v33
	s_delay_alu instid0(VALU_DEP_1)
	v_and_b32_e32 v34, 1, v33
	v_lshlrev_b32_e32 v35, 30, v33
	v_lshlrev_b32_e32 v36, 29, v33
	v_lshlrev_b32_e32 v37, 28, v33
	v_lshlrev_b32_e32 v39, 27, v33
	v_add_co_u32 v34, s1, v34, -1
	s_wait_alu 0xf1ff
	v_cndmask_b32_e64 v38, 0, 1, s1
	v_not_b32_e32 v83, v35
	v_cmp_gt_i32_e64 s1, 0, v35
	v_not_b32_e32 v35, v36
	v_lshlrev_b32_e32 v40, 26, v33
	v_cmp_ne_u32_e32 vcc_lo, 0, v38
	v_ashrrev_i32_e32 v83, 31, v83
	v_lshlrev_b32_e32 v82, 25, v33
	v_ashrrev_i32_e32 v35, 31, v35
	v_lshlrev_b32_e32 v38, 24, v33
	s_wait_alu 0xfffd
	v_xor_b32_e32 v34, vcc_lo, v34
	v_cmp_gt_i32_e32 vcc_lo, 0, v36
	v_not_b32_e32 v36, v37
	s_wait_alu 0xf1ff
	v_xor_b32_e32 v83, s1, v83
	v_cmp_gt_i32_e64 s1, 0, v37
	v_and_b32_e32 v34, exec_lo, v34
	v_not_b32_e32 v37, v39
	v_ashrrev_i32_e32 v36, 31, v36
	s_wait_alu 0xfffd
	v_xor_b32_e32 v35, vcc_lo, v35
	v_cmp_gt_i32_e32 vcc_lo, 0, v39
	v_and_b32_e32 v34, v34, v83
	v_not_b32_e32 v39, v40
	v_ashrrev_i32_e32 v37, 31, v37
	s_wait_alu 0xf1ff
	v_xor_b32_e32 v36, s1, v36
	v_cmp_gt_i32_e64 s1, 0, v40
	v_and_b32_e32 v34, v34, v35
	v_not_b32_e32 v35, v82
	v_ashrrev_i32_e32 v39, 31, v39
	s_wait_alu 0xfffd
	v_xor_b32_e32 v37, vcc_lo, v37
	v_cmp_gt_i32_e32 vcc_lo, 0, v82
	v_and_b32_e32 v34, v34, v36
	v_not_b32_e32 v36, v38
	v_ashrrev_i32_e32 v35, 31, v35
	s_wait_alu 0xf1ff
	v_xor_b32_e32 v39, s1, v39
	v_lshlrev_b32_e32 v33, 5, v33
	v_and_b32_e32 v34, v34, v37
	v_cmp_gt_i32_e64 s1, 0, v38
	v_ashrrev_i32_e32 v36, 31, v36
	s_wait_alu 0xfffd
	v_xor_b32_e32 v35, vcc_lo, v35
	v_add_nc_u32_e32 v108, v0, v33
	v_and_b32_e32 v34, v34, v39
	v_min_u32_e32 v82, 0xe0, v70
	s_wait_alu 0xf1ff
	v_xor_b32_e32 v33, s1, v36
	ds_load_b32 v106, v108 offset:32
	v_and_b32_e32 v34, v34, v35
	; wave barrier
	s_delay_alu instid0(VALU_DEP_1) | instskip(NEXT) | instid1(VALU_DEP_1)
	v_and_b32_e32 v33, v34, v33
	v_mbcnt_lo_u32_b32 v107, v33, 0
	v_cmp_ne_u32_e64 s1, 0, v33
	s_delay_alu instid0(VALU_DEP_2)
	v_cmp_eq_u32_e32 vcc_lo, 0, v107
	s_and_b32 s9, s1, vcc_lo
	s_wait_alu 0xfffe
	s_and_saveexec_b32 s1, s9
	s_cbranch_execz .LBB231_50
; %bb.49:
	s_wait_dscnt 0x0
	v_bcnt_u32_b32 v33, v33, v106
	ds_store_b32 v108, v33 offset:32
.LBB231_50:
	s_wait_alu 0xfffe
	s_or_b32 exec_lo, exec_lo, s1
	; wave barrier
	s_wait_loadcnt_dscnt 0x0
	s_barrier_signal -1
	s_barrier_wait -1
	global_inv scope:SCOPE_SE
	ds_load_b128 v[37:40], v67 offset:32
	ds_load_b128 v[33:36], v67 offset:48
	v_and_b32_e32 v109, 16, v69
	v_or_b32_e32 v82, 31, v82
	s_delay_alu instid0(VALU_DEP_2) | instskip(NEXT) | instid1(VALU_DEP_2)
	v_cmp_eq_u32_e64 s17, 0, v109
	v_cmp_eq_u32_e64 s15, v46, v82
	s_wait_dscnt 0x1
	v_add_nc_u32_e32 v83, v38, v37
	s_delay_alu instid0(VALU_DEP_1) | instskip(SKIP_1) | instid1(VALU_DEP_1)
	v_add3_u32 v83, v83, v39, v40
	s_wait_dscnt 0x0
	v_add3_u32 v83, v83, v33, v34
	s_delay_alu instid0(VALU_DEP_1) | instskip(SKIP_1) | instid1(VALU_DEP_2)
	v_add3_u32 v36, v83, v35, v36
	v_and_b32_e32 v83, 15, v69
	v_mov_b32_dpp v85, v36 row_shr:1 row_mask:0xf bank_mask:0xf
	s_delay_alu instid0(VALU_DEP_2)
	v_cmp_eq_u32_e64 s9, 0, v83
	v_cmp_lt_u32_e64 s11, 1, v83
	v_cmp_lt_u32_e64 s12, 3, v83
	;; [unrolled: 1-line block ×3, first 2 shown]
	s_wait_alu 0xf1ff
	v_cndmask_b32_e64 v85, v85, 0, s9
	s_delay_alu instid0(VALU_DEP_1) | instskip(NEXT) | instid1(VALU_DEP_1)
	v_add_nc_u32_e32 v36, v85, v36
	v_mov_b32_dpp v85, v36 row_shr:2 row_mask:0xf bank_mask:0xf
	s_delay_alu instid0(VALU_DEP_1) | instskip(NEXT) | instid1(VALU_DEP_1)
	v_cndmask_b32_e64 v85, 0, v85, s11
	v_add_nc_u32_e32 v36, v36, v85
	s_delay_alu instid0(VALU_DEP_1) | instskip(NEXT) | instid1(VALU_DEP_1)
	v_mov_b32_dpp v85, v36 row_shr:4 row_mask:0xf bank_mask:0xf
	v_cndmask_b32_e64 v85, 0, v85, s12
	s_delay_alu instid0(VALU_DEP_1) | instskip(NEXT) | instid1(VALU_DEP_1)
	v_add_nc_u32_e32 v36, v36, v85
	v_mov_b32_dpp v85, v36 row_shr:8 row_mask:0xf bank_mask:0xf
	s_delay_alu instid0(VALU_DEP_1) | instskip(NEXT) | instid1(VALU_DEP_1)
	v_cndmask_b32_e64 v83, 0, v85, s14
	v_add_nc_u32_e32 v85, v36, v83
	v_bfe_i32 v83, v69, 4, 1
	ds_swizzle_b32 v36, v85 offset:swizzle(BROADCAST,32,15)
	s_wait_dscnt 0x0
	v_and_b32_e32 v110, v83, v36
	v_mul_i32_i24_e32 v36, 0xffffffe4, v46
	v_lshlrev_b32_e32 v83, 2, v68
	s_delay_alu instid0(VALU_DEP_3)
	v_add_nc_u32_e32 v85, v85, v110
	s_and_saveexec_b32 s1, s15
; %bb.51:
	ds_store_b32 v83, v85
; %bb.52:
	s_wait_alu 0xfffe
	s_or_b32 exec_lo, exec_lo, s1
	v_and_b32_e32 v82, 7, v69
	v_cmp_gt_u32_e64 s16, 8, v46
	s_wait_loadcnt_dscnt 0x0
	s_barrier_signal -1
	s_barrier_wait -1
	v_cmp_eq_u32_e64 s13, 0, v82
	v_cmp_lt_u32_e64 s10, 1, v82
	v_cmp_lt_u32_e32 vcc_lo, 3, v82
	v_add_nc_u32_e32 v82, v67, v36
	global_inv scope:SCOPE_SE
	s_and_saveexec_b32 s1, s16
	s_cbranch_execz .LBB231_54
; %bb.53:
	ds_load_b32 v36, v82
	s_wait_dscnt 0x0
	v_mov_b32_dpp v109, v36 row_shr:1 row_mask:0xf bank_mask:0xf
	s_wait_alu 0xf1ff
	s_delay_alu instid0(VALU_DEP_1) | instskip(NEXT) | instid1(VALU_DEP_1)
	v_cndmask_b32_e64 v109, v109, 0, s13
	v_add_nc_u32_e32 v36, v109, v36
	s_delay_alu instid0(VALU_DEP_1) | instskip(NEXT) | instid1(VALU_DEP_1)
	v_mov_b32_dpp v109, v36 row_shr:2 row_mask:0xf bank_mask:0xf
	v_cndmask_b32_e64 v109, 0, v109, s10
	s_delay_alu instid0(VALU_DEP_1) | instskip(NEXT) | instid1(VALU_DEP_1)
	v_add_nc_u32_e32 v36, v36, v109
	v_mov_b32_dpp v109, v36 row_shr:4 row_mask:0xf bank_mask:0xf
	s_wait_alu 0xfffd
	s_delay_alu instid0(VALU_DEP_1) | instskip(NEXT) | instid1(VALU_DEP_1)
	v_cndmask_b32_e32 v109, 0, v109, vcc_lo
	v_add_nc_u32_e32 v36, v36, v109
	ds_store_b32 v82, v36
.LBB231_54:
	s_wait_alu 0xfffe
	s_or_b32 exec_lo, exec_lo, s1
	v_mul_u32_u24_e32 v36, 6, v84
	v_sub_co_u32 v109, s1, v69, 1
	v_cmp_lt_u32_e64 s18, 31, v46
	v_add_nc_u32_e32 v84, -4, v83
	v_mov_b32_e32 v110, 0
	s_wait_loadcnt_dscnt 0x0
	s_barrier_signal -1
	s_barrier_wait -1
	global_inv scope:SCOPE_SE
	s_and_saveexec_b32 s19, s18
; %bb.55:
	ds_load_b32 v110, v84
; %bb.56:
	s_or_b32 exec_lo, exec_lo, s19
	v_cmp_gt_i32_e64 s19, 0, v109
	s_mov_b32 s24, 0
	s_min_u32 s20, s20, 8
	s_mov_b32 s25, s24
	s_mov_b32 s26, s24
	v_cndmask_b32_e64 v109, v109, v69, s19
	s_mov_b32 s27, s24
	s_wait_dscnt 0x0
	v_add_nc_u32_e32 v111, v110, v85
	v_cmp_eq_u32_e64 s19, 0, v46
	s_wait_alu 0xfffe
	s_lshl_b32 s20, -1, s20
	v_lshlrev_b32_e32 v85, 2, v109
	s_wait_alu 0xfffe
	s_not_b32 s23, s20
	ds_bpermute_b32 v109, v85, v111
	s_wait_dscnt 0x0
	v_cndmask_b32_e64 v109, v109, v110, s1
	s_delay_alu instid0(VALU_DEP_1) | instskip(NEXT) | instid1(VALU_DEP_1)
	v_cndmask_b32_e64 v109, v109, 0, s19
	v_add_nc_u32_e32 v110, v109, v37
	s_delay_alu instid0(VALU_DEP_1) | instskip(NEXT) | instid1(VALU_DEP_1)
	v_add_nc_u32_e32 v111, v110, v38
	v_add_nc_u32_e32 v112, v111, v39
	s_delay_alu instid0(VALU_DEP_1) | instskip(NEXT) | instid1(VALU_DEP_1)
	v_add_nc_u32_e32 v37, v112, v40
	;; [unrolled: 3-line block ×3, first 2 shown]
	v_add_nc_u32_e32 v40, v39, v35
	ds_store_b128 v67, v[109:112] offset:32
	ds_store_b128 v67, v[37:40] offset:48
	s_wait_loadcnt_dscnt 0x0
	s_barrier_signal -1
	s_barrier_wait -1
	global_inv scope:SCOPE_SE
	ds_load_b32 v33, v87 offset:32
	ds_load_b32 v34, v90 offset:32
	;; [unrolled: 1-line block ×8, first 2 shown]
	v_add_nc_u32_e32 v90, v73, v36
	s_wait_loadcnt_dscnt 0x0
	s_barrier_signal -1
	s_barrier_wait -1
	global_inv scope:SCOPE_SE
	v_add_nc_u32_e32 v86, v33, v86
	v_add3_u32 v88, v89, v88, v34
	v_add3_u32 v89, v92, v91, v35
	;; [unrolled: 1-line block ×7, first 2 shown]
	v_lshlrev_b32_e32 v33, 1, v86
	v_lshlrev_b32_e32 v34, 1, v88
	;; [unrolled: 1-line block ×8, first 2 shown]
	ds_store_b16 v33, v74
	ds_store_b16 v34, v75
	;; [unrolled: 1-line block ×8, first 2 shown]
	s_wait_loadcnt_dscnt 0x0
	s_barrier_signal -1
	s_barrier_wait -1
	global_inv scope:SCOPE_SE
	ds_load_u16 v74, v73
	ds_load_u16 v75, v73 offset:64
	ds_load_u16 v76, v73 offset:128
	;; [unrolled: 1-line block ×7, first 2 shown]
	v_mad_co_u64_u32 v[86:87], null, v86, 6, v[33:34]
	v_mad_co_u64_u32 v[33:34], null, v88, 6, v[34:35]
	;; [unrolled: 1-line block ×3, first 2 shown]
	s_wait_loadcnt_dscnt 0x0
	s_barrier_signal -1
	s_barrier_wait -1
	global_inv scope:SCOPE_SE
	v_mad_co_u64_u32 v[35:36], null, v91, 6, v[36:37]
	v_lshrrev_b16 v81, 8, v74
	v_cmp_ne_u16_e64 s20, 0x7fff, v74
	ds_store_b64 v86, v[17:18]
	v_mad_co_u64_u32 v[36:37], null, v92, 6, v[37:38]
	v_mad_co_u64_u32 v[37:38], null, v93, 6, v[38:39]
	s_wait_alu 0xf1ff
	v_cndmask_b32_e64 v81, 0x80, v81, s20
	v_mad_co_u64_u32 v[38:39], null, v94, 6, v[39:40]
	v_mad_co_u64_u32 v[39:40], null, v95, 6, v[40:41]
	s_delay_alu instid0(VALU_DEP_3)
	v_and_b32_e32 v17, 0xffff, v81
	ds_store_b64 v33, v[19:20]
	ds_store_b64 v34, v[25:26]
	;; [unrolled: 1-line block ×7, first 2 shown]
	s_wait_alu 0xfffe
	v_and_b32_e32 v40, s23, v17
	s_wait_loadcnt_dscnt 0x0
	s_barrier_signal -1
	s_barrier_wait -1
	global_inv scope:SCOPE_SE
	v_and_b32_e32 v17, 1, v40
	v_lshlrev_b32_e32 v18, 30, v40
	v_lshlrev_b32_e32 v19, 29, v40
	;; [unrolled: 1-line block ×4, first 2 shown]
	v_add_co_u32 v17, s20, v17, -1
	s_wait_alu 0xf1ff
	v_cndmask_b32_e64 v21, 0, 1, s20
	v_not_b32_e32 v25, v18
	v_cmp_gt_i32_e64 s21, 0, v18
	v_not_b32_e32 v18, v19
	v_lshlrev_b32_e32 v23, 26, v40
	v_cmp_ne_u32_e64 s20, 0, v21
	v_ashrrev_i32_e32 v25, 31, v25
	v_lshlrev_b32_e32 v24, 25, v40
	v_ashrrev_i32_e32 v18, 31, v18
	v_lshlrev_b32_e32 v21, 24, v40
	s_wait_alu 0xf1ff
	v_xor_b32_e32 v17, s20, v17
	v_cmp_gt_i32_e64 s20, 0, v19
	v_not_b32_e32 v19, v20
	v_xor_b32_e32 v25, s21, v25
	v_cmp_gt_i32_e64 s21, 0, v20
	v_and_b32_e32 v17, exec_lo, v17
	v_not_b32_e32 v20, v22
	v_ashrrev_i32_e32 v19, 31, v19
	s_wait_alu 0xf1ff
	v_xor_b32_e32 v18, s20, v18
	v_cmp_gt_i32_e64 s20, 0, v22
	v_and_b32_e32 v17, v17, v25
	v_not_b32_e32 v22, v23
	v_ashrrev_i32_e32 v20, 31, v20
	v_xor_b32_e32 v19, s21, v19
	v_cmp_gt_i32_e64 s21, 0, v23
	v_and_b32_e32 v17, v17, v18
	v_not_b32_e32 v18, v24
	v_ashrrev_i32_e32 v22, 31, v22
	s_wait_alu 0xf1ff
	v_xor_b32_e32 v20, s20, v20
	v_cmp_gt_i32_e64 s20, 0, v24
	v_and_b32_e32 v17, v17, v19
	v_not_b32_e32 v19, v21
	v_ashrrev_i32_e32 v18, 31, v18
	v_xor_b32_e32 v22, s21, v22
	v_cmp_gt_i32_e64 s21, 0, v21
	v_and_b32_e32 v17, v17, v20
	v_ashrrev_i32_e32 v19, 31, v19
	s_wait_alu 0xf1ff
	v_xor_b32_e32 v18, s20, v18
	v_dual_mov_b32 v37, s27 :: v_dual_mov_b32 v36, s26
	v_and_b32_e32 v17, v17, v22
	v_xor_b32_e32 v33, s21, v19
	ds_load_2addr_b64 v[21:24], v90 offset1:32
	v_dual_mov_b32 v35, s25 :: v_dual_mov_b32 v34, s24
	v_and_b32_e32 v38, v17, v18
	ds_load_2addr_b64 v[29:32], v90 offset0:64 offset1:96
	ds_load_2addr_b64 v[25:28], v90 offset0:128 offset1:160
	;; [unrolled: 1-line block ×3, first 2 shown]
	v_lshl_add_u32 v86, v40, 5, v0
	s_wait_loadcnt_dscnt 0x0
	s_barrier_signal -1
	v_and_b32_e32 v33, v38, v33
	s_barrier_wait -1
	global_inv scope:SCOPE_SE
	ds_store_b128 v67, v[34:37] offset:32
	ds_store_b128 v67, v[34:37] offset:48
	s_wait_loadcnt_dscnt 0x0
	v_mbcnt_lo_u32_b32 v81, v33, 0
	v_cmp_ne_u32_e64 s21, 0, v33
	s_barrier_signal -1
	s_barrier_wait -1
	global_inv scope:SCOPE_SE
	v_cmp_eq_u32_e64 s20, 0, v81
	; wave barrier
	s_and_b32 s21, s21, s20
	s_wait_alu 0xfffe
	s_and_saveexec_b32 s20, s21
; %bb.57:
	v_bcnt_u32_b32 v33, v33, 0
	ds_store_b32 v86, v33 offset:32
; %bb.58:
	s_wait_alu 0xfffe
	s_or_b32 exec_lo, exec_lo, s20
	v_lshrrev_b16 v33, 8, v75
	v_cmp_ne_u16_e64 s20, 0x7fff, v75
	; wave barrier
	s_wait_alu 0xf1ff
	s_delay_alu instid0(VALU_DEP_1) | instskip(NEXT) | instid1(VALU_DEP_1)
	v_cndmask_b32_e64 v33, 0x80, v33, s20
	v_and_b32_e32 v33, s23, v33
	s_delay_alu instid0(VALU_DEP_1)
	v_and_b32_e32 v34, 1, v33
	v_lshlrev_b32_e32 v35, 30, v33
	v_lshlrev_b32_e32 v36, 29, v33
	;; [unrolled: 1-line block ×4, first 2 shown]
	v_add_co_u32 v34, s20, v34, -1
	s_wait_alu 0xf1ff
	v_cndmask_b32_e64 v38, 0, 1, s20
	v_not_b32_e32 v88, v35
	v_cmp_gt_i32_e64 s21, 0, v35
	v_not_b32_e32 v35, v36
	v_lshlrev_b32_e32 v40, 26, v33
	v_cmp_ne_u32_e64 s20, 0, v38
	v_ashrrev_i32_e32 v88, 31, v88
	v_lshlrev_b32_e32 v87, 25, v33
	v_ashrrev_i32_e32 v35, 31, v35
	v_lshlrev_b32_e32 v38, 24, v33
	s_wait_alu 0xf1ff
	v_xor_b32_e32 v34, s20, v34
	v_cmp_gt_i32_e64 s20, 0, v36
	v_not_b32_e32 v36, v37
	v_xor_b32_e32 v88, s21, v88
	v_cmp_gt_i32_e64 s21, 0, v37
	v_and_b32_e32 v34, exec_lo, v34
	v_not_b32_e32 v37, v39
	v_ashrrev_i32_e32 v36, 31, v36
	s_wait_alu 0xf1ff
	v_xor_b32_e32 v35, s20, v35
	v_cmp_gt_i32_e64 s20, 0, v39
	v_and_b32_e32 v34, v34, v88
	v_not_b32_e32 v39, v40
	v_ashrrev_i32_e32 v37, 31, v37
	v_xor_b32_e32 v36, s21, v36
	v_cmp_gt_i32_e64 s21, 0, v40
	v_and_b32_e32 v34, v34, v35
	v_not_b32_e32 v35, v87
	v_ashrrev_i32_e32 v39, 31, v39
	s_wait_alu 0xf1ff
	v_xor_b32_e32 v37, s20, v37
	v_cmp_gt_i32_e64 s20, 0, v87
	v_and_b32_e32 v34, v34, v36
	v_not_b32_e32 v36, v38
	v_ashrrev_i32_e32 v35, 31, v35
	v_xor_b32_e32 v39, s21, v39
	v_cmp_gt_i32_e64 s21, 0, v38
	v_and_b32_e32 v34, v34, v37
	v_ashrrev_i32_e32 v36, 31, v36
	s_wait_alu 0xf1ff
	v_xor_b32_e32 v35, s20, v35
	v_lshl_add_u32 v89, v33, 5, v0
	v_and_b32_e32 v34, v34, v39
	v_xor_b32_e32 v33, s21, v36
	ds_load_b32 v87, v89 offset:32
	v_and_b32_e32 v34, v34, v35
	; wave barrier
	s_delay_alu instid0(VALU_DEP_1) | instskip(NEXT) | instid1(VALU_DEP_1)
	v_and_b32_e32 v33, v34, v33
	v_mbcnt_lo_u32_b32 v88, v33, 0
	v_cmp_ne_u32_e64 s21, 0, v33
	s_delay_alu instid0(VALU_DEP_2)
	v_cmp_eq_u32_e64 s20, 0, v88
	s_and_b32 s21, s21, s20
	s_wait_alu 0xfffe
	s_and_saveexec_b32 s20, s21
	s_cbranch_execz .LBB231_60
; %bb.59:
	s_wait_dscnt 0x0
	v_bcnt_u32_b32 v33, v33, v87
	ds_store_b32 v89, v33 offset:32
.LBB231_60:
	s_wait_alu 0xfffe
	s_or_b32 exec_lo, exec_lo, s20
	v_lshrrev_b16 v33, 8, v76
	v_cmp_ne_u16_e64 s20, 0x7fff, v76
	; wave barrier
	s_wait_alu 0xf1ff
	s_delay_alu instid0(VALU_DEP_1) | instskip(NEXT) | instid1(VALU_DEP_1)
	v_cndmask_b32_e64 v33, 0x80, v33, s20
	v_and_b32_e32 v33, s23, v33
	s_delay_alu instid0(VALU_DEP_1)
	v_and_b32_e32 v34, 1, v33
	v_lshlrev_b32_e32 v35, 30, v33
	v_lshlrev_b32_e32 v36, 29, v33
	;; [unrolled: 1-line block ×4, first 2 shown]
	v_add_co_u32 v34, s20, v34, -1
	s_wait_alu 0xf1ff
	v_cndmask_b32_e64 v38, 0, 1, s20
	v_not_b32_e32 v91, v35
	v_cmp_gt_i32_e64 s21, 0, v35
	v_not_b32_e32 v35, v36
	v_lshlrev_b32_e32 v40, 26, v33
	v_cmp_ne_u32_e64 s20, 0, v38
	v_ashrrev_i32_e32 v91, 31, v91
	v_lshlrev_b32_e32 v90, 25, v33
	v_ashrrev_i32_e32 v35, 31, v35
	v_lshlrev_b32_e32 v38, 24, v33
	s_wait_alu 0xf1ff
	v_xor_b32_e32 v34, s20, v34
	v_cmp_gt_i32_e64 s20, 0, v36
	v_not_b32_e32 v36, v37
	v_xor_b32_e32 v91, s21, v91
	v_cmp_gt_i32_e64 s21, 0, v37
	v_and_b32_e32 v34, exec_lo, v34
	v_not_b32_e32 v37, v39
	v_ashrrev_i32_e32 v36, 31, v36
	s_wait_alu 0xf1ff
	v_xor_b32_e32 v35, s20, v35
	v_cmp_gt_i32_e64 s20, 0, v39
	v_and_b32_e32 v34, v34, v91
	v_not_b32_e32 v39, v40
	v_ashrrev_i32_e32 v37, 31, v37
	v_xor_b32_e32 v36, s21, v36
	v_cmp_gt_i32_e64 s21, 0, v40
	v_and_b32_e32 v34, v34, v35
	v_not_b32_e32 v35, v90
	v_ashrrev_i32_e32 v39, 31, v39
	s_wait_alu 0xf1ff
	v_xor_b32_e32 v37, s20, v37
	v_cmp_gt_i32_e64 s20, 0, v90
	v_and_b32_e32 v34, v34, v36
	v_not_b32_e32 v36, v38
	v_ashrrev_i32_e32 v35, 31, v35
	v_xor_b32_e32 v39, s21, v39
	v_cmp_gt_i32_e64 s21, 0, v38
	v_and_b32_e32 v34, v34, v37
	v_ashrrev_i32_e32 v36, 31, v36
	s_wait_alu 0xf1ff
	v_xor_b32_e32 v35, s20, v35
	v_lshl_add_u32 v92, v33, 5, v0
	v_and_b32_e32 v34, v34, v39
	v_xor_b32_e32 v33, s21, v36
	ds_load_b32 v90, v92 offset:32
	v_and_b32_e32 v34, v34, v35
	; wave barrier
	s_delay_alu instid0(VALU_DEP_1) | instskip(NEXT) | instid1(VALU_DEP_1)
	v_and_b32_e32 v33, v34, v33
	v_mbcnt_lo_u32_b32 v91, v33, 0
	v_cmp_ne_u32_e64 s21, 0, v33
	s_delay_alu instid0(VALU_DEP_2)
	v_cmp_eq_u32_e64 s20, 0, v91
	s_and_b32 s21, s21, s20
	s_wait_alu 0xfffe
	s_and_saveexec_b32 s20, s21
	s_cbranch_execz .LBB231_62
; %bb.61:
	s_wait_dscnt 0x0
	v_bcnt_u32_b32 v33, v33, v90
	ds_store_b32 v92, v33 offset:32
.LBB231_62:
	s_wait_alu 0xfffe
	s_or_b32 exec_lo, exec_lo, s20
	v_lshrrev_b16 v33, 8, v77
	v_cmp_ne_u16_e64 s20, 0x7fff, v77
	; wave barrier
	s_wait_alu 0xf1ff
	s_delay_alu instid0(VALU_DEP_1) | instskip(NEXT) | instid1(VALU_DEP_1)
	v_cndmask_b32_e64 v33, 0x80, v33, s20
	v_and_b32_e32 v33, s23, v33
	s_delay_alu instid0(VALU_DEP_1)
	v_and_b32_e32 v34, 1, v33
	v_lshlrev_b32_e32 v35, 30, v33
	v_lshlrev_b32_e32 v36, 29, v33
	;; [unrolled: 1-line block ×4, first 2 shown]
	v_add_co_u32 v34, s20, v34, -1
	s_wait_alu 0xf1ff
	v_cndmask_b32_e64 v38, 0, 1, s20
	v_not_b32_e32 v94, v35
	v_cmp_gt_i32_e64 s21, 0, v35
	v_not_b32_e32 v35, v36
	v_lshlrev_b32_e32 v40, 26, v33
	v_cmp_ne_u32_e64 s20, 0, v38
	v_ashrrev_i32_e32 v94, 31, v94
	v_lshlrev_b32_e32 v93, 25, v33
	v_ashrrev_i32_e32 v35, 31, v35
	v_lshlrev_b32_e32 v38, 24, v33
	s_wait_alu 0xf1ff
	v_xor_b32_e32 v34, s20, v34
	v_cmp_gt_i32_e64 s20, 0, v36
	v_not_b32_e32 v36, v37
	v_xor_b32_e32 v94, s21, v94
	v_cmp_gt_i32_e64 s21, 0, v37
	v_and_b32_e32 v34, exec_lo, v34
	v_not_b32_e32 v37, v39
	v_ashrrev_i32_e32 v36, 31, v36
	s_wait_alu 0xf1ff
	v_xor_b32_e32 v35, s20, v35
	v_cmp_gt_i32_e64 s20, 0, v39
	v_and_b32_e32 v34, v34, v94
	v_not_b32_e32 v39, v40
	v_ashrrev_i32_e32 v37, 31, v37
	v_xor_b32_e32 v36, s21, v36
	v_cmp_gt_i32_e64 s21, 0, v40
	v_and_b32_e32 v34, v34, v35
	v_not_b32_e32 v35, v93
	v_ashrrev_i32_e32 v39, 31, v39
	s_wait_alu 0xf1ff
	v_xor_b32_e32 v37, s20, v37
	v_cmp_gt_i32_e64 s20, 0, v93
	v_and_b32_e32 v34, v34, v36
	v_not_b32_e32 v36, v38
	v_ashrrev_i32_e32 v35, 31, v35
	v_xor_b32_e32 v39, s21, v39
	v_cmp_gt_i32_e64 s21, 0, v38
	v_and_b32_e32 v34, v34, v37
	v_ashrrev_i32_e32 v36, 31, v36
	s_wait_alu 0xf1ff
	v_xor_b32_e32 v35, s20, v35
	v_lshl_add_u32 v95, v33, 5, v0
	v_and_b32_e32 v34, v34, v39
	v_xor_b32_e32 v33, s21, v36
	ds_load_b32 v93, v95 offset:32
	v_and_b32_e32 v34, v34, v35
	; wave barrier
	s_delay_alu instid0(VALU_DEP_1) | instskip(NEXT) | instid1(VALU_DEP_1)
	v_and_b32_e32 v33, v34, v33
	v_mbcnt_lo_u32_b32 v94, v33, 0
	v_cmp_ne_u32_e64 s21, 0, v33
	s_delay_alu instid0(VALU_DEP_2)
	v_cmp_eq_u32_e64 s20, 0, v94
	s_and_b32 s21, s21, s20
	s_wait_alu 0xfffe
	s_and_saveexec_b32 s20, s21
	s_cbranch_execz .LBB231_64
; %bb.63:
	s_wait_dscnt 0x0
	v_bcnt_u32_b32 v33, v33, v93
	ds_store_b32 v95, v33 offset:32
.LBB231_64:
	s_wait_alu 0xfffe
	s_or_b32 exec_lo, exec_lo, s20
	v_lshrrev_b16 v33, 8, v78
	v_cmp_ne_u16_e64 s20, 0x7fff, v78
	; wave barrier
	s_wait_alu 0xf1ff
	s_delay_alu instid0(VALU_DEP_1) | instskip(NEXT) | instid1(VALU_DEP_1)
	v_cndmask_b32_e64 v33, 0x80, v33, s20
	v_and_b32_e32 v33, s23, v33
	s_delay_alu instid0(VALU_DEP_1)
	v_and_b32_e32 v34, 1, v33
	v_lshlrev_b32_e32 v35, 30, v33
	v_lshlrev_b32_e32 v36, 29, v33
	;; [unrolled: 1-line block ×4, first 2 shown]
	v_add_co_u32 v34, s20, v34, -1
	s_wait_alu 0xf1ff
	v_cndmask_b32_e64 v38, 0, 1, s20
	v_not_b32_e32 v97, v35
	v_cmp_gt_i32_e64 s21, 0, v35
	v_not_b32_e32 v35, v36
	v_lshlrev_b32_e32 v40, 26, v33
	v_cmp_ne_u32_e64 s20, 0, v38
	v_ashrrev_i32_e32 v97, 31, v97
	v_lshlrev_b32_e32 v96, 25, v33
	v_ashrrev_i32_e32 v35, 31, v35
	v_lshlrev_b32_e32 v38, 24, v33
	s_wait_alu 0xf1ff
	v_xor_b32_e32 v34, s20, v34
	v_cmp_gt_i32_e64 s20, 0, v36
	v_not_b32_e32 v36, v37
	v_xor_b32_e32 v97, s21, v97
	v_cmp_gt_i32_e64 s21, 0, v37
	v_and_b32_e32 v34, exec_lo, v34
	v_not_b32_e32 v37, v39
	v_ashrrev_i32_e32 v36, 31, v36
	s_wait_alu 0xf1ff
	v_xor_b32_e32 v35, s20, v35
	v_cmp_gt_i32_e64 s20, 0, v39
	v_and_b32_e32 v34, v34, v97
	v_not_b32_e32 v39, v40
	v_ashrrev_i32_e32 v37, 31, v37
	v_xor_b32_e32 v36, s21, v36
	v_cmp_gt_i32_e64 s21, 0, v40
	v_and_b32_e32 v34, v34, v35
	v_not_b32_e32 v35, v96
	v_ashrrev_i32_e32 v39, 31, v39
	s_wait_alu 0xf1ff
	v_xor_b32_e32 v37, s20, v37
	v_cmp_gt_i32_e64 s20, 0, v96
	v_and_b32_e32 v34, v34, v36
	v_not_b32_e32 v36, v38
	v_ashrrev_i32_e32 v35, 31, v35
	v_xor_b32_e32 v39, s21, v39
	v_cmp_gt_i32_e64 s21, 0, v38
	v_and_b32_e32 v34, v34, v37
	v_ashrrev_i32_e32 v36, 31, v36
	s_wait_alu 0xf1ff
	v_xor_b32_e32 v35, s20, v35
	v_lshl_add_u32 v98, v33, 5, v0
	v_and_b32_e32 v34, v34, v39
	v_xor_b32_e32 v33, s21, v36
	ds_load_b32 v96, v98 offset:32
	v_and_b32_e32 v34, v34, v35
	; wave barrier
	s_delay_alu instid0(VALU_DEP_1) | instskip(NEXT) | instid1(VALU_DEP_1)
	v_and_b32_e32 v33, v34, v33
	v_mbcnt_lo_u32_b32 v97, v33, 0
	v_cmp_ne_u32_e64 s21, 0, v33
	s_delay_alu instid0(VALU_DEP_2)
	v_cmp_eq_u32_e64 s20, 0, v97
	s_and_b32 s21, s21, s20
	s_wait_alu 0xfffe
	s_and_saveexec_b32 s20, s21
	s_cbranch_execz .LBB231_66
; %bb.65:
	s_wait_dscnt 0x0
	v_bcnt_u32_b32 v33, v33, v96
	ds_store_b32 v98, v33 offset:32
.LBB231_66:
	s_wait_alu 0xfffe
	s_or_b32 exec_lo, exec_lo, s20
	v_lshrrev_b16 v33, 8, v79
	v_cmp_ne_u16_e64 s20, 0x7fff, v79
	; wave barrier
	s_wait_alu 0xf1ff
	s_delay_alu instid0(VALU_DEP_1) | instskip(NEXT) | instid1(VALU_DEP_1)
	v_cndmask_b32_e64 v33, 0x80, v33, s20
	v_and_b32_e32 v33, s23, v33
	s_delay_alu instid0(VALU_DEP_1)
	v_and_b32_e32 v34, 1, v33
	v_lshlrev_b32_e32 v35, 30, v33
	v_lshlrev_b32_e32 v36, 29, v33
	;; [unrolled: 1-line block ×4, first 2 shown]
	v_add_co_u32 v34, s20, v34, -1
	s_wait_alu 0xf1ff
	v_cndmask_b32_e64 v38, 0, 1, s20
	v_not_b32_e32 v100, v35
	v_cmp_gt_i32_e64 s21, 0, v35
	v_not_b32_e32 v35, v36
	v_lshlrev_b32_e32 v40, 26, v33
	v_cmp_ne_u32_e64 s20, 0, v38
	v_ashrrev_i32_e32 v100, 31, v100
	v_lshlrev_b32_e32 v99, 25, v33
	v_ashrrev_i32_e32 v35, 31, v35
	v_lshlrev_b32_e32 v38, 24, v33
	s_wait_alu 0xf1ff
	v_xor_b32_e32 v34, s20, v34
	v_cmp_gt_i32_e64 s20, 0, v36
	v_not_b32_e32 v36, v37
	v_xor_b32_e32 v100, s21, v100
	v_cmp_gt_i32_e64 s21, 0, v37
	v_and_b32_e32 v34, exec_lo, v34
	v_not_b32_e32 v37, v39
	v_ashrrev_i32_e32 v36, 31, v36
	s_wait_alu 0xf1ff
	v_xor_b32_e32 v35, s20, v35
	v_cmp_gt_i32_e64 s20, 0, v39
	v_and_b32_e32 v34, v34, v100
	v_not_b32_e32 v39, v40
	v_ashrrev_i32_e32 v37, 31, v37
	v_xor_b32_e32 v36, s21, v36
	v_cmp_gt_i32_e64 s21, 0, v40
	v_and_b32_e32 v34, v34, v35
	v_not_b32_e32 v35, v99
	v_ashrrev_i32_e32 v39, 31, v39
	s_wait_alu 0xf1ff
	v_xor_b32_e32 v37, s20, v37
	v_cmp_gt_i32_e64 s20, 0, v99
	v_and_b32_e32 v34, v34, v36
	v_not_b32_e32 v36, v38
	v_ashrrev_i32_e32 v35, 31, v35
	v_xor_b32_e32 v39, s21, v39
	v_cmp_gt_i32_e64 s21, 0, v38
	v_and_b32_e32 v34, v34, v37
	v_ashrrev_i32_e32 v36, 31, v36
	s_wait_alu 0xf1ff
	v_xor_b32_e32 v35, s20, v35
	v_lshl_add_u32 v101, v33, 5, v0
	v_and_b32_e32 v34, v34, v39
	v_xor_b32_e32 v33, s21, v36
	ds_load_b32 v99, v101 offset:32
	v_and_b32_e32 v34, v34, v35
	; wave barrier
	s_delay_alu instid0(VALU_DEP_1) | instskip(NEXT) | instid1(VALU_DEP_1)
	v_and_b32_e32 v33, v34, v33
	v_mbcnt_lo_u32_b32 v100, v33, 0
	v_cmp_ne_u32_e64 s21, 0, v33
	s_delay_alu instid0(VALU_DEP_2)
	v_cmp_eq_u32_e64 s20, 0, v100
	s_and_b32 s21, s21, s20
	s_wait_alu 0xfffe
	s_and_saveexec_b32 s20, s21
	s_cbranch_execz .LBB231_68
; %bb.67:
	s_wait_dscnt 0x0
	v_bcnt_u32_b32 v33, v33, v99
	ds_store_b32 v101, v33 offset:32
.LBB231_68:
	s_wait_alu 0xfffe
	s_or_b32 exec_lo, exec_lo, s20
	v_lshrrev_b16 v33, 8, v80
	v_cmp_ne_u16_e64 s20, 0x7fff, v80
	; wave barrier
	s_wait_alu 0xf1ff
	s_delay_alu instid0(VALU_DEP_1) | instskip(NEXT) | instid1(VALU_DEP_1)
	v_cndmask_b32_e64 v33, 0x80, v33, s20
	v_and_b32_e32 v33, s23, v33
	s_delay_alu instid0(VALU_DEP_1)
	v_and_b32_e32 v34, 1, v33
	v_lshlrev_b32_e32 v35, 30, v33
	v_lshlrev_b32_e32 v36, 29, v33
	v_lshlrev_b32_e32 v37, 28, v33
	v_lshlrev_b32_e32 v39, 27, v33
	v_add_co_u32 v34, s20, v34, -1
	s_wait_alu 0xf1ff
	v_cndmask_b32_e64 v38, 0, 1, s20
	v_not_b32_e32 v103, v35
	v_cmp_gt_i32_e64 s21, 0, v35
	v_not_b32_e32 v35, v36
	v_lshlrev_b32_e32 v40, 26, v33
	v_cmp_ne_u32_e64 s20, 0, v38
	v_ashrrev_i32_e32 v103, 31, v103
	v_lshlrev_b32_e32 v102, 25, v33
	v_ashrrev_i32_e32 v35, 31, v35
	v_lshlrev_b32_e32 v38, 24, v33
	s_wait_alu 0xf1ff
	v_xor_b32_e32 v34, s20, v34
	v_cmp_gt_i32_e64 s20, 0, v36
	v_not_b32_e32 v36, v37
	v_xor_b32_e32 v103, s21, v103
	v_cmp_gt_i32_e64 s21, 0, v37
	v_and_b32_e32 v34, exec_lo, v34
	v_not_b32_e32 v37, v39
	v_ashrrev_i32_e32 v36, 31, v36
	s_wait_alu 0xf1ff
	v_xor_b32_e32 v35, s20, v35
	v_cmp_gt_i32_e64 s20, 0, v39
	v_and_b32_e32 v34, v34, v103
	v_not_b32_e32 v39, v40
	v_ashrrev_i32_e32 v37, 31, v37
	v_xor_b32_e32 v36, s21, v36
	v_cmp_gt_i32_e64 s21, 0, v40
	v_and_b32_e32 v34, v34, v35
	v_not_b32_e32 v35, v102
	v_ashrrev_i32_e32 v39, 31, v39
	s_wait_alu 0xf1ff
	v_xor_b32_e32 v37, s20, v37
	v_cmp_gt_i32_e64 s20, 0, v102
	v_and_b32_e32 v34, v34, v36
	v_not_b32_e32 v36, v38
	v_ashrrev_i32_e32 v35, 31, v35
	v_xor_b32_e32 v39, s21, v39
	v_cmp_gt_i32_e64 s21, 0, v38
	v_and_b32_e32 v34, v34, v37
	v_ashrrev_i32_e32 v36, 31, v36
	s_wait_alu 0xf1ff
	v_xor_b32_e32 v35, s20, v35
	v_lshl_add_u32 v104, v33, 5, v0
	v_and_b32_e32 v34, v34, v39
	v_xor_b32_e32 v33, s21, v36
	ds_load_b32 v102, v104 offset:32
	v_and_b32_e32 v34, v34, v35
	; wave barrier
	s_delay_alu instid0(VALU_DEP_1) | instskip(NEXT) | instid1(VALU_DEP_1)
	v_and_b32_e32 v33, v34, v33
	v_mbcnt_lo_u32_b32 v103, v33, 0
	v_cmp_ne_u32_e64 s21, 0, v33
	s_delay_alu instid0(VALU_DEP_2)
	v_cmp_eq_u32_e64 s20, 0, v103
	s_and_b32 s21, s21, s20
	s_wait_alu 0xfffe
	s_and_saveexec_b32 s20, s21
	s_cbranch_execz .LBB231_70
; %bb.69:
	s_wait_dscnt 0x0
	v_bcnt_u32_b32 v33, v33, v102
	ds_store_b32 v104, v33 offset:32
.LBB231_70:
	s_wait_alu 0xfffe
	s_or_b32 exec_lo, exec_lo, s20
	v_lshrrev_b16 v33, 8, v73
	v_cmp_ne_u16_e64 s20, 0x7fff, v73
	; wave barrier
	s_wait_alu 0xf1ff
	s_delay_alu instid0(VALU_DEP_1) | instskip(NEXT) | instid1(VALU_DEP_1)
	v_cndmask_b32_e64 v33, 0x80, v33, s20
	v_and_b32_e32 v33, s23, v33
	s_delay_alu instid0(VALU_DEP_1)
	v_and_b32_e32 v34, 1, v33
	v_lshlrev_b32_e32 v35, 30, v33
	v_lshlrev_b32_e32 v36, 29, v33
	;; [unrolled: 1-line block ×4, first 2 shown]
	v_add_co_u32 v34, s20, v34, -1
	s_wait_alu 0xf1ff
	v_cndmask_b32_e64 v38, 0, 1, s20
	v_not_b32_e32 v106, v35
	v_cmp_gt_i32_e64 s21, 0, v35
	v_not_b32_e32 v35, v36
	v_lshlrev_b32_e32 v40, 26, v33
	v_cmp_ne_u32_e64 s20, 0, v38
	v_ashrrev_i32_e32 v106, 31, v106
	v_lshlrev_b32_e32 v105, 25, v33
	v_ashrrev_i32_e32 v35, 31, v35
	v_lshlrev_b32_e32 v38, 24, v33
	s_wait_alu 0xf1ff
	v_xor_b32_e32 v34, s20, v34
	v_cmp_gt_i32_e64 s20, 0, v36
	v_not_b32_e32 v36, v37
	v_xor_b32_e32 v106, s21, v106
	v_cmp_gt_i32_e64 s21, 0, v37
	v_and_b32_e32 v34, exec_lo, v34
	v_not_b32_e32 v37, v39
	v_ashrrev_i32_e32 v36, 31, v36
	s_wait_alu 0xf1ff
	v_xor_b32_e32 v35, s20, v35
	v_cmp_gt_i32_e64 s20, 0, v39
	v_and_b32_e32 v34, v34, v106
	v_not_b32_e32 v39, v40
	v_ashrrev_i32_e32 v37, 31, v37
	v_xor_b32_e32 v36, s21, v36
	v_cmp_gt_i32_e64 s21, 0, v40
	v_and_b32_e32 v34, v34, v35
	v_not_b32_e32 v35, v105
	v_ashrrev_i32_e32 v39, 31, v39
	s_wait_alu 0xf1ff
	v_xor_b32_e32 v37, s20, v37
	v_cmp_gt_i32_e64 s20, 0, v105
	v_and_b32_e32 v34, v34, v36
	v_not_b32_e32 v36, v38
	v_ashrrev_i32_e32 v35, 31, v35
	v_xor_b32_e32 v39, s21, v39
	v_cmp_gt_i32_e64 s21, 0, v38
	v_and_b32_e32 v34, v34, v37
	v_ashrrev_i32_e32 v36, 31, v36
	s_wait_alu 0xf1ff
	v_xor_b32_e32 v35, s20, v35
	v_lshl_add_u32 v106, v33, 5, v0
	v_and_b32_e32 v34, v34, v39
	v_xor_b32_e32 v33, s21, v36
	ds_load_b32 v0, v106 offset:32
	v_and_b32_e32 v34, v34, v35
	; wave barrier
	s_delay_alu instid0(VALU_DEP_1) | instskip(NEXT) | instid1(VALU_DEP_1)
	v_and_b32_e32 v33, v34, v33
	v_mbcnt_lo_u32_b32 v105, v33, 0
	v_cmp_ne_u32_e64 s21, 0, v33
	s_delay_alu instid0(VALU_DEP_2)
	v_cmp_eq_u32_e64 s20, 0, v105
	s_and_b32 s21, s21, s20
	s_wait_alu 0xfffe
	s_and_saveexec_b32 s20, s21
	s_cbranch_execz .LBB231_72
; %bb.71:
	s_wait_dscnt 0x0
	v_bcnt_u32_b32 v33, v33, v0
	ds_store_b32 v106, v33 offset:32
.LBB231_72:
	s_wait_alu 0xfffe
	s_or_b32 exec_lo, exec_lo, s20
	; wave barrier
	s_wait_loadcnt_dscnt 0x0
	s_barrier_signal -1
	s_barrier_wait -1
	global_inv scope:SCOPE_SE
	ds_load_b128 v[37:40], v67 offset:32
	ds_load_b128 v[33:36], v67 offset:48
	s_wait_dscnt 0x1
	v_add_nc_u32_e32 v107, v38, v37
	s_delay_alu instid0(VALU_DEP_1) | instskip(SKIP_1) | instid1(VALU_DEP_1)
	v_add3_u32 v107, v107, v39, v40
	s_wait_dscnt 0x0
	v_add3_u32 v107, v107, v33, v34
	s_delay_alu instid0(VALU_DEP_1) | instskip(NEXT) | instid1(VALU_DEP_1)
	v_add3_u32 v36, v107, v35, v36
	v_mov_b32_dpp v107, v36 row_shr:1 row_mask:0xf bank_mask:0xf
	s_delay_alu instid0(VALU_DEP_1) | instskip(NEXT) | instid1(VALU_DEP_1)
	v_cndmask_b32_e64 v107, v107, 0, s9
	v_add_nc_u32_e32 v36, v107, v36
	s_delay_alu instid0(VALU_DEP_1) | instskip(NEXT) | instid1(VALU_DEP_1)
	v_mov_b32_dpp v107, v36 row_shr:2 row_mask:0xf bank_mask:0xf
	v_cndmask_b32_e64 v107, 0, v107, s11
	s_delay_alu instid0(VALU_DEP_1) | instskip(NEXT) | instid1(VALU_DEP_1)
	v_add_nc_u32_e32 v36, v36, v107
	v_mov_b32_dpp v107, v36 row_shr:4 row_mask:0xf bank_mask:0xf
	s_delay_alu instid0(VALU_DEP_1) | instskip(NEXT) | instid1(VALU_DEP_1)
	v_cndmask_b32_e64 v107, 0, v107, s12
	v_add_nc_u32_e32 v36, v36, v107
	s_delay_alu instid0(VALU_DEP_1) | instskip(NEXT) | instid1(VALU_DEP_1)
	v_mov_b32_dpp v107, v36 row_shr:8 row_mask:0xf bank_mask:0xf
	v_cndmask_b32_e64 v107, 0, v107, s14
	s_delay_alu instid0(VALU_DEP_1) | instskip(SKIP_3) | instid1(VALU_DEP_1)
	v_add_nc_u32_e32 v36, v36, v107
	ds_swizzle_b32 v107, v36 offset:swizzle(BROADCAST,32,15)
	s_wait_dscnt 0x0
	v_cndmask_b32_e64 v107, v107, 0, s17
	v_add_nc_u32_e32 v36, v36, v107
	s_and_saveexec_b32 s9, s15
; %bb.73:
	ds_store_b32 v83, v36
; %bb.74:
	s_wait_alu 0xfffe
	s_or_b32 exec_lo, exec_lo, s9
	s_wait_loadcnt_dscnt 0x0
	s_barrier_signal -1
	s_barrier_wait -1
	global_inv scope:SCOPE_SE
	s_and_saveexec_b32 s9, s16
	s_cbranch_execz .LBB231_76
; %bb.75:
	ds_load_b32 v83, v82
	s_wait_dscnt 0x0
	v_mov_b32_dpp v107, v83 row_shr:1 row_mask:0xf bank_mask:0xf
	s_delay_alu instid0(VALU_DEP_1) | instskip(NEXT) | instid1(VALU_DEP_1)
	v_cndmask_b32_e64 v107, v107, 0, s13
	v_add_nc_u32_e32 v83, v107, v83
	s_delay_alu instid0(VALU_DEP_1) | instskip(NEXT) | instid1(VALU_DEP_1)
	v_mov_b32_dpp v107, v83 row_shr:2 row_mask:0xf bank_mask:0xf
	v_cndmask_b32_e64 v107, 0, v107, s10
	s_delay_alu instid0(VALU_DEP_1) | instskip(NEXT) | instid1(VALU_DEP_1)
	v_add_nc_u32_e32 v83, v83, v107
	v_mov_b32_dpp v107, v83 row_shr:4 row_mask:0xf bank_mask:0xf
	s_wait_alu 0xfffd
	s_delay_alu instid0(VALU_DEP_1) | instskip(NEXT) | instid1(VALU_DEP_1)
	v_cndmask_b32_e32 v107, 0, v107, vcc_lo
	v_add_nc_u32_e32 v83, v83, v107
	ds_store_b32 v82, v83
.LBB231_76:
	s_wait_alu 0xfffe
	s_or_b32 exec_lo, exec_lo, s9
	v_mov_b32_e32 v82, 0
	s_wait_loadcnt_dscnt 0x0
	s_barrier_signal -1
	s_barrier_wait -1
	global_inv scope:SCOPE_SE
	s_and_saveexec_b32 s9, s18
; %bb.77:
	ds_load_b32 v82, v84
; %bb.78:
	s_wait_alu 0xfffe
	s_or_b32 exec_lo, exec_lo, s9
	s_wait_dscnt 0x0
	v_add_nc_u32_e32 v36, v82, v36
	ds_bpermute_b32 v36, v85, v36
	s_wait_dscnt 0x0
	v_cndmask_b32_e64 v36, v36, v82, s1
	s_delay_alu instid0(VALU_DEP_1) | instskip(NEXT) | instid1(VALU_DEP_1)
	v_cndmask_b32_e64 v36, v36, 0, s19
	v_add_nc_u32_e32 v37, v36, v37
	s_delay_alu instid0(VALU_DEP_1) | instskip(NEXT) | instid1(VALU_DEP_1)
	v_add_nc_u32_e32 v38, v37, v38
	v_add_nc_u32_e32 v39, v38, v39
	s_delay_alu instid0(VALU_DEP_1) | instskip(NEXT) | instid1(VALU_DEP_1)
	v_add_nc_u32_e32 v82, v39, v40
	;; [unrolled: 3-line block ×3, first 2 shown]
	v_add_nc_u32_e32 v85, v84, v35
	ds_store_b128 v67, v[36:39] offset:32
	ds_store_b128 v67, v[82:85] offset:48
	s_wait_loadcnt_dscnt 0x0
	s_barrier_signal -1
	s_barrier_wait -1
	global_inv scope:SCOPE_SE
	ds_load_b32 v33, v106 offset:32
	ds_load_b32 v34, v104 offset:32
	;; [unrolled: 1-line block ×8, first 2 shown]
	v_lshlrev_b32_e32 v82, 1, v66
	s_wait_loadcnt_dscnt 0x0
	s_barrier_signal -1
	s_barrier_wait -1
	global_inv scope:SCOPE_SE
	v_mad_u32_u24 v83, v46, 48, v82
	v_add3_u32 v84, v105, v0, v33
	v_add3_u32 v85, v103, v102, v34
	;; [unrolled: 1-line block ×3, first 2 shown]
	v_add_nc_u32_e32 v81, v36, v81
	v_add3_u32 v87, v88, v87, v37
	v_add3_u32 v88, v91, v90, v38
	;; [unrolled: 1-line block ×4, first 2 shown]
	v_lshlrev_b32_e32 v0, 1, v81
	v_lshlrev_b32_e32 v33, 1, v87
	;; [unrolled: 1-line block ×8, first 2 shown]
	ds_store_b16 v0, v74
	ds_store_b16 v33, v75
	;; [unrolled: 1-line block ×8, first 2 shown]
	v_mad_co_u64_u32 v[73:74], null, v81, 6, v[0:1]
	v_mad_co_u64_u32 v[74:75], null, v87, 6, v[33:34]
	;; [unrolled: 1-line block ×4, first 2 shown]
	s_wait_loadcnt_dscnt 0x0
	s_barrier_signal -1
	s_barrier_wait -1
	global_inv scope:SCOPE_SE
	v_mad_co_u64_u32 v[77:78], null, v40, 6, v[36:37]
	ds_load_b128 v[33:36], v82
	v_mad_co_u64_u32 v[78:79], null, v86, 6, v[37:38]
	v_mad_co_u64_u32 v[37:38], null, v85, 6, v[38:39]
	v_mad_co_u64_u32 v[38:39], null, v84, 6, v[39:40]
	s_wait_loadcnt_dscnt 0x0
	s_barrier_signal -1
	s_barrier_wait -1
	global_inv scope:SCOPE_SE
	ds_store_b64 v73, v[21:22]
	ds_store_b64 v74, v[23:24]
	;; [unrolled: 1-line block ×8, first 2 shown]
	s_wait_loadcnt_dscnt 0x0
	s_barrier_signal -1
	s_barrier_wait -1
	global_inv scope:SCOPE_SE
	ds_load_b128 v[29:32], v83
	ds_load_b128 v[25:28], v83 offset:16
	ds_load_b128 v[21:24], v83 offset:32
	;; [unrolled: 1-line block ×3, first 2 shown]
	v_cmp_lt_i16_e32 vcc_lo, -1, v33
	v_lshrrev_b32_e32 v0, 16, v33
	v_lshrrev_b32_e32 v38, 16, v34
	;; [unrolled: 1-line block ×4, first 2 shown]
	s_wait_alu 0xfffd
	v_cndmask_b32_e64 v37, 0xffff8000, -1, vcc_lo
	v_cmp_lt_i16_e32 vcc_lo, -1, v34
	s_wait_alu 0xfffd
	v_cndmask_b32_e64 v39, 0xffff8000, -1, vcc_lo
	v_cmp_lt_i16_e32 vcc_lo, -1, v35
	;; [unrolled: 3-line block ×5, first 2 shown]
	s_delay_alu instid0(VALU_DEP_2) | instskip(SKIP_3) | instid1(VALU_DEP_3)
	v_perm_b32 v0, v0, v37, 0x5040100
	s_wait_alu 0xfffd
	v_cndmask_b32_e64 v38, 0xffff8000, -1, vcc_lo
	v_cmp_lt_i16_e32 vcc_lo, -1, v40
	v_xor_b32_e32 v0, v0, v33
	s_delay_alu instid0(VALU_DEP_3) | instskip(SKIP_3) | instid1(VALU_DEP_3)
	v_perm_b32 v37, v38, v39, 0x5040100
	s_wait_alu 0xfffd
	v_cndmask_b32_e64 v40, 0xffff8000, -1, vcc_lo
	v_cmp_lt_i16_e32 vcc_lo, -1, v74
	v_xor_b32_e32 v34, v37, v34
	s_delay_alu instid0(VALU_DEP_3) | instskip(SKIP_2) | instid1(VALU_DEP_2)
	v_perm_b32 v38, v40, v73, 0x5040100
	s_wait_alu 0xfffd
	v_cndmask_b32_e64 v74, 0xffff8000, -1, vcc_lo
	v_xor_b32_e32 v33, v38, v35
	s_delay_alu instid0(VALU_DEP_2) | instskip(NEXT) | instid1(VALU_DEP_1)
	v_perm_b32 v39, v74, v75, 0x5040100
	v_xor_b32_e32 v35, v39, v36
	s_branch .LBB231_131
.LBB231_79:
	v_lshlrev_b64_e32 v[1:2], 3, v[41:42]
	v_dual_mov_b32 v43, v42 :: v_dual_mov_b32 v10, v42
	v_dual_mov_b32 v9, v42 :: v_dual_mov_b32 v12, v42
	v_mov_b32_e32 v11, v42
	s_delay_alu instid0(VALU_DEP_4)
	v_add_co_u32 v1, vcc_lo, s34, v1
	s_wait_alu 0xfffd
	v_add_co_ci_u32_e64 v2, null, s35, v2, vcc_lo
	v_dual_mov_b32 v3, v42 :: v_dual_mov_b32 v6, v42
	v_dual_mov_b32 v5, v42 :: v_dual_mov_b32 v8, v42
	global_load_b64 v[13:14], v[1:2], off
	v_dual_mov_b32 v1, v42 :: v_dual_mov_b32 v4, v42
	v_dual_mov_b32 v2, v42 :: v_dual_mov_b32 v7, v42
	s_or_b32 exec_lo, exec_lo, s1
	s_and_saveexec_b32 s1, s3
	s_cbranch_execz .LBB231_25
.LBB231_80:
	v_mul_lo_u32 v22, s28, v15
	v_mov_b32_e32 v23, 0
	s_delay_alu instid0(VALU_DEP_1) | instskip(NEXT) | instid1(VALU_DEP_1)
	v_lshlrev_b64_e32 v[22:23], 3, v[22:23]
	v_add_co_u32 v22, vcc_lo, s34, v22
	s_wait_alu 0xfffd
	s_delay_alu instid0(VALU_DEP_2)
	v_add_co_ci_u32_e64 v23, null, s35, v23, vcc_lo
	global_load_b64 v[42:43], v[22:23], off
	s_or_b32 exec_lo, exec_lo, s1
	s_and_saveexec_b32 s1, s4
	s_cbranch_execz .LBB231_26
.LBB231_81:
	v_mul_lo_u32 v9, s28, v16
	v_mov_b32_e32 v10, 0
	s_delay_alu instid0(VALU_DEP_1) | instskip(NEXT) | instid1(VALU_DEP_1)
	v_lshlrev_b64_e32 v[9:10], 3, v[9:10]
	v_add_co_u32 v9, vcc_lo, s34, v9
	s_wait_alu 0xfffd
	s_delay_alu instid0(VALU_DEP_2)
	v_add_co_ci_u32_e64 v10, null, s35, v10, vcc_lo
	global_load_b64 v[9:10], v[9:10], off
	s_or_b32 exec_lo, exec_lo, s1
	s_and_saveexec_b32 s1, s5
	s_cbranch_execz .LBB231_27
.LBB231_82:
	v_mul_lo_u32 v11, s28, v17
	v_mov_b32_e32 v12, 0
	s_delay_alu instid0(VALU_DEP_1) | instskip(NEXT) | instid1(VALU_DEP_1)
	v_lshlrev_b64_e32 v[11:12], 3, v[11:12]
	v_add_co_u32 v11, vcc_lo, s34, v11
	s_wait_alu 0xfffd
	s_delay_alu instid0(VALU_DEP_2)
	v_add_co_ci_u32_e64 v12, null, s35, v12, vcc_lo
	global_load_b64 v[11:12], v[11:12], off
	s_or_b32 exec_lo, exec_lo, s1
	s_and_saveexec_b32 s1, s6
	s_cbranch_execz .LBB231_28
.LBB231_83:
	v_mul_lo_u32 v1, s28, v18
	v_mov_b32_e32 v2, 0
	s_delay_alu instid0(VALU_DEP_1) | instskip(NEXT) | instid1(VALU_DEP_1)
	v_lshlrev_b64_e32 v[1:2], 3, v[1:2]
	v_add_co_u32 v1, vcc_lo, s34, v1
	s_wait_alu 0xfffd
	s_delay_alu instid0(VALU_DEP_2)
	v_add_co_ci_u32_e64 v2, null, s35, v2, vcc_lo
	global_load_b64 v[1:2], v[1:2], off
	s_or_b32 exec_lo, exec_lo, s1
	s_and_saveexec_b32 s1, s7
	s_cbranch_execz .LBB231_29
.LBB231_84:
	v_mul_lo_u32 v3, s28, v19
	v_mov_b32_e32 v4, 0
	s_delay_alu instid0(VALU_DEP_1) | instskip(NEXT) | instid1(VALU_DEP_1)
	v_lshlrev_b64_e32 v[3:4], 3, v[3:4]
	v_add_co_u32 v3, vcc_lo, s34, v3
	s_wait_alu 0xfffd
	s_delay_alu instid0(VALU_DEP_2)
	v_add_co_ci_u32_e64 v4, null, s35, v4, vcc_lo
	global_load_b64 v[3:4], v[3:4], off
	s_or_b32 exec_lo, exec_lo, s1
	s_and_saveexec_b32 s1, s8
	s_cbranch_execnz .LBB231_30
	s_branch .LBB231_31
.LBB231_85:
                                        ; implicit-def: $vgpr19_vgpr20
                                        ; implicit-def: $vgpr23_vgpr24
                                        ; implicit-def: $vgpr27_vgpr28
                                        ; implicit-def: $vgpr31_vgpr32
                                        ; implicit-def: $vgpr35
                                        ; implicit-def: $vgpr33
                                        ; implicit-def: $vgpr34
                                        ; implicit-def: $vgpr0
	s_cbranch_execz .LBB231_131
; %bb.86:
	v_lshrrev_b32_e32 v0, 16, v49
	v_cmp_gt_i16_e32 vcc_lo, 0, v49
	s_wait_dscnt 0x0
	v_lshrrev_b32_e32 v17, 16, v50
	v_lshrrev_b32_e32 v18, 16, v47
	v_lshrrev_b32_e32 v19, 16, v48
	v_or_b32_e32 v21, v69, v70
	s_wait_alu 0xfffd
	v_cndmask_b32_e64 v20, 0x7fff, 0, vcc_lo
	v_cmp_gt_i16_e32 vcc_lo, 0, v0
	v_and_or_b32 v36, 0x1f00, v66, v69
	s_mov_b32 s12, 0
	s_getpc_b64 s[10:11]
	s_wait_alu 0xfffe
	s_sext_i32_i16 s11, s11
	s_add_co_u32 s10, s10, _ZN7rocprim17ROCPRIM_400000_NS16block_radix_sortI6__halfLj256ELj8ElLj1ELj1ELj0ELNS0_26block_radix_rank_algorithmE1ELNS0_18block_padding_hintE2ELNS0_4arch9wavefront6targetE0EE19radix_bits_per_passE@rel32@lo+12
	s_wait_alu 0xfffe
	s_add_co_ci_u32 s11, s11, _ZN7rocprim17ROCPRIM_400000_NS16block_radix_sortI6__halfLj256ELj8ElLj1ELj1ELj0ELNS0_26block_radix_rank_algorithmE1ELNS0_18block_padding_hintE2ELNS0_4arch9wavefront6targetE0EE19radix_bits_per_passE@rel32@hi+24
	s_mov_b32 s13, s12
	s_wait_alu 0xfffd
	v_cndmask_b32_e64 v0, 0x7fff, 0, vcc_lo
	v_cmp_gt_i16_e32 vcc_lo, 0, v50
	s_mov_b32 s14, s12
	s_mov_b32 s15, s12
	v_lshlrev_b32_e32 v25, 1, v36
	v_perm_b32 v0, v0, v20, 0x5040100
	s_wait_alu 0xfffd
	v_cndmask_b32_e64 v22, 0x7fff, 0, vcc_lo
	v_cmp_gt_i16_e32 vcc_lo, 0, v17
	s_load_b32 s20, s[10:11], 0x0
	v_cndmask_b32_e64 v17, 0x7fff, 0, vcc_lo
	v_cmp_gt_i16_e32 vcc_lo, 0, v47
	s_delay_alu instid0(VALU_DEP_2)
	v_perm_b32 v20, v17, v22, 0x5040100
	s_wait_alu 0xfffd
	v_cndmask_b32_e64 v23, 0x7fff, 0, vcc_lo
	v_cmp_gt_i16_e32 vcc_lo, 0, v18
	v_xor_b32_e32 v17, v0, v49
	s_wait_alu 0xfffd
	v_cndmask_b32_e64 v18, 0x7fff, 0, vcc_lo
	v_cmp_gt_i16_e32 vcc_lo, 0, v48
	s_wait_kmcnt 0x0
	s_min_u32 s1, s20, 16
	s_delay_alu instid0(VALU_DEP_2)
	v_perm_b32 v22, v18, v23, 0x5040100
	s_wait_alu 0xfffd
	v_cndmask_b32_e64 v24, 0x7fff, 0, vcc_lo
	v_cmp_gt_i16_e32 vcc_lo, 0, v19
	v_lshlrev_b32_e32 v23, 4, v21
	v_xor_b32_e32 v18, v20, v50
	s_lshl_b32 s1, -1, s1
	s_wait_alu 0xfffd
	v_cndmask_b32_e64 v19, 0x7fff, 0, vcc_lo
	s_not_b32 s9, s1
	s_delay_alu instid0(VALU_DEP_1) | instskip(SKIP_1) | instid1(VALU_DEP_2)
	v_perm_b32 v24, v19, v24, 0x5040100
	v_xor_b32_e32 v19, v22, v47
	v_xor_b32_e32 v20, v24, v48
	ds_store_b128 v23, v[17:20]
	; wave barrier
	ds_load_u16 v26, v25
	ds_load_u16 v27, v25 offset:64
	ds_load_u16 v28, v25 offset:128
	;; [unrolled: 1-line block ×7, first 2 shown]
	s_wait_loadcnt_dscnt 0x0
	s_barrier_signal -1
	s_barrier_wait -1
	global_inv scope:SCOPE_SE
	v_cmp_ne_u16_e32 vcc_lo, 0x8000, v26
	s_wait_alu 0xfffd
	v_cndmask_b32_e32 v0, 0x7fff, v26, vcc_lo
	v_mad_u32_u24 v17, v21, 48, v23
	ds_store_b128 v17, v[13:16]
	ds_store_b128 v17, v[9:12] offset:16
	v_and_b32_e32 v0, 0xffff, v0
	ds_store_b128 v17, v[5:8] offset:32
	ds_store_b128 v17, v[1:4] offset:48
	v_mad_u32_u24 v12, v36, 6, v25
	; wave barrier
	s_wait_alu 0xfffe
	v_and_b32_e32 v23, s9, v0
	ds_load_2addr_b64 v[8:11], v12 offset1:32
	ds_load_2addr_b64 v[0:3], v12 offset0:64 offset1:96
	v_and_b32_e32 v4, 1, v23
	v_lshlrev_b32_e32 v18, 30, v23
	v_lshlrev_b32_e32 v19, 29, v23
	;; [unrolled: 1-line block ×3, first 2 shown]
	s_delay_alu instid0(VALU_DEP_4) | instskip(NEXT) | instid1(VALU_DEP_1)
	v_add_co_u32 v16, s1, v4, -1
	v_cndmask_b32_e64 v17, 0, 1, s1
	ds_load_2addr_b64 v[4:7], v12 offset0:128 offset1:160
	ds_load_2addr_b64 v[12:15], v12 offset0:192 offset1:224
	s_wait_loadcnt_dscnt 0x0
	s_barrier_signal -1
	v_cmp_ne_u32_e32 vcc_lo, 0, v17
	v_not_b32_e32 v17, v18
	s_barrier_wait -1
	global_inv scope:SCOPE_SE
	s_load_b32 s1, s[36:37], 0xc
	v_xor_b32_e32 v16, vcc_lo, v16
	v_cmp_gt_i32_e32 vcc_lo, 0, v18
	v_ashrrev_i32_e32 v17, 31, v17
	v_not_b32_e32 v18, v19
	s_delay_alu instid0(VALU_DEP_4) | instskip(SKIP_1) | instid1(VALU_DEP_3)
	v_and_b32_e32 v16, exec_lo, v16
	s_wait_alu 0xfffd
	v_xor_b32_e32 v17, vcc_lo, v17
	v_cmp_gt_i32_e32 vcc_lo, 0, v19
	v_ashrrev_i32_e32 v18, 31, v18
	v_not_b32_e32 v19, v20
	s_delay_alu instid0(VALU_DEP_4)
	v_and_b32_e32 v16, v16, v17
	v_lshlrev_b32_e32 v17, 27, v23
	s_wait_alu 0xfffd
	v_xor_b32_e32 v18, vcc_lo, v18
	v_cmp_gt_i32_e32 vcc_lo, 0, v20
	v_ashrrev_i32_e32 v19, 31, v19
	v_not_b32_e32 v20, v17
	s_delay_alu instid0(VALU_DEP_4)
	v_and_b32_e32 v16, v16, v18
	v_lshlrev_b32_e32 v18, 26, v23
	s_wait_alu 0xfffd
	v_xor_b32_e32 v19, vcc_lo, v19
	v_cmp_gt_i32_e32 vcc_lo, 0, v17
	v_ashrrev_i32_e32 v17, 31, v20
	s_wait_kmcnt 0x0
	s_lshr_b32 s10, s1, 16
	v_not_b32_e32 v20, v18
	v_and_b32_e32 v16, v16, v19
	v_lshlrev_b32_e32 v19, 25, v23
	s_wait_alu 0xfffd
	v_xor_b32_e32 v17, vcc_lo, v17
	v_cmp_gt_i32_e32 vcc_lo, 0, v18
	v_ashrrev_i32_e32 v18, 31, v20
	s_wait_alu 0xfffe
	v_mad_u32_u24 v21, v72, s10, v71
	v_not_b32_e32 v20, v19
	v_and_b32_e32 v16, v16, v17
	v_lshlrev_b32_e32 v17, 24, v23
	s_wait_alu 0xfffd
	v_xor_b32_e32 v18, vcc_lo, v18
	v_cmp_gt_i32_e32 vcc_lo, 0, v19
	v_ashrrev_i32_e32 v19, 31, v20
	s_and_b32 s1, s1, 0xffff
	v_not_b32_e32 v20, v17
	v_and_b32_e32 v16, v16, v18
	s_wait_alu 0xfffe
	v_mad_co_u64_u32 v[21:22], null, v21, s1, v[46:47]
	s_wait_alu 0xfffd
	v_xor_b32_e32 v18, vcc_lo, v19
	v_cmp_gt_i32_e32 vcc_lo, 0, v17
	v_ashrrev_i32_e32 v17, 31, v20
	s_delay_alu instid0(VALU_DEP_3) | instskip(SKIP_2) | instid1(VALU_DEP_3)
	v_and_b32_e32 v16, v16, v18
	v_lshrrev_b32_e32 v21, 5, v21
	s_wait_alu 0xfffd
	v_xor_b32_e32 v22, vcc_lo, v17
	v_dual_mov_b32 v20, s15 :: v_dual_mov_b32 v19, s14
	v_dual_mov_b32 v18, s13 :: v_dual_mov_b32 v17, s12
	s_delay_alu instid0(VALU_DEP_3)
	v_and_b32_e32 v16, v16, v22
	ds_store_b128 v67, v[17:20] offset:32
	ds_store_b128 v67, v[17:20] offset:48
	v_mbcnt_lo_u32_b32 v38, v16, 0
	v_lshlrev_b32_e32 v24, 2, v21
	v_lshlrev_b32_e32 v17, 5, v23
	v_cmp_ne_u32_e64 s1, 0, v16
	s_wait_loadcnt_dscnt 0x0
	v_cmp_eq_u32_e32 vcc_lo, 0, v38
	s_barrier_signal -1
	v_add_nc_u32_e32 v39, v24, v17
	s_barrier_wait -1
	global_inv scope:SCOPE_SE
	s_and_b32 s10, s1, vcc_lo
	; wave barrier
	s_wait_alu 0xfffe
	s_and_saveexec_b32 s1, s10
; %bb.87:
	v_bcnt_u32_b32 v16, v16, 0
	ds_store_b32 v39, v16 offset:32
; %bb.88:
	s_wait_alu 0xfffe
	s_or_b32 exec_lo, exec_lo, s1
	v_cmp_ne_u16_e32 vcc_lo, 0x8000, v27
	; wave barrier
	s_wait_alu 0xfffd
	v_cndmask_b32_e32 v16, 0x7fff, v27, vcc_lo
	s_delay_alu instid0(VALU_DEP_1) | instskip(NEXT) | instid1(VALU_DEP_1)
	v_and_b32_e32 v16, 0xffff, v16
	v_and_b32_e32 v16, s9, v16
	s_delay_alu instid0(VALU_DEP_1)
	v_and_b32_e32 v17, 1, v16
	v_lshlrev_b32_e32 v18, 30, v16
	v_lshlrev_b32_e32 v19, 29, v16
	;; [unrolled: 1-line block ×4, first 2 shown]
	v_add_co_u32 v17, s1, v17, -1
	s_wait_alu 0xf1ff
	v_cndmask_b32_e64 v21, 0, 1, s1
	v_not_b32_e32 v35, v18
	v_cmp_gt_i32_e64 s1, 0, v18
	v_not_b32_e32 v18, v19
	v_lshlrev_b32_e32 v23, 26, v16
	v_cmp_ne_u32_e32 vcc_lo, 0, v21
	v_ashrrev_i32_e32 v35, 31, v35
	v_lshlrev_b32_e32 v34, 25, v16
	v_ashrrev_i32_e32 v18, 31, v18
	v_lshlrev_b32_e32 v21, 24, v16
	s_wait_alu 0xfffd
	v_xor_b32_e32 v17, vcc_lo, v17
	v_cmp_gt_i32_e32 vcc_lo, 0, v19
	v_not_b32_e32 v19, v20
	s_wait_alu 0xf1ff
	v_xor_b32_e32 v35, s1, v35
	v_cmp_gt_i32_e64 s1, 0, v20
	v_and_b32_e32 v17, exec_lo, v17
	v_not_b32_e32 v20, v22
	v_ashrrev_i32_e32 v19, 31, v19
	s_wait_alu 0xfffd
	v_xor_b32_e32 v18, vcc_lo, v18
	v_cmp_gt_i32_e32 vcc_lo, 0, v22
	v_and_b32_e32 v17, v17, v35
	v_not_b32_e32 v22, v23
	v_ashrrev_i32_e32 v20, 31, v20
	s_wait_alu 0xf1ff
	v_xor_b32_e32 v19, s1, v19
	v_cmp_gt_i32_e64 s1, 0, v23
	v_and_b32_e32 v17, v17, v18
	v_not_b32_e32 v18, v34
	v_ashrrev_i32_e32 v22, 31, v22
	s_wait_alu 0xfffd
	v_xor_b32_e32 v20, vcc_lo, v20
	v_cmp_gt_i32_e32 vcc_lo, 0, v34
	v_and_b32_e32 v17, v17, v19
	v_not_b32_e32 v19, v21
	v_ashrrev_i32_e32 v18, 31, v18
	s_wait_alu 0xf1ff
	v_xor_b32_e32 v22, s1, v22
	v_lshlrev_b32_e32 v16, 5, v16
	v_and_b32_e32 v17, v17, v20
	v_cmp_gt_i32_e64 s1, 0, v21
	v_ashrrev_i32_e32 v19, 31, v19
	s_wait_alu 0xfffd
	v_xor_b32_e32 v18, vcc_lo, v18
	v_add_nc_u32_e32 v48, v24, v16
	v_and_b32_e32 v17, v17, v22
	s_wait_alu 0xf1ff
	v_xor_b32_e32 v16, s1, v19
	ds_load_b32 v40, v48 offset:32
	v_and_b32_e32 v17, v17, v18
	; wave barrier
	s_delay_alu instid0(VALU_DEP_1) | instskip(NEXT) | instid1(VALU_DEP_1)
	v_and_b32_e32 v16, v17, v16
	v_mbcnt_lo_u32_b32 v47, v16, 0
	v_cmp_ne_u32_e64 s1, 0, v16
	s_delay_alu instid0(VALU_DEP_2)
	v_cmp_eq_u32_e32 vcc_lo, 0, v47
	s_and_b32 s10, s1, vcc_lo
	s_wait_alu 0xfffe
	s_and_saveexec_b32 s1, s10
	s_cbranch_execz .LBB231_90
; %bb.89:
	s_wait_dscnt 0x0
	v_bcnt_u32_b32 v16, v16, v40
	ds_store_b32 v48, v16 offset:32
.LBB231_90:
	s_wait_alu 0xfffe
	s_or_b32 exec_lo, exec_lo, s1
	v_cmp_ne_u16_e32 vcc_lo, 0x8000, v28
	; wave barrier
	s_wait_alu 0xfffd
	v_cndmask_b32_e32 v16, 0x7fff, v28, vcc_lo
	s_delay_alu instid0(VALU_DEP_1) | instskip(NEXT) | instid1(VALU_DEP_1)
	v_and_b32_e32 v16, 0xffff, v16
	v_and_b32_e32 v16, s9, v16
	s_delay_alu instid0(VALU_DEP_1)
	v_and_b32_e32 v17, 1, v16
	v_lshlrev_b32_e32 v18, 30, v16
	v_lshlrev_b32_e32 v19, 29, v16
	;; [unrolled: 1-line block ×4, first 2 shown]
	v_add_co_u32 v17, s1, v17, -1
	s_wait_alu 0xf1ff
	v_cndmask_b32_e64 v21, 0, 1, s1
	v_not_b32_e32 v35, v18
	v_cmp_gt_i32_e64 s1, 0, v18
	v_not_b32_e32 v18, v19
	v_lshlrev_b32_e32 v23, 26, v16
	v_cmp_ne_u32_e32 vcc_lo, 0, v21
	v_ashrrev_i32_e32 v35, 31, v35
	v_lshlrev_b32_e32 v34, 25, v16
	v_ashrrev_i32_e32 v18, 31, v18
	v_lshlrev_b32_e32 v21, 24, v16
	s_wait_alu 0xfffd
	v_xor_b32_e32 v17, vcc_lo, v17
	v_cmp_gt_i32_e32 vcc_lo, 0, v19
	v_not_b32_e32 v19, v20
	s_wait_alu 0xf1ff
	v_xor_b32_e32 v35, s1, v35
	v_cmp_gt_i32_e64 s1, 0, v20
	v_and_b32_e32 v17, exec_lo, v17
	v_not_b32_e32 v20, v22
	v_ashrrev_i32_e32 v19, 31, v19
	s_wait_alu 0xfffd
	v_xor_b32_e32 v18, vcc_lo, v18
	v_cmp_gt_i32_e32 vcc_lo, 0, v22
	v_and_b32_e32 v17, v17, v35
	v_not_b32_e32 v22, v23
	v_ashrrev_i32_e32 v20, 31, v20
	s_wait_alu 0xf1ff
	v_xor_b32_e32 v19, s1, v19
	v_cmp_gt_i32_e64 s1, 0, v23
	v_and_b32_e32 v17, v17, v18
	v_not_b32_e32 v18, v34
	v_ashrrev_i32_e32 v22, 31, v22
	s_wait_alu 0xfffd
	v_xor_b32_e32 v20, vcc_lo, v20
	v_cmp_gt_i32_e32 vcc_lo, 0, v34
	v_and_b32_e32 v17, v17, v19
	v_not_b32_e32 v19, v21
	v_ashrrev_i32_e32 v18, 31, v18
	s_wait_alu 0xf1ff
	v_xor_b32_e32 v22, s1, v22
	v_lshlrev_b32_e32 v16, 5, v16
	v_and_b32_e32 v17, v17, v20
	v_cmp_gt_i32_e64 s1, 0, v21
	v_ashrrev_i32_e32 v19, 31, v19
	s_wait_alu 0xfffd
	v_xor_b32_e32 v18, vcc_lo, v18
	v_add_nc_u32_e32 v71, v24, v16
	v_and_b32_e32 v17, v17, v22
	s_wait_alu 0xf1ff
	v_xor_b32_e32 v16, s1, v19
	ds_load_b32 v49, v71 offset:32
	v_and_b32_e32 v17, v17, v18
	; wave barrier
	s_delay_alu instid0(VALU_DEP_1) | instskip(NEXT) | instid1(VALU_DEP_1)
	v_and_b32_e32 v16, v17, v16
	v_mbcnt_lo_u32_b32 v50, v16, 0
	v_cmp_ne_u32_e64 s1, 0, v16
	s_delay_alu instid0(VALU_DEP_2)
	v_cmp_eq_u32_e32 vcc_lo, 0, v50
	s_and_b32 s10, s1, vcc_lo
	s_wait_alu 0xfffe
	s_and_saveexec_b32 s1, s10
	s_cbranch_execz .LBB231_92
; %bb.91:
	s_wait_dscnt 0x0
	v_bcnt_u32_b32 v16, v16, v49
	ds_store_b32 v71, v16 offset:32
.LBB231_92:
	s_wait_alu 0xfffe
	s_or_b32 exec_lo, exec_lo, s1
	v_cmp_ne_u16_e32 vcc_lo, 0x8000, v29
	; wave barrier
	s_wait_alu 0xfffd
	v_cndmask_b32_e32 v16, 0x7fff, v29, vcc_lo
	s_delay_alu instid0(VALU_DEP_1) | instskip(NEXT) | instid1(VALU_DEP_1)
	v_and_b32_e32 v16, 0xffff, v16
	v_and_b32_e32 v16, s9, v16
	s_delay_alu instid0(VALU_DEP_1)
	v_and_b32_e32 v17, 1, v16
	v_lshlrev_b32_e32 v18, 30, v16
	v_lshlrev_b32_e32 v19, 29, v16
	;; [unrolled: 1-line block ×4, first 2 shown]
	v_add_co_u32 v17, s1, v17, -1
	s_wait_alu 0xf1ff
	v_cndmask_b32_e64 v21, 0, 1, s1
	v_not_b32_e32 v35, v18
	v_cmp_gt_i32_e64 s1, 0, v18
	v_not_b32_e32 v18, v19
	v_lshlrev_b32_e32 v23, 26, v16
	v_cmp_ne_u32_e32 vcc_lo, 0, v21
	v_ashrrev_i32_e32 v35, 31, v35
	v_lshlrev_b32_e32 v34, 25, v16
	v_ashrrev_i32_e32 v18, 31, v18
	v_lshlrev_b32_e32 v21, 24, v16
	s_wait_alu 0xfffd
	v_xor_b32_e32 v17, vcc_lo, v17
	v_cmp_gt_i32_e32 vcc_lo, 0, v19
	v_not_b32_e32 v19, v20
	s_wait_alu 0xf1ff
	v_xor_b32_e32 v35, s1, v35
	v_cmp_gt_i32_e64 s1, 0, v20
	v_and_b32_e32 v17, exec_lo, v17
	v_not_b32_e32 v20, v22
	v_ashrrev_i32_e32 v19, 31, v19
	s_wait_alu 0xfffd
	v_xor_b32_e32 v18, vcc_lo, v18
	v_cmp_gt_i32_e32 vcc_lo, 0, v22
	v_and_b32_e32 v17, v17, v35
	v_not_b32_e32 v22, v23
	v_ashrrev_i32_e32 v20, 31, v20
	s_wait_alu 0xf1ff
	v_xor_b32_e32 v19, s1, v19
	v_cmp_gt_i32_e64 s1, 0, v23
	v_and_b32_e32 v17, v17, v18
	v_not_b32_e32 v18, v34
	v_ashrrev_i32_e32 v22, 31, v22
	s_wait_alu 0xfffd
	v_xor_b32_e32 v20, vcc_lo, v20
	v_cmp_gt_i32_e32 vcc_lo, 0, v34
	v_and_b32_e32 v17, v17, v19
	v_not_b32_e32 v19, v21
	v_ashrrev_i32_e32 v18, 31, v18
	s_wait_alu 0xf1ff
	v_xor_b32_e32 v22, s1, v22
	v_lshlrev_b32_e32 v16, 5, v16
	v_and_b32_e32 v17, v17, v20
	v_cmp_gt_i32_e64 s1, 0, v21
	v_ashrrev_i32_e32 v19, 31, v19
	s_wait_alu 0xfffd
	v_xor_b32_e32 v18, vcc_lo, v18
	v_add_nc_u32_e32 v74, v24, v16
	v_and_b32_e32 v17, v17, v22
	s_wait_alu 0xf1ff
	v_xor_b32_e32 v16, s1, v19
	ds_load_b32 v72, v74 offset:32
	v_and_b32_e32 v17, v17, v18
	; wave barrier
	s_delay_alu instid0(VALU_DEP_1) | instskip(NEXT) | instid1(VALU_DEP_1)
	v_and_b32_e32 v16, v17, v16
	v_mbcnt_lo_u32_b32 v73, v16, 0
	v_cmp_ne_u32_e64 s1, 0, v16
	s_delay_alu instid0(VALU_DEP_2)
	v_cmp_eq_u32_e32 vcc_lo, 0, v73
	s_and_b32 s10, s1, vcc_lo
	s_wait_alu 0xfffe
	s_and_saveexec_b32 s1, s10
	s_cbranch_execz .LBB231_94
; %bb.93:
	s_wait_dscnt 0x0
	v_bcnt_u32_b32 v16, v16, v72
	ds_store_b32 v74, v16 offset:32
.LBB231_94:
	s_wait_alu 0xfffe
	s_or_b32 exec_lo, exec_lo, s1
	v_cmp_ne_u16_e32 vcc_lo, 0x8000, v30
	; wave barrier
	s_wait_alu 0xfffd
	v_cndmask_b32_e32 v16, 0x7fff, v30, vcc_lo
	s_delay_alu instid0(VALU_DEP_1) | instskip(NEXT) | instid1(VALU_DEP_1)
	v_and_b32_e32 v16, 0xffff, v16
	v_and_b32_e32 v16, s9, v16
	s_delay_alu instid0(VALU_DEP_1)
	v_and_b32_e32 v17, 1, v16
	v_lshlrev_b32_e32 v18, 30, v16
	v_lshlrev_b32_e32 v19, 29, v16
	v_lshlrev_b32_e32 v20, 28, v16
	v_lshlrev_b32_e32 v22, 27, v16
	v_add_co_u32 v17, s1, v17, -1
	s_wait_alu 0xf1ff
	v_cndmask_b32_e64 v21, 0, 1, s1
	v_not_b32_e32 v35, v18
	v_cmp_gt_i32_e64 s1, 0, v18
	v_not_b32_e32 v18, v19
	v_lshlrev_b32_e32 v23, 26, v16
	v_cmp_ne_u32_e32 vcc_lo, 0, v21
	v_ashrrev_i32_e32 v35, 31, v35
	v_lshlrev_b32_e32 v34, 25, v16
	v_ashrrev_i32_e32 v18, 31, v18
	v_lshlrev_b32_e32 v21, 24, v16
	s_wait_alu 0xfffd
	v_xor_b32_e32 v17, vcc_lo, v17
	v_cmp_gt_i32_e32 vcc_lo, 0, v19
	v_not_b32_e32 v19, v20
	s_wait_alu 0xf1ff
	v_xor_b32_e32 v35, s1, v35
	v_cmp_gt_i32_e64 s1, 0, v20
	v_and_b32_e32 v17, exec_lo, v17
	v_not_b32_e32 v20, v22
	v_ashrrev_i32_e32 v19, 31, v19
	s_wait_alu 0xfffd
	v_xor_b32_e32 v18, vcc_lo, v18
	v_cmp_gt_i32_e32 vcc_lo, 0, v22
	v_and_b32_e32 v17, v17, v35
	v_not_b32_e32 v22, v23
	v_ashrrev_i32_e32 v20, 31, v20
	s_wait_alu 0xf1ff
	v_xor_b32_e32 v19, s1, v19
	v_cmp_gt_i32_e64 s1, 0, v23
	v_and_b32_e32 v17, v17, v18
	v_not_b32_e32 v18, v34
	v_ashrrev_i32_e32 v22, 31, v22
	s_wait_alu 0xfffd
	v_xor_b32_e32 v20, vcc_lo, v20
	v_cmp_gt_i32_e32 vcc_lo, 0, v34
	v_and_b32_e32 v17, v17, v19
	v_not_b32_e32 v19, v21
	v_ashrrev_i32_e32 v18, 31, v18
	s_wait_alu 0xf1ff
	v_xor_b32_e32 v22, s1, v22
	v_lshlrev_b32_e32 v16, 5, v16
	v_and_b32_e32 v17, v17, v20
	v_cmp_gt_i32_e64 s1, 0, v21
	v_ashrrev_i32_e32 v19, 31, v19
	s_wait_alu 0xfffd
	v_xor_b32_e32 v18, vcc_lo, v18
	v_add_nc_u32_e32 v77, v24, v16
	v_and_b32_e32 v17, v17, v22
	s_wait_alu 0xf1ff
	v_xor_b32_e32 v16, s1, v19
	ds_load_b32 v75, v77 offset:32
	v_and_b32_e32 v17, v17, v18
	; wave barrier
	s_delay_alu instid0(VALU_DEP_1) | instskip(NEXT) | instid1(VALU_DEP_1)
	v_and_b32_e32 v16, v17, v16
	v_mbcnt_lo_u32_b32 v76, v16, 0
	v_cmp_ne_u32_e64 s1, 0, v16
	s_delay_alu instid0(VALU_DEP_2)
	v_cmp_eq_u32_e32 vcc_lo, 0, v76
	s_and_b32 s10, s1, vcc_lo
	s_wait_alu 0xfffe
	s_and_saveexec_b32 s1, s10
	s_cbranch_execz .LBB231_96
; %bb.95:
	s_wait_dscnt 0x0
	v_bcnt_u32_b32 v16, v16, v75
	ds_store_b32 v77, v16 offset:32
.LBB231_96:
	s_wait_alu 0xfffe
	s_or_b32 exec_lo, exec_lo, s1
	v_cmp_ne_u16_e32 vcc_lo, 0x8000, v31
	; wave barrier
	s_wait_alu 0xfffd
	v_cndmask_b32_e32 v16, 0x7fff, v31, vcc_lo
	s_delay_alu instid0(VALU_DEP_1) | instskip(NEXT) | instid1(VALU_DEP_1)
	v_and_b32_e32 v16, 0xffff, v16
	v_and_b32_e32 v16, s9, v16
	s_delay_alu instid0(VALU_DEP_1)
	v_and_b32_e32 v17, 1, v16
	v_lshlrev_b32_e32 v18, 30, v16
	v_lshlrev_b32_e32 v19, 29, v16
	;; [unrolled: 1-line block ×4, first 2 shown]
	v_add_co_u32 v17, s1, v17, -1
	s_wait_alu 0xf1ff
	v_cndmask_b32_e64 v21, 0, 1, s1
	v_not_b32_e32 v35, v18
	v_cmp_gt_i32_e64 s1, 0, v18
	v_not_b32_e32 v18, v19
	v_lshlrev_b32_e32 v23, 26, v16
	v_cmp_ne_u32_e32 vcc_lo, 0, v21
	v_ashrrev_i32_e32 v35, 31, v35
	v_lshlrev_b32_e32 v34, 25, v16
	v_ashrrev_i32_e32 v18, 31, v18
	v_lshlrev_b32_e32 v21, 24, v16
	s_wait_alu 0xfffd
	v_xor_b32_e32 v17, vcc_lo, v17
	v_cmp_gt_i32_e32 vcc_lo, 0, v19
	v_not_b32_e32 v19, v20
	s_wait_alu 0xf1ff
	v_xor_b32_e32 v35, s1, v35
	v_cmp_gt_i32_e64 s1, 0, v20
	v_and_b32_e32 v17, exec_lo, v17
	v_not_b32_e32 v20, v22
	v_ashrrev_i32_e32 v19, 31, v19
	s_wait_alu 0xfffd
	v_xor_b32_e32 v18, vcc_lo, v18
	v_cmp_gt_i32_e32 vcc_lo, 0, v22
	v_and_b32_e32 v17, v17, v35
	v_not_b32_e32 v22, v23
	v_ashrrev_i32_e32 v20, 31, v20
	s_wait_alu 0xf1ff
	v_xor_b32_e32 v19, s1, v19
	v_cmp_gt_i32_e64 s1, 0, v23
	v_and_b32_e32 v17, v17, v18
	v_not_b32_e32 v18, v34
	v_ashrrev_i32_e32 v22, 31, v22
	s_wait_alu 0xfffd
	v_xor_b32_e32 v20, vcc_lo, v20
	v_cmp_gt_i32_e32 vcc_lo, 0, v34
	v_and_b32_e32 v17, v17, v19
	v_not_b32_e32 v19, v21
	v_ashrrev_i32_e32 v18, 31, v18
	s_wait_alu 0xf1ff
	v_xor_b32_e32 v22, s1, v22
	v_lshlrev_b32_e32 v16, 5, v16
	v_and_b32_e32 v17, v17, v20
	v_cmp_gt_i32_e64 s1, 0, v21
	v_ashrrev_i32_e32 v19, 31, v19
	s_wait_alu 0xfffd
	v_xor_b32_e32 v18, vcc_lo, v18
	v_add_nc_u32_e32 v80, v24, v16
	v_and_b32_e32 v17, v17, v22
	s_wait_alu 0xf1ff
	v_xor_b32_e32 v16, s1, v19
	ds_load_b32 v78, v80 offset:32
	v_and_b32_e32 v17, v17, v18
	; wave barrier
	s_delay_alu instid0(VALU_DEP_1) | instskip(NEXT) | instid1(VALU_DEP_1)
	v_and_b32_e32 v16, v17, v16
	v_mbcnt_lo_u32_b32 v79, v16, 0
	v_cmp_ne_u32_e64 s1, 0, v16
	s_delay_alu instid0(VALU_DEP_2)
	v_cmp_eq_u32_e32 vcc_lo, 0, v79
	s_and_b32 s10, s1, vcc_lo
	s_wait_alu 0xfffe
	s_and_saveexec_b32 s1, s10
	s_cbranch_execz .LBB231_98
; %bb.97:
	s_wait_dscnt 0x0
	v_bcnt_u32_b32 v16, v16, v78
	ds_store_b32 v80, v16 offset:32
.LBB231_98:
	s_wait_alu 0xfffe
	s_or_b32 exec_lo, exec_lo, s1
	v_cmp_ne_u16_e32 vcc_lo, 0x8000, v32
	; wave barrier
	s_wait_alu 0xfffd
	v_cndmask_b32_e32 v16, 0x7fff, v32, vcc_lo
	s_delay_alu instid0(VALU_DEP_1) | instskip(NEXT) | instid1(VALU_DEP_1)
	v_and_b32_e32 v16, 0xffff, v16
	v_and_b32_e32 v16, s9, v16
	s_delay_alu instid0(VALU_DEP_1)
	v_and_b32_e32 v17, 1, v16
	v_lshlrev_b32_e32 v18, 30, v16
	v_lshlrev_b32_e32 v19, 29, v16
	;; [unrolled: 1-line block ×4, first 2 shown]
	v_add_co_u32 v17, s1, v17, -1
	s_wait_alu 0xf1ff
	v_cndmask_b32_e64 v21, 0, 1, s1
	v_not_b32_e32 v35, v18
	v_cmp_gt_i32_e64 s1, 0, v18
	v_not_b32_e32 v18, v19
	v_lshlrev_b32_e32 v23, 26, v16
	v_cmp_ne_u32_e32 vcc_lo, 0, v21
	v_ashrrev_i32_e32 v35, 31, v35
	v_lshlrev_b32_e32 v34, 25, v16
	v_ashrrev_i32_e32 v18, 31, v18
	v_lshlrev_b32_e32 v21, 24, v16
	s_wait_alu 0xfffd
	v_xor_b32_e32 v17, vcc_lo, v17
	v_cmp_gt_i32_e32 vcc_lo, 0, v19
	v_not_b32_e32 v19, v20
	s_wait_alu 0xf1ff
	v_xor_b32_e32 v35, s1, v35
	v_cmp_gt_i32_e64 s1, 0, v20
	v_and_b32_e32 v17, exec_lo, v17
	v_not_b32_e32 v20, v22
	v_ashrrev_i32_e32 v19, 31, v19
	s_wait_alu 0xfffd
	v_xor_b32_e32 v18, vcc_lo, v18
	v_cmp_gt_i32_e32 vcc_lo, 0, v22
	v_and_b32_e32 v17, v17, v35
	v_not_b32_e32 v22, v23
	v_ashrrev_i32_e32 v20, 31, v20
	s_wait_alu 0xf1ff
	v_xor_b32_e32 v19, s1, v19
	v_cmp_gt_i32_e64 s1, 0, v23
	v_and_b32_e32 v17, v17, v18
	v_not_b32_e32 v18, v34
	v_ashrrev_i32_e32 v22, 31, v22
	s_wait_alu 0xfffd
	v_xor_b32_e32 v20, vcc_lo, v20
	v_cmp_gt_i32_e32 vcc_lo, 0, v34
	v_and_b32_e32 v17, v17, v19
	v_not_b32_e32 v19, v21
	v_ashrrev_i32_e32 v18, 31, v18
	s_wait_alu 0xf1ff
	v_xor_b32_e32 v22, s1, v22
	v_lshlrev_b32_e32 v16, 5, v16
	v_and_b32_e32 v17, v17, v20
	v_cmp_gt_i32_e64 s1, 0, v21
	v_ashrrev_i32_e32 v19, 31, v19
	s_wait_alu 0xfffd
	v_xor_b32_e32 v18, vcc_lo, v18
	v_add_nc_u32_e32 v83, v24, v16
	v_and_b32_e32 v17, v17, v22
	s_wait_alu 0xf1ff
	v_xor_b32_e32 v16, s1, v19
	ds_load_b32 v81, v83 offset:32
	v_and_b32_e32 v17, v17, v18
	; wave barrier
	s_delay_alu instid0(VALU_DEP_1) | instskip(NEXT) | instid1(VALU_DEP_1)
	v_and_b32_e32 v16, v17, v16
	v_mbcnt_lo_u32_b32 v82, v16, 0
	v_cmp_ne_u32_e64 s1, 0, v16
	s_delay_alu instid0(VALU_DEP_2)
	v_cmp_eq_u32_e32 vcc_lo, 0, v82
	s_and_b32 s10, s1, vcc_lo
	s_wait_alu 0xfffe
	s_and_saveexec_b32 s1, s10
	s_cbranch_execz .LBB231_100
; %bb.99:
	s_wait_dscnt 0x0
	v_bcnt_u32_b32 v16, v16, v81
	ds_store_b32 v83, v16 offset:32
.LBB231_100:
	s_wait_alu 0xfffe
	s_or_b32 exec_lo, exec_lo, s1
	v_cmp_ne_u16_e32 vcc_lo, 0x8000, v33
	; wave barrier
	s_wait_alu 0xfffd
	v_cndmask_b32_e32 v16, 0x7fff, v33, vcc_lo
	s_delay_alu instid0(VALU_DEP_1) | instskip(NEXT) | instid1(VALU_DEP_1)
	v_and_b32_e32 v16, 0xffff, v16
	v_and_b32_e32 v16, s9, v16
	s_delay_alu instid0(VALU_DEP_1)
	v_and_b32_e32 v17, 1, v16
	v_lshlrev_b32_e32 v18, 30, v16
	v_lshlrev_b32_e32 v19, 29, v16
	;; [unrolled: 1-line block ×4, first 2 shown]
	v_add_co_u32 v17, s1, v17, -1
	s_wait_alu 0xf1ff
	v_cndmask_b32_e64 v21, 0, 1, s1
	v_not_b32_e32 v35, v18
	v_cmp_gt_i32_e64 s1, 0, v18
	v_not_b32_e32 v18, v19
	v_lshlrev_b32_e32 v23, 26, v16
	v_cmp_ne_u32_e32 vcc_lo, 0, v21
	v_ashrrev_i32_e32 v35, 31, v35
	v_lshlrev_b32_e32 v34, 25, v16
	v_ashrrev_i32_e32 v18, 31, v18
	v_lshlrev_b32_e32 v21, 24, v16
	s_wait_alu 0xfffd
	v_xor_b32_e32 v17, vcc_lo, v17
	v_cmp_gt_i32_e32 vcc_lo, 0, v19
	v_not_b32_e32 v19, v20
	s_wait_alu 0xf1ff
	v_xor_b32_e32 v35, s1, v35
	v_cmp_gt_i32_e64 s1, 0, v20
	v_and_b32_e32 v17, exec_lo, v17
	v_not_b32_e32 v20, v22
	v_ashrrev_i32_e32 v19, 31, v19
	s_wait_alu 0xfffd
	v_xor_b32_e32 v18, vcc_lo, v18
	v_cmp_gt_i32_e32 vcc_lo, 0, v22
	v_and_b32_e32 v17, v17, v35
	v_not_b32_e32 v22, v23
	v_ashrrev_i32_e32 v20, 31, v20
	s_wait_alu 0xf1ff
	v_xor_b32_e32 v19, s1, v19
	v_cmp_gt_i32_e64 s1, 0, v23
	v_and_b32_e32 v17, v17, v18
	v_not_b32_e32 v18, v34
	v_ashrrev_i32_e32 v22, 31, v22
	s_wait_alu 0xfffd
	v_xor_b32_e32 v20, vcc_lo, v20
	v_cmp_gt_i32_e32 vcc_lo, 0, v34
	v_and_b32_e32 v17, v17, v19
	v_not_b32_e32 v19, v21
	v_ashrrev_i32_e32 v18, 31, v18
	s_wait_alu 0xf1ff
	v_xor_b32_e32 v22, s1, v22
	v_lshlrev_b32_e32 v16, 5, v16
	v_and_b32_e32 v17, v17, v20
	v_cmp_gt_i32_e64 s1, 0, v21
	v_ashrrev_i32_e32 v19, 31, v19
	s_wait_alu 0xfffd
	v_xor_b32_e32 v18, vcc_lo, v18
	v_add_nc_u32_e32 v86, v24, v16
	v_and_b32_e32 v17, v17, v22
	v_min_u32_e32 v34, 0xe0, v70
	s_wait_alu 0xf1ff
	v_xor_b32_e32 v16, s1, v19
	ds_load_b32 v84, v86 offset:32
	v_and_b32_e32 v17, v17, v18
	; wave barrier
	s_delay_alu instid0(VALU_DEP_1) | instskip(NEXT) | instid1(VALU_DEP_1)
	v_and_b32_e32 v16, v17, v16
	v_mbcnt_lo_u32_b32 v85, v16, 0
	v_cmp_ne_u32_e64 s1, 0, v16
	s_delay_alu instid0(VALU_DEP_2)
	v_cmp_eq_u32_e32 vcc_lo, 0, v85
	s_and_b32 s9, s1, vcc_lo
	s_wait_alu 0xfffe
	s_and_saveexec_b32 s1, s9
	s_cbranch_execz .LBB231_102
; %bb.101:
	s_wait_dscnt 0x0
	v_bcnt_u32_b32 v16, v16, v84
	ds_store_b32 v86, v16 offset:32
.LBB231_102:
	s_wait_alu 0xfffe
	s_or_b32 exec_lo, exec_lo, s1
	; wave barrier
	s_wait_loadcnt_dscnt 0x0
	s_barrier_signal -1
	s_barrier_wait -1
	global_inv scope:SCOPE_SE
	ds_load_b128 v[20:23], v67 offset:32
	ds_load_b128 v[16:19], v67 offset:48
	v_and_b32_e32 v70, 16, v69
	v_or_b32_e32 v34, 31, v34
	s_delay_alu instid0(VALU_DEP_2) | instskip(NEXT) | instid1(VALU_DEP_2)
	v_cmp_eq_u32_e64 s17, 0, v70
	v_cmp_eq_u32_e64 s15, v46, v34
	s_wait_dscnt 0x1
	v_add_nc_u32_e32 v35, v21, v20
	s_delay_alu instid0(VALU_DEP_1) | instskip(SKIP_1) | instid1(VALU_DEP_1)
	v_add3_u32 v35, v35, v22, v23
	s_wait_dscnt 0x0
	v_add3_u32 v35, v35, v16, v17
	s_delay_alu instid0(VALU_DEP_1) | instskip(SKIP_1) | instid1(VALU_DEP_2)
	v_add3_u32 v19, v35, v18, v19
	v_and_b32_e32 v35, 15, v69
	v_mov_b32_dpp v37, v19 row_shr:1 row_mask:0xf bank_mask:0xf
	s_delay_alu instid0(VALU_DEP_2)
	v_cmp_eq_u32_e64 s9, 0, v35
	v_cmp_lt_u32_e64 s11, 1, v35
	v_cmp_lt_u32_e64 s12, 3, v35
	v_cmp_lt_u32_e64 s14, 7, v35
	s_wait_alu 0xf1ff
	v_cndmask_b32_e64 v37, v37, 0, s9
	s_delay_alu instid0(VALU_DEP_1) | instskip(NEXT) | instid1(VALU_DEP_1)
	v_add_nc_u32_e32 v19, v37, v19
	v_mov_b32_dpp v37, v19 row_shr:2 row_mask:0xf bank_mask:0xf
	s_delay_alu instid0(VALU_DEP_1) | instskip(NEXT) | instid1(VALU_DEP_1)
	v_cndmask_b32_e64 v37, 0, v37, s11
	v_add_nc_u32_e32 v19, v19, v37
	s_delay_alu instid0(VALU_DEP_1) | instskip(NEXT) | instid1(VALU_DEP_1)
	v_mov_b32_dpp v37, v19 row_shr:4 row_mask:0xf bank_mask:0xf
	v_cndmask_b32_e64 v37, 0, v37, s12
	s_delay_alu instid0(VALU_DEP_1) | instskip(NEXT) | instid1(VALU_DEP_1)
	v_add_nc_u32_e32 v19, v19, v37
	v_mov_b32_dpp v37, v19 row_shr:8 row_mask:0xf bank_mask:0xf
	s_delay_alu instid0(VALU_DEP_1) | instskip(NEXT) | instid1(VALU_DEP_1)
	v_cndmask_b32_e64 v35, 0, v37, s14
	v_add_nc_u32_e32 v37, v19, v35
	v_bfe_i32 v35, v69, 4, 1
	ds_swizzle_b32 v19, v37 offset:swizzle(BROADCAST,32,15)
	s_wait_dscnt 0x0
	v_and_b32_e32 v87, v35, v19
	v_mul_i32_i24_e32 v19, 0xffffffe4, v46
	v_lshlrev_b32_e32 v35, 2, v68
	s_delay_alu instid0(VALU_DEP_3)
	v_add_nc_u32_e32 v37, v37, v87
	s_and_saveexec_b32 s1, s15
; %bb.103:
	ds_store_b32 v35, v37
; %bb.104:
	s_wait_alu 0xfffe
	s_or_b32 exec_lo, exec_lo, s1
	v_and_b32_e32 v34, 7, v69
	v_cmp_gt_u32_e64 s16, 8, v46
	s_wait_loadcnt_dscnt 0x0
	s_barrier_signal -1
	s_barrier_wait -1
	v_cmp_eq_u32_e64 s13, 0, v34
	v_cmp_lt_u32_e64 s10, 1, v34
	v_cmp_lt_u32_e32 vcc_lo, 3, v34
	v_add_nc_u32_e32 v34, v67, v19
	global_inv scope:SCOPE_SE
	s_and_saveexec_b32 s1, s16
	s_cbranch_execz .LBB231_106
; %bb.105:
	ds_load_b32 v19, v34
	s_wait_dscnt 0x0
	v_mov_b32_dpp v68, v19 row_shr:1 row_mask:0xf bank_mask:0xf
	s_wait_alu 0xf1ff
	s_delay_alu instid0(VALU_DEP_1) | instskip(NEXT) | instid1(VALU_DEP_1)
	v_cndmask_b32_e64 v68, v68, 0, s13
	v_add_nc_u32_e32 v19, v68, v19
	s_delay_alu instid0(VALU_DEP_1) | instskip(NEXT) | instid1(VALU_DEP_1)
	v_mov_b32_dpp v68, v19 row_shr:2 row_mask:0xf bank_mask:0xf
	v_cndmask_b32_e64 v68, 0, v68, s10
	s_delay_alu instid0(VALU_DEP_1) | instskip(NEXT) | instid1(VALU_DEP_1)
	v_add_nc_u32_e32 v19, v19, v68
	v_mov_b32_dpp v68, v19 row_shr:4 row_mask:0xf bank_mask:0xf
	s_wait_alu 0xfffd
	s_delay_alu instid0(VALU_DEP_1) | instskip(NEXT) | instid1(VALU_DEP_1)
	v_cndmask_b32_e32 v68, 0, v68, vcc_lo
	v_add_nc_u32_e32 v19, v19, v68
	ds_store_b32 v34, v19
.LBB231_106:
	s_wait_alu 0xfffe
	s_or_b32 exec_lo, exec_lo, s1
	v_mul_u32_u24_e32 v19, 6, v36
	v_sub_co_u32 v68, s1, v69, 1
	v_cmp_lt_u32_e64 s18, 31, v46
	v_add_nc_u32_e32 v36, -4, v35
	v_mov_b32_e32 v70, 0
	s_wait_loadcnt_dscnt 0x0
	s_barrier_signal -1
	s_barrier_wait -1
	global_inv scope:SCOPE_SE
	s_and_saveexec_b32 s19, s18
; %bb.107:
	ds_load_b32 v70, v36
; %bb.108:
	s_or_b32 exec_lo, exec_lo, s19
	v_cmp_gt_i32_e64 s19, 0, v68
	s_mov_b32 s24, 0
	s_min_u32 s20, s20, 8
	s_mov_b32 s25, s24
	s_mov_b32 s26, s24
	v_cndmask_b32_e64 v68, v68, v69, s19
	s_mov_b32 s27, s24
	s_wait_dscnt 0x0
	v_add_nc_u32_e32 v69, v70, v37
	v_cmp_eq_u32_e64 s19, 0, v46
	s_wait_alu 0xfffe
	s_lshl_b32 s20, -1, s20
	v_lshlrev_b32_e32 v37, 2, v68
	s_wait_alu 0xfffe
	s_not_b32 s23, s20
	ds_bpermute_b32 v68, v37, v69
	s_wait_dscnt 0x0
	v_cndmask_b32_e64 v68, v68, v70, s1
	s_delay_alu instid0(VALU_DEP_1) | instskip(NEXT) | instid1(VALU_DEP_1)
	v_cndmask_b32_e64 v87, v68, 0, s19
	v_add_nc_u32_e32 v88, v87, v20
	s_delay_alu instid0(VALU_DEP_1) | instskip(NEXT) | instid1(VALU_DEP_1)
	v_add_nc_u32_e32 v89, v88, v21
	v_add_nc_u32_e32 v90, v89, v22
	s_delay_alu instid0(VALU_DEP_1) | instskip(NEXT) | instid1(VALU_DEP_1)
	v_add_nc_u32_e32 v20, v90, v23
	;; [unrolled: 3-line block ×3, first 2 shown]
	v_add_nc_u32_e32 v23, v22, v18
	ds_store_b128 v67, v[87:90] offset:32
	ds_store_b128 v67, v[20:23] offset:48
	s_wait_loadcnt_dscnt 0x0
	s_barrier_signal -1
	s_barrier_wait -1
	global_inv scope:SCOPE_SE
	ds_load_b32 v16, v39 offset:32
	ds_load_b32 v17, v48 offset:32
	ds_load_b32 v18, v71 offset:32
	ds_load_b32 v20, v74 offset:32
	ds_load_b32 v21, v77 offset:32
	ds_load_b32 v22, v80 offset:32
	ds_load_b32 v23, v83 offset:32
	ds_load_b32 v39, v86 offset:32
	v_add_nc_u32_e32 v48, v25, v19
	s_wait_loadcnt_dscnt 0x0
	s_barrier_signal -1
	s_barrier_wait -1
	global_inv scope:SCOPE_SE
	v_add_nc_u32_e32 v38, v16, v38
	v_add3_u32 v40, v47, v40, v17
	v_add3_u32 v47, v50, v49, v18
	;; [unrolled: 1-line block ×7, first 2 shown]
	v_lshlrev_b32_e32 v16, 1, v38
	v_lshlrev_b32_e32 v17, 1, v40
	v_lshlrev_b32_e32 v18, 1, v47
	v_lshlrev_b32_e32 v19, 1, v49
	v_lshlrev_b32_e32 v20, 1, v50
	v_lshlrev_b32_e32 v21, 1, v68
	v_lshlrev_b32_e32 v22, 1, v69
	v_lshlrev_b32_e32 v23, 1, v70
	ds_store_b16 v16, v26
	ds_store_b16 v17, v27
	;; [unrolled: 1-line block ×8, first 2 shown]
	s_wait_loadcnt_dscnt 0x0
	s_barrier_signal -1
	s_barrier_wait -1
	global_inv scope:SCOPE_SE
	ds_load_u16 v26, v25
	ds_load_u16 v27, v25 offset:64
	ds_load_u16 v28, v25 offset:128
	;; [unrolled: 1-line block ×7, first 2 shown]
	v_mad_co_u64_u32 v[38:39], null, v38, 6, v[16:17]
	v_mad_co_u64_u32 v[16:17], null, v40, 6, v[17:18]
	;; [unrolled: 1-line block ×3, first 2 shown]
	s_wait_loadcnt_dscnt 0x0
	s_barrier_signal -1
	s_barrier_wait -1
	global_inv scope:SCOPE_SE
	v_mad_co_u64_u32 v[18:19], null, v49, 6, v[19:20]
	v_lshrrev_b16 v33, 8, v26
	v_cmp_ne_u16_e64 s20, 0x8000, v26
	ds_store_b64 v38, v[8:9]
	v_mad_co_u64_u32 v[19:20], null, v50, 6, v[20:21]
	v_mad_co_u64_u32 v[20:21], null, v68, 6, v[21:22]
	s_wait_alu 0xf1ff
	v_cndmask_b32_e64 v33, 0x7f, v33, s20
	v_mad_co_u64_u32 v[21:22], null, v69, 6, v[22:23]
	v_mad_co_u64_u32 v[22:23], null, v70, 6, v[23:24]
	s_delay_alu instid0(VALU_DEP_3)
	v_and_b32_e32 v8, 0xffff, v33
	ds_store_b64 v16, v[10:11]
	ds_store_b64 v17, v[0:1]
	;; [unrolled: 1-line block ×7, first 2 shown]
	s_wait_alu 0xfffe
	v_and_b32_e32 v23, s23, v8
	s_wait_loadcnt_dscnt 0x0
	s_barrier_signal -1
	s_barrier_wait -1
	global_inv scope:SCOPE_SE
	v_and_b32_e32 v0, 1, v23
	v_lshlrev_b32_e32 v1, 30, v23
	v_lshlrev_b32_e32 v2, 29, v23
	;; [unrolled: 1-line block ×4, first 2 shown]
	v_add_co_u32 v0, s20, v0, -1
	s_wait_alu 0xf1ff
	v_cndmask_b32_e64 v4, 0, 1, s20
	v_not_b32_e32 v8, v1
	v_cmp_gt_i32_e64 s21, 0, v1
	v_not_b32_e32 v1, v2
	v_lshlrev_b32_e32 v6, 26, v23
	v_cmp_ne_u32_e64 s20, 0, v4
	v_ashrrev_i32_e32 v8, 31, v8
	v_lshlrev_b32_e32 v7, 25, v23
	v_ashrrev_i32_e32 v1, 31, v1
	v_lshlrev_b32_e32 v4, 24, v23
	s_wait_alu 0xf1ff
	v_xor_b32_e32 v0, s20, v0
	v_cmp_gt_i32_e64 s20, 0, v2
	v_not_b32_e32 v2, v3
	v_xor_b32_e32 v8, s21, v8
	v_cmp_gt_i32_e64 s21, 0, v3
	v_and_b32_e32 v0, exec_lo, v0
	v_not_b32_e32 v3, v5
	v_ashrrev_i32_e32 v2, 31, v2
	s_wait_alu 0xf1ff
	v_xor_b32_e32 v1, s20, v1
	v_cmp_gt_i32_e64 s20, 0, v5
	v_and_b32_e32 v0, v0, v8
	v_not_b32_e32 v5, v6
	v_ashrrev_i32_e32 v3, 31, v3
	v_xor_b32_e32 v2, s21, v2
	v_cmp_gt_i32_e64 s21, 0, v6
	v_and_b32_e32 v0, v0, v1
	v_not_b32_e32 v1, v7
	v_ashrrev_i32_e32 v5, 31, v5
	s_wait_alu 0xf1ff
	v_xor_b32_e32 v3, s20, v3
	v_cmp_gt_i32_e64 s20, 0, v7
	v_and_b32_e32 v0, v0, v2
	v_not_b32_e32 v2, v4
	v_ashrrev_i32_e32 v1, 31, v1
	v_xor_b32_e32 v5, s21, v5
	v_cmp_gt_i32_e64 s21, 0, v4
	v_and_b32_e32 v0, v0, v3
	v_ashrrev_i32_e32 v2, 31, v2
	s_wait_alu 0xf1ff
	v_xor_b32_e32 v1, s20, v1
	v_dual_mov_b32 v17, s24 :: v_dual_mov_b32 v18, s25
	v_and_b32_e32 v0, v0, v5
	v_xor_b32_e32 v16, s21, v2
	ds_load_2addr_b64 v[4:7], v48 offset1:32
	v_dual_mov_b32 v19, s26 :: v_dual_mov_b32 v20, s27
	v_and_b32_e32 v21, v0, v1
	ds_load_2addr_b64 v[12:15], v48 offset0:64 offset1:96
	ds_load_2addr_b64 v[8:11], v48 offset0:128 offset1:160
	;; [unrolled: 1-line block ×3, first 2 shown]
	v_lshl_add_u32 v38, v23, 5, v24
	s_wait_loadcnt_dscnt 0x0
	s_barrier_signal -1
	v_and_b32_e32 v16, v21, v16
	s_barrier_wait -1
	global_inv scope:SCOPE_SE
	ds_store_b128 v67, v[17:20] offset:32
	ds_store_b128 v67, v[17:20] offset:48
	s_wait_loadcnt_dscnt 0x0
	v_mbcnt_lo_u32_b32 v33, v16, 0
	v_cmp_ne_u32_e64 s21, 0, v16
	s_barrier_signal -1
	s_barrier_wait -1
	global_inv scope:SCOPE_SE
	v_cmp_eq_u32_e64 s20, 0, v33
	; wave barrier
	s_and_b32 s21, s21, s20
	s_wait_alu 0xfffe
	s_and_saveexec_b32 s20, s21
; %bb.109:
	v_bcnt_u32_b32 v16, v16, 0
	ds_store_b32 v38, v16 offset:32
; %bb.110:
	s_wait_alu 0xfffe
	s_or_b32 exec_lo, exec_lo, s20
	v_lshrrev_b16 v16, 8, v27
	v_cmp_ne_u16_e64 s20, 0x8000, v27
	; wave barrier
	s_wait_alu 0xf1ff
	s_delay_alu instid0(VALU_DEP_1) | instskip(NEXT) | instid1(VALU_DEP_1)
	v_cndmask_b32_e64 v16, 0x7f, v16, s20
	v_and_b32_e32 v16, s23, v16
	s_delay_alu instid0(VALU_DEP_1)
	v_and_b32_e32 v17, 1, v16
	v_lshlrev_b32_e32 v18, 30, v16
	v_lshlrev_b32_e32 v19, 29, v16
	;; [unrolled: 1-line block ×4, first 2 shown]
	v_add_co_u32 v17, s20, v17, -1
	s_wait_alu 0xf1ff
	v_cndmask_b32_e64 v21, 0, 1, s20
	v_not_b32_e32 v40, v18
	v_cmp_gt_i32_e64 s21, 0, v18
	v_not_b32_e32 v18, v19
	v_lshlrev_b32_e32 v23, 26, v16
	v_cmp_ne_u32_e64 s20, 0, v21
	v_ashrrev_i32_e32 v40, 31, v40
	v_lshlrev_b32_e32 v39, 25, v16
	v_ashrrev_i32_e32 v18, 31, v18
	v_lshlrev_b32_e32 v21, 24, v16
	s_wait_alu 0xf1ff
	v_xor_b32_e32 v17, s20, v17
	v_cmp_gt_i32_e64 s20, 0, v19
	v_not_b32_e32 v19, v20
	v_xor_b32_e32 v40, s21, v40
	v_cmp_gt_i32_e64 s21, 0, v20
	v_and_b32_e32 v17, exec_lo, v17
	v_not_b32_e32 v20, v22
	v_ashrrev_i32_e32 v19, 31, v19
	s_wait_alu 0xf1ff
	v_xor_b32_e32 v18, s20, v18
	v_cmp_gt_i32_e64 s20, 0, v22
	v_and_b32_e32 v17, v17, v40
	v_not_b32_e32 v22, v23
	v_ashrrev_i32_e32 v20, 31, v20
	v_xor_b32_e32 v19, s21, v19
	v_cmp_gt_i32_e64 s21, 0, v23
	v_and_b32_e32 v17, v17, v18
	v_not_b32_e32 v18, v39
	v_ashrrev_i32_e32 v22, 31, v22
	s_wait_alu 0xf1ff
	v_xor_b32_e32 v20, s20, v20
	v_cmp_gt_i32_e64 s20, 0, v39
	v_and_b32_e32 v17, v17, v19
	v_not_b32_e32 v19, v21
	v_ashrrev_i32_e32 v18, 31, v18
	v_xor_b32_e32 v22, s21, v22
	v_cmp_gt_i32_e64 s21, 0, v21
	v_and_b32_e32 v17, v17, v20
	v_ashrrev_i32_e32 v19, 31, v19
	s_wait_alu 0xf1ff
	v_xor_b32_e32 v18, s20, v18
	v_lshl_add_u32 v47, v16, 5, v24
	v_and_b32_e32 v17, v17, v22
	v_xor_b32_e32 v16, s21, v19
	ds_load_b32 v39, v47 offset:32
	v_and_b32_e32 v17, v17, v18
	; wave barrier
	s_delay_alu instid0(VALU_DEP_1) | instskip(NEXT) | instid1(VALU_DEP_1)
	v_and_b32_e32 v16, v17, v16
	v_mbcnt_lo_u32_b32 v40, v16, 0
	v_cmp_ne_u32_e64 s21, 0, v16
	s_delay_alu instid0(VALU_DEP_2)
	v_cmp_eq_u32_e64 s20, 0, v40
	s_and_b32 s21, s21, s20
	s_wait_alu 0xfffe
	s_and_saveexec_b32 s20, s21
	s_cbranch_execz .LBB231_112
; %bb.111:
	s_wait_dscnt 0x0
	v_bcnt_u32_b32 v16, v16, v39
	ds_store_b32 v47, v16 offset:32
.LBB231_112:
	s_wait_alu 0xfffe
	s_or_b32 exec_lo, exec_lo, s20
	v_lshrrev_b16 v16, 8, v28
	v_cmp_ne_u16_e64 s20, 0x8000, v28
	; wave barrier
	s_wait_alu 0xf1ff
	s_delay_alu instid0(VALU_DEP_1) | instskip(NEXT) | instid1(VALU_DEP_1)
	v_cndmask_b32_e64 v16, 0x7f, v16, s20
	v_and_b32_e32 v16, s23, v16
	s_delay_alu instid0(VALU_DEP_1)
	v_and_b32_e32 v17, 1, v16
	v_lshlrev_b32_e32 v18, 30, v16
	v_lshlrev_b32_e32 v19, 29, v16
	;; [unrolled: 1-line block ×4, first 2 shown]
	v_add_co_u32 v17, s20, v17, -1
	s_wait_alu 0xf1ff
	v_cndmask_b32_e64 v21, 0, 1, s20
	v_not_b32_e32 v49, v18
	v_cmp_gt_i32_e64 s21, 0, v18
	v_not_b32_e32 v18, v19
	v_lshlrev_b32_e32 v23, 26, v16
	v_cmp_ne_u32_e64 s20, 0, v21
	v_ashrrev_i32_e32 v49, 31, v49
	v_lshlrev_b32_e32 v48, 25, v16
	v_ashrrev_i32_e32 v18, 31, v18
	v_lshlrev_b32_e32 v21, 24, v16
	s_wait_alu 0xf1ff
	v_xor_b32_e32 v17, s20, v17
	v_cmp_gt_i32_e64 s20, 0, v19
	v_not_b32_e32 v19, v20
	v_xor_b32_e32 v49, s21, v49
	v_cmp_gt_i32_e64 s21, 0, v20
	v_and_b32_e32 v17, exec_lo, v17
	v_not_b32_e32 v20, v22
	v_ashrrev_i32_e32 v19, 31, v19
	s_wait_alu 0xf1ff
	v_xor_b32_e32 v18, s20, v18
	v_cmp_gt_i32_e64 s20, 0, v22
	v_and_b32_e32 v17, v17, v49
	v_not_b32_e32 v22, v23
	v_ashrrev_i32_e32 v20, 31, v20
	v_xor_b32_e32 v19, s21, v19
	v_cmp_gt_i32_e64 s21, 0, v23
	v_and_b32_e32 v17, v17, v18
	v_not_b32_e32 v18, v48
	v_ashrrev_i32_e32 v22, 31, v22
	s_wait_alu 0xf1ff
	v_xor_b32_e32 v20, s20, v20
	v_cmp_gt_i32_e64 s20, 0, v48
	v_and_b32_e32 v17, v17, v19
	v_not_b32_e32 v19, v21
	v_ashrrev_i32_e32 v18, 31, v18
	v_xor_b32_e32 v22, s21, v22
	v_cmp_gt_i32_e64 s21, 0, v21
	v_and_b32_e32 v17, v17, v20
	v_ashrrev_i32_e32 v19, 31, v19
	s_wait_alu 0xf1ff
	v_xor_b32_e32 v18, s20, v18
	v_lshl_add_u32 v50, v16, 5, v24
	v_and_b32_e32 v17, v17, v22
	v_xor_b32_e32 v16, s21, v19
	ds_load_b32 v48, v50 offset:32
	v_and_b32_e32 v17, v17, v18
	; wave barrier
	s_delay_alu instid0(VALU_DEP_1) | instskip(NEXT) | instid1(VALU_DEP_1)
	v_and_b32_e32 v16, v17, v16
	v_mbcnt_lo_u32_b32 v49, v16, 0
	v_cmp_ne_u32_e64 s21, 0, v16
	s_delay_alu instid0(VALU_DEP_2)
	v_cmp_eq_u32_e64 s20, 0, v49
	s_and_b32 s21, s21, s20
	s_wait_alu 0xfffe
	s_and_saveexec_b32 s20, s21
	s_cbranch_execz .LBB231_114
; %bb.113:
	s_wait_dscnt 0x0
	v_bcnt_u32_b32 v16, v16, v48
	ds_store_b32 v50, v16 offset:32
.LBB231_114:
	s_wait_alu 0xfffe
	s_or_b32 exec_lo, exec_lo, s20
	v_lshrrev_b16 v16, 8, v29
	v_cmp_ne_u16_e64 s20, 0x8000, v29
	; wave barrier
	s_wait_alu 0xf1ff
	s_delay_alu instid0(VALU_DEP_1) | instskip(NEXT) | instid1(VALU_DEP_1)
	v_cndmask_b32_e64 v16, 0x7f, v16, s20
	v_and_b32_e32 v16, s23, v16
	s_delay_alu instid0(VALU_DEP_1)
	v_and_b32_e32 v17, 1, v16
	v_lshlrev_b32_e32 v18, 30, v16
	v_lshlrev_b32_e32 v19, 29, v16
	v_lshlrev_b32_e32 v20, 28, v16
	v_lshlrev_b32_e32 v22, 27, v16
	v_add_co_u32 v17, s20, v17, -1
	s_wait_alu 0xf1ff
	v_cndmask_b32_e64 v21, 0, 1, s20
	v_not_b32_e32 v69, v18
	v_cmp_gt_i32_e64 s21, 0, v18
	v_not_b32_e32 v18, v19
	v_lshlrev_b32_e32 v23, 26, v16
	v_cmp_ne_u32_e64 s20, 0, v21
	v_ashrrev_i32_e32 v69, 31, v69
	v_lshlrev_b32_e32 v68, 25, v16
	v_ashrrev_i32_e32 v18, 31, v18
	v_lshlrev_b32_e32 v21, 24, v16
	s_wait_alu 0xf1ff
	v_xor_b32_e32 v17, s20, v17
	v_cmp_gt_i32_e64 s20, 0, v19
	v_not_b32_e32 v19, v20
	v_xor_b32_e32 v69, s21, v69
	v_cmp_gt_i32_e64 s21, 0, v20
	v_and_b32_e32 v17, exec_lo, v17
	v_not_b32_e32 v20, v22
	v_ashrrev_i32_e32 v19, 31, v19
	s_wait_alu 0xf1ff
	v_xor_b32_e32 v18, s20, v18
	v_cmp_gt_i32_e64 s20, 0, v22
	v_and_b32_e32 v17, v17, v69
	v_not_b32_e32 v22, v23
	v_ashrrev_i32_e32 v20, 31, v20
	v_xor_b32_e32 v19, s21, v19
	v_cmp_gt_i32_e64 s21, 0, v23
	v_and_b32_e32 v17, v17, v18
	v_not_b32_e32 v18, v68
	v_ashrrev_i32_e32 v22, 31, v22
	s_wait_alu 0xf1ff
	v_xor_b32_e32 v20, s20, v20
	v_cmp_gt_i32_e64 s20, 0, v68
	v_and_b32_e32 v17, v17, v19
	v_not_b32_e32 v19, v21
	v_ashrrev_i32_e32 v18, 31, v18
	v_xor_b32_e32 v22, s21, v22
	v_cmp_gt_i32_e64 s21, 0, v21
	v_and_b32_e32 v17, v17, v20
	v_ashrrev_i32_e32 v19, 31, v19
	s_wait_alu 0xf1ff
	v_xor_b32_e32 v18, s20, v18
	v_lshl_add_u32 v70, v16, 5, v24
	v_and_b32_e32 v17, v17, v22
	v_xor_b32_e32 v16, s21, v19
	ds_load_b32 v68, v70 offset:32
	v_and_b32_e32 v17, v17, v18
	; wave barrier
	s_delay_alu instid0(VALU_DEP_1) | instskip(NEXT) | instid1(VALU_DEP_1)
	v_and_b32_e32 v16, v17, v16
	v_mbcnt_lo_u32_b32 v69, v16, 0
	v_cmp_ne_u32_e64 s21, 0, v16
	s_delay_alu instid0(VALU_DEP_2)
	v_cmp_eq_u32_e64 s20, 0, v69
	s_and_b32 s21, s21, s20
	s_wait_alu 0xfffe
	s_and_saveexec_b32 s20, s21
	s_cbranch_execz .LBB231_116
; %bb.115:
	s_wait_dscnt 0x0
	v_bcnt_u32_b32 v16, v16, v68
	ds_store_b32 v70, v16 offset:32
.LBB231_116:
	s_wait_alu 0xfffe
	s_or_b32 exec_lo, exec_lo, s20
	v_lshrrev_b16 v16, 8, v30
	v_cmp_ne_u16_e64 s20, 0x8000, v30
	; wave barrier
	s_wait_alu 0xf1ff
	s_delay_alu instid0(VALU_DEP_1) | instskip(NEXT) | instid1(VALU_DEP_1)
	v_cndmask_b32_e64 v16, 0x7f, v16, s20
	v_and_b32_e32 v16, s23, v16
	s_delay_alu instid0(VALU_DEP_1)
	v_and_b32_e32 v17, 1, v16
	v_lshlrev_b32_e32 v18, 30, v16
	v_lshlrev_b32_e32 v19, 29, v16
	;; [unrolled: 1-line block ×4, first 2 shown]
	v_add_co_u32 v17, s20, v17, -1
	s_wait_alu 0xf1ff
	v_cndmask_b32_e64 v21, 0, 1, s20
	v_not_b32_e32 v72, v18
	v_cmp_gt_i32_e64 s21, 0, v18
	v_not_b32_e32 v18, v19
	v_lshlrev_b32_e32 v23, 26, v16
	v_cmp_ne_u32_e64 s20, 0, v21
	v_ashrrev_i32_e32 v72, 31, v72
	v_lshlrev_b32_e32 v71, 25, v16
	v_ashrrev_i32_e32 v18, 31, v18
	v_lshlrev_b32_e32 v21, 24, v16
	s_wait_alu 0xf1ff
	v_xor_b32_e32 v17, s20, v17
	v_cmp_gt_i32_e64 s20, 0, v19
	v_not_b32_e32 v19, v20
	v_xor_b32_e32 v72, s21, v72
	v_cmp_gt_i32_e64 s21, 0, v20
	v_and_b32_e32 v17, exec_lo, v17
	v_not_b32_e32 v20, v22
	v_ashrrev_i32_e32 v19, 31, v19
	s_wait_alu 0xf1ff
	v_xor_b32_e32 v18, s20, v18
	v_cmp_gt_i32_e64 s20, 0, v22
	v_and_b32_e32 v17, v17, v72
	v_not_b32_e32 v22, v23
	v_ashrrev_i32_e32 v20, 31, v20
	v_xor_b32_e32 v19, s21, v19
	v_cmp_gt_i32_e64 s21, 0, v23
	v_and_b32_e32 v17, v17, v18
	v_not_b32_e32 v18, v71
	v_ashrrev_i32_e32 v22, 31, v22
	s_wait_alu 0xf1ff
	v_xor_b32_e32 v20, s20, v20
	v_cmp_gt_i32_e64 s20, 0, v71
	v_and_b32_e32 v17, v17, v19
	v_not_b32_e32 v19, v21
	v_ashrrev_i32_e32 v18, 31, v18
	v_xor_b32_e32 v22, s21, v22
	v_cmp_gt_i32_e64 s21, 0, v21
	v_and_b32_e32 v17, v17, v20
	v_ashrrev_i32_e32 v19, 31, v19
	s_wait_alu 0xf1ff
	v_xor_b32_e32 v18, s20, v18
	v_lshl_add_u32 v73, v16, 5, v24
	v_and_b32_e32 v17, v17, v22
	v_xor_b32_e32 v16, s21, v19
	ds_load_b32 v71, v73 offset:32
	v_and_b32_e32 v17, v17, v18
	; wave barrier
	s_delay_alu instid0(VALU_DEP_1) | instskip(NEXT) | instid1(VALU_DEP_1)
	v_and_b32_e32 v16, v17, v16
	v_mbcnt_lo_u32_b32 v72, v16, 0
	v_cmp_ne_u32_e64 s21, 0, v16
	s_delay_alu instid0(VALU_DEP_2)
	v_cmp_eq_u32_e64 s20, 0, v72
	s_and_b32 s21, s21, s20
	s_wait_alu 0xfffe
	s_and_saveexec_b32 s20, s21
	s_cbranch_execz .LBB231_118
; %bb.117:
	s_wait_dscnt 0x0
	v_bcnt_u32_b32 v16, v16, v71
	ds_store_b32 v73, v16 offset:32
.LBB231_118:
	s_wait_alu 0xfffe
	s_or_b32 exec_lo, exec_lo, s20
	v_lshrrev_b16 v16, 8, v31
	v_cmp_ne_u16_e64 s20, 0x8000, v31
	; wave barrier
	s_wait_alu 0xf1ff
	s_delay_alu instid0(VALU_DEP_1) | instskip(NEXT) | instid1(VALU_DEP_1)
	v_cndmask_b32_e64 v16, 0x7f, v16, s20
	v_and_b32_e32 v16, s23, v16
	s_delay_alu instid0(VALU_DEP_1)
	v_and_b32_e32 v17, 1, v16
	v_lshlrev_b32_e32 v18, 30, v16
	v_lshlrev_b32_e32 v19, 29, v16
	;; [unrolled: 1-line block ×4, first 2 shown]
	v_add_co_u32 v17, s20, v17, -1
	s_wait_alu 0xf1ff
	v_cndmask_b32_e64 v21, 0, 1, s20
	v_not_b32_e32 v75, v18
	v_cmp_gt_i32_e64 s21, 0, v18
	v_not_b32_e32 v18, v19
	v_lshlrev_b32_e32 v23, 26, v16
	v_cmp_ne_u32_e64 s20, 0, v21
	v_ashrrev_i32_e32 v75, 31, v75
	v_lshlrev_b32_e32 v74, 25, v16
	v_ashrrev_i32_e32 v18, 31, v18
	v_lshlrev_b32_e32 v21, 24, v16
	s_wait_alu 0xf1ff
	v_xor_b32_e32 v17, s20, v17
	v_cmp_gt_i32_e64 s20, 0, v19
	v_not_b32_e32 v19, v20
	v_xor_b32_e32 v75, s21, v75
	v_cmp_gt_i32_e64 s21, 0, v20
	v_and_b32_e32 v17, exec_lo, v17
	v_not_b32_e32 v20, v22
	v_ashrrev_i32_e32 v19, 31, v19
	s_wait_alu 0xf1ff
	v_xor_b32_e32 v18, s20, v18
	v_cmp_gt_i32_e64 s20, 0, v22
	v_and_b32_e32 v17, v17, v75
	v_not_b32_e32 v22, v23
	v_ashrrev_i32_e32 v20, 31, v20
	v_xor_b32_e32 v19, s21, v19
	v_cmp_gt_i32_e64 s21, 0, v23
	v_and_b32_e32 v17, v17, v18
	v_not_b32_e32 v18, v74
	v_ashrrev_i32_e32 v22, 31, v22
	s_wait_alu 0xf1ff
	v_xor_b32_e32 v20, s20, v20
	v_cmp_gt_i32_e64 s20, 0, v74
	v_and_b32_e32 v17, v17, v19
	v_not_b32_e32 v19, v21
	v_ashrrev_i32_e32 v18, 31, v18
	v_xor_b32_e32 v22, s21, v22
	v_cmp_gt_i32_e64 s21, 0, v21
	v_and_b32_e32 v17, v17, v20
	v_ashrrev_i32_e32 v19, 31, v19
	s_wait_alu 0xf1ff
	v_xor_b32_e32 v18, s20, v18
	v_lshl_add_u32 v76, v16, 5, v24
	v_and_b32_e32 v17, v17, v22
	v_xor_b32_e32 v16, s21, v19
	ds_load_b32 v74, v76 offset:32
	v_and_b32_e32 v17, v17, v18
	; wave barrier
	s_delay_alu instid0(VALU_DEP_1) | instskip(NEXT) | instid1(VALU_DEP_1)
	v_and_b32_e32 v16, v17, v16
	v_mbcnt_lo_u32_b32 v75, v16, 0
	v_cmp_ne_u32_e64 s21, 0, v16
	s_delay_alu instid0(VALU_DEP_2)
	v_cmp_eq_u32_e64 s20, 0, v75
	s_and_b32 s21, s21, s20
	s_wait_alu 0xfffe
	s_and_saveexec_b32 s20, s21
	s_cbranch_execz .LBB231_120
; %bb.119:
	s_wait_dscnt 0x0
	v_bcnt_u32_b32 v16, v16, v74
	ds_store_b32 v76, v16 offset:32
.LBB231_120:
	s_wait_alu 0xfffe
	s_or_b32 exec_lo, exec_lo, s20
	v_lshrrev_b16 v16, 8, v32
	v_cmp_ne_u16_e64 s20, 0x8000, v32
	; wave barrier
	s_wait_alu 0xf1ff
	s_delay_alu instid0(VALU_DEP_1) | instskip(NEXT) | instid1(VALU_DEP_1)
	v_cndmask_b32_e64 v16, 0x7f, v16, s20
	v_and_b32_e32 v16, s23, v16
	s_delay_alu instid0(VALU_DEP_1)
	v_and_b32_e32 v17, 1, v16
	v_lshlrev_b32_e32 v18, 30, v16
	v_lshlrev_b32_e32 v19, 29, v16
	;; [unrolled: 1-line block ×4, first 2 shown]
	v_add_co_u32 v17, s20, v17, -1
	s_wait_alu 0xf1ff
	v_cndmask_b32_e64 v21, 0, 1, s20
	v_not_b32_e32 v78, v18
	v_cmp_gt_i32_e64 s21, 0, v18
	v_not_b32_e32 v18, v19
	v_lshlrev_b32_e32 v23, 26, v16
	v_cmp_ne_u32_e64 s20, 0, v21
	v_ashrrev_i32_e32 v78, 31, v78
	v_lshlrev_b32_e32 v77, 25, v16
	v_ashrrev_i32_e32 v18, 31, v18
	v_lshlrev_b32_e32 v21, 24, v16
	s_wait_alu 0xf1ff
	v_xor_b32_e32 v17, s20, v17
	v_cmp_gt_i32_e64 s20, 0, v19
	v_not_b32_e32 v19, v20
	v_xor_b32_e32 v78, s21, v78
	v_cmp_gt_i32_e64 s21, 0, v20
	v_and_b32_e32 v17, exec_lo, v17
	v_not_b32_e32 v20, v22
	v_ashrrev_i32_e32 v19, 31, v19
	s_wait_alu 0xf1ff
	v_xor_b32_e32 v18, s20, v18
	v_cmp_gt_i32_e64 s20, 0, v22
	v_and_b32_e32 v17, v17, v78
	v_not_b32_e32 v22, v23
	v_ashrrev_i32_e32 v20, 31, v20
	v_xor_b32_e32 v19, s21, v19
	v_cmp_gt_i32_e64 s21, 0, v23
	v_and_b32_e32 v17, v17, v18
	v_not_b32_e32 v18, v77
	v_ashrrev_i32_e32 v22, 31, v22
	s_wait_alu 0xf1ff
	v_xor_b32_e32 v20, s20, v20
	v_cmp_gt_i32_e64 s20, 0, v77
	v_and_b32_e32 v17, v17, v19
	v_not_b32_e32 v19, v21
	v_ashrrev_i32_e32 v18, 31, v18
	v_xor_b32_e32 v22, s21, v22
	v_cmp_gt_i32_e64 s21, 0, v21
	v_and_b32_e32 v17, v17, v20
	v_ashrrev_i32_e32 v19, 31, v19
	s_wait_alu 0xf1ff
	v_xor_b32_e32 v18, s20, v18
	v_lshl_add_u32 v79, v16, 5, v24
	v_and_b32_e32 v17, v17, v22
	v_xor_b32_e32 v16, s21, v19
	ds_load_b32 v77, v79 offset:32
	v_and_b32_e32 v17, v17, v18
	; wave barrier
	s_delay_alu instid0(VALU_DEP_1) | instskip(NEXT) | instid1(VALU_DEP_1)
	v_and_b32_e32 v16, v17, v16
	v_mbcnt_lo_u32_b32 v78, v16, 0
	v_cmp_ne_u32_e64 s21, 0, v16
	s_delay_alu instid0(VALU_DEP_2)
	v_cmp_eq_u32_e64 s20, 0, v78
	s_and_b32 s21, s21, s20
	s_wait_alu 0xfffe
	s_and_saveexec_b32 s20, s21
	s_cbranch_execz .LBB231_122
; %bb.121:
	s_wait_dscnt 0x0
	v_bcnt_u32_b32 v16, v16, v77
	ds_store_b32 v79, v16 offset:32
.LBB231_122:
	s_wait_alu 0xfffe
	s_or_b32 exec_lo, exec_lo, s20
	v_lshrrev_b16 v16, 8, v25
	v_cmp_ne_u16_e64 s20, 0x8000, v25
	; wave barrier
	s_wait_alu 0xf1ff
	s_delay_alu instid0(VALU_DEP_1) | instskip(NEXT) | instid1(VALU_DEP_1)
	v_cndmask_b32_e64 v16, 0x7f, v16, s20
	v_and_b32_e32 v16, s23, v16
	s_delay_alu instid0(VALU_DEP_1)
	v_and_b32_e32 v17, 1, v16
	v_lshlrev_b32_e32 v18, 30, v16
	v_lshlrev_b32_e32 v19, 29, v16
	;; [unrolled: 1-line block ×4, first 2 shown]
	v_add_co_u32 v17, s20, v17, -1
	s_wait_alu 0xf1ff
	v_cndmask_b32_e64 v21, 0, 1, s20
	v_not_b32_e32 v81, v18
	v_cmp_gt_i32_e64 s21, 0, v18
	v_not_b32_e32 v18, v19
	v_lshlrev_b32_e32 v23, 26, v16
	v_cmp_ne_u32_e64 s20, 0, v21
	v_ashrrev_i32_e32 v81, 31, v81
	v_lshlrev_b32_e32 v80, 25, v16
	v_ashrrev_i32_e32 v18, 31, v18
	v_lshlrev_b32_e32 v21, 24, v16
	s_wait_alu 0xf1ff
	v_xor_b32_e32 v17, s20, v17
	v_cmp_gt_i32_e64 s20, 0, v19
	v_not_b32_e32 v19, v20
	v_xor_b32_e32 v81, s21, v81
	v_cmp_gt_i32_e64 s21, 0, v20
	v_and_b32_e32 v17, exec_lo, v17
	v_not_b32_e32 v20, v22
	v_ashrrev_i32_e32 v19, 31, v19
	s_wait_alu 0xf1ff
	v_xor_b32_e32 v18, s20, v18
	v_cmp_gt_i32_e64 s20, 0, v22
	v_and_b32_e32 v17, v17, v81
	v_not_b32_e32 v22, v23
	v_ashrrev_i32_e32 v20, 31, v20
	v_xor_b32_e32 v19, s21, v19
	v_cmp_gt_i32_e64 s21, 0, v23
	v_and_b32_e32 v17, v17, v18
	v_not_b32_e32 v18, v80
	v_ashrrev_i32_e32 v22, 31, v22
	s_wait_alu 0xf1ff
	v_xor_b32_e32 v20, s20, v20
	v_cmp_gt_i32_e64 s20, 0, v80
	v_and_b32_e32 v17, v17, v19
	v_not_b32_e32 v19, v21
	v_ashrrev_i32_e32 v18, 31, v18
	v_xor_b32_e32 v22, s21, v22
	v_cmp_gt_i32_e64 s21, 0, v21
	v_and_b32_e32 v17, v17, v20
	v_ashrrev_i32_e32 v19, 31, v19
	s_wait_alu 0xf1ff
	v_xor_b32_e32 v18, s20, v18
	v_lshl_add_u32 v81, v16, 5, v24
	v_and_b32_e32 v17, v17, v22
	v_xor_b32_e32 v16, s21, v19
	ds_load_b32 v24, v81 offset:32
	v_and_b32_e32 v17, v17, v18
	; wave barrier
	s_delay_alu instid0(VALU_DEP_1) | instskip(NEXT) | instid1(VALU_DEP_1)
	v_and_b32_e32 v16, v17, v16
	v_mbcnt_lo_u32_b32 v80, v16, 0
	v_cmp_ne_u32_e64 s21, 0, v16
	s_delay_alu instid0(VALU_DEP_2)
	v_cmp_eq_u32_e64 s20, 0, v80
	s_and_b32 s21, s21, s20
	s_wait_alu 0xfffe
	s_and_saveexec_b32 s20, s21
	s_cbranch_execz .LBB231_124
; %bb.123:
	s_wait_dscnt 0x0
	v_bcnt_u32_b32 v16, v16, v24
	ds_store_b32 v81, v16 offset:32
.LBB231_124:
	s_wait_alu 0xfffe
	s_or_b32 exec_lo, exec_lo, s20
	; wave barrier
	s_wait_loadcnt_dscnt 0x0
	s_barrier_signal -1
	s_barrier_wait -1
	global_inv scope:SCOPE_SE
	ds_load_b128 v[20:23], v67 offset:32
	ds_load_b128 v[16:19], v67 offset:48
	s_wait_dscnt 0x1
	v_add_nc_u32_e32 v82, v21, v20
	s_delay_alu instid0(VALU_DEP_1) | instskip(SKIP_1) | instid1(VALU_DEP_1)
	v_add3_u32 v82, v82, v22, v23
	s_wait_dscnt 0x0
	v_add3_u32 v82, v82, v16, v17
	s_delay_alu instid0(VALU_DEP_1) | instskip(NEXT) | instid1(VALU_DEP_1)
	v_add3_u32 v19, v82, v18, v19
	v_mov_b32_dpp v82, v19 row_shr:1 row_mask:0xf bank_mask:0xf
	s_delay_alu instid0(VALU_DEP_1) | instskip(NEXT) | instid1(VALU_DEP_1)
	v_cndmask_b32_e64 v82, v82, 0, s9
	v_add_nc_u32_e32 v19, v82, v19
	s_delay_alu instid0(VALU_DEP_1) | instskip(NEXT) | instid1(VALU_DEP_1)
	v_mov_b32_dpp v82, v19 row_shr:2 row_mask:0xf bank_mask:0xf
	v_cndmask_b32_e64 v82, 0, v82, s11
	s_delay_alu instid0(VALU_DEP_1) | instskip(NEXT) | instid1(VALU_DEP_1)
	v_add_nc_u32_e32 v19, v19, v82
	v_mov_b32_dpp v82, v19 row_shr:4 row_mask:0xf bank_mask:0xf
	s_delay_alu instid0(VALU_DEP_1) | instskip(NEXT) | instid1(VALU_DEP_1)
	v_cndmask_b32_e64 v82, 0, v82, s12
	v_add_nc_u32_e32 v19, v19, v82
	s_delay_alu instid0(VALU_DEP_1) | instskip(NEXT) | instid1(VALU_DEP_1)
	v_mov_b32_dpp v82, v19 row_shr:8 row_mask:0xf bank_mask:0xf
	v_cndmask_b32_e64 v82, 0, v82, s14
	s_delay_alu instid0(VALU_DEP_1) | instskip(SKIP_3) | instid1(VALU_DEP_1)
	v_add_nc_u32_e32 v19, v19, v82
	ds_swizzle_b32 v82, v19 offset:swizzle(BROADCAST,32,15)
	s_wait_dscnt 0x0
	v_cndmask_b32_e64 v82, v82, 0, s17
	v_add_nc_u32_e32 v19, v19, v82
	s_and_saveexec_b32 s9, s15
; %bb.125:
	ds_store_b32 v35, v19
; %bb.126:
	s_wait_alu 0xfffe
	s_or_b32 exec_lo, exec_lo, s9
	s_wait_loadcnt_dscnt 0x0
	s_barrier_signal -1
	s_barrier_wait -1
	global_inv scope:SCOPE_SE
	s_and_saveexec_b32 s9, s16
	s_cbranch_execz .LBB231_128
; %bb.127:
	ds_load_b32 v35, v34
	s_wait_dscnt 0x0
	v_mov_b32_dpp v82, v35 row_shr:1 row_mask:0xf bank_mask:0xf
	s_delay_alu instid0(VALU_DEP_1) | instskip(NEXT) | instid1(VALU_DEP_1)
	v_cndmask_b32_e64 v82, v82, 0, s13
	v_add_nc_u32_e32 v35, v82, v35
	s_delay_alu instid0(VALU_DEP_1) | instskip(NEXT) | instid1(VALU_DEP_1)
	v_mov_b32_dpp v82, v35 row_shr:2 row_mask:0xf bank_mask:0xf
	v_cndmask_b32_e64 v82, 0, v82, s10
	s_delay_alu instid0(VALU_DEP_1) | instskip(NEXT) | instid1(VALU_DEP_1)
	v_add_nc_u32_e32 v35, v35, v82
	v_mov_b32_dpp v82, v35 row_shr:4 row_mask:0xf bank_mask:0xf
	s_wait_alu 0xfffd
	s_delay_alu instid0(VALU_DEP_1) | instskip(NEXT) | instid1(VALU_DEP_1)
	v_cndmask_b32_e32 v82, 0, v82, vcc_lo
	v_add_nc_u32_e32 v35, v35, v82
	ds_store_b32 v34, v35
.LBB231_128:
	s_wait_alu 0xfffe
	s_or_b32 exec_lo, exec_lo, s9
	v_mov_b32_e32 v34, 0
	s_wait_loadcnt_dscnt 0x0
	s_barrier_signal -1
	s_barrier_wait -1
	global_inv scope:SCOPE_SE
	s_and_saveexec_b32 s9, s18
; %bb.129:
	ds_load_b32 v34, v36
; %bb.130:
	s_wait_alu 0xfffe
	s_or_b32 exec_lo, exec_lo, s9
	s_wait_dscnt 0x0
	v_add_nc_u32_e32 v19, v34, v19
	ds_bpermute_b32 v19, v37, v19
	s_wait_dscnt 0x0
	v_cndmask_b32_e64 v19, v19, v34, s1
	s_delay_alu instid0(VALU_DEP_1) | instskip(NEXT) | instid1(VALU_DEP_1)
	v_cndmask_b32_e64 v19, v19, 0, s19
	v_add_nc_u32_e32 v20, v19, v20
	s_delay_alu instid0(VALU_DEP_1) | instskip(NEXT) | instid1(VALU_DEP_1)
	v_add_nc_u32_e32 v21, v20, v21
	v_add_nc_u32_e32 v22, v21, v22
	s_delay_alu instid0(VALU_DEP_1) | instskip(NEXT) | instid1(VALU_DEP_1)
	v_add_nc_u32_e32 v34, v22, v23
	;; [unrolled: 3-line block ×3, first 2 shown]
	v_add_nc_u32_e32 v37, v36, v18
	ds_store_b128 v67, v[19:22] offset:32
	ds_store_b128 v67, v[34:37] offset:48
	s_wait_loadcnt_dscnt 0x0
	s_barrier_signal -1
	s_barrier_wait -1
	global_inv scope:SCOPE_SE
	ds_load_b32 v16, v81 offset:32
	ds_load_b32 v17, v79 offset:32
	;; [unrolled: 1-line block ×8, first 2 shown]
	v_lshlrev_b32_e32 v34, 1, v66
	s_wait_loadcnt_dscnt 0x0
	s_barrier_signal -1
	s_barrier_wait -1
	global_inv scope:SCOPE_SE
	v_mad_u32_u24 v37, v46, 48, v34
	v_add3_u32 v35, v80, v24, v16
	v_add3_u32 v36, v78, v77, v17
	v_add3_u32 v38, v75, v74, v18
	v_add_nc_u32_e32 v24, v19, v33
	v_add3_u32 v33, v40, v39, v20
	v_add3_u32 v39, v49, v48, v21
	;; [unrolled: 1-line block ×4, first 2 shown]
	v_lshlrev_b32_e32 v16, 1, v24
	v_lshlrev_b32_e32 v17, 1, v33
	;; [unrolled: 1-line block ×8, first 2 shown]
	ds_store_b16 v16, v26
	ds_store_b16 v17, v27
	;; [unrolled: 1-line block ×8, first 2 shown]
	v_mad_co_u64_u32 v[24:25], null, v24, 6, v[16:17]
	v_mad_co_u64_u32 v[16:17], null, v33, 6, v[17:18]
	v_mad_co_u64_u32 v[17:18], null, v39, 6, v[18:19]
	v_mad_co_u64_u32 v[18:19], null, v40, 6, v[19:20]
	v_mad_co_u64_u32 v[19:20], null, v46, 6, v[20:21]
	v_mad_co_u64_u32 v[20:21], null, v38, 6, v[21:22]
	v_mad_co_u64_u32 v[21:22], null, v36, 6, v[22:23]
	s_wait_loadcnt_dscnt 0x0
	s_barrier_signal -1
	s_barrier_wait -1
	global_inv scope:SCOPE_SE
	v_mad_co_u64_u32 v[22:23], null, v35, 6, v[23:24]
	ds_load_b128 v[33:36], v34
	s_wait_loadcnt_dscnt 0x0
	s_barrier_signal -1
	s_barrier_wait -1
	global_inv scope:SCOPE_SE
	ds_store_b64 v24, v[4:5]
	ds_store_b64 v16, v[6:7]
	;; [unrolled: 1-line block ×8, first 2 shown]
	s_wait_loadcnt_dscnt 0x0
	s_barrier_signal -1
	s_barrier_wait -1
	global_inv scope:SCOPE_SE
	ds_load_b128 v[29:32], v37
	ds_load_b128 v[25:28], v37 offset:16
	ds_load_b128 v[21:24], v37 offset:32
	;; [unrolled: 1-line block ×3, first 2 shown]
	v_cmp_gt_i16_e32 vcc_lo, 0, v33
	v_lshrrev_b32_e32 v0, 16, v33
	v_lshrrev_b32_e32 v2, 16, v34
	;; [unrolled: 1-line block ×4, first 2 shown]
	s_wait_alu 0xfffd
	v_cndmask_b32_e64 v1, 0x7fff, 0, vcc_lo
	v_cmp_gt_i16_e32 vcc_lo, 0, v34
	s_wait_alu 0xfffd
	v_cndmask_b32_e64 v3, 0x7fff, 0, vcc_lo
	v_cmp_gt_i16_e32 vcc_lo, 0, v35
	;; [unrolled: 3-line block ×5, first 2 shown]
	s_delay_alu instid0(VALU_DEP_2) | instskip(SKIP_3) | instid1(VALU_DEP_3)
	v_perm_b32 v0, v0, v1, 0x5040100
	s_wait_alu 0xfffd
	v_cndmask_b32_e64 v2, 0x7fff, 0, vcc_lo
	v_cmp_gt_i16_e32 vcc_lo, 0, v4
	v_xor_b32_e32 v0, v0, v33
	s_delay_alu instid0(VALU_DEP_3) | instskip(SKIP_3) | instid1(VALU_DEP_3)
	v_perm_b32 v1, v2, v3, 0x5040100
	s_wait_alu 0xfffd
	v_cndmask_b32_e64 v4, 0x7fff, 0, vcc_lo
	v_cmp_gt_i16_e32 vcc_lo, 0, v6
	v_xor_b32_e32 v34, v1, v34
	s_delay_alu instid0(VALU_DEP_3) | instskip(SKIP_2) | instid1(VALU_DEP_2)
	v_perm_b32 v2, v4, v5, 0x5040100
	s_wait_alu 0xfffd
	v_cndmask_b32_e64 v6, 0x7fff, 0, vcc_lo
	v_xor_b32_e32 v33, v2, v35
	s_delay_alu instid0(VALU_DEP_2) | instskip(NEXT) | instid1(VALU_DEP_1)
	v_perm_b32 v3, v6, v7, 0x5040100
	v_xor_b32_e32 v35, v3, v36
.LBB231_131:
	s_wait_loadcnt_dscnt 0x0
	s_barrier_signal -1
	s_barrier_wait -1
	global_inv scope:SCOPE_SE
	ds_store_2addr_b32 v58, v0, v34 offset1:1
	ds_store_2addr_b32 v58, v33, v35 offset0:2 offset1:3
	s_wait_loadcnt_dscnt 0x0
	s_barrier_signal -1
	s_barrier_wait -1
	global_inv scope:SCOPE_SE
	ds_load_u16 v8, v45 offset:512
	ds_load_u16 v7, v52 offset:1024
	ds_load_u16 v6, v53 offset:1536
	ds_load_u16 v5, v54 offset:2048
	ds_load_u16 v4, v55 offset:2560
	ds_load_u16 v3, v56 offset:3072
	ds_load_u16 v2, v57 offset:3584
	v_mov_b32_e32 v45, 0
	s_delay_alu instid0(VALU_DEP_1) | instskip(NEXT) | instid1(VALU_DEP_1)
	v_lshlrev_b64_e32 v[0:1], 1, v[44:45]
	v_add_co_u32 v0, vcc_lo, s30, v0
	s_wait_alu 0xfffd
	s_delay_alu instid0(VALU_DEP_2)
	v_add_co_ci_u32_e64 v1, null, s31, v1, vcc_lo
	s_and_saveexec_b32 s1, s2
	s_cbranch_execnz .LBB231_150
; %bb.132:
	s_wait_alu 0xfffe
	s_or_b32 exec_lo, exec_lo, s1
	s_and_saveexec_b32 s1, s3
	s_cbranch_execnz .LBB231_151
.LBB231_133:
	s_wait_alu 0xfffe
	s_or_b32 exec_lo, exec_lo, s1
	s_and_saveexec_b32 s1, s4
	s_cbranch_execnz .LBB231_152
.LBB231_134:
	s_wait_alu 0xfffe
	s_or_b32 exec_lo, exec_lo, s1
	s_and_saveexec_b32 s1, s5
	s_cbranch_execnz .LBB231_153
.LBB231_135:
	s_wait_alu 0xfffe
	s_or_b32 exec_lo, exec_lo, s1
	s_and_saveexec_b32 s1, s6
	s_cbranch_execnz .LBB231_154
.LBB231_136:
	s_wait_alu 0xfffe
	s_or_b32 exec_lo, exec_lo, s1
	s_and_saveexec_b32 s1, s7
	s_cbranch_execnz .LBB231_155
.LBB231_137:
	s_wait_alu 0xfffe
	s_or_b32 exec_lo, exec_lo, s1
	s_and_saveexec_b32 s1, s8
	s_cbranch_execnz .LBB231_156
.LBB231_138:
	s_wait_alu 0xfffe
	s_or_b32 exec_lo, exec_lo, s1
	s_and_saveexec_b32 s1, s0
	s_cbranch_execz .LBB231_140
.LBB231_139:
	s_mul_i32 s10, s22, 0x700
	s_mov_b32 s11, 0
	s_wait_alu 0xfffe
	s_lshl_b64 s[10:11], s[10:11], 1
	s_wait_alu 0xfffe
	v_add_co_u32 v0, vcc_lo, v0, s10
	s_wait_alu 0xfffd
	v_add_co_ci_u32_e64 v1, null, s11, v1, vcc_lo
	s_wait_dscnt 0x0
	global_store_b16 v[0:1], v2, off
.LBB231_140:
	s_wait_alu 0xfffe
	s_or_b32 exec_lo, exec_lo, s1
	s_wait_storecnt 0x0
	s_wait_loadcnt_dscnt 0x0
	s_barrier_signal -1
	s_barrier_wait -1
	global_inv scope:SCOPE_SE
	ds_store_2addr_b64 v65, v[29:30], v[31:32] offset1:1
	ds_store_2addr_b64 v65, v[25:26], v[27:28] offset0:2 offset1:3
	ds_store_2addr_b64 v65, v[21:22], v[23:24] offset0:4 offset1:5
	;; [unrolled: 1-line block ×3, first 2 shown]
	s_wait_loadcnt_dscnt 0x0
	s_barrier_signal -1
	s_barrier_wait -1
	global_inv scope:SCOPE_SE
	ds_load_b64 v[14:15], v60 offset:2048
	ds_load_b64 v[12:13], v61 offset:4096
	;; [unrolled: 1-line block ×7, first 2 shown]
	v_mov_b32_e32 v42, 0
	s_delay_alu instid0(VALU_DEP_1) | instskip(NEXT) | instid1(VALU_DEP_1)
	v_lshlrev_b64_e32 v[2:3], 3, v[41:42]
	v_add_co_u32 v2, vcc_lo, s34, v2
	s_wait_alu 0xfffd
	s_delay_alu instid0(VALU_DEP_2)
	v_add_co_ci_u32_e64 v3, null, s35, v3, vcc_lo
	s_and_saveexec_b32 s1, s2
	s_cbranch_execnz .LBB231_157
; %bb.141:
	s_wait_alu 0xfffe
	s_or_b32 exec_lo, exec_lo, s1
	s_and_saveexec_b32 s1, s3
	s_cbranch_execnz .LBB231_158
.LBB231_142:
	s_wait_alu 0xfffe
	s_or_b32 exec_lo, exec_lo, s1
	s_and_saveexec_b32 s1, s4
	s_cbranch_execnz .LBB231_159
.LBB231_143:
	s_wait_alu 0xfffe
	s_or_b32 exec_lo, exec_lo, s1
	s_and_saveexec_b32 s1, s5
	s_cbranch_execnz .LBB231_160
.LBB231_144:
	s_wait_alu 0xfffe
	s_or_b32 exec_lo, exec_lo, s1
	s_and_saveexec_b32 s1, s6
	s_cbranch_execnz .LBB231_161
.LBB231_145:
	s_wait_alu 0xfffe
	s_or_b32 exec_lo, exec_lo, s1
	s_and_saveexec_b32 s1, s7
	s_cbranch_execnz .LBB231_162
.LBB231_146:
	s_wait_alu 0xfffe
	s_or_b32 exec_lo, exec_lo, s1
	s_and_saveexec_b32 s1, s8
	s_cbranch_execnz .LBB231_163
.LBB231_147:
	s_wait_alu 0xfffe
	s_or_b32 exec_lo, exec_lo, s1
	s_and_saveexec_b32 s1, s0
	s_cbranch_execz .LBB231_149
.LBB231_148:
	s_mul_i32 s0, s28, 0x700
	s_mov_b32 s1, 0
	s_wait_alu 0xfffe
	s_lshl_b64 s[0:1], s[0:1], 3
	s_wait_alu 0xfffe
	v_add_co_u32 v2, vcc_lo, v2, s0
	s_wait_alu 0xfffd
	v_add_co_ci_u32_e64 v3, null, s1, v3, vcc_lo
	s_wait_dscnt 0x0
	global_store_b64 v[2:3], v[0:1], off
.LBB231_149:
	s_nop 0
	s_sendmsg sendmsg(MSG_DEALLOC_VGPRS)
	s_endpgm
.LBB231_150:
	ds_load_u16 v9, v51
	s_wait_dscnt 0x0
	global_store_b16 v[0:1], v9, off
	s_wait_alu 0xfffe
	s_or_b32 exec_lo, exec_lo, s1
	s_and_saveexec_b32 s1, s3
	s_cbranch_execz .LBB231_133
.LBB231_151:
	s_lshl_b32 s10, s22, 8
	s_mov_b32 s11, 0
	s_wait_alu 0xfffe
	s_lshl_b64 s[10:11], s[10:11], 1
	s_wait_alu 0xfffe
	v_add_co_u32 v9, vcc_lo, v0, s10
	s_wait_alu 0xfffd
	v_add_co_ci_u32_e64 v10, null, s11, v1, vcc_lo
	s_wait_dscnt 0x6
	global_store_b16 v[9:10], v8, off
	s_or_b32 exec_lo, exec_lo, s1
	s_and_saveexec_b32 s1, s4
	s_cbranch_execz .LBB231_134
.LBB231_152:
	s_lshl_b32 s10, s22, 9
	s_mov_b32 s11, 0
	s_wait_alu 0xfffe
	s_lshl_b64 s[10:11], s[10:11], 1
	s_wait_dscnt 0x6
	s_wait_alu 0xfffe
	v_add_co_u32 v8, vcc_lo, v0, s10
	s_wait_alu 0xfffd
	v_add_co_ci_u32_e64 v9, null, s11, v1, vcc_lo
	s_wait_dscnt 0x5
	global_store_b16 v[8:9], v7, off
	s_or_b32 exec_lo, exec_lo, s1
	s_and_saveexec_b32 s1, s5
	s_cbranch_execz .LBB231_135
.LBB231_153:
	s_mul_i32 s10, s22, 0x300
	s_mov_b32 s11, 0
	s_wait_alu 0xfffe
	s_lshl_b64 s[10:11], s[10:11], 1
	s_wait_dscnt 0x5
	s_wait_alu 0xfffe
	v_add_co_u32 v7, vcc_lo, v0, s10
	s_wait_alu 0xfffd
	v_add_co_ci_u32_e64 v8, null, s11, v1, vcc_lo
	s_wait_dscnt 0x4
	global_store_b16 v[7:8], v6, off
	s_or_b32 exec_lo, exec_lo, s1
	s_and_saveexec_b32 s1, s6
	s_cbranch_execz .LBB231_136
.LBB231_154:
	s_lshl_b32 s10, s22, 10
	s_mov_b32 s11, 0
	s_wait_alu 0xfffe
	s_lshl_b64 s[10:11], s[10:11], 1
	s_wait_dscnt 0x4
	s_wait_alu 0xfffe
	v_add_co_u32 v6, vcc_lo, v0, s10
	s_wait_alu 0xfffd
	v_add_co_ci_u32_e64 v7, null, s11, v1, vcc_lo
	s_wait_dscnt 0x3
	global_store_b16 v[6:7], v5, off
	s_or_b32 exec_lo, exec_lo, s1
	s_and_saveexec_b32 s1, s7
	s_cbranch_execz .LBB231_137
.LBB231_155:
	s_mul_i32 s10, s22, 0x500
	s_mov_b32 s11, 0
	s_wait_alu 0xfffe
	s_lshl_b64 s[10:11], s[10:11], 1
	s_wait_dscnt 0x3
	s_wait_alu 0xfffe
	v_add_co_u32 v5, vcc_lo, v0, s10
	s_wait_alu 0xfffd
	v_add_co_ci_u32_e64 v6, null, s11, v1, vcc_lo
	s_wait_dscnt 0x2
	global_store_b16 v[5:6], v4, off
	s_or_b32 exec_lo, exec_lo, s1
	s_and_saveexec_b32 s1, s8
	s_cbranch_execz .LBB231_138
.LBB231_156:
	s_mul_i32 s10, s22, 0x600
	s_mov_b32 s11, 0
	s_wait_alu 0xfffe
	s_lshl_b64 s[10:11], s[10:11], 1
	s_wait_dscnt 0x2
	s_wait_alu 0xfffe
	v_add_co_u32 v4, vcc_lo, v0, s10
	s_wait_alu 0xfffd
	v_add_co_ci_u32_e64 v5, null, s11, v1, vcc_lo
	s_wait_dscnt 0x1
	global_store_b16 v[4:5], v3, off
	s_or_b32 exec_lo, exec_lo, s1
	s_and_saveexec_b32 s1, s0
	s_cbranch_execnz .LBB231_139
	s_branch .LBB231_140
.LBB231_157:
	ds_load_b64 v[16:17], v59
	s_wait_dscnt 0x0
	global_store_b64 v[2:3], v[16:17], off
	s_wait_alu 0xfffe
	s_or_b32 exec_lo, exec_lo, s1
	s_and_saveexec_b32 s1, s3
	s_cbranch_execz .LBB231_142
.LBB231_158:
	s_lshl_b32 s2, s28, 8
	s_mov_b32 s3, 0
	s_delay_alu instid0(SALU_CYCLE_1) | instskip(NEXT) | instid1(SALU_CYCLE_1)
	s_lshl_b64 s[2:3], s[2:3], 3
	v_add_co_u32 v16, vcc_lo, v2, s2
	s_wait_alu 0xfffd
	v_add_co_ci_u32_e64 v17, null, s3, v3, vcc_lo
	s_wait_dscnt 0x6
	global_store_b64 v[16:17], v[14:15], off
	s_wait_alu 0xfffe
	s_or_b32 exec_lo, exec_lo, s1
	s_and_saveexec_b32 s1, s4
	s_cbranch_execz .LBB231_143
.LBB231_159:
	s_lshl_b32 s2, s28, 9
	s_mov_b32 s3, 0
	s_wait_alu 0xfffe
	s_lshl_b64 s[2:3], s[2:3], 3
	s_wait_dscnt 0x6
	s_wait_alu 0xfffe
	v_add_co_u32 v14, vcc_lo, v2, s2
	s_wait_alu 0xfffd
	v_add_co_ci_u32_e64 v15, null, s3, v3, vcc_lo
	s_wait_dscnt 0x5
	global_store_b64 v[14:15], v[12:13], off
	s_or_b32 exec_lo, exec_lo, s1
	s_and_saveexec_b32 s1, s5
	s_cbranch_execz .LBB231_144
.LBB231_160:
	s_mul_i32 s2, s28, 0x300
	s_mov_b32 s3, 0
	s_wait_alu 0xfffe
	s_lshl_b64 s[2:3], s[2:3], 3
	s_wait_dscnt 0x5
	s_wait_alu 0xfffe
	v_add_co_u32 v12, vcc_lo, v2, s2
	s_wait_alu 0xfffd
	v_add_co_ci_u32_e64 v13, null, s3, v3, vcc_lo
	s_wait_dscnt 0x4
	global_store_b64 v[12:13], v[10:11], off
	s_or_b32 exec_lo, exec_lo, s1
	s_and_saveexec_b32 s1, s6
	s_cbranch_execz .LBB231_145
.LBB231_161:
	s_lshl_b32 s2, s28, 10
	s_mov_b32 s3, 0
	s_wait_alu 0xfffe
	s_lshl_b64 s[2:3], s[2:3], 3
	s_wait_dscnt 0x4
	s_wait_alu 0xfffe
	v_add_co_u32 v10, vcc_lo, v2, s2
	s_wait_alu 0xfffd
	v_add_co_ci_u32_e64 v11, null, s3, v3, vcc_lo
	s_wait_dscnt 0x3
	global_store_b64 v[10:11], v[8:9], off
	s_or_b32 exec_lo, exec_lo, s1
	s_and_saveexec_b32 s1, s7
	s_cbranch_execz .LBB231_146
.LBB231_162:
	s_mul_i32 s2, s28, 0x500
	s_mov_b32 s3, 0
	s_wait_alu 0xfffe
	s_lshl_b64 s[2:3], s[2:3], 3
	s_wait_dscnt 0x3
	s_wait_alu 0xfffe
	v_add_co_u32 v8, vcc_lo, v2, s2
	s_wait_alu 0xfffd
	v_add_co_ci_u32_e64 v9, null, s3, v3, vcc_lo
	s_wait_dscnt 0x2
	global_store_b64 v[8:9], v[6:7], off
	s_or_b32 exec_lo, exec_lo, s1
	s_and_saveexec_b32 s1, s8
	s_cbranch_execz .LBB231_147
.LBB231_163:
	s_mul_i32 s2, s28, 0x600
	s_mov_b32 s3, 0
	s_wait_alu 0xfffe
	s_lshl_b64 s[2:3], s[2:3], 3
	s_wait_dscnt 0x2
	s_wait_alu 0xfffe
	v_add_co_u32 v6, vcc_lo, v2, s2
	s_wait_alu 0xfffd
	v_add_co_ci_u32_e64 v7, null, s3, v3, vcc_lo
	s_wait_dscnt 0x1
	global_store_b64 v[6:7], v[4:5], off
	s_or_b32 exec_lo, exec_lo, s1
	s_and_saveexec_b32 s1, s0
	s_cbranch_execnz .LBB231_148
	s_branch .LBB231_149
	.section	.rodata,"a",@progbits
	.p2align	6, 0x0
	.amdhsa_kernel _ZN2at6native18radixSortKVInPlaceILin1ELin1ELi256ELi8EN3c104HalfEljEEvNS_4cuda6detail10TensorInfoIT3_T5_EES8_S8_S8_NS6_IT4_S8_EES8_b
		.amdhsa_group_segment_fixed_size 16896
		.amdhsa_private_segment_fixed_size 0
		.amdhsa_kernarg_size 712
		.amdhsa_user_sgpr_count 2
		.amdhsa_user_sgpr_dispatch_ptr 0
		.amdhsa_user_sgpr_queue_ptr 0
		.amdhsa_user_sgpr_kernarg_segment_ptr 1
		.amdhsa_user_sgpr_dispatch_id 0
		.amdhsa_user_sgpr_private_segment_size 0
		.amdhsa_wavefront_size32 1
		.amdhsa_uses_dynamic_stack 0
		.amdhsa_enable_private_segment 0
		.amdhsa_system_sgpr_workgroup_id_x 1
		.amdhsa_system_sgpr_workgroup_id_y 1
		.amdhsa_system_sgpr_workgroup_id_z 1
		.amdhsa_system_sgpr_workgroup_info 0
		.amdhsa_system_vgpr_workitem_id 2
		.amdhsa_next_free_vgpr 113
		.amdhsa_next_free_sgpr 38
		.amdhsa_reserve_vcc 1
		.amdhsa_float_round_mode_32 0
		.amdhsa_float_round_mode_16_64 0
		.amdhsa_float_denorm_mode_32 3
		.amdhsa_float_denorm_mode_16_64 3
		.amdhsa_fp16_overflow 0
		.amdhsa_workgroup_processor_mode 1
		.amdhsa_memory_ordered 1
		.amdhsa_forward_progress 1
		.amdhsa_inst_pref_size 182
		.amdhsa_round_robin_scheduling 0
		.amdhsa_exception_fp_ieee_invalid_op 0
		.amdhsa_exception_fp_denorm_src 0
		.amdhsa_exception_fp_ieee_div_zero 0
		.amdhsa_exception_fp_ieee_overflow 0
		.amdhsa_exception_fp_ieee_underflow 0
		.amdhsa_exception_fp_ieee_inexact 0
		.amdhsa_exception_int_div_zero 0
	.end_amdhsa_kernel
	.section	.text._ZN2at6native18radixSortKVInPlaceILin1ELin1ELi256ELi8EN3c104HalfEljEEvNS_4cuda6detail10TensorInfoIT3_T5_EES8_S8_S8_NS6_IT4_S8_EES8_b,"axG",@progbits,_ZN2at6native18radixSortKVInPlaceILin1ELin1ELi256ELi8EN3c104HalfEljEEvNS_4cuda6detail10TensorInfoIT3_T5_EES8_S8_S8_NS6_IT4_S8_EES8_b,comdat
.Lfunc_end231:
	.size	_ZN2at6native18radixSortKVInPlaceILin1ELin1ELi256ELi8EN3c104HalfEljEEvNS_4cuda6detail10TensorInfoIT3_T5_EES8_S8_S8_NS6_IT4_S8_EES8_b, .Lfunc_end231-_ZN2at6native18radixSortKVInPlaceILin1ELin1ELi256ELi8EN3c104HalfEljEEvNS_4cuda6detail10TensorInfoIT3_T5_EES8_S8_S8_NS6_IT4_S8_EES8_b
                                        ; -- End function
	.set _ZN2at6native18radixSortKVInPlaceILin1ELin1ELi256ELi8EN3c104HalfEljEEvNS_4cuda6detail10TensorInfoIT3_T5_EES8_S8_S8_NS6_IT4_S8_EES8_b.num_vgpr, 113
	.set _ZN2at6native18radixSortKVInPlaceILin1ELin1ELi256ELi8EN3c104HalfEljEEvNS_4cuda6detail10TensorInfoIT3_T5_EES8_S8_S8_NS6_IT4_S8_EES8_b.num_agpr, 0
	.set _ZN2at6native18radixSortKVInPlaceILin1ELin1ELi256ELi8EN3c104HalfEljEEvNS_4cuda6detail10TensorInfoIT3_T5_EES8_S8_S8_NS6_IT4_S8_EES8_b.numbered_sgpr, 38
	.set _ZN2at6native18radixSortKVInPlaceILin1ELin1ELi256ELi8EN3c104HalfEljEEvNS_4cuda6detail10TensorInfoIT3_T5_EES8_S8_S8_NS6_IT4_S8_EES8_b.num_named_barrier, 0
	.set _ZN2at6native18radixSortKVInPlaceILin1ELin1ELi256ELi8EN3c104HalfEljEEvNS_4cuda6detail10TensorInfoIT3_T5_EES8_S8_S8_NS6_IT4_S8_EES8_b.private_seg_size, 0
	.set _ZN2at6native18radixSortKVInPlaceILin1ELin1ELi256ELi8EN3c104HalfEljEEvNS_4cuda6detail10TensorInfoIT3_T5_EES8_S8_S8_NS6_IT4_S8_EES8_b.uses_vcc, 1
	.set _ZN2at6native18radixSortKVInPlaceILin1ELin1ELi256ELi8EN3c104HalfEljEEvNS_4cuda6detail10TensorInfoIT3_T5_EES8_S8_S8_NS6_IT4_S8_EES8_b.uses_flat_scratch, 0
	.set _ZN2at6native18radixSortKVInPlaceILin1ELin1ELi256ELi8EN3c104HalfEljEEvNS_4cuda6detail10TensorInfoIT3_T5_EES8_S8_S8_NS6_IT4_S8_EES8_b.has_dyn_sized_stack, 0
	.set _ZN2at6native18radixSortKVInPlaceILin1ELin1ELi256ELi8EN3c104HalfEljEEvNS_4cuda6detail10TensorInfoIT3_T5_EES8_S8_S8_NS6_IT4_S8_EES8_b.has_recursion, 0
	.set _ZN2at6native18radixSortKVInPlaceILin1ELin1ELi256ELi8EN3c104HalfEljEEvNS_4cuda6detail10TensorInfoIT3_T5_EES8_S8_S8_NS6_IT4_S8_EES8_b.has_indirect_call, 0
	.section	.AMDGPU.csdata,"",@progbits
; Kernel info:
; codeLenInByte = 23240
; TotalNumSgprs: 40
; NumVgprs: 113
; ScratchSize: 0
; MemoryBound: 0
; FloatMode: 240
; IeeeMode: 1
; LDSByteSize: 16896 bytes/workgroup (compile time only)
; SGPRBlocks: 0
; VGPRBlocks: 14
; NumSGPRsForWavesPerEU: 40
; NumVGPRsForWavesPerEU: 113
; Occupancy: 12
; WaveLimiterHint : 1
; COMPUTE_PGM_RSRC2:SCRATCH_EN: 0
; COMPUTE_PGM_RSRC2:USER_SGPR: 2
; COMPUTE_PGM_RSRC2:TRAP_HANDLER: 0
; COMPUTE_PGM_RSRC2:TGID_X_EN: 1
; COMPUTE_PGM_RSRC2:TGID_Y_EN: 1
; COMPUTE_PGM_RSRC2:TGID_Z_EN: 1
; COMPUTE_PGM_RSRC2:TIDIG_COMP_CNT: 2
	.section	.text._ZN2at6native18radixSortKVInPlaceILin1ELin1ELi128ELi8EN3c104HalfEljEEvNS_4cuda6detail10TensorInfoIT3_T5_EES8_S8_S8_NS6_IT4_S8_EES8_b,"axG",@progbits,_ZN2at6native18radixSortKVInPlaceILin1ELin1ELi128ELi8EN3c104HalfEljEEvNS_4cuda6detail10TensorInfoIT3_T5_EES8_S8_S8_NS6_IT4_S8_EES8_b,comdat
	.protected	_ZN2at6native18radixSortKVInPlaceILin1ELin1ELi128ELi8EN3c104HalfEljEEvNS_4cuda6detail10TensorInfoIT3_T5_EES8_S8_S8_NS6_IT4_S8_EES8_b ; -- Begin function _ZN2at6native18radixSortKVInPlaceILin1ELin1ELi128ELi8EN3c104HalfEljEEvNS_4cuda6detail10TensorInfoIT3_T5_EES8_S8_S8_NS6_IT4_S8_EES8_b
	.globl	_ZN2at6native18radixSortKVInPlaceILin1ELin1ELi128ELi8EN3c104HalfEljEEvNS_4cuda6detail10TensorInfoIT3_T5_EES8_S8_S8_NS6_IT4_S8_EES8_b
	.p2align	8
	.type	_ZN2at6native18radixSortKVInPlaceILin1ELin1ELi128ELi8EN3c104HalfEljEEvNS_4cuda6detail10TensorInfoIT3_T5_EES8_S8_S8_NS6_IT4_S8_EES8_b,@function
_ZN2at6native18radixSortKVInPlaceILin1ELin1ELi128ELi8EN3c104HalfEljEEvNS_4cuda6detail10TensorInfoIT3_T5_EES8_S8_S8_NS6_IT4_S8_EES8_b: ; @_ZN2at6native18radixSortKVInPlaceILin1ELin1ELi128ELi8EN3c104HalfEljEEvNS_4cuda6detail10TensorInfoIT3_T5_EES8_S8_S8_NS6_IT4_S8_EES8_b
; %bb.0:
	s_clause 0x1
	s_load_b64 s[2:3], s[0:1], 0x1c8
	s_load_b96 s[20:22], s[0:1], 0xd8
	s_lshr_b32 s4, ttmp7, 16
	s_wait_kmcnt 0x0
	s_mul_i32 s3, s3, s4
	s_and_b32 s4, ttmp7, 0xffff
	s_delay_alu instid0(SALU_CYCLE_1) | instskip(NEXT) | instid1(SALU_CYCLE_1)
	s_add_co_i32 s3, s3, s4
	s_mul_i32 s2, s3, s2
	s_delay_alu instid0(SALU_CYCLE_1) | instskip(NEXT) | instid1(SALU_CYCLE_1)
	s_add_co_i32 s13, s2, ttmp9
	s_cmp_ge_u32 s13, s20
	s_cbranch_scc1 .LBB232_149
; %bb.1:
	s_load_b32 s4, s[0:1], 0xd0
	s_mov_b32 s3, 0
	s_mov_b32 s2, s13
	s_wait_kmcnt 0x0
	s_cmp_lt_i32 s4, 2
	s_cbranch_scc1 .LBB232_4
; %bb.2:
	s_add_co_i32 s2, s4, -1
	s_delay_alu instid0(SALU_CYCLE_1)
	s_lshl_b64 s[6:7], s[2:3], 2
	s_mov_b32 s2, s13
	s_add_nc_u64 s[8:9], s[0:1], s[6:7]
	s_add_co_i32 s6, s4, 1
	s_add_nc_u64 s[4:5], s[8:9], 8
.LBB232_3:                              ; =>This Inner Loop Header: Depth=1
	s_clause 0x1
	s_load_b32 s7, s[4:5], 0x0
	s_load_b32 s8, s[4:5], 0x64
	s_mov_b32 s11, s2
	s_add_nc_u64 s[4:5], s[4:5], -4
	s_wait_kmcnt 0x0
	s_cvt_f32_u32 s9, s7
	s_sub_co_i32 s10, 0, s7
	s_wait_alu 0xfffe
	s_delay_alu instid0(SALU_CYCLE_1) | instskip(NEXT) | instid1(TRANS32_DEP_1)
	v_rcp_iflag_f32_e32 v1, s9
	v_readfirstlane_b32 s9, v1
	s_mul_f32 s9, s9, 0x4f7ffffe
	s_wait_alu 0xfffe
	s_delay_alu instid0(SALU_CYCLE_2) | instskip(SKIP_1) | instid1(SALU_CYCLE_2)
	s_cvt_u32_f32 s9, s9
	s_wait_alu 0xfffe
	s_mul_i32 s10, s10, s9
	s_delay_alu instid0(SALU_CYCLE_1) | instskip(NEXT) | instid1(SALU_CYCLE_1)
	s_mul_hi_u32 s10, s9, s10
	s_add_co_i32 s9, s9, s10
	s_wait_alu 0xfffe
	s_mul_hi_u32 s2, s2, s9
	s_delay_alu instid0(SALU_CYCLE_1)
	s_mul_i32 s9, s2, s7
	s_add_co_i32 s10, s2, 1
	s_wait_alu 0xfffe
	s_sub_co_i32 s9, s11, s9
	s_wait_alu 0xfffe
	s_sub_co_i32 s12, s9, s7
	s_cmp_ge_u32 s9, s7
	s_cselect_b32 s2, s10, s2
	s_cselect_b32 s9, s12, s9
	s_add_co_i32 s10, s2, 1
	s_wait_alu 0xfffe
	s_cmp_ge_u32 s9, s7
	s_cselect_b32 s2, s10, s2
	s_add_co_i32 s6, s6, -1
	s_mul_i32 s7, s2, s7
	s_delay_alu instid0(SALU_CYCLE_1) | instskip(NEXT) | instid1(SALU_CYCLE_1)
	s_sub_co_i32 s7, s11, s7
	s_mul_i32 s7, s8, s7
	s_delay_alu instid0(SALU_CYCLE_1)
	s_add_co_i32 s3, s7, s3
	s_cmp_gt_u32 s6, 2
	s_cbranch_scc1 .LBB232_3
.LBB232_4:
	s_load_b32 s4, s[0:1], 0x1b8
	s_add_nc_u64 s[36:37], s[0:1], 0x1c8
	s_mov_b32 s9, 0
	s_wait_kmcnt 0x0
	s_cmp_lt_i32 s4, 2
	s_cbranch_scc1 .LBB232_7
; %bb.5:
	s_add_co_i32 s8, s4, -1
	s_wait_alu 0xfffe
	s_lshl_b64 s[6:7], s[8:9], 2
	s_delay_alu instid0(SALU_CYCLE_1)
	s_add_nc_u64 s[10:11], s[0:1], s[6:7]
	s_add_co_i32 s6, s4, 1
	s_add_nc_u64 s[4:5], s[10:11], 0xf0
.LBB232_6:                              ; =>This Inner Loop Header: Depth=1
	s_clause 0x1
	s_load_b32 s7, s[4:5], 0x0
	s_load_b32 s8, s[4:5], 0x64
	s_mov_b32 s12, s13
	s_add_nc_u64 s[4:5], s[4:5], -4
	s_wait_kmcnt 0x0
	s_cvt_f32_u32 s10, s7
	s_sub_co_i32 s11, 0, s7
	s_wait_alu 0xfffe
	s_delay_alu instid0(SALU_CYCLE_1) | instskip(NEXT) | instid1(TRANS32_DEP_1)
	v_rcp_iflag_f32_e32 v1, s10
	v_readfirstlane_b32 s10, v1
	s_mul_f32 s10, s10, 0x4f7ffffe
	s_wait_alu 0xfffe
	s_delay_alu instid0(SALU_CYCLE_2) | instskip(SKIP_1) | instid1(SALU_CYCLE_2)
	s_cvt_u32_f32 s10, s10
	s_wait_alu 0xfffe
	s_mul_i32 s11, s11, s10
	s_wait_alu 0xfffe
	s_mul_hi_u32 s11, s10, s11
	s_wait_alu 0xfffe
	s_add_co_i32 s10, s10, s11
	s_wait_alu 0xfffe
	s_mul_hi_u32 s10, s13, s10
	s_wait_alu 0xfffe
	s_mul_i32 s11, s10, s7
	s_wait_alu 0xfffe
	s_sub_co_i32 s11, s13, s11
	s_add_co_i32 s13, s10, 1
	s_wait_alu 0xfffe
	s_sub_co_i32 s14, s11, s7
	s_cmp_ge_u32 s11, s7
	s_cselect_b32 s10, s13, s10
	s_cselect_b32 s11, s14, s11
	s_wait_alu 0xfffe
	s_add_co_i32 s13, s10, 1
	s_cmp_ge_u32 s11, s7
	s_cselect_b32 s13, s13, s10
	s_add_co_i32 s6, s6, -1
	s_mul_i32 s7, s13, s7
	s_delay_alu instid0(SALU_CYCLE_1) | instskip(NEXT) | instid1(SALU_CYCLE_1)
	s_sub_co_i32 s7, s12, s7
	s_mul_i32 s7, s8, s7
	s_delay_alu instid0(SALU_CYCLE_1)
	s_add_co_i32 s9, s7, s9
	s_cmp_gt_u32 s6, 2
	s_cbranch_scc1 .LBB232_6
.LBB232_7:
	s_clause 0x2
	s_load_b32 s4, s[0:1], 0x6c
	s_load_b64 s[28:29], s[0:1], 0x1c0
	s_load_b64 s[6:7], s[0:1], 0x0
	s_mov_b32 s5, 0
	s_wait_kmcnt 0x0
	s_mul_i32 s2, s4, s2
	s_delay_alu instid0(SALU_CYCLE_1) | instskip(SKIP_3) | instid1(SALU_CYCLE_1)
	s_add_co_i32 s4, s2, s3
	s_bitcmp1_b32 s29, 0
	s_mov_b32 s2, 0xffff
	s_cselect_b32 s12, -1, 0
	s_and_b32 s3, s12, exec_lo
	s_cselect_b32 s14, s2, 0x7fff
	s_delay_alu instid0(SALU_CYCLE_1) | instskip(SKIP_1) | instid1(SALU_CYCLE_1)
	v_dual_mov_b32 v1, s14 :: v_dual_and_b32 v46, 0x3ff, v0
	s_lshl_b64 s[4:5], s[4:5], 1
	s_add_nc_u64 s[30:31], s[6:7], s[4:5]
	s_delay_alu instid0(VALU_DEP_1)
	v_mul_lo_u32 v44, s22, v46
	v_cmp_gt_u32_e64 s2, s21, v46
	s_and_saveexec_b32 s3, s2
	s_cbranch_execz .LBB232_9
; %bb.8:
	v_mov_b32_e32 v45, 0
	s_delay_alu instid0(VALU_DEP_1) | instskip(NEXT) | instid1(VALU_DEP_1)
	v_lshlrev_b64_e32 v[1:2], 1, v[44:45]
	v_add_co_u32 v1, vcc_lo, s30, v1
	s_delay_alu instid0(VALU_DEP_1)
	v_add_co_ci_u32_e64 v2, null, s31, v2, vcc_lo
	global_load_u16 v1, v[1:2], off
.LBB232_9:
	s_or_b32 exec_lo, exec_lo, s3
	v_dual_mov_b32 v2, s14 :: v_dual_add_nc_u32 v15, 0x80, v46
	s_delay_alu instid0(VALU_DEP_1)
	v_cmp_gt_u32_e64 s3, s21, v15
	s_and_saveexec_b32 s4, s3
	s_cbranch_execz .LBB232_11
; %bb.10:
	v_mul_lo_u32 v2, s22, v15
	v_mov_b32_e32 v3, 0
	s_delay_alu instid0(VALU_DEP_1) | instskip(NEXT) | instid1(VALU_DEP_1)
	v_lshlrev_b64_e32 v[2:3], 1, v[2:3]
	v_add_co_u32 v2, vcc_lo, s30, v2
	s_wait_alu 0xfffd
	s_delay_alu instid0(VALU_DEP_2)
	v_add_co_ci_u32_e64 v3, null, s31, v3, vcc_lo
	global_load_u16 v2, v[2:3], off
.LBB232_11:
	s_or_b32 exec_lo, exec_lo, s4
	v_dual_mov_b32 v3, s14 :: v_dual_add_nc_u32 v16, 0x100, v46
	s_delay_alu instid0(VALU_DEP_1)
	v_cmp_gt_u32_e64 s4, s21, v16
	s_and_saveexec_b32 s5, s4
	s_cbranch_execz .LBB232_13
; %bb.12:
	v_mul_lo_u32 v3, s22, v16
	v_mov_b32_e32 v4, 0
	s_delay_alu instid0(VALU_DEP_1) | instskip(NEXT) | instid1(VALU_DEP_1)
	v_lshlrev_b64_e32 v[3:4], 1, v[3:4]
	v_add_co_u32 v3, vcc_lo, s30, v3
	s_wait_alu 0xfffd
	s_delay_alu instid0(VALU_DEP_2)
	v_add_co_ci_u32_e64 v4, null, s31, v4, vcc_lo
	global_load_u16 v3, v[3:4], off
.LBB232_13:
	;; [unrolled: 17-line block ×5, first 2 shown]
	s_wait_alu 0xfffe
	s_or_b32 exec_lo, exec_lo, s8
	v_dual_mov_b32 v7, s14 :: v_dual_add_nc_u32 v20, 0x300, v46
	s_delay_alu instid0(VALU_DEP_1)
	v_cmp_gt_u32_e64 s8, s21, v20
	s_and_saveexec_b32 s10, s8
	s_cbranch_execz .LBB232_21
; %bb.20:
	v_mul_lo_u32 v7, s22, v20
	v_mov_b32_e32 v8, 0
	s_delay_alu instid0(VALU_DEP_1) | instskip(NEXT) | instid1(VALU_DEP_1)
	v_lshlrev_b64_e32 v[7:8], 1, v[7:8]
	v_add_co_u32 v7, vcc_lo, s30, v7
	s_wait_alu 0xfffd
	s_delay_alu instid0(VALU_DEP_2)
	v_add_co_ci_u32_e64 v8, null, s31, v8, vcc_lo
	global_load_u16 v7, v[7:8], off
.LBB232_21:
	s_wait_alu 0xfffe
	s_or_b32 exec_lo, exec_lo, s10
	s_clause 0x1
	s_load_b32 s15, s[0:1], 0x154
	s_load_b64 s[10:11], s[0:1], 0xe8
	v_dual_mov_b32 v8, s14 :: v_dual_add_nc_u32 v21, 0x380, v46
	s_delay_alu instid0(VALU_DEP_1)
	v_cmp_gt_u32_e64 s0, s21, v21
	s_and_saveexec_b32 s1, s0
	s_cbranch_execz .LBB232_23
; %bb.22:
	v_mul_lo_u32 v8, s22, v21
	v_mov_b32_e32 v9, 0
	s_delay_alu instid0(VALU_DEP_1) | instskip(NEXT) | instid1(VALU_DEP_1)
	v_lshlrev_b64_e32 v[8:9], 1, v[8:9]
	v_add_co_u32 v8, vcc_lo, s30, v8
	s_wait_alu 0xfffd
	s_delay_alu instid0(VALU_DEP_2)
	v_add_co_ci_u32_e64 v9, null, s31, v9, vcc_lo
	global_load_u16 v8, v[8:9], off
.LBB232_23:
	s_or_b32 exec_lo, exec_lo, s1
	v_lshrrev_b32_e32 v9, 4, v46
	v_lshrrev_b32_e32 v10, 4, v15
	;; [unrolled: 1-line block ×5, first 2 shown]
	v_dual_mov_b32 v42, 0 :: v_dual_and_b32 v9, 60, v9
	v_lshlrev_b32_e32 v12, 1, v46
	v_and_b32_e32 v10, 0x7c, v10
	v_and_b32_e32 v11, 0x7c, v11
	s_wait_kmcnt 0x0
	s_mul_i32 s1, s15, s13
	v_mov_b32_e32 v43, v42
	v_add_nc_u32_e32 v51, v9, v12
	v_add_nc_u32_e32 v45, v10, v12
	;; [unrolled: 1-line block ×3, first 2 shown]
	v_and_b32_e32 v9, 0x7c, v13
	v_lshrrev_b32_e32 v10, 4, v18
	v_lshrrev_b32_e32 v11, 4, v19
	;; [unrolled: 1-line block ×3, first 2 shown]
	v_mul_lo_u32 v41, s28, v46
	v_add_nc_u32_e32 v53, v9, v12
	v_and_b32_e32 v9, 0x7c, v10
	v_and_b32_e32 v10, 0x7c, v11
	v_and_b32_e32 v11, 0x7c, v13
	v_and_b32_e32 v13, 0x7c, v14
	v_lshrrev_b32_e32 v14, 1, v46
	v_add_nc_u32_e32 v54, v9, v12
	v_add_nc_u32_e32 v55, v10, v12
	;; [unrolled: 1-line block ×4, first 2 shown]
	v_and_b32_e32 v9, 0x1fc, v14
	v_mov_b32_e32 v13, 0
	v_dual_mov_b32 v11, v42 :: v_dual_mov_b32 v12, v42
	v_mov_b32_e32 v14, 0
	s_delay_alu instid0(VALU_DEP_4)
	v_lshl_add_u32 v58, v46, 4, v9
	s_wait_loadcnt 0x0
	ds_store_b16 v51, v1
	ds_store_b16 v45, v2 offset:256
	ds_store_b16 v52, v3 offset:512
	;; [unrolled: 1-line block ×7, first 2 shown]
	s_wait_dscnt 0x0
	s_barrier_signal -1
	s_barrier_wait -1
	global_inv scope:SCOPE_SE
	ds_load_2addr_b32 v[49:50], v58 offset1:1
	ds_load_2addr_b32 v[47:48], v58 offset0:2 offset1:3
	s_add_co_i32 s14, s1, s9
	s_mov_b32 s15, 0
	v_dual_mov_b32 v9, v42 :: v_dual_mov_b32 v10, v42
	v_dual_mov_b32 v1, v42 :: v_dual_mov_b32 v2, v42
	;; [unrolled: 1-line block ×5, first 2 shown]
	s_wait_alu 0xfffe
	s_lshl_b64 s[14:15], s[14:15], 3
	s_wait_loadcnt_dscnt 0x0
	s_wait_alu 0xfffe
	s_add_nc_u64 s[34:35], s[10:11], s[14:15]
	s_barrier_signal -1
	s_barrier_wait -1
	global_inv scope:SCOPE_SE
	s_and_saveexec_b32 s1, s2
	s_cbranch_execnz .LBB232_79
; %bb.24:
	s_or_b32 exec_lo, exec_lo, s1
	s_and_saveexec_b32 s1, s3
	s_cbranch_execnz .LBB232_80
.LBB232_25:
	s_or_b32 exec_lo, exec_lo, s1
	s_and_saveexec_b32 s1, s4
	s_cbranch_execnz .LBB232_81
.LBB232_26:
	s_or_b32 exec_lo, exec_lo, s1
	s_and_saveexec_b32 s1, s5
	s_cbranch_execnz .LBB232_82
.LBB232_27:
	s_or_b32 exec_lo, exec_lo, s1
	s_and_saveexec_b32 s1, s6
	s_cbranch_execnz .LBB232_83
.LBB232_28:
	s_or_b32 exec_lo, exec_lo, s1
	s_and_saveexec_b32 s1, s7
	s_cbranch_execnz .LBB232_84
.LBB232_29:
	s_or_b32 exec_lo, exec_lo, s1
	s_and_saveexec_b32 s1, s8
	s_cbranch_execz .LBB232_31
.LBB232_30:
	v_mul_lo_u32 v5, s28, v20
	v_mov_b32_e32 v6, 0
	s_delay_alu instid0(VALU_DEP_1) | instskip(NEXT) | instid1(VALU_DEP_1)
	v_lshlrev_b64_e32 v[5:6], 3, v[5:6]
	v_add_co_u32 v5, vcc_lo, s34, v5
	s_wait_alu 0xfffd
	s_delay_alu instid0(VALU_DEP_2)
	v_add_co_ci_u32_e64 v6, null, s35, v6, vcc_lo
	global_load_b64 v[5:6], v[5:6], off
.LBB232_31:
	s_or_b32 exec_lo, exec_lo, s1
	v_lshrrev_b32_e32 v68, 5, v46
	v_lshrrev_b32_e32 v25, 5, v15
	;; [unrolled: 1-line block ×8, first 2 shown]
	v_lshlrev_b32_e32 v66, 3, v46
	v_lshrrev_b32_e32 v15, 2, v46
	s_xor_b32 s1, s12, -1
	s_and_saveexec_b32 s9, s0
	s_cbranch_execz .LBB232_33
; %bb.32:
	v_mul_lo_u32 v7, s28, v21
	v_mov_b32_e32 v8, 0
	s_delay_alu instid0(VALU_DEP_1) | instskip(NEXT) | instid1(VALU_DEP_1)
	v_lshlrev_b64_e32 v[7:8], 3, v[7:8]
	v_add_co_u32 v7, vcc_lo, s34, v7
	s_wait_alu 0xfffd
	s_delay_alu instid0(VALU_DEP_2)
	v_add_co_ci_u32_e64 v8, null, s35, v8, vcc_lo
	global_load_b64 v[7:8], v[7:8], off
.LBB232_33:
	s_wait_alu 0xfffe
	s_or_b32 exec_lo, exec_lo, s9
	v_lshl_add_u32 v59, v68, 3, v66
	v_lshl_add_u32 v60, v25, 3, v66
	;; [unrolled: 1-line block ×5, first 2 shown]
	s_wait_loadcnt 0x0
	ds_store_b64 v59, v[13:14]
	ds_store_b64 v60, v[42:43] offset:1024
	ds_store_b64 v61, v[9:10] offset:2048
	;; [unrolled: 1-line block ×3, first 2 shown]
	v_lshlrev_b32_e32 v9, 3, v66
	v_lshl_add_u32 v42, v22, 3, v66
	v_lshl_add_u32 v43, v18, 3, v66
	;; [unrolled: 1-line block ×3, first 2 shown]
	ds_store_b64 v42, v[1:2] offset:4096
	ds_store_b64 v43, v[3:4] offset:5120
	;; [unrolled: 1-line block ×4, first 2 shown]
	v_lshl_add_u32 v65, v15, 3, v9
	s_wait_dscnt 0x0
	s_barrier_signal -1
	s_barrier_wait -1
	global_inv scope:SCOPE_SE
	ds_load_2addr_b64 v[13:16], v65 offset1:1
	ds_load_2addr_b64 v[9:12], v65 offset0:2 offset1:3
	ds_load_2addr_b64 v[5:8], v65 offset0:4 offset1:5
	;; [unrolled: 1-line block ×3, first 2 shown]
	v_bfe_u32 v71, v0, 10, 10
	v_bfe_u32 v72, v0, 20, 10
	v_mbcnt_lo_u32_b32 v69, -1, 0
	v_and_b32_e32 v70, 0x3e0, v46
	v_lshlrev_b32_e32 v67, 2, v66
	s_and_b32 vcc_lo, exec_lo, s1
	s_wait_loadcnt_dscnt 0x0
	s_barrier_signal -1
	s_barrier_wait -1
	global_inv scope:SCOPE_SE
	s_wait_alu 0xfffe
	s_cbranch_vccz .LBB232_85
; %bb.34:
	v_pk_ashrrev_i16 v0, 15, v49 op_sel_hi:[0,1]
	v_pk_ashrrev_i16 v17, 15, v50 op_sel_hi:[0,1]
	;; [unrolled: 1-line block ×4, first 2 shown]
	v_or_b32_e32 v21, v69, v70
	v_or_b32_e32 v0, 0x80008000, v0
	;; [unrolled: 1-line block ×5, first 2 shown]
	v_and_or_b32 v84, 0x1f00, v66, v69
	s_mov_b32 s12, 0
	v_xor_b32_e32 v17, v0, v49
	v_xor_b32_e32 v18, v20, v50
	;; [unrolled: 1-line block ×4, first 2 shown]
	s_mov_b32 s13, s12
	s_mov_b32 s14, s12
	;; [unrolled: 1-line block ×3, first 2 shown]
	v_lshlrev_b32_e32 v23, 4, v21
	v_lshlrev_b32_e32 v73, 1, v84
	s_getpc_b64 s[10:11]
	s_wait_alu 0xfffe
	s_sext_i32_i16 s11, s11
	s_add_co_u32 s10, s10, _ZN7rocprim17ROCPRIM_400000_NS16block_radix_sortI6__halfLj128ELj8ElLj1ELj1ELj0ELNS0_26block_radix_rank_algorithmE1ELNS0_18block_padding_hintE2ELNS0_4arch9wavefront6targetE0EE19radix_bits_per_passE@rel32@lo+12
	s_wait_alu 0xfffe
	s_add_co_ci_u32 s11, s11, _ZN7rocprim17ROCPRIM_400000_NS16block_radix_sortI6__halfLj128ELj8ElLj1ELj1ELj0ELNS0_26block_radix_rank_algorithmE1ELNS0_18block_padding_hintE2ELNS0_4arch9wavefront6targetE0EE19radix_bits_per_passE@rel32@hi+24
	s_load_b32 s19, s[10:11], 0x0
	ds_store_b128 v23, v[17:20]
	; wave barrier
	ds_load_u16 v74, v73
	v_mad_u32_u24 v0, v21, 48, v23
	ds_load_u16 v75, v73 offset:64
	ds_load_u16 v76, v73 offset:128
	;; [unrolled: 1-line block ×7, first 2 shown]
	s_wait_loadcnt_dscnt 0x0
	s_barrier_signal -1
	s_barrier_wait -1
	global_inv scope:SCOPE_SE
	ds_store_b128 v0, v[13:16]
	ds_store_b128 v0, v[9:12] offset:16
	ds_store_b128 v0, v[5:8] offset:32
	;; [unrolled: 1-line block ×3, first 2 shown]
	v_mad_u32_u24 v29, v84, 6, v73
	; wave barrier
	s_wait_kmcnt 0x0
	s_min_u32 s1, s19, 16
	s_delay_alu instid0(SALU_CYCLE_1) | instskip(SKIP_4) | instid1(VALU_DEP_1)
	s_lshl_b32 s1, -1, s1
	v_cmp_ne_u16_e32 vcc_lo, 0x7fff, v74
	s_not_b32 s9, s1
	s_wait_alu 0xfffd
	v_cndmask_b32_e32 v17, 0xffff8000, v74, vcc_lo
	v_and_b32_e32 v17, 0xffff, v17
	s_wait_alu 0xfffe
	s_delay_alu instid0(VALU_DEP_1)
	v_and_b32_e32 v40, s9, v17
	ds_load_2addr_b64 v[17:20], v29 offset1:32
	ds_load_2addr_b64 v[25:28], v29 offset0:64 offset1:96
	ds_load_2addr_b64 v[21:24], v29 offset0:128 offset1:160
	;; [unrolled: 1-line block ×3, first 2 shown]
	s_wait_loadcnt_dscnt 0x0
	v_and_b32_e32 v0, 1, v40
	v_lshlrev_b32_e32 v33, 30, v40
	v_lshlrev_b32_e32 v36, 28, v40
	s_barrier_signal -1
	s_barrier_wait -1
	v_add_co_u32 v0, s1, v0, -1
	s_delay_alu instid0(VALU_DEP_1)
	v_cndmask_b32_e64 v34, 0, 1, s1
	v_not_b32_e32 v35, v33
	v_cmp_gt_i32_e64 s1, 0, v33
	global_inv scope:SCOPE_SE
	v_cmp_ne_u32_e32 vcc_lo, 0, v34
	v_lshlrev_b32_e32 v34, 29, v40
	v_ashrrev_i32_e32 v33, 31, v35
	s_wait_alu 0xfffd
	v_xor_b32_e32 v0, vcc_lo, v0
	s_delay_alu instid0(VALU_DEP_3)
	v_not_b32_e32 v35, v34
	s_wait_alu 0xf1ff
	v_xor_b32_e32 v33, s1, v33
	v_cmp_gt_i32_e32 vcc_lo, 0, v34
	s_load_b32 s1, s[36:37], 0xc
	v_and_b32_e32 v0, exec_lo, v0
	v_ashrrev_i32_e32 v34, 31, v35
	v_not_b32_e32 v35, v36
	s_delay_alu instid0(VALU_DEP_3) | instskip(SKIP_1) | instid1(VALU_DEP_4)
	v_and_b32_e32 v0, v0, v33
	v_lshlrev_b32_e32 v33, 27, v40
	v_xor_b32_e32 v34, vcc_lo, v34
	v_cmp_gt_i32_e32 vcc_lo, 0, v36
	v_ashrrev_i32_e32 v35, 31, v35
	s_delay_alu instid0(VALU_DEP_4) | instskip(NEXT) | instid1(VALU_DEP_4)
	v_not_b32_e32 v36, v33
	v_and_b32_e32 v0, v0, v34
	v_lshlrev_b32_e32 v34, 26, v40
	s_wait_alu 0xfffd
	v_xor_b32_e32 v35, vcc_lo, v35
	v_cmp_gt_i32_e32 vcc_lo, 0, v33
	v_ashrrev_i32_e32 v33, 31, v36
	v_not_b32_e32 v36, v34
	s_delay_alu instid0(VALU_DEP_4)
	v_and_b32_e32 v0, v0, v35
	v_lshlrev_b32_e32 v35, 25, v40
	s_wait_alu 0xfffd
	v_xor_b32_e32 v33, vcc_lo, v33
	v_cmp_gt_i32_e32 vcc_lo, 0, v34
	v_ashrrev_i32_e32 v34, 31, v36
	s_wait_kmcnt 0x0
	s_lshr_b32 s10, s1, 16
	v_not_b32_e32 v36, v35
	v_and_b32_e32 v0, v0, v33
	v_lshlrev_b32_e32 v33, 24, v40
	s_wait_alu 0xfffd
	v_xor_b32_e32 v34, vcc_lo, v34
	v_cmp_gt_i32_e32 vcc_lo, 0, v35
	v_ashrrev_i32_e32 v35, 31, v36
	s_wait_alu 0xfffe
	v_mad_u32_u24 v37, v72, s10, v71
	v_not_b32_e32 v36, v33
	v_and_b32_e32 v0, v0, v34
	s_and_b32 s1, s1, 0xffff
	s_wait_alu 0xfffd
	v_xor_b32_e32 v34, vcc_lo, v35
	v_cmp_gt_i32_e32 vcc_lo, 0, v33
	v_ashrrev_i32_e32 v33, 31, v36
	s_wait_alu 0xfffe
	v_mad_co_u64_u32 v[38:39], null, v37, s1, v[46:47]
	v_dual_mov_b32 v37, s15 :: v_dual_and_b32 v0, v0, v34
	s_wait_alu 0xfffd
	v_xor_b32_e32 v33, vcc_lo, v33
	v_dual_mov_b32 v36, s14 :: v_dual_mov_b32 v35, s13
	v_mov_b32_e32 v34, s12
	ds_store_b128 v67, v[34:37] offset:16
	ds_store_b128 v67, v[34:37] offset:32
	v_and_b32_e32 v33, v0, v33
	v_lshrrev_b32_e32 v0, 5, v38
	v_lshlrev_b32_e32 v34, 4, v40
	s_wait_loadcnt_dscnt 0x0
	s_barrier_signal -1
	v_mbcnt_lo_u32_b32 v86, v33, 0
	v_lshlrev_b32_e32 v0, 2, v0
	v_cmp_ne_u32_e64 s1, 0, v33
	s_barrier_wait -1
	global_inv scope:SCOPE_SE
	v_cmp_eq_u32_e32 vcc_lo, 0, v86
	v_add_nc_u32_e32 v87, v0, v34
	; wave barrier
	s_and_b32 s10, s1, vcc_lo
	s_wait_alu 0xfffe
	s_and_saveexec_b32 s1, s10
; %bb.35:
	v_bcnt_u32_b32 v33, v33, 0
	ds_store_b32 v87, v33 offset:16
; %bb.36:
	s_wait_alu 0xfffe
	s_or_b32 exec_lo, exec_lo, s1
	v_cmp_ne_u16_e32 vcc_lo, 0x7fff, v75
	; wave barrier
	s_wait_alu 0xfffd
	v_cndmask_b32_e32 v33, 0xffff8000, v75, vcc_lo
	s_delay_alu instid0(VALU_DEP_1) | instskip(NEXT) | instid1(VALU_DEP_1)
	v_and_b32_e32 v33, 0xffff, v33
	v_and_b32_e32 v33, s9, v33
	s_delay_alu instid0(VALU_DEP_1)
	v_and_b32_e32 v34, 1, v33
	v_lshlrev_b32_e32 v35, 30, v33
	v_lshlrev_b32_e32 v36, 29, v33
	;; [unrolled: 1-line block ×4, first 2 shown]
	v_add_co_u32 v34, s1, v34, -1
	s_wait_alu 0xf1ff
	v_cndmask_b32_e64 v38, 0, 1, s1
	v_not_b32_e32 v83, v35
	v_cmp_gt_i32_e64 s1, 0, v35
	v_not_b32_e32 v35, v36
	v_lshlrev_b32_e32 v40, 26, v33
	v_cmp_ne_u32_e32 vcc_lo, 0, v38
	v_ashrrev_i32_e32 v83, 31, v83
	v_lshlrev_b32_e32 v82, 25, v33
	v_ashrrev_i32_e32 v35, 31, v35
	v_lshlrev_b32_e32 v38, 24, v33
	s_wait_alu 0xfffd
	v_xor_b32_e32 v34, vcc_lo, v34
	v_cmp_gt_i32_e32 vcc_lo, 0, v36
	v_not_b32_e32 v36, v37
	s_wait_alu 0xf1ff
	v_xor_b32_e32 v83, s1, v83
	v_cmp_gt_i32_e64 s1, 0, v37
	v_and_b32_e32 v34, exec_lo, v34
	v_not_b32_e32 v37, v39
	v_ashrrev_i32_e32 v36, 31, v36
	s_wait_alu 0xfffd
	v_xor_b32_e32 v35, vcc_lo, v35
	v_cmp_gt_i32_e32 vcc_lo, 0, v39
	v_and_b32_e32 v34, v34, v83
	v_not_b32_e32 v39, v40
	v_ashrrev_i32_e32 v37, 31, v37
	s_wait_alu 0xf1ff
	v_xor_b32_e32 v36, s1, v36
	v_cmp_gt_i32_e64 s1, 0, v40
	v_and_b32_e32 v34, v34, v35
	v_not_b32_e32 v35, v82
	v_ashrrev_i32_e32 v39, 31, v39
	s_wait_alu 0xfffd
	v_xor_b32_e32 v37, vcc_lo, v37
	v_cmp_gt_i32_e32 vcc_lo, 0, v82
	v_and_b32_e32 v34, v34, v36
	v_not_b32_e32 v36, v38
	v_ashrrev_i32_e32 v35, 31, v35
	s_wait_alu 0xf1ff
	v_xor_b32_e32 v39, s1, v39
	v_lshlrev_b32_e32 v33, 4, v33
	v_and_b32_e32 v34, v34, v37
	v_cmp_gt_i32_e64 s1, 0, v38
	v_ashrrev_i32_e32 v36, 31, v36
	s_wait_alu 0xfffd
	v_xor_b32_e32 v35, vcc_lo, v35
	v_add_nc_u32_e32 v90, v0, v33
	v_and_b32_e32 v34, v34, v39
	s_wait_alu 0xf1ff
	v_xor_b32_e32 v33, s1, v36
	ds_load_b32 v88, v90 offset:16
	v_and_b32_e32 v34, v34, v35
	; wave barrier
	s_delay_alu instid0(VALU_DEP_1) | instskip(NEXT) | instid1(VALU_DEP_1)
	v_and_b32_e32 v33, v34, v33
	v_mbcnt_lo_u32_b32 v89, v33, 0
	v_cmp_ne_u32_e64 s1, 0, v33
	s_delay_alu instid0(VALU_DEP_2)
	v_cmp_eq_u32_e32 vcc_lo, 0, v89
	s_and_b32 s10, s1, vcc_lo
	s_wait_alu 0xfffe
	s_and_saveexec_b32 s1, s10
	s_cbranch_execz .LBB232_38
; %bb.37:
	s_wait_dscnt 0x0
	v_bcnt_u32_b32 v33, v33, v88
	ds_store_b32 v90, v33 offset:16
.LBB232_38:
	s_wait_alu 0xfffe
	s_or_b32 exec_lo, exec_lo, s1
	v_cmp_ne_u16_e32 vcc_lo, 0x7fff, v76
	; wave barrier
	s_wait_alu 0xfffd
	v_cndmask_b32_e32 v33, 0xffff8000, v76, vcc_lo
	s_delay_alu instid0(VALU_DEP_1) | instskip(NEXT) | instid1(VALU_DEP_1)
	v_and_b32_e32 v33, 0xffff, v33
	v_and_b32_e32 v33, s9, v33
	s_delay_alu instid0(VALU_DEP_1)
	v_and_b32_e32 v34, 1, v33
	v_lshlrev_b32_e32 v35, 30, v33
	v_lshlrev_b32_e32 v36, 29, v33
	v_lshlrev_b32_e32 v37, 28, v33
	v_lshlrev_b32_e32 v39, 27, v33
	v_add_co_u32 v34, s1, v34, -1
	s_wait_alu 0xf1ff
	v_cndmask_b32_e64 v38, 0, 1, s1
	v_not_b32_e32 v83, v35
	v_cmp_gt_i32_e64 s1, 0, v35
	v_not_b32_e32 v35, v36
	v_lshlrev_b32_e32 v40, 26, v33
	v_cmp_ne_u32_e32 vcc_lo, 0, v38
	v_ashrrev_i32_e32 v83, 31, v83
	v_lshlrev_b32_e32 v82, 25, v33
	v_ashrrev_i32_e32 v35, 31, v35
	v_lshlrev_b32_e32 v38, 24, v33
	s_wait_alu 0xfffd
	v_xor_b32_e32 v34, vcc_lo, v34
	v_cmp_gt_i32_e32 vcc_lo, 0, v36
	v_not_b32_e32 v36, v37
	s_wait_alu 0xf1ff
	v_xor_b32_e32 v83, s1, v83
	v_cmp_gt_i32_e64 s1, 0, v37
	v_and_b32_e32 v34, exec_lo, v34
	v_not_b32_e32 v37, v39
	v_ashrrev_i32_e32 v36, 31, v36
	s_wait_alu 0xfffd
	v_xor_b32_e32 v35, vcc_lo, v35
	v_cmp_gt_i32_e32 vcc_lo, 0, v39
	v_and_b32_e32 v34, v34, v83
	v_not_b32_e32 v39, v40
	v_ashrrev_i32_e32 v37, 31, v37
	s_wait_alu 0xf1ff
	v_xor_b32_e32 v36, s1, v36
	v_cmp_gt_i32_e64 s1, 0, v40
	v_and_b32_e32 v34, v34, v35
	v_not_b32_e32 v35, v82
	v_ashrrev_i32_e32 v39, 31, v39
	s_wait_alu 0xfffd
	v_xor_b32_e32 v37, vcc_lo, v37
	v_cmp_gt_i32_e32 vcc_lo, 0, v82
	v_and_b32_e32 v34, v34, v36
	v_not_b32_e32 v36, v38
	v_ashrrev_i32_e32 v35, 31, v35
	s_wait_alu 0xf1ff
	v_xor_b32_e32 v39, s1, v39
	v_lshlrev_b32_e32 v33, 4, v33
	v_and_b32_e32 v34, v34, v37
	v_cmp_gt_i32_e64 s1, 0, v38
	v_ashrrev_i32_e32 v36, 31, v36
	s_wait_alu 0xfffd
	v_xor_b32_e32 v35, vcc_lo, v35
	v_add_nc_u32_e32 v93, v0, v33
	v_and_b32_e32 v34, v34, v39
	s_wait_alu 0xf1ff
	v_xor_b32_e32 v33, s1, v36
	ds_load_b32 v91, v93 offset:16
	v_and_b32_e32 v34, v34, v35
	; wave barrier
	s_delay_alu instid0(VALU_DEP_1) | instskip(NEXT) | instid1(VALU_DEP_1)
	v_and_b32_e32 v33, v34, v33
	v_mbcnt_lo_u32_b32 v92, v33, 0
	v_cmp_ne_u32_e64 s1, 0, v33
	s_delay_alu instid0(VALU_DEP_2)
	v_cmp_eq_u32_e32 vcc_lo, 0, v92
	s_and_b32 s10, s1, vcc_lo
	s_wait_alu 0xfffe
	s_and_saveexec_b32 s1, s10
	s_cbranch_execz .LBB232_40
; %bb.39:
	s_wait_dscnt 0x0
	v_bcnt_u32_b32 v33, v33, v91
	ds_store_b32 v93, v33 offset:16
.LBB232_40:
	s_wait_alu 0xfffe
	s_or_b32 exec_lo, exec_lo, s1
	v_cmp_ne_u16_e32 vcc_lo, 0x7fff, v77
	; wave barrier
	s_wait_alu 0xfffd
	v_cndmask_b32_e32 v33, 0xffff8000, v77, vcc_lo
	s_delay_alu instid0(VALU_DEP_1) | instskip(NEXT) | instid1(VALU_DEP_1)
	v_and_b32_e32 v33, 0xffff, v33
	v_and_b32_e32 v33, s9, v33
	s_delay_alu instid0(VALU_DEP_1)
	v_and_b32_e32 v34, 1, v33
	v_lshlrev_b32_e32 v35, 30, v33
	v_lshlrev_b32_e32 v36, 29, v33
	;; [unrolled: 1-line block ×4, first 2 shown]
	v_add_co_u32 v34, s1, v34, -1
	s_wait_alu 0xf1ff
	v_cndmask_b32_e64 v38, 0, 1, s1
	v_not_b32_e32 v83, v35
	v_cmp_gt_i32_e64 s1, 0, v35
	v_not_b32_e32 v35, v36
	v_lshlrev_b32_e32 v40, 26, v33
	v_cmp_ne_u32_e32 vcc_lo, 0, v38
	v_ashrrev_i32_e32 v83, 31, v83
	v_lshlrev_b32_e32 v82, 25, v33
	v_ashrrev_i32_e32 v35, 31, v35
	v_lshlrev_b32_e32 v38, 24, v33
	s_wait_alu 0xfffd
	v_xor_b32_e32 v34, vcc_lo, v34
	v_cmp_gt_i32_e32 vcc_lo, 0, v36
	v_not_b32_e32 v36, v37
	s_wait_alu 0xf1ff
	v_xor_b32_e32 v83, s1, v83
	v_cmp_gt_i32_e64 s1, 0, v37
	v_and_b32_e32 v34, exec_lo, v34
	v_not_b32_e32 v37, v39
	v_ashrrev_i32_e32 v36, 31, v36
	s_wait_alu 0xfffd
	v_xor_b32_e32 v35, vcc_lo, v35
	v_cmp_gt_i32_e32 vcc_lo, 0, v39
	v_and_b32_e32 v34, v34, v83
	v_not_b32_e32 v39, v40
	v_ashrrev_i32_e32 v37, 31, v37
	s_wait_alu 0xf1ff
	v_xor_b32_e32 v36, s1, v36
	v_cmp_gt_i32_e64 s1, 0, v40
	v_and_b32_e32 v34, v34, v35
	v_not_b32_e32 v35, v82
	v_ashrrev_i32_e32 v39, 31, v39
	s_wait_alu 0xfffd
	v_xor_b32_e32 v37, vcc_lo, v37
	v_cmp_gt_i32_e32 vcc_lo, 0, v82
	v_and_b32_e32 v34, v34, v36
	v_not_b32_e32 v36, v38
	v_ashrrev_i32_e32 v35, 31, v35
	s_wait_alu 0xf1ff
	v_xor_b32_e32 v39, s1, v39
	v_lshlrev_b32_e32 v33, 4, v33
	v_and_b32_e32 v34, v34, v37
	v_cmp_gt_i32_e64 s1, 0, v38
	v_ashrrev_i32_e32 v36, 31, v36
	s_wait_alu 0xfffd
	v_xor_b32_e32 v35, vcc_lo, v35
	v_add_nc_u32_e32 v96, v0, v33
	v_and_b32_e32 v34, v34, v39
	s_wait_alu 0xf1ff
	v_xor_b32_e32 v33, s1, v36
	ds_load_b32 v94, v96 offset:16
	v_and_b32_e32 v34, v34, v35
	; wave barrier
	s_delay_alu instid0(VALU_DEP_1) | instskip(NEXT) | instid1(VALU_DEP_1)
	v_and_b32_e32 v33, v34, v33
	v_mbcnt_lo_u32_b32 v95, v33, 0
	v_cmp_ne_u32_e64 s1, 0, v33
	s_delay_alu instid0(VALU_DEP_2)
	v_cmp_eq_u32_e32 vcc_lo, 0, v95
	s_and_b32 s10, s1, vcc_lo
	s_wait_alu 0xfffe
	s_and_saveexec_b32 s1, s10
	s_cbranch_execz .LBB232_42
; %bb.41:
	s_wait_dscnt 0x0
	v_bcnt_u32_b32 v33, v33, v94
	ds_store_b32 v96, v33 offset:16
.LBB232_42:
	s_wait_alu 0xfffe
	s_or_b32 exec_lo, exec_lo, s1
	v_cmp_ne_u16_e32 vcc_lo, 0x7fff, v78
	; wave barrier
	s_wait_alu 0xfffd
	v_cndmask_b32_e32 v33, 0xffff8000, v78, vcc_lo
	s_delay_alu instid0(VALU_DEP_1) | instskip(NEXT) | instid1(VALU_DEP_1)
	v_and_b32_e32 v33, 0xffff, v33
	v_and_b32_e32 v33, s9, v33
	s_delay_alu instid0(VALU_DEP_1)
	v_and_b32_e32 v34, 1, v33
	v_lshlrev_b32_e32 v35, 30, v33
	v_lshlrev_b32_e32 v36, 29, v33
	;; [unrolled: 1-line block ×4, first 2 shown]
	v_add_co_u32 v34, s1, v34, -1
	s_wait_alu 0xf1ff
	v_cndmask_b32_e64 v38, 0, 1, s1
	v_not_b32_e32 v83, v35
	v_cmp_gt_i32_e64 s1, 0, v35
	v_not_b32_e32 v35, v36
	v_lshlrev_b32_e32 v40, 26, v33
	v_cmp_ne_u32_e32 vcc_lo, 0, v38
	v_ashrrev_i32_e32 v83, 31, v83
	v_lshlrev_b32_e32 v82, 25, v33
	v_ashrrev_i32_e32 v35, 31, v35
	v_lshlrev_b32_e32 v38, 24, v33
	s_wait_alu 0xfffd
	v_xor_b32_e32 v34, vcc_lo, v34
	v_cmp_gt_i32_e32 vcc_lo, 0, v36
	v_not_b32_e32 v36, v37
	s_wait_alu 0xf1ff
	v_xor_b32_e32 v83, s1, v83
	v_cmp_gt_i32_e64 s1, 0, v37
	v_and_b32_e32 v34, exec_lo, v34
	v_not_b32_e32 v37, v39
	v_ashrrev_i32_e32 v36, 31, v36
	s_wait_alu 0xfffd
	v_xor_b32_e32 v35, vcc_lo, v35
	v_cmp_gt_i32_e32 vcc_lo, 0, v39
	v_and_b32_e32 v34, v34, v83
	v_not_b32_e32 v39, v40
	v_ashrrev_i32_e32 v37, 31, v37
	s_wait_alu 0xf1ff
	v_xor_b32_e32 v36, s1, v36
	v_cmp_gt_i32_e64 s1, 0, v40
	v_and_b32_e32 v34, v34, v35
	v_not_b32_e32 v35, v82
	v_ashrrev_i32_e32 v39, 31, v39
	s_wait_alu 0xfffd
	v_xor_b32_e32 v37, vcc_lo, v37
	v_cmp_gt_i32_e32 vcc_lo, 0, v82
	v_and_b32_e32 v34, v34, v36
	v_not_b32_e32 v36, v38
	v_ashrrev_i32_e32 v35, 31, v35
	s_wait_alu 0xf1ff
	v_xor_b32_e32 v39, s1, v39
	v_lshlrev_b32_e32 v33, 4, v33
	v_and_b32_e32 v34, v34, v37
	v_cmp_gt_i32_e64 s1, 0, v38
	v_ashrrev_i32_e32 v36, 31, v36
	s_wait_alu 0xfffd
	v_xor_b32_e32 v35, vcc_lo, v35
	v_add_nc_u32_e32 v99, v0, v33
	v_and_b32_e32 v34, v34, v39
	s_wait_alu 0xf1ff
	v_xor_b32_e32 v33, s1, v36
	ds_load_b32 v97, v99 offset:16
	v_and_b32_e32 v34, v34, v35
	; wave barrier
	s_delay_alu instid0(VALU_DEP_1) | instskip(NEXT) | instid1(VALU_DEP_1)
	v_and_b32_e32 v33, v34, v33
	v_mbcnt_lo_u32_b32 v98, v33, 0
	v_cmp_ne_u32_e64 s1, 0, v33
	s_delay_alu instid0(VALU_DEP_2)
	v_cmp_eq_u32_e32 vcc_lo, 0, v98
	s_and_b32 s10, s1, vcc_lo
	s_wait_alu 0xfffe
	s_and_saveexec_b32 s1, s10
	s_cbranch_execz .LBB232_44
; %bb.43:
	s_wait_dscnt 0x0
	v_bcnt_u32_b32 v33, v33, v97
	ds_store_b32 v99, v33 offset:16
.LBB232_44:
	s_wait_alu 0xfffe
	s_or_b32 exec_lo, exec_lo, s1
	v_cmp_ne_u16_e32 vcc_lo, 0x7fff, v79
	; wave barrier
	s_wait_alu 0xfffd
	v_cndmask_b32_e32 v33, 0xffff8000, v79, vcc_lo
	s_delay_alu instid0(VALU_DEP_1) | instskip(NEXT) | instid1(VALU_DEP_1)
	v_and_b32_e32 v33, 0xffff, v33
	v_and_b32_e32 v33, s9, v33
	s_delay_alu instid0(VALU_DEP_1)
	v_and_b32_e32 v34, 1, v33
	v_lshlrev_b32_e32 v35, 30, v33
	v_lshlrev_b32_e32 v36, 29, v33
	;; [unrolled: 1-line block ×4, first 2 shown]
	v_add_co_u32 v34, s1, v34, -1
	s_wait_alu 0xf1ff
	v_cndmask_b32_e64 v38, 0, 1, s1
	v_not_b32_e32 v83, v35
	v_cmp_gt_i32_e64 s1, 0, v35
	v_not_b32_e32 v35, v36
	v_lshlrev_b32_e32 v40, 26, v33
	v_cmp_ne_u32_e32 vcc_lo, 0, v38
	v_ashrrev_i32_e32 v83, 31, v83
	v_lshlrev_b32_e32 v82, 25, v33
	v_ashrrev_i32_e32 v35, 31, v35
	v_lshlrev_b32_e32 v38, 24, v33
	s_wait_alu 0xfffd
	v_xor_b32_e32 v34, vcc_lo, v34
	v_cmp_gt_i32_e32 vcc_lo, 0, v36
	v_not_b32_e32 v36, v37
	s_wait_alu 0xf1ff
	v_xor_b32_e32 v83, s1, v83
	v_cmp_gt_i32_e64 s1, 0, v37
	v_and_b32_e32 v34, exec_lo, v34
	v_not_b32_e32 v37, v39
	v_ashrrev_i32_e32 v36, 31, v36
	s_wait_alu 0xfffd
	v_xor_b32_e32 v35, vcc_lo, v35
	v_cmp_gt_i32_e32 vcc_lo, 0, v39
	v_and_b32_e32 v34, v34, v83
	v_not_b32_e32 v39, v40
	v_ashrrev_i32_e32 v37, 31, v37
	s_wait_alu 0xf1ff
	v_xor_b32_e32 v36, s1, v36
	v_cmp_gt_i32_e64 s1, 0, v40
	v_and_b32_e32 v34, v34, v35
	v_not_b32_e32 v35, v82
	v_ashrrev_i32_e32 v39, 31, v39
	s_wait_alu 0xfffd
	v_xor_b32_e32 v37, vcc_lo, v37
	v_cmp_gt_i32_e32 vcc_lo, 0, v82
	v_and_b32_e32 v34, v34, v36
	v_not_b32_e32 v36, v38
	v_ashrrev_i32_e32 v35, 31, v35
	s_wait_alu 0xf1ff
	v_xor_b32_e32 v39, s1, v39
	v_lshlrev_b32_e32 v33, 4, v33
	v_and_b32_e32 v34, v34, v37
	v_cmp_gt_i32_e64 s1, 0, v38
	v_ashrrev_i32_e32 v36, 31, v36
	s_wait_alu 0xfffd
	v_xor_b32_e32 v35, vcc_lo, v35
	v_add_nc_u32_e32 v102, v0, v33
	v_and_b32_e32 v34, v34, v39
	s_wait_alu 0xf1ff
	v_xor_b32_e32 v33, s1, v36
	ds_load_b32 v100, v102 offset:16
	v_and_b32_e32 v34, v34, v35
	; wave barrier
	s_delay_alu instid0(VALU_DEP_1) | instskip(NEXT) | instid1(VALU_DEP_1)
	v_and_b32_e32 v33, v34, v33
	v_mbcnt_lo_u32_b32 v101, v33, 0
	v_cmp_ne_u32_e64 s1, 0, v33
	s_delay_alu instid0(VALU_DEP_2)
	v_cmp_eq_u32_e32 vcc_lo, 0, v101
	s_and_b32 s10, s1, vcc_lo
	s_wait_alu 0xfffe
	s_and_saveexec_b32 s1, s10
	s_cbranch_execz .LBB232_46
; %bb.45:
	s_wait_dscnt 0x0
	v_bcnt_u32_b32 v33, v33, v100
	ds_store_b32 v102, v33 offset:16
.LBB232_46:
	s_wait_alu 0xfffe
	s_or_b32 exec_lo, exec_lo, s1
	v_cmp_ne_u16_e32 vcc_lo, 0x7fff, v80
	; wave barrier
	s_wait_alu 0xfffd
	v_cndmask_b32_e32 v33, 0xffff8000, v80, vcc_lo
	s_delay_alu instid0(VALU_DEP_1) | instskip(NEXT) | instid1(VALU_DEP_1)
	v_and_b32_e32 v33, 0xffff, v33
	v_and_b32_e32 v33, s9, v33
	s_delay_alu instid0(VALU_DEP_1)
	v_and_b32_e32 v34, 1, v33
	v_lshlrev_b32_e32 v35, 30, v33
	v_lshlrev_b32_e32 v36, 29, v33
	;; [unrolled: 1-line block ×4, first 2 shown]
	v_add_co_u32 v34, s1, v34, -1
	s_wait_alu 0xf1ff
	v_cndmask_b32_e64 v38, 0, 1, s1
	v_not_b32_e32 v83, v35
	v_cmp_gt_i32_e64 s1, 0, v35
	v_not_b32_e32 v35, v36
	v_lshlrev_b32_e32 v40, 26, v33
	v_cmp_ne_u32_e32 vcc_lo, 0, v38
	v_ashrrev_i32_e32 v83, 31, v83
	v_lshlrev_b32_e32 v82, 25, v33
	v_ashrrev_i32_e32 v35, 31, v35
	v_lshlrev_b32_e32 v38, 24, v33
	s_wait_alu 0xfffd
	v_xor_b32_e32 v34, vcc_lo, v34
	v_cmp_gt_i32_e32 vcc_lo, 0, v36
	v_not_b32_e32 v36, v37
	s_wait_alu 0xf1ff
	v_xor_b32_e32 v83, s1, v83
	v_cmp_gt_i32_e64 s1, 0, v37
	v_and_b32_e32 v34, exec_lo, v34
	v_not_b32_e32 v37, v39
	v_ashrrev_i32_e32 v36, 31, v36
	s_wait_alu 0xfffd
	v_xor_b32_e32 v35, vcc_lo, v35
	v_cmp_gt_i32_e32 vcc_lo, 0, v39
	v_and_b32_e32 v34, v34, v83
	v_not_b32_e32 v39, v40
	v_ashrrev_i32_e32 v37, 31, v37
	s_wait_alu 0xf1ff
	v_xor_b32_e32 v36, s1, v36
	v_cmp_gt_i32_e64 s1, 0, v40
	v_and_b32_e32 v34, v34, v35
	v_not_b32_e32 v35, v82
	v_ashrrev_i32_e32 v39, 31, v39
	s_wait_alu 0xfffd
	v_xor_b32_e32 v37, vcc_lo, v37
	v_cmp_gt_i32_e32 vcc_lo, 0, v82
	v_and_b32_e32 v34, v34, v36
	v_not_b32_e32 v36, v38
	v_ashrrev_i32_e32 v35, 31, v35
	s_wait_alu 0xf1ff
	v_xor_b32_e32 v39, s1, v39
	v_lshlrev_b32_e32 v33, 4, v33
	v_and_b32_e32 v34, v34, v37
	v_cmp_gt_i32_e64 s1, 0, v38
	v_ashrrev_i32_e32 v36, 31, v36
	s_wait_alu 0xfffd
	v_xor_b32_e32 v35, vcc_lo, v35
	v_add_nc_u32_e32 v105, v0, v33
	v_and_b32_e32 v34, v34, v39
	s_wait_alu 0xf1ff
	v_xor_b32_e32 v33, s1, v36
	ds_load_b32 v103, v105 offset:16
	v_and_b32_e32 v34, v34, v35
	; wave barrier
	s_delay_alu instid0(VALU_DEP_1) | instskip(NEXT) | instid1(VALU_DEP_1)
	v_and_b32_e32 v33, v34, v33
	v_mbcnt_lo_u32_b32 v104, v33, 0
	v_cmp_ne_u32_e64 s1, 0, v33
	s_delay_alu instid0(VALU_DEP_2)
	v_cmp_eq_u32_e32 vcc_lo, 0, v104
	s_and_b32 s10, s1, vcc_lo
	s_wait_alu 0xfffe
	s_and_saveexec_b32 s1, s10
	s_cbranch_execz .LBB232_48
; %bb.47:
	s_wait_dscnt 0x0
	v_bcnt_u32_b32 v33, v33, v103
	ds_store_b32 v105, v33 offset:16
.LBB232_48:
	s_wait_alu 0xfffe
	s_or_b32 exec_lo, exec_lo, s1
	v_cmp_ne_u16_e32 vcc_lo, 0x7fff, v81
	; wave barrier
	s_wait_alu 0xfffd
	v_cndmask_b32_e32 v33, 0xffff8000, v81, vcc_lo
	s_delay_alu instid0(VALU_DEP_1) | instskip(NEXT) | instid1(VALU_DEP_1)
	v_and_b32_e32 v33, 0xffff, v33
	v_and_b32_e32 v33, s9, v33
	s_delay_alu instid0(VALU_DEP_1)
	v_and_b32_e32 v34, 1, v33
	v_lshlrev_b32_e32 v35, 30, v33
	v_lshlrev_b32_e32 v36, 29, v33
	;; [unrolled: 1-line block ×4, first 2 shown]
	v_add_co_u32 v34, s1, v34, -1
	s_wait_alu 0xf1ff
	v_cndmask_b32_e64 v38, 0, 1, s1
	v_not_b32_e32 v83, v35
	v_cmp_gt_i32_e64 s1, 0, v35
	v_not_b32_e32 v35, v36
	v_lshlrev_b32_e32 v40, 26, v33
	v_cmp_ne_u32_e32 vcc_lo, 0, v38
	v_ashrrev_i32_e32 v83, 31, v83
	v_lshlrev_b32_e32 v82, 25, v33
	v_ashrrev_i32_e32 v35, 31, v35
	v_lshlrev_b32_e32 v38, 24, v33
	s_wait_alu 0xfffd
	v_xor_b32_e32 v34, vcc_lo, v34
	v_cmp_gt_i32_e32 vcc_lo, 0, v36
	v_not_b32_e32 v36, v37
	s_wait_alu 0xf1ff
	v_xor_b32_e32 v83, s1, v83
	v_cmp_gt_i32_e64 s1, 0, v37
	v_and_b32_e32 v34, exec_lo, v34
	v_not_b32_e32 v37, v39
	v_ashrrev_i32_e32 v36, 31, v36
	s_wait_alu 0xfffd
	v_xor_b32_e32 v35, vcc_lo, v35
	v_cmp_gt_i32_e32 vcc_lo, 0, v39
	v_and_b32_e32 v34, v34, v83
	v_not_b32_e32 v39, v40
	v_ashrrev_i32_e32 v37, 31, v37
	s_wait_alu 0xf1ff
	v_xor_b32_e32 v36, s1, v36
	v_cmp_gt_i32_e64 s1, 0, v40
	v_and_b32_e32 v34, v34, v35
	v_not_b32_e32 v35, v82
	v_ashrrev_i32_e32 v39, 31, v39
	s_wait_alu 0xfffd
	v_xor_b32_e32 v37, vcc_lo, v37
	v_cmp_gt_i32_e32 vcc_lo, 0, v82
	v_and_b32_e32 v34, v34, v36
	v_not_b32_e32 v36, v38
	v_ashrrev_i32_e32 v35, 31, v35
	s_wait_alu 0xf1ff
	v_xor_b32_e32 v39, s1, v39
	v_lshlrev_b32_e32 v33, 4, v33
	v_and_b32_e32 v34, v34, v37
	v_cmp_gt_i32_e64 s1, 0, v38
	v_ashrrev_i32_e32 v36, 31, v36
	s_wait_alu 0xfffd
	v_xor_b32_e32 v35, vcc_lo, v35
	v_add_nc_u32_e32 v108, v0, v33
	v_and_b32_e32 v34, v34, v39
	v_min_u32_e32 v82, 0x60, v70
	s_wait_alu 0xf1ff
	v_xor_b32_e32 v33, s1, v36
	ds_load_b32 v106, v108 offset:16
	v_and_b32_e32 v34, v34, v35
	; wave barrier
	s_delay_alu instid0(VALU_DEP_1) | instskip(NEXT) | instid1(VALU_DEP_1)
	v_and_b32_e32 v33, v34, v33
	v_mbcnt_lo_u32_b32 v107, v33, 0
	v_cmp_ne_u32_e64 s1, 0, v33
	s_delay_alu instid0(VALU_DEP_2)
	v_cmp_eq_u32_e32 vcc_lo, 0, v107
	s_and_b32 s9, s1, vcc_lo
	s_wait_alu 0xfffe
	s_and_saveexec_b32 s1, s9
	s_cbranch_execz .LBB232_50
; %bb.49:
	s_wait_dscnt 0x0
	v_bcnt_u32_b32 v33, v33, v106
	ds_store_b32 v108, v33 offset:16
.LBB232_50:
	s_wait_alu 0xfffe
	s_or_b32 exec_lo, exec_lo, s1
	; wave barrier
	s_wait_loadcnt_dscnt 0x0
	s_barrier_signal -1
	s_barrier_wait -1
	global_inv scope:SCOPE_SE
	ds_load_b128 v[37:40], v67 offset:16
	ds_load_b128 v[33:36], v67 offset:32
	v_and_b32_e32 v109, 16, v69
	v_or_b32_e32 v82, 31, v82
	s_delay_alu instid0(VALU_DEP_2) | instskip(NEXT) | instid1(VALU_DEP_2)
	v_cmp_eq_u32_e64 s16, 0, v109
	v_cmp_eq_u32_e64 s14, v46, v82
	v_lshlrev_b32_e32 v82, 2, v68
	s_wait_dscnt 0x1
	v_add_nc_u32_e32 v83, v38, v37
	s_delay_alu instid0(VALU_DEP_1) | instskip(SKIP_1) | instid1(VALU_DEP_1)
	v_add3_u32 v83, v83, v39, v40
	s_wait_dscnt 0x0
	v_add3_u32 v83, v83, v33, v34
	s_delay_alu instid0(VALU_DEP_1) | instskip(SKIP_1) | instid1(VALU_DEP_2)
	v_add3_u32 v36, v83, v35, v36
	v_and_b32_e32 v83, 15, v69
	v_mov_b32_dpp v85, v36 row_shr:1 row_mask:0xf bank_mask:0xf
	s_delay_alu instid0(VALU_DEP_2)
	v_cmp_eq_u32_e64 s1, 0, v83
	v_cmp_lt_u32_e64 s10, 1, v83
	v_cmp_lt_u32_e64 s11, 3, v83
	;; [unrolled: 1-line block ×3, first 2 shown]
	s_wait_alu 0xf1ff
	v_cndmask_b32_e64 v85, v85, 0, s1
	s_delay_alu instid0(VALU_DEP_1) | instskip(NEXT) | instid1(VALU_DEP_1)
	v_add_nc_u32_e32 v36, v85, v36
	v_mov_b32_dpp v85, v36 row_shr:2 row_mask:0xf bank_mask:0xf
	s_delay_alu instid0(VALU_DEP_1) | instskip(NEXT) | instid1(VALU_DEP_1)
	v_cndmask_b32_e64 v85, 0, v85, s10
	v_add_nc_u32_e32 v36, v36, v85
	s_delay_alu instid0(VALU_DEP_1) | instskip(NEXT) | instid1(VALU_DEP_1)
	v_mov_b32_dpp v85, v36 row_shr:4 row_mask:0xf bank_mask:0xf
	v_cndmask_b32_e64 v85, 0, v85, s11
	s_delay_alu instid0(VALU_DEP_1) | instskip(NEXT) | instid1(VALU_DEP_1)
	v_add_nc_u32_e32 v36, v36, v85
	v_mov_b32_dpp v85, v36 row_shr:8 row_mask:0xf bank_mask:0xf
	s_delay_alu instid0(VALU_DEP_1) | instskip(SKIP_1) | instid1(VALU_DEP_2)
	v_cndmask_b32_e64 v83, 0, v85, s13
	v_bfe_i32 v85, v69, 4, 1
	v_add_nc_u32_e32 v83, v36, v83
	ds_swizzle_b32 v36, v83 offset:swizzle(BROADCAST,32,15)
	s_wait_dscnt 0x0
	v_and_b32_e32 v85, v85, v36
	v_mul_i32_i24_e32 v36, 0xffffffe4, v46
	s_delay_alu instid0(VALU_DEP_2)
	v_add_nc_u32_e32 v85, v83, v85
	s_and_saveexec_b32 s9, s14
; %bb.51:
	ds_store_b32 v82, v85
; %bb.52:
	s_wait_alu 0xfffe
	s_or_b32 exec_lo, exec_lo, s9
	v_and_b32_e32 v83, 3, v69
	v_cmp_gt_u32_e64 s15, 4, v46
	s_wait_loadcnt_dscnt 0x0
	s_barrier_signal -1
	s_barrier_wait -1
	v_cmp_eq_u32_e64 s12, 0, v83
	v_cmp_lt_u32_e64 s9, 1, v83
	v_add_nc_u32_e32 v83, v67, v36
	global_inv scope:SCOPE_SE
	s_and_saveexec_b32 s17, s15
	s_cbranch_execz .LBB232_54
; %bb.53:
	ds_load_b32 v36, v83
	s_wait_dscnt 0x0
	v_mov_b32_dpp v109, v36 row_shr:1 row_mask:0xf bank_mask:0xf
	s_delay_alu instid0(VALU_DEP_1) | instskip(NEXT) | instid1(VALU_DEP_1)
	v_cndmask_b32_e64 v109, v109, 0, s12
	v_add_nc_u32_e32 v36, v109, v36
	s_delay_alu instid0(VALU_DEP_1) | instskip(NEXT) | instid1(VALU_DEP_1)
	v_mov_b32_dpp v109, v36 row_shr:2 row_mask:0xf bank_mask:0xf
	v_cndmask_b32_e64 v109, 0, v109, s9
	s_delay_alu instid0(VALU_DEP_1)
	v_add_nc_u32_e32 v36, v36, v109
	ds_store_b32 v83, v36
.LBB232_54:
	s_or_b32 exec_lo, exec_lo, s17
	v_mul_u32_u24_e32 v36, 6, v84
	v_sub_co_u32 v109, vcc_lo, v69, 1
	v_cmp_lt_u32_e64 s17, 31, v46
	v_add_nc_u32_e32 v84, -4, v82
	v_mov_b32_e32 v110, 0
	s_wait_loadcnt_dscnt 0x0
	s_barrier_signal -1
	s_barrier_wait -1
	global_inv scope:SCOPE_SE
	s_and_saveexec_b32 s18, s17
; %bb.55:
	ds_load_b32 v110, v84
; %bb.56:
	s_or_b32 exec_lo, exec_lo, s18
	v_cmp_gt_i32_e64 s18, 0, v109
	s_mov_b32 s24, 0
	s_min_u32 s19, s19, 8
	s_mov_b32 s25, s24
	s_mov_b32 s26, s24
	v_cndmask_b32_e64 v109, v109, v69, s18
	s_mov_b32 s27, s24
	s_wait_dscnt 0x0
	v_add_nc_u32_e32 v111, v110, v85
	v_cmp_eq_u32_e64 s18, 0, v46
	s_lshl_b32 s19, -1, s19
	v_lshlrev_b32_e32 v85, 2, v109
	s_wait_alu 0xfffe
	s_not_b32 s21, s19
	ds_bpermute_b32 v109, v85, v111
	s_wait_dscnt 0x0
	s_wait_alu 0xfffd
	v_cndmask_b32_e32 v109, v109, v110, vcc_lo
	s_delay_alu instid0(VALU_DEP_1) | instskip(NEXT) | instid1(VALU_DEP_1)
	v_cndmask_b32_e64 v109, v109, 0, s18
	v_add_nc_u32_e32 v110, v109, v37
	s_delay_alu instid0(VALU_DEP_1) | instskip(NEXT) | instid1(VALU_DEP_1)
	v_add_nc_u32_e32 v111, v110, v38
	v_add_nc_u32_e32 v112, v111, v39
	s_delay_alu instid0(VALU_DEP_1) | instskip(NEXT) | instid1(VALU_DEP_1)
	v_add_nc_u32_e32 v37, v112, v40
	;; [unrolled: 3-line block ×3, first 2 shown]
	v_add_nc_u32_e32 v40, v39, v35
	ds_store_b128 v67, v[109:112] offset:16
	ds_store_b128 v67, v[37:40] offset:32
	s_wait_loadcnt_dscnt 0x0
	s_barrier_signal -1
	s_barrier_wait -1
	global_inv scope:SCOPE_SE
	ds_load_b32 v33, v87 offset:16
	ds_load_b32 v34, v90 offset:16
	;; [unrolled: 1-line block ×8, first 2 shown]
	v_add_nc_u32_e32 v90, v73, v36
	s_wait_loadcnt_dscnt 0x0
	s_barrier_signal -1
	s_barrier_wait -1
	global_inv scope:SCOPE_SE
	v_add_nc_u32_e32 v86, v33, v86
	v_add3_u32 v88, v89, v88, v34
	v_add3_u32 v89, v92, v91, v35
	;; [unrolled: 1-line block ×7, first 2 shown]
	v_lshlrev_b32_e32 v33, 1, v86
	v_lshlrev_b32_e32 v34, 1, v88
	;; [unrolled: 1-line block ×8, first 2 shown]
	ds_store_b16 v33, v74
	ds_store_b16 v34, v75
	ds_store_b16 v35, v76
	ds_store_b16 v36, v77
	ds_store_b16 v37, v78
	ds_store_b16 v38, v79
	ds_store_b16 v39, v80
	ds_store_b16 v40, v81
	s_wait_loadcnt_dscnt 0x0
	s_barrier_signal -1
	s_barrier_wait -1
	global_inv scope:SCOPE_SE
	ds_load_u16 v74, v73
	ds_load_u16 v75, v73 offset:64
	ds_load_u16 v76, v73 offset:128
	;; [unrolled: 1-line block ×7, first 2 shown]
	v_mad_co_u64_u32 v[86:87], null, v86, 6, v[33:34]
	v_mad_co_u64_u32 v[33:34], null, v88, 6, v[34:35]
	;; [unrolled: 1-line block ×3, first 2 shown]
	s_wait_loadcnt_dscnt 0x0
	s_barrier_signal -1
	s_barrier_wait -1
	global_inv scope:SCOPE_SE
	v_mad_co_u64_u32 v[35:36], null, v91, 6, v[36:37]
	v_lshrrev_b16 v81, 8, v74
	v_cmp_ne_u16_e64 s19, 0x7fff, v74
	ds_store_b64 v86, v[17:18]
	v_mad_co_u64_u32 v[36:37], null, v92, 6, v[37:38]
	v_mad_co_u64_u32 v[37:38], null, v93, 6, v[38:39]
	s_wait_alu 0xf1ff
	v_cndmask_b32_e64 v81, 0x80, v81, s19
	v_mad_co_u64_u32 v[38:39], null, v94, 6, v[39:40]
	v_mad_co_u64_u32 v[39:40], null, v95, 6, v[40:41]
	s_delay_alu instid0(VALU_DEP_3)
	v_and_b32_e32 v17, 0xffff, v81
	ds_store_b64 v33, v[19:20]
	ds_store_b64 v34, v[25:26]
	;; [unrolled: 1-line block ×7, first 2 shown]
	s_wait_alu 0xfffe
	v_and_b32_e32 v40, s21, v17
	s_wait_loadcnt_dscnt 0x0
	s_barrier_signal -1
	s_barrier_wait -1
	global_inv scope:SCOPE_SE
	v_and_b32_e32 v17, 1, v40
	v_lshlrev_b32_e32 v18, 30, v40
	v_lshlrev_b32_e32 v19, 29, v40
	;; [unrolled: 1-line block ×4, first 2 shown]
	v_add_co_u32 v17, s19, v17, -1
	s_wait_alu 0xf1ff
	v_cndmask_b32_e64 v21, 0, 1, s19
	v_not_b32_e32 v25, v18
	v_cmp_gt_i32_e64 s20, 0, v18
	v_not_b32_e32 v18, v19
	v_lshlrev_b32_e32 v23, 26, v40
	v_cmp_ne_u32_e64 s19, 0, v21
	v_ashrrev_i32_e32 v25, 31, v25
	v_lshlrev_b32_e32 v24, 25, v40
	v_ashrrev_i32_e32 v18, 31, v18
	v_lshlrev_b32_e32 v21, 24, v40
	s_wait_alu 0xf1ff
	v_xor_b32_e32 v17, s19, v17
	v_cmp_gt_i32_e64 s19, 0, v19
	v_not_b32_e32 v19, v20
	v_xor_b32_e32 v25, s20, v25
	v_cmp_gt_i32_e64 s20, 0, v20
	v_and_b32_e32 v17, exec_lo, v17
	v_not_b32_e32 v20, v22
	v_ashrrev_i32_e32 v19, 31, v19
	s_wait_alu 0xf1ff
	v_xor_b32_e32 v18, s19, v18
	v_cmp_gt_i32_e64 s19, 0, v22
	v_and_b32_e32 v17, v17, v25
	v_not_b32_e32 v22, v23
	v_ashrrev_i32_e32 v20, 31, v20
	v_xor_b32_e32 v19, s20, v19
	v_cmp_gt_i32_e64 s20, 0, v23
	v_and_b32_e32 v17, v17, v18
	v_not_b32_e32 v18, v24
	v_ashrrev_i32_e32 v22, 31, v22
	s_wait_alu 0xf1ff
	v_xor_b32_e32 v20, s19, v20
	v_cmp_gt_i32_e64 s19, 0, v24
	v_and_b32_e32 v17, v17, v19
	v_not_b32_e32 v19, v21
	v_ashrrev_i32_e32 v18, 31, v18
	v_xor_b32_e32 v22, s20, v22
	v_cmp_gt_i32_e64 s20, 0, v21
	v_and_b32_e32 v17, v17, v20
	v_ashrrev_i32_e32 v19, 31, v19
	s_wait_alu 0xf1ff
	v_xor_b32_e32 v18, s19, v18
	v_dual_mov_b32 v37, s27 :: v_dual_mov_b32 v36, s26
	v_and_b32_e32 v17, v17, v22
	v_xor_b32_e32 v33, s20, v19
	ds_load_2addr_b64 v[21:24], v90 offset1:32
	v_dual_mov_b32 v35, s25 :: v_dual_mov_b32 v34, s24
	v_and_b32_e32 v38, v17, v18
	ds_load_2addr_b64 v[29:32], v90 offset0:64 offset1:96
	ds_load_2addr_b64 v[25:28], v90 offset0:128 offset1:160
	ds_load_2addr_b64 v[17:20], v90 offset0:192 offset1:224
	v_lshl_add_u32 v86, v40, 4, v0
	s_wait_loadcnt_dscnt 0x0
	s_barrier_signal -1
	v_and_b32_e32 v33, v38, v33
	s_barrier_wait -1
	global_inv scope:SCOPE_SE
	ds_store_b128 v67, v[34:37] offset:16
	ds_store_b128 v67, v[34:37] offset:32
	s_wait_loadcnt_dscnt 0x0
	v_mbcnt_lo_u32_b32 v81, v33, 0
	v_cmp_ne_u32_e64 s20, 0, v33
	s_barrier_signal -1
	s_barrier_wait -1
	global_inv scope:SCOPE_SE
	v_cmp_eq_u32_e64 s19, 0, v81
	; wave barrier
	s_and_b32 s20, s20, s19
	s_wait_alu 0xfffe
	s_and_saveexec_b32 s19, s20
; %bb.57:
	v_bcnt_u32_b32 v33, v33, 0
	ds_store_b32 v86, v33 offset:16
; %bb.58:
	s_wait_alu 0xfffe
	s_or_b32 exec_lo, exec_lo, s19
	v_lshrrev_b16 v33, 8, v75
	v_cmp_ne_u16_e64 s19, 0x7fff, v75
	; wave barrier
	s_wait_alu 0xf1ff
	s_delay_alu instid0(VALU_DEP_1) | instskip(NEXT) | instid1(VALU_DEP_1)
	v_cndmask_b32_e64 v33, 0x80, v33, s19
	v_and_b32_e32 v33, s21, v33
	s_delay_alu instid0(VALU_DEP_1)
	v_and_b32_e32 v34, 1, v33
	v_lshlrev_b32_e32 v35, 30, v33
	v_lshlrev_b32_e32 v36, 29, v33
	;; [unrolled: 1-line block ×4, first 2 shown]
	v_add_co_u32 v34, s19, v34, -1
	s_wait_alu 0xf1ff
	v_cndmask_b32_e64 v38, 0, 1, s19
	v_not_b32_e32 v88, v35
	v_cmp_gt_i32_e64 s20, 0, v35
	v_not_b32_e32 v35, v36
	v_lshlrev_b32_e32 v40, 26, v33
	v_cmp_ne_u32_e64 s19, 0, v38
	v_ashrrev_i32_e32 v88, 31, v88
	v_lshlrev_b32_e32 v87, 25, v33
	v_ashrrev_i32_e32 v35, 31, v35
	v_lshlrev_b32_e32 v38, 24, v33
	s_wait_alu 0xf1ff
	v_xor_b32_e32 v34, s19, v34
	v_cmp_gt_i32_e64 s19, 0, v36
	v_not_b32_e32 v36, v37
	v_xor_b32_e32 v88, s20, v88
	v_cmp_gt_i32_e64 s20, 0, v37
	v_and_b32_e32 v34, exec_lo, v34
	v_not_b32_e32 v37, v39
	v_ashrrev_i32_e32 v36, 31, v36
	s_wait_alu 0xf1ff
	v_xor_b32_e32 v35, s19, v35
	v_cmp_gt_i32_e64 s19, 0, v39
	v_and_b32_e32 v34, v34, v88
	v_not_b32_e32 v39, v40
	v_ashrrev_i32_e32 v37, 31, v37
	v_xor_b32_e32 v36, s20, v36
	v_cmp_gt_i32_e64 s20, 0, v40
	v_and_b32_e32 v34, v34, v35
	v_not_b32_e32 v35, v87
	v_ashrrev_i32_e32 v39, 31, v39
	s_wait_alu 0xf1ff
	v_xor_b32_e32 v37, s19, v37
	v_cmp_gt_i32_e64 s19, 0, v87
	v_and_b32_e32 v34, v34, v36
	v_not_b32_e32 v36, v38
	v_ashrrev_i32_e32 v35, 31, v35
	v_xor_b32_e32 v39, s20, v39
	v_cmp_gt_i32_e64 s20, 0, v38
	v_and_b32_e32 v34, v34, v37
	v_ashrrev_i32_e32 v36, 31, v36
	s_wait_alu 0xf1ff
	v_xor_b32_e32 v35, s19, v35
	v_lshl_add_u32 v89, v33, 4, v0
	v_and_b32_e32 v34, v34, v39
	v_xor_b32_e32 v33, s20, v36
	ds_load_b32 v87, v89 offset:16
	v_and_b32_e32 v34, v34, v35
	; wave barrier
	s_delay_alu instid0(VALU_DEP_1) | instskip(NEXT) | instid1(VALU_DEP_1)
	v_and_b32_e32 v33, v34, v33
	v_mbcnt_lo_u32_b32 v88, v33, 0
	v_cmp_ne_u32_e64 s20, 0, v33
	s_delay_alu instid0(VALU_DEP_2)
	v_cmp_eq_u32_e64 s19, 0, v88
	s_and_b32 s20, s20, s19
	s_wait_alu 0xfffe
	s_and_saveexec_b32 s19, s20
	s_cbranch_execz .LBB232_60
; %bb.59:
	s_wait_dscnt 0x0
	v_bcnt_u32_b32 v33, v33, v87
	ds_store_b32 v89, v33 offset:16
.LBB232_60:
	s_wait_alu 0xfffe
	s_or_b32 exec_lo, exec_lo, s19
	v_lshrrev_b16 v33, 8, v76
	v_cmp_ne_u16_e64 s19, 0x7fff, v76
	; wave barrier
	s_wait_alu 0xf1ff
	s_delay_alu instid0(VALU_DEP_1) | instskip(NEXT) | instid1(VALU_DEP_1)
	v_cndmask_b32_e64 v33, 0x80, v33, s19
	v_and_b32_e32 v33, s21, v33
	s_delay_alu instid0(VALU_DEP_1)
	v_and_b32_e32 v34, 1, v33
	v_lshlrev_b32_e32 v35, 30, v33
	v_lshlrev_b32_e32 v36, 29, v33
	;; [unrolled: 1-line block ×4, first 2 shown]
	v_add_co_u32 v34, s19, v34, -1
	s_wait_alu 0xf1ff
	v_cndmask_b32_e64 v38, 0, 1, s19
	v_not_b32_e32 v91, v35
	v_cmp_gt_i32_e64 s20, 0, v35
	v_not_b32_e32 v35, v36
	v_lshlrev_b32_e32 v40, 26, v33
	v_cmp_ne_u32_e64 s19, 0, v38
	v_ashrrev_i32_e32 v91, 31, v91
	v_lshlrev_b32_e32 v90, 25, v33
	v_ashrrev_i32_e32 v35, 31, v35
	v_lshlrev_b32_e32 v38, 24, v33
	s_wait_alu 0xf1ff
	v_xor_b32_e32 v34, s19, v34
	v_cmp_gt_i32_e64 s19, 0, v36
	v_not_b32_e32 v36, v37
	v_xor_b32_e32 v91, s20, v91
	v_cmp_gt_i32_e64 s20, 0, v37
	v_and_b32_e32 v34, exec_lo, v34
	v_not_b32_e32 v37, v39
	v_ashrrev_i32_e32 v36, 31, v36
	s_wait_alu 0xf1ff
	v_xor_b32_e32 v35, s19, v35
	v_cmp_gt_i32_e64 s19, 0, v39
	v_and_b32_e32 v34, v34, v91
	v_not_b32_e32 v39, v40
	v_ashrrev_i32_e32 v37, 31, v37
	v_xor_b32_e32 v36, s20, v36
	v_cmp_gt_i32_e64 s20, 0, v40
	v_and_b32_e32 v34, v34, v35
	v_not_b32_e32 v35, v90
	v_ashrrev_i32_e32 v39, 31, v39
	s_wait_alu 0xf1ff
	v_xor_b32_e32 v37, s19, v37
	v_cmp_gt_i32_e64 s19, 0, v90
	v_and_b32_e32 v34, v34, v36
	v_not_b32_e32 v36, v38
	v_ashrrev_i32_e32 v35, 31, v35
	v_xor_b32_e32 v39, s20, v39
	v_cmp_gt_i32_e64 s20, 0, v38
	v_and_b32_e32 v34, v34, v37
	v_ashrrev_i32_e32 v36, 31, v36
	s_wait_alu 0xf1ff
	v_xor_b32_e32 v35, s19, v35
	v_lshl_add_u32 v92, v33, 4, v0
	v_and_b32_e32 v34, v34, v39
	v_xor_b32_e32 v33, s20, v36
	ds_load_b32 v90, v92 offset:16
	v_and_b32_e32 v34, v34, v35
	; wave barrier
	s_delay_alu instid0(VALU_DEP_1) | instskip(NEXT) | instid1(VALU_DEP_1)
	v_and_b32_e32 v33, v34, v33
	v_mbcnt_lo_u32_b32 v91, v33, 0
	v_cmp_ne_u32_e64 s20, 0, v33
	s_delay_alu instid0(VALU_DEP_2)
	v_cmp_eq_u32_e64 s19, 0, v91
	s_and_b32 s20, s20, s19
	s_wait_alu 0xfffe
	s_and_saveexec_b32 s19, s20
	s_cbranch_execz .LBB232_62
; %bb.61:
	s_wait_dscnt 0x0
	v_bcnt_u32_b32 v33, v33, v90
	ds_store_b32 v92, v33 offset:16
.LBB232_62:
	s_wait_alu 0xfffe
	s_or_b32 exec_lo, exec_lo, s19
	v_lshrrev_b16 v33, 8, v77
	v_cmp_ne_u16_e64 s19, 0x7fff, v77
	; wave barrier
	s_wait_alu 0xf1ff
	s_delay_alu instid0(VALU_DEP_1) | instskip(NEXT) | instid1(VALU_DEP_1)
	v_cndmask_b32_e64 v33, 0x80, v33, s19
	v_and_b32_e32 v33, s21, v33
	s_delay_alu instid0(VALU_DEP_1)
	v_and_b32_e32 v34, 1, v33
	v_lshlrev_b32_e32 v35, 30, v33
	v_lshlrev_b32_e32 v36, 29, v33
	;; [unrolled: 1-line block ×4, first 2 shown]
	v_add_co_u32 v34, s19, v34, -1
	s_wait_alu 0xf1ff
	v_cndmask_b32_e64 v38, 0, 1, s19
	v_not_b32_e32 v94, v35
	v_cmp_gt_i32_e64 s20, 0, v35
	v_not_b32_e32 v35, v36
	v_lshlrev_b32_e32 v40, 26, v33
	v_cmp_ne_u32_e64 s19, 0, v38
	v_ashrrev_i32_e32 v94, 31, v94
	v_lshlrev_b32_e32 v93, 25, v33
	v_ashrrev_i32_e32 v35, 31, v35
	v_lshlrev_b32_e32 v38, 24, v33
	s_wait_alu 0xf1ff
	v_xor_b32_e32 v34, s19, v34
	v_cmp_gt_i32_e64 s19, 0, v36
	v_not_b32_e32 v36, v37
	v_xor_b32_e32 v94, s20, v94
	v_cmp_gt_i32_e64 s20, 0, v37
	v_and_b32_e32 v34, exec_lo, v34
	v_not_b32_e32 v37, v39
	v_ashrrev_i32_e32 v36, 31, v36
	s_wait_alu 0xf1ff
	v_xor_b32_e32 v35, s19, v35
	v_cmp_gt_i32_e64 s19, 0, v39
	v_and_b32_e32 v34, v34, v94
	v_not_b32_e32 v39, v40
	v_ashrrev_i32_e32 v37, 31, v37
	v_xor_b32_e32 v36, s20, v36
	v_cmp_gt_i32_e64 s20, 0, v40
	v_and_b32_e32 v34, v34, v35
	v_not_b32_e32 v35, v93
	v_ashrrev_i32_e32 v39, 31, v39
	s_wait_alu 0xf1ff
	v_xor_b32_e32 v37, s19, v37
	v_cmp_gt_i32_e64 s19, 0, v93
	v_and_b32_e32 v34, v34, v36
	v_not_b32_e32 v36, v38
	v_ashrrev_i32_e32 v35, 31, v35
	v_xor_b32_e32 v39, s20, v39
	v_cmp_gt_i32_e64 s20, 0, v38
	v_and_b32_e32 v34, v34, v37
	v_ashrrev_i32_e32 v36, 31, v36
	s_wait_alu 0xf1ff
	v_xor_b32_e32 v35, s19, v35
	v_lshl_add_u32 v95, v33, 4, v0
	v_and_b32_e32 v34, v34, v39
	v_xor_b32_e32 v33, s20, v36
	ds_load_b32 v93, v95 offset:16
	v_and_b32_e32 v34, v34, v35
	; wave barrier
	s_delay_alu instid0(VALU_DEP_1) | instskip(NEXT) | instid1(VALU_DEP_1)
	v_and_b32_e32 v33, v34, v33
	v_mbcnt_lo_u32_b32 v94, v33, 0
	v_cmp_ne_u32_e64 s20, 0, v33
	s_delay_alu instid0(VALU_DEP_2)
	v_cmp_eq_u32_e64 s19, 0, v94
	s_and_b32 s20, s20, s19
	s_wait_alu 0xfffe
	s_and_saveexec_b32 s19, s20
	s_cbranch_execz .LBB232_64
; %bb.63:
	s_wait_dscnt 0x0
	v_bcnt_u32_b32 v33, v33, v93
	ds_store_b32 v95, v33 offset:16
.LBB232_64:
	s_wait_alu 0xfffe
	s_or_b32 exec_lo, exec_lo, s19
	v_lshrrev_b16 v33, 8, v78
	v_cmp_ne_u16_e64 s19, 0x7fff, v78
	; wave barrier
	s_wait_alu 0xf1ff
	s_delay_alu instid0(VALU_DEP_1) | instskip(NEXT) | instid1(VALU_DEP_1)
	v_cndmask_b32_e64 v33, 0x80, v33, s19
	v_and_b32_e32 v33, s21, v33
	s_delay_alu instid0(VALU_DEP_1)
	v_and_b32_e32 v34, 1, v33
	v_lshlrev_b32_e32 v35, 30, v33
	v_lshlrev_b32_e32 v36, 29, v33
	;; [unrolled: 1-line block ×4, first 2 shown]
	v_add_co_u32 v34, s19, v34, -1
	s_wait_alu 0xf1ff
	v_cndmask_b32_e64 v38, 0, 1, s19
	v_not_b32_e32 v97, v35
	v_cmp_gt_i32_e64 s20, 0, v35
	v_not_b32_e32 v35, v36
	v_lshlrev_b32_e32 v40, 26, v33
	v_cmp_ne_u32_e64 s19, 0, v38
	v_ashrrev_i32_e32 v97, 31, v97
	v_lshlrev_b32_e32 v96, 25, v33
	v_ashrrev_i32_e32 v35, 31, v35
	v_lshlrev_b32_e32 v38, 24, v33
	s_wait_alu 0xf1ff
	v_xor_b32_e32 v34, s19, v34
	v_cmp_gt_i32_e64 s19, 0, v36
	v_not_b32_e32 v36, v37
	v_xor_b32_e32 v97, s20, v97
	v_cmp_gt_i32_e64 s20, 0, v37
	v_and_b32_e32 v34, exec_lo, v34
	v_not_b32_e32 v37, v39
	v_ashrrev_i32_e32 v36, 31, v36
	s_wait_alu 0xf1ff
	v_xor_b32_e32 v35, s19, v35
	v_cmp_gt_i32_e64 s19, 0, v39
	v_and_b32_e32 v34, v34, v97
	v_not_b32_e32 v39, v40
	v_ashrrev_i32_e32 v37, 31, v37
	v_xor_b32_e32 v36, s20, v36
	v_cmp_gt_i32_e64 s20, 0, v40
	v_and_b32_e32 v34, v34, v35
	v_not_b32_e32 v35, v96
	v_ashrrev_i32_e32 v39, 31, v39
	s_wait_alu 0xf1ff
	v_xor_b32_e32 v37, s19, v37
	v_cmp_gt_i32_e64 s19, 0, v96
	v_and_b32_e32 v34, v34, v36
	v_not_b32_e32 v36, v38
	v_ashrrev_i32_e32 v35, 31, v35
	v_xor_b32_e32 v39, s20, v39
	v_cmp_gt_i32_e64 s20, 0, v38
	v_and_b32_e32 v34, v34, v37
	v_ashrrev_i32_e32 v36, 31, v36
	s_wait_alu 0xf1ff
	v_xor_b32_e32 v35, s19, v35
	v_lshl_add_u32 v98, v33, 4, v0
	v_and_b32_e32 v34, v34, v39
	v_xor_b32_e32 v33, s20, v36
	ds_load_b32 v96, v98 offset:16
	v_and_b32_e32 v34, v34, v35
	; wave barrier
	s_delay_alu instid0(VALU_DEP_1) | instskip(NEXT) | instid1(VALU_DEP_1)
	v_and_b32_e32 v33, v34, v33
	v_mbcnt_lo_u32_b32 v97, v33, 0
	v_cmp_ne_u32_e64 s20, 0, v33
	s_delay_alu instid0(VALU_DEP_2)
	v_cmp_eq_u32_e64 s19, 0, v97
	s_and_b32 s20, s20, s19
	s_wait_alu 0xfffe
	s_and_saveexec_b32 s19, s20
	s_cbranch_execz .LBB232_66
; %bb.65:
	s_wait_dscnt 0x0
	v_bcnt_u32_b32 v33, v33, v96
	ds_store_b32 v98, v33 offset:16
.LBB232_66:
	s_wait_alu 0xfffe
	s_or_b32 exec_lo, exec_lo, s19
	v_lshrrev_b16 v33, 8, v79
	v_cmp_ne_u16_e64 s19, 0x7fff, v79
	; wave barrier
	s_wait_alu 0xf1ff
	s_delay_alu instid0(VALU_DEP_1) | instskip(NEXT) | instid1(VALU_DEP_1)
	v_cndmask_b32_e64 v33, 0x80, v33, s19
	v_and_b32_e32 v33, s21, v33
	s_delay_alu instid0(VALU_DEP_1)
	v_and_b32_e32 v34, 1, v33
	v_lshlrev_b32_e32 v35, 30, v33
	v_lshlrev_b32_e32 v36, 29, v33
	;; [unrolled: 1-line block ×4, first 2 shown]
	v_add_co_u32 v34, s19, v34, -1
	s_wait_alu 0xf1ff
	v_cndmask_b32_e64 v38, 0, 1, s19
	v_not_b32_e32 v100, v35
	v_cmp_gt_i32_e64 s20, 0, v35
	v_not_b32_e32 v35, v36
	v_lshlrev_b32_e32 v40, 26, v33
	v_cmp_ne_u32_e64 s19, 0, v38
	v_ashrrev_i32_e32 v100, 31, v100
	v_lshlrev_b32_e32 v99, 25, v33
	v_ashrrev_i32_e32 v35, 31, v35
	v_lshlrev_b32_e32 v38, 24, v33
	s_wait_alu 0xf1ff
	v_xor_b32_e32 v34, s19, v34
	v_cmp_gt_i32_e64 s19, 0, v36
	v_not_b32_e32 v36, v37
	v_xor_b32_e32 v100, s20, v100
	v_cmp_gt_i32_e64 s20, 0, v37
	v_and_b32_e32 v34, exec_lo, v34
	v_not_b32_e32 v37, v39
	v_ashrrev_i32_e32 v36, 31, v36
	s_wait_alu 0xf1ff
	v_xor_b32_e32 v35, s19, v35
	v_cmp_gt_i32_e64 s19, 0, v39
	v_and_b32_e32 v34, v34, v100
	v_not_b32_e32 v39, v40
	v_ashrrev_i32_e32 v37, 31, v37
	v_xor_b32_e32 v36, s20, v36
	v_cmp_gt_i32_e64 s20, 0, v40
	v_and_b32_e32 v34, v34, v35
	v_not_b32_e32 v35, v99
	v_ashrrev_i32_e32 v39, 31, v39
	s_wait_alu 0xf1ff
	v_xor_b32_e32 v37, s19, v37
	v_cmp_gt_i32_e64 s19, 0, v99
	v_and_b32_e32 v34, v34, v36
	v_not_b32_e32 v36, v38
	v_ashrrev_i32_e32 v35, 31, v35
	v_xor_b32_e32 v39, s20, v39
	v_cmp_gt_i32_e64 s20, 0, v38
	v_and_b32_e32 v34, v34, v37
	v_ashrrev_i32_e32 v36, 31, v36
	s_wait_alu 0xf1ff
	v_xor_b32_e32 v35, s19, v35
	v_lshl_add_u32 v101, v33, 4, v0
	v_and_b32_e32 v34, v34, v39
	v_xor_b32_e32 v33, s20, v36
	ds_load_b32 v99, v101 offset:16
	v_and_b32_e32 v34, v34, v35
	; wave barrier
	s_delay_alu instid0(VALU_DEP_1) | instskip(NEXT) | instid1(VALU_DEP_1)
	v_and_b32_e32 v33, v34, v33
	v_mbcnt_lo_u32_b32 v100, v33, 0
	v_cmp_ne_u32_e64 s20, 0, v33
	s_delay_alu instid0(VALU_DEP_2)
	v_cmp_eq_u32_e64 s19, 0, v100
	s_and_b32 s20, s20, s19
	s_wait_alu 0xfffe
	s_and_saveexec_b32 s19, s20
	s_cbranch_execz .LBB232_68
; %bb.67:
	s_wait_dscnt 0x0
	v_bcnt_u32_b32 v33, v33, v99
	ds_store_b32 v101, v33 offset:16
.LBB232_68:
	s_wait_alu 0xfffe
	s_or_b32 exec_lo, exec_lo, s19
	v_lshrrev_b16 v33, 8, v80
	v_cmp_ne_u16_e64 s19, 0x7fff, v80
	; wave barrier
	s_wait_alu 0xf1ff
	s_delay_alu instid0(VALU_DEP_1) | instskip(NEXT) | instid1(VALU_DEP_1)
	v_cndmask_b32_e64 v33, 0x80, v33, s19
	v_and_b32_e32 v33, s21, v33
	s_delay_alu instid0(VALU_DEP_1)
	v_and_b32_e32 v34, 1, v33
	v_lshlrev_b32_e32 v35, 30, v33
	v_lshlrev_b32_e32 v36, 29, v33
	v_lshlrev_b32_e32 v37, 28, v33
	v_lshlrev_b32_e32 v39, 27, v33
	v_add_co_u32 v34, s19, v34, -1
	s_wait_alu 0xf1ff
	v_cndmask_b32_e64 v38, 0, 1, s19
	v_not_b32_e32 v103, v35
	v_cmp_gt_i32_e64 s20, 0, v35
	v_not_b32_e32 v35, v36
	v_lshlrev_b32_e32 v40, 26, v33
	v_cmp_ne_u32_e64 s19, 0, v38
	v_ashrrev_i32_e32 v103, 31, v103
	v_lshlrev_b32_e32 v102, 25, v33
	v_ashrrev_i32_e32 v35, 31, v35
	v_lshlrev_b32_e32 v38, 24, v33
	s_wait_alu 0xf1ff
	v_xor_b32_e32 v34, s19, v34
	v_cmp_gt_i32_e64 s19, 0, v36
	v_not_b32_e32 v36, v37
	v_xor_b32_e32 v103, s20, v103
	v_cmp_gt_i32_e64 s20, 0, v37
	v_and_b32_e32 v34, exec_lo, v34
	v_not_b32_e32 v37, v39
	v_ashrrev_i32_e32 v36, 31, v36
	s_wait_alu 0xf1ff
	v_xor_b32_e32 v35, s19, v35
	v_cmp_gt_i32_e64 s19, 0, v39
	v_and_b32_e32 v34, v34, v103
	v_not_b32_e32 v39, v40
	v_ashrrev_i32_e32 v37, 31, v37
	v_xor_b32_e32 v36, s20, v36
	v_cmp_gt_i32_e64 s20, 0, v40
	v_and_b32_e32 v34, v34, v35
	v_not_b32_e32 v35, v102
	v_ashrrev_i32_e32 v39, 31, v39
	s_wait_alu 0xf1ff
	v_xor_b32_e32 v37, s19, v37
	v_cmp_gt_i32_e64 s19, 0, v102
	v_and_b32_e32 v34, v34, v36
	v_not_b32_e32 v36, v38
	v_ashrrev_i32_e32 v35, 31, v35
	v_xor_b32_e32 v39, s20, v39
	v_cmp_gt_i32_e64 s20, 0, v38
	v_and_b32_e32 v34, v34, v37
	v_ashrrev_i32_e32 v36, 31, v36
	s_wait_alu 0xf1ff
	v_xor_b32_e32 v35, s19, v35
	v_lshl_add_u32 v104, v33, 4, v0
	v_and_b32_e32 v34, v34, v39
	v_xor_b32_e32 v33, s20, v36
	ds_load_b32 v102, v104 offset:16
	v_and_b32_e32 v34, v34, v35
	; wave barrier
	s_delay_alu instid0(VALU_DEP_1) | instskip(NEXT) | instid1(VALU_DEP_1)
	v_and_b32_e32 v33, v34, v33
	v_mbcnt_lo_u32_b32 v103, v33, 0
	v_cmp_ne_u32_e64 s20, 0, v33
	s_delay_alu instid0(VALU_DEP_2)
	v_cmp_eq_u32_e64 s19, 0, v103
	s_and_b32 s20, s20, s19
	s_wait_alu 0xfffe
	s_and_saveexec_b32 s19, s20
	s_cbranch_execz .LBB232_70
; %bb.69:
	s_wait_dscnt 0x0
	v_bcnt_u32_b32 v33, v33, v102
	ds_store_b32 v104, v33 offset:16
.LBB232_70:
	s_wait_alu 0xfffe
	s_or_b32 exec_lo, exec_lo, s19
	v_lshrrev_b16 v33, 8, v73
	v_cmp_ne_u16_e64 s19, 0x7fff, v73
	; wave barrier
	s_wait_alu 0xf1ff
	s_delay_alu instid0(VALU_DEP_1) | instskip(NEXT) | instid1(VALU_DEP_1)
	v_cndmask_b32_e64 v33, 0x80, v33, s19
	v_and_b32_e32 v33, s21, v33
	s_delay_alu instid0(VALU_DEP_1)
	v_and_b32_e32 v34, 1, v33
	v_lshlrev_b32_e32 v35, 30, v33
	v_lshlrev_b32_e32 v36, 29, v33
	;; [unrolled: 1-line block ×4, first 2 shown]
	v_add_co_u32 v34, s19, v34, -1
	s_wait_alu 0xf1ff
	v_cndmask_b32_e64 v38, 0, 1, s19
	v_not_b32_e32 v106, v35
	v_cmp_gt_i32_e64 s20, 0, v35
	v_not_b32_e32 v35, v36
	v_lshlrev_b32_e32 v40, 26, v33
	v_cmp_ne_u32_e64 s19, 0, v38
	v_ashrrev_i32_e32 v106, 31, v106
	v_lshlrev_b32_e32 v105, 25, v33
	v_ashrrev_i32_e32 v35, 31, v35
	v_lshlrev_b32_e32 v38, 24, v33
	s_wait_alu 0xf1ff
	v_xor_b32_e32 v34, s19, v34
	v_cmp_gt_i32_e64 s19, 0, v36
	v_not_b32_e32 v36, v37
	v_xor_b32_e32 v106, s20, v106
	v_cmp_gt_i32_e64 s20, 0, v37
	v_and_b32_e32 v34, exec_lo, v34
	v_not_b32_e32 v37, v39
	v_ashrrev_i32_e32 v36, 31, v36
	s_wait_alu 0xf1ff
	v_xor_b32_e32 v35, s19, v35
	v_cmp_gt_i32_e64 s19, 0, v39
	v_and_b32_e32 v34, v34, v106
	v_not_b32_e32 v39, v40
	v_ashrrev_i32_e32 v37, 31, v37
	v_xor_b32_e32 v36, s20, v36
	v_cmp_gt_i32_e64 s20, 0, v40
	v_and_b32_e32 v34, v34, v35
	v_not_b32_e32 v35, v105
	v_ashrrev_i32_e32 v39, 31, v39
	s_wait_alu 0xf1ff
	v_xor_b32_e32 v37, s19, v37
	v_cmp_gt_i32_e64 s19, 0, v105
	v_and_b32_e32 v34, v34, v36
	v_not_b32_e32 v36, v38
	v_ashrrev_i32_e32 v35, 31, v35
	v_xor_b32_e32 v39, s20, v39
	v_cmp_gt_i32_e64 s20, 0, v38
	v_and_b32_e32 v34, v34, v37
	v_ashrrev_i32_e32 v36, 31, v36
	s_wait_alu 0xf1ff
	v_xor_b32_e32 v35, s19, v35
	v_lshl_add_u32 v106, v33, 4, v0
	v_and_b32_e32 v34, v34, v39
	v_xor_b32_e32 v33, s20, v36
	ds_load_b32 v0, v106 offset:16
	v_and_b32_e32 v34, v34, v35
	; wave barrier
	s_delay_alu instid0(VALU_DEP_1) | instskip(NEXT) | instid1(VALU_DEP_1)
	v_and_b32_e32 v33, v34, v33
	v_mbcnt_lo_u32_b32 v105, v33, 0
	v_cmp_ne_u32_e64 s20, 0, v33
	s_delay_alu instid0(VALU_DEP_2)
	v_cmp_eq_u32_e64 s19, 0, v105
	s_and_b32 s20, s20, s19
	s_wait_alu 0xfffe
	s_and_saveexec_b32 s19, s20
	s_cbranch_execz .LBB232_72
; %bb.71:
	s_wait_dscnt 0x0
	v_bcnt_u32_b32 v33, v33, v0
	ds_store_b32 v106, v33 offset:16
.LBB232_72:
	s_wait_alu 0xfffe
	s_or_b32 exec_lo, exec_lo, s19
	; wave barrier
	s_wait_loadcnt_dscnt 0x0
	s_barrier_signal -1
	s_barrier_wait -1
	global_inv scope:SCOPE_SE
	ds_load_b128 v[37:40], v67 offset:16
	ds_load_b128 v[33:36], v67 offset:32
	s_wait_dscnt 0x1
	v_add_nc_u32_e32 v107, v38, v37
	s_delay_alu instid0(VALU_DEP_1) | instskip(SKIP_1) | instid1(VALU_DEP_1)
	v_add3_u32 v107, v107, v39, v40
	s_wait_dscnt 0x0
	v_add3_u32 v107, v107, v33, v34
	s_delay_alu instid0(VALU_DEP_1) | instskip(NEXT) | instid1(VALU_DEP_1)
	v_add3_u32 v36, v107, v35, v36
	v_mov_b32_dpp v107, v36 row_shr:1 row_mask:0xf bank_mask:0xf
	s_delay_alu instid0(VALU_DEP_1) | instskip(NEXT) | instid1(VALU_DEP_1)
	v_cndmask_b32_e64 v107, v107, 0, s1
	v_add_nc_u32_e32 v36, v107, v36
	s_delay_alu instid0(VALU_DEP_1) | instskip(NEXT) | instid1(VALU_DEP_1)
	v_mov_b32_dpp v107, v36 row_shr:2 row_mask:0xf bank_mask:0xf
	v_cndmask_b32_e64 v107, 0, v107, s10
	s_delay_alu instid0(VALU_DEP_1) | instskip(NEXT) | instid1(VALU_DEP_1)
	v_add_nc_u32_e32 v36, v36, v107
	v_mov_b32_dpp v107, v36 row_shr:4 row_mask:0xf bank_mask:0xf
	s_delay_alu instid0(VALU_DEP_1) | instskip(NEXT) | instid1(VALU_DEP_1)
	v_cndmask_b32_e64 v107, 0, v107, s11
	v_add_nc_u32_e32 v36, v36, v107
	s_delay_alu instid0(VALU_DEP_1) | instskip(NEXT) | instid1(VALU_DEP_1)
	v_mov_b32_dpp v107, v36 row_shr:8 row_mask:0xf bank_mask:0xf
	v_cndmask_b32_e64 v107, 0, v107, s13
	s_delay_alu instid0(VALU_DEP_1) | instskip(SKIP_3) | instid1(VALU_DEP_1)
	v_add_nc_u32_e32 v36, v36, v107
	ds_swizzle_b32 v107, v36 offset:swizzle(BROADCAST,32,15)
	s_wait_dscnt 0x0
	v_cndmask_b32_e64 v107, v107, 0, s16
	v_add_nc_u32_e32 v36, v36, v107
	s_and_saveexec_b32 s1, s14
; %bb.73:
	ds_store_b32 v82, v36
; %bb.74:
	s_wait_alu 0xfffe
	s_or_b32 exec_lo, exec_lo, s1
	s_wait_loadcnt_dscnt 0x0
	s_barrier_signal -1
	s_barrier_wait -1
	global_inv scope:SCOPE_SE
	s_and_saveexec_b32 s1, s15
	s_cbranch_execz .LBB232_76
; %bb.75:
	ds_load_b32 v82, v83
	s_wait_dscnt 0x0
	v_mov_b32_dpp v107, v82 row_shr:1 row_mask:0xf bank_mask:0xf
	s_delay_alu instid0(VALU_DEP_1) | instskip(NEXT) | instid1(VALU_DEP_1)
	v_cndmask_b32_e64 v107, v107, 0, s12
	v_add_nc_u32_e32 v82, v107, v82
	s_delay_alu instid0(VALU_DEP_1) | instskip(NEXT) | instid1(VALU_DEP_1)
	v_mov_b32_dpp v107, v82 row_shr:2 row_mask:0xf bank_mask:0xf
	v_cndmask_b32_e64 v107, 0, v107, s9
	s_delay_alu instid0(VALU_DEP_1)
	v_add_nc_u32_e32 v82, v82, v107
	ds_store_b32 v83, v82
.LBB232_76:
	s_wait_alu 0xfffe
	s_or_b32 exec_lo, exec_lo, s1
	v_mov_b32_e32 v82, 0
	s_wait_loadcnt_dscnt 0x0
	s_barrier_signal -1
	s_barrier_wait -1
	global_inv scope:SCOPE_SE
	s_and_saveexec_b32 s1, s17
; %bb.77:
	ds_load_b32 v82, v84
; %bb.78:
	s_wait_alu 0xfffe
	s_or_b32 exec_lo, exec_lo, s1
	s_wait_dscnt 0x0
	v_add_nc_u32_e32 v36, v82, v36
	ds_bpermute_b32 v36, v85, v36
	s_wait_dscnt 0x0
	v_cndmask_b32_e32 v36, v36, v82, vcc_lo
	s_delay_alu instid0(VALU_DEP_1) | instskip(NEXT) | instid1(VALU_DEP_1)
	v_cndmask_b32_e64 v36, v36, 0, s18
	v_add_nc_u32_e32 v37, v36, v37
	s_delay_alu instid0(VALU_DEP_1) | instskip(NEXT) | instid1(VALU_DEP_1)
	v_add_nc_u32_e32 v38, v37, v38
	v_add_nc_u32_e32 v39, v38, v39
	s_delay_alu instid0(VALU_DEP_1) | instskip(NEXT) | instid1(VALU_DEP_1)
	v_add_nc_u32_e32 v82, v39, v40
	;; [unrolled: 3-line block ×3, first 2 shown]
	v_add_nc_u32_e32 v85, v84, v35
	ds_store_b128 v67, v[36:39] offset:16
	ds_store_b128 v67, v[82:85] offset:32
	s_wait_loadcnt_dscnt 0x0
	s_barrier_signal -1
	s_barrier_wait -1
	global_inv scope:SCOPE_SE
	ds_load_b32 v33, v106 offset:16
	ds_load_b32 v34, v104 offset:16
	;; [unrolled: 1-line block ×8, first 2 shown]
	v_lshlrev_b32_e32 v82, 1, v66
	s_wait_loadcnt_dscnt 0x0
	s_barrier_signal -1
	s_barrier_wait -1
	global_inv scope:SCOPE_SE
	v_mad_u32_u24 v83, v46, 48, v82
	v_add3_u32 v84, v105, v0, v33
	v_add3_u32 v85, v103, v102, v34
	;; [unrolled: 1-line block ×3, first 2 shown]
	v_add_nc_u32_e32 v81, v36, v81
	v_add3_u32 v87, v88, v87, v37
	v_add3_u32 v88, v91, v90, v38
	;; [unrolled: 1-line block ×4, first 2 shown]
	v_lshlrev_b32_e32 v0, 1, v81
	v_lshlrev_b32_e32 v33, 1, v87
	;; [unrolled: 1-line block ×8, first 2 shown]
	ds_store_b16 v0, v74
	ds_store_b16 v33, v75
	;; [unrolled: 1-line block ×8, first 2 shown]
	v_mad_co_u64_u32 v[73:74], null, v81, 6, v[0:1]
	v_mad_co_u64_u32 v[74:75], null, v87, 6, v[33:34]
	;; [unrolled: 1-line block ×4, first 2 shown]
	s_wait_loadcnt_dscnt 0x0
	s_barrier_signal -1
	s_barrier_wait -1
	global_inv scope:SCOPE_SE
	v_mad_co_u64_u32 v[77:78], null, v40, 6, v[36:37]
	ds_load_b128 v[33:36], v82
	v_mad_co_u64_u32 v[78:79], null, v86, 6, v[37:38]
	v_mad_co_u64_u32 v[37:38], null, v85, 6, v[38:39]
	;; [unrolled: 1-line block ×3, first 2 shown]
	s_wait_loadcnt_dscnt 0x0
	s_barrier_signal -1
	s_barrier_wait -1
	global_inv scope:SCOPE_SE
	ds_store_b64 v73, v[21:22]
	ds_store_b64 v74, v[23:24]
	;; [unrolled: 1-line block ×8, first 2 shown]
	s_wait_loadcnt_dscnt 0x0
	s_barrier_signal -1
	s_barrier_wait -1
	global_inv scope:SCOPE_SE
	ds_load_b128 v[29:32], v83
	ds_load_b128 v[25:28], v83 offset:16
	ds_load_b128 v[21:24], v83 offset:32
	;; [unrolled: 1-line block ×3, first 2 shown]
	v_cmp_lt_i16_e32 vcc_lo, -1, v33
	v_lshrrev_b32_e32 v0, 16, v33
	v_lshrrev_b32_e32 v38, 16, v34
	;; [unrolled: 1-line block ×4, first 2 shown]
	s_wait_alu 0xfffd
	v_cndmask_b32_e64 v37, 0xffff8000, -1, vcc_lo
	v_cmp_lt_i16_e32 vcc_lo, -1, v34
	s_wait_alu 0xfffd
	v_cndmask_b32_e64 v39, 0xffff8000, -1, vcc_lo
	v_cmp_lt_i16_e32 vcc_lo, -1, v35
	;; [unrolled: 3-line block ×5, first 2 shown]
	s_delay_alu instid0(VALU_DEP_2) | instskip(SKIP_3) | instid1(VALU_DEP_3)
	v_perm_b32 v0, v0, v37, 0x5040100
	s_wait_alu 0xfffd
	v_cndmask_b32_e64 v38, 0xffff8000, -1, vcc_lo
	v_cmp_lt_i16_e32 vcc_lo, -1, v40
	v_xor_b32_e32 v0, v0, v33
	s_delay_alu instid0(VALU_DEP_3) | instskip(SKIP_3) | instid1(VALU_DEP_3)
	v_perm_b32 v37, v38, v39, 0x5040100
	s_wait_alu 0xfffd
	v_cndmask_b32_e64 v40, 0xffff8000, -1, vcc_lo
	v_cmp_lt_i16_e32 vcc_lo, -1, v74
	v_xor_b32_e32 v34, v37, v34
	s_delay_alu instid0(VALU_DEP_3) | instskip(SKIP_2) | instid1(VALU_DEP_2)
	v_perm_b32 v38, v40, v73, 0x5040100
	s_wait_alu 0xfffd
	v_cndmask_b32_e64 v74, 0xffff8000, -1, vcc_lo
	v_xor_b32_e32 v33, v38, v35
	s_delay_alu instid0(VALU_DEP_2) | instskip(NEXT) | instid1(VALU_DEP_1)
	v_perm_b32 v39, v74, v75, 0x5040100
	v_xor_b32_e32 v35, v39, v36
	s_branch .LBB232_131
.LBB232_79:
	v_lshlrev_b64_e32 v[1:2], 3, v[41:42]
	v_dual_mov_b32 v43, v42 :: v_dual_mov_b32 v10, v42
	v_dual_mov_b32 v9, v42 :: v_dual_mov_b32 v12, v42
	v_mov_b32_e32 v11, v42
	s_delay_alu instid0(VALU_DEP_4)
	v_add_co_u32 v1, vcc_lo, s34, v1
	s_wait_alu 0xfffd
	v_add_co_ci_u32_e64 v2, null, s35, v2, vcc_lo
	v_dual_mov_b32 v3, v42 :: v_dual_mov_b32 v6, v42
	v_dual_mov_b32 v5, v42 :: v_dual_mov_b32 v8, v42
	global_load_b64 v[13:14], v[1:2], off
	v_dual_mov_b32 v1, v42 :: v_dual_mov_b32 v4, v42
	v_dual_mov_b32 v2, v42 :: v_dual_mov_b32 v7, v42
	s_or_b32 exec_lo, exec_lo, s1
	s_and_saveexec_b32 s1, s3
	s_cbranch_execz .LBB232_25
.LBB232_80:
	v_mul_lo_u32 v22, s28, v15
	v_mov_b32_e32 v23, 0
	s_delay_alu instid0(VALU_DEP_1) | instskip(NEXT) | instid1(VALU_DEP_1)
	v_lshlrev_b64_e32 v[22:23], 3, v[22:23]
	v_add_co_u32 v22, vcc_lo, s34, v22
	s_wait_alu 0xfffd
	s_delay_alu instid0(VALU_DEP_2)
	v_add_co_ci_u32_e64 v23, null, s35, v23, vcc_lo
	global_load_b64 v[42:43], v[22:23], off
	s_or_b32 exec_lo, exec_lo, s1
	s_and_saveexec_b32 s1, s4
	s_cbranch_execz .LBB232_26
.LBB232_81:
	v_mul_lo_u32 v9, s28, v16
	v_mov_b32_e32 v10, 0
	s_delay_alu instid0(VALU_DEP_1) | instskip(NEXT) | instid1(VALU_DEP_1)
	v_lshlrev_b64_e32 v[9:10], 3, v[9:10]
	v_add_co_u32 v9, vcc_lo, s34, v9
	s_wait_alu 0xfffd
	s_delay_alu instid0(VALU_DEP_2)
	v_add_co_ci_u32_e64 v10, null, s35, v10, vcc_lo
	global_load_b64 v[9:10], v[9:10], off
	s_or_b32 exec_lo, exec_lo, s1
	s_and_saveexec_b32 s1, s5
	s_cbranch_execz .LBB232_27
.LBB232_82:
	v_mul_lo_u32 v11, s28, v17
	v_mov_b32_e32 v12, 0
	s_delay_alu instid0(VALU_DEP_1) | instskip(NEXT) | instid1(VALU_DEP_1)
	v_lshlrev_b64_e32 v[11:12], 3, v[11:12]
	v_add_co_u32 v11, vcc_lo, s34, v11
	s_wait_alu 0xfffd
	s_delay_alu instid0(VALU_DEP_2)
	v_add_co_ci_u32_e64 v12, null, s35, v12, vcc_lo
	global_load_b64 v[11:12], v[11:12], off
	s_or_b32 exec_lo, exec_lo, s1
	s_and_saveexec_b32 s1, s6
	s_cbranch_execz .LBB232_28
.LBB232_83:
	v_mul_lo_u32 v1, s28, v18
	v_mov_b32_e32 v2, 0
	s_delay_alu instid0(VALU_DEP_1) | instskip(NEXT) | instid1(VALU_DEP_1)
	v_lshlrev_b64_e32 v[1:2], 3, v[1:2]
	v_add_co_u32 v1, vcc_lo, s34, v1
	s_wait_alu 0xfffd
	s_delay_alu instid0(VALU_DEP_2)
	v_add_co_ci_u32_e64 v2, null, s35, v2, vcc_lo
	global_load_b64 v[1:2], v[1:2], off
	s_or_b32 exec_lo, exec_lo, s1
	s_and_saveexec_b32 s1, s7
	s_cbranch_execz .LBB232_29
.LBB232_84:
	v_mul_lo_u32 v3, s28, v19
	v_mov_b32_e32 v4, 0
	s_delay_alu instid0(VALU_DEP_1) | instskip(NEXT) | instid1(VALU_DEP_1)
	v_lshlrev_b64_e32 v[3:4], 3, v[3:4]
	v_add_co_u32 v3, vcc_lo, s34, v3
	s_wait_alu 0xfffd
	s_delay_alu instid0(VALU_DEP_2)
	v_add_co_ci_u32_e64 v4, null, s35, v4, vcc_lo
	global_load_b64 v[3:4], v[3:4], off
	s_or_b32 exec_lo, exec_lo, s1
	s_and_saveexec_b32 s1, s8
	s_cbranch_execnz .LBB232_30
	s_branch .LBB232_31
.LBB232_85:
                                        ; implicit-def: $vgpr19_vgpr20
                                        ; implicit-def: $vgpr23_vgpr24
                                        ; implicit-def: $vgpr27_vgpr28
                                        ; implicit-def: $vgpr31_vgpr32
                                        ; implicit-def: $vgpr35
                                        ; implicit-def: $vgpr33
                                        ; implicit-def: $vgpr34
                                        ; implicit-def: $vgpr0
	s_cbranch_execz .LBB232_131
; %bb.86:
	v_lshrrev_b32_e32 v0, 16, v49
	v_cmp_gt_i16_e32 vcc_lo, 0, v49
	s_wait_dscnt 0x0
	v_lshrrev_b32_e32 v17, 16, v50
	v_lshrrev_b32_e32 v18, 16, v47
	;; [unrolled: 1-line block ×3, first 2 shown]
	v_or_b32_e32 v21, v69, v70
	s_wait_alu 0xfffd
	v_cndmask_b32_e64 v20, 0x7fff, 0, vcc_lo
	v_cmp_gt_i16_e32 vcc_lo, 0, v0
	v_and_or_b32 v36, 0x1f00, v66, v69
	s_mov_b32 s12, 0
	s_getpc_b64 s[10:11]
	s_wait_alu 0xfffe
	s_sext_i32_i16 s11, s11
	s_add_co_u32 s10, s10, _ZN7rocprim17ROCPRIM_400000_NS16block_radix_sortI6__halfLj128ELj8ElLj1ELj1ELj0ELNS0_26block_radix_rank_algorithmE1ELNS0_18block_padding_hintE2ELNS0_4arch9wavefront6targetE0EE19radix_bits_per_passE@rel32@lo+12
	s_wait_alu 0xfffe
	s_add_co_ci_u32 s11, s11, _ZN7rocprim17ROCPRIM_400000_NS16block_radix_sortI6__halfLj128ELj8ElLj1ELj1ELj0ELNS0_26block_radix_rank_algorithmE1ELNS0_18block_padding_hintE2ELNS0_4arch9wavefront6targetE0EE19radix_bits_per_passE@rel32@hi+24
	s_mov_b32 s13, s12
	s_wait_alu 0xfffd
	v_cndmask_b32_e64 v0, 0x7fff, 0, vcc_lo
	v_cmp_gt_i16_e32 vcc_lo, 0, v50
	s_mov_b32 s14, s12
	s_mov_b32 s15, s12
	v_lshlrev_b32_e32 v25, 1, v36
	v_perm_b32 v0, v0, v20, 0x5040100
	s_wait_alu 0xfffd
	v_cndmask_b32_e64 v22, 0x7fff, 0, vcc_lo
	v_cmp_gt_i16_e32 vcc_lo, 0, v17
	s_load_b32 s19, s[10:11], 0x0
	v_cndmask_b32_e64 v17, 0x7fff, 0, vcc_lo
	v_cmp_gt_i16_e32 vcc_lo, 0, v47
	s_delay_alu instid0(VALU_DEP_2)
	v_perm_b32 v20, v17, v22, 0x5040100
	s_wait_alu 0xfffd
	v_cndmask_b32_e64 v23, 0x7fff, 0, vcc_lo
	v_cmp_gt_i16_e32 vcc_lo, 0, v18
	v_xor_b32_e32 v17, v0, v49
	s_wait_alu 0xfffd
	v_cndmask_b32_e64 v18, 0x7fff, 0, vcc_lo
	v_cmp_gt_i16_e32 vcc_lo, 0, v48
	s_wait_kmcnt 0x0
	s_min_u32 s1, s19, 16
	s_delay_alu instid0(VALU_DEP_2)
	v_perm_b32 v22, v18, v23, 0x5040100
	s_wait_alu 0xfffd
	v_cndmask_b32_e64 v24, 0x7fff, 0, vcc_lo
	v_cmp_gt_i16_e32 vcc_lo, 0, v19
	v_lshlrev_b32_e32 v23, 4, v21
	v_xor_b32_e32 v18, v20, v50
	s_lshl_b32 s1, -1, s1
	s_wait_alu 0xfffd
	v_cndmask_b32_e64 v19, 0x7fff, 0, vcc_lo
	s_not_b32 s9, s1
	s_delay_alu instid0(VALU_DEP_1) | instskip(SKIP_1) | instid1(VALU_DEP_2)
	v_perm_b32 v24, v19, v24, 0x5040100
	v_xor_b32_e32 v19, v22, v47
	v_xor_b32_e32 v20, v24, v48
	ds_store_b128 v23, v[17:20]
	; wave barrier
	ds_load_u16 v26, v25
	ds_load_u16 v27, v25 offset:64
	ds_load_u16 v28, v25 offset:128
	;; [unrolled: 1-line block ×7, first 2 shown]
	s_wait_loadcnt_dscnt 0x0
	s_barrier_signal -1
	s_barrier_wait -1
	global_inv scope:SCOPE_SE
	v_cmp_ne_u16_e32 vcc_lo, 0x8000, v26
	s_wait_alu 0xfffd
	v_cndmask_b32_e32 v0, 0x7fff, v26, vcc_lo
	v_mad_u32_u24 v17, v21, 48, v23
	ds_store_b128 v17, v[13:16]
	ds_store_b128 v17, v[9:12] offset:16
	v_and_b32_e32 v0, 0xffff, v0
	ds_store_b128 v17, v[5:8] offset:32
	ds_store_b128 v17, v[1:4] offset:48
	v_mad_u32_u24 v12, v36, 6, v25
	; wave barrier
	s_wait_alu 0xfffe
	v_and_b32_e32 v23, s9, v0
	ds_load_2addr_b64 v[8:11], v12 offset1:32
	ds_load_2addr_b64 v[0:3], v12 offset0:64 offset1:96
	v_and_b32_e32 v4, 1, v23
	v_lshlrev_b32_e32 v18, 30, v23
	v_lshlrev_b32_e32 v19, 29, v23
	;; [unrolled: 1-line block ×3, first 2 shown]
	s_delay_alu instid0(VALU_DEP_4) | instskip(NEXT) | instid1(VALU_DEP_1)
	v_add_co_u32 v16, s1, v4, -1
	v_cndmask_b32_e64 v17, 0, 1, s1
	ds_load_2addr_b64 v[4:7], v12 offset0:128 offset1:160
	ds_load_2addr_b64 v[12:15], v12 offset0:192 offset1:224
	s_wait_loadcnt_dscnt 0x0
	s_barrier_signal -1
	v_cmp_ne_u32_e32 vcc_lo, 0, v17
	v_not_b32_e32 v17, v18
	s_barrier_wait -1
	global_inv scope:SCOPE_SE
	s_load_b32 s1, s[36:37], 0xc
	v_xor_b32_e32 v16, vcc_lo, v16
	v_cmp_gt_i32_e32 vcc_lo, 0, v18
	v_ashrrev_i32_e32 v17, 31, v17
	v_not_b32_e32 v18, v19
	s_delay_alu instid0(VALU_DEP_4) | instskip(SKIP_1) | instid1(VALU_DEP_3)
	v_and_b32_e32 v16, exec_lo, v16
	s_wait_alu 0xfffd
	v_xor_b32_e32 v17, vcc_lo, v17
	v_cmp_gt_i32_e32 vcc_lo, 0, v19
	v_ashrrev_i32_e32 v18, 31, v18
	v_not_b32_e32 v19, v20
	s_delay_alu instid0(VALU_DEP_4)
	v_and_b32_e32 v16, v16, v17
	v_lshlrev_b32_e32 v17, 27, v23
	s_wait_alu 0xfffd
	v_xor_b32_e32 v18, vcc_lo, v18
	v_cmp_gt_i32_e32 vcc_lo, 0, v20
	v_ashrrev_i32_e32 v19, 31, v19
	v_not_b32_e32 v20, v17
	s_delay_alu instid0(VALU_DEP_4)
	v_and_b32_e32 v16, v16, v18
	v_lshlrev_b32_e32 v18, 26, v23
	s_wait_alu 0xfffd
	v_xor_b32_e32 v19, vcc_lo, v19
	v_cmp_gt_i32_e32 vcc_lo, 0, v17
	v_ashrrev_i32_e32 v17, 31, v20
	s_wait_kmcnt 0x0
	s_lshr_b32 s10, s1, 16
	v_not_b32_e32 v20, v18
	v_and_b32_e32 v16, v16, v19
	v_lshlrev_b32_e32 v19, 25, v23
	s_wait_alu 0xfffd
	v_xor_b32_e32 v17, vcc_lo, v17
	v_cmp_gt_i32_e32 vcc_lo, 0, v18
	v_ashrrev_i32_e32 v18, 31, v20
	s_wait_alu 0xfffe
	v_mad_u32_u24 v21, v72, s10, v71
	v_not_b32_e32 v20, v19
	v_and_b32_e32 v16, v16, v17
	v_lshlrev_b32_e32 v17, 24, v23
	s_wait_alu 0xfffd
	v_xor_b32_e32 v18, vcc_lo, v18
	v_cmp_gt_i32_e32 vcc_lo, 0, v19
	v_ashrrev_i32_e32 v19, 31, v20
	s_and_b32 s1, s1, 0xffff
	v_not_b32_e32 v20, v17
	v_and_b32_e32 v16, v16, v18
	s_wait_alu 0xfffe
	v_mad_co_u64_u32 v[21:22], null, v21, s1, v[46:47]
	s_wait_alu 0xfffd
	v_xor_b32_e32 v18, vcc_lo, v19
	v_cmp_gt_i32_e32 vcc_lo, 0, v17
	v_ashrrev_i32_e32 v17, 31, v20
	s_delay_alu instid0(VALU_DEP_3) | instskip(SKIP_2) | instid1(VALU_DEP_3)
	v_and_b32_e32 v16, v16, v18
	v_lshrrev_b32_e32 v21, 5, v21
	s_wait_alu 0xfffd
	v_xor_b32_e32 v22, vcc_lo, v17
	v_dual_mov_b32 v20, s15 :: v_dual_mov_b32 v19, s14
	v_dual_mov_b32 v18, s13 :: v_dual_mov_b32 v17, s12
	s_delay_alu instid0(VALU_DEP_3)
	v_and_b32_e32 v16, v16, v22
	ds_store_b128 v67, v[17:20] offset:16
	ds_store_b128 v67, v[17:20] offset:32
	v_mbcnt_lo_u32_b32 v38, v16, 0
	v_lshlrev_b32_e32 v24, 2, v21
	v_lshlrev_b32_e32 v17, 4, v23
	v_cmp_ne_u32_e64 s1, 0, v16
	s_wait_loadcnt_dscnt 0x0
	v_cmp_eq_u32_e32 vcc_lo, 0, v38
	s_barrier_signal -1
	v_add_nc_u32_e32 v39, v24, v17
	s_barrier_wait -1
	global_inv scope:SCOPE_SE
	s_and_b32 s10, s1, vcc_lo
	; wave barrier
	s_wait_alu 0xfffe
	s_and_saveexec_b32 s1, s10
; %bb.87:
	v_bcnt_u32_b32 v16, v16, 0
	ds_store_b32 v39, v16 offset:16
; %bb.88:
	s_wait_alu 0xfffe
	s_or_b32 exec_lo, exec_lo, s1
	v_cmp_ne_u16_e32 vcc_lo, 0x8000, v27
	; wave barrier
	s_wait_alu 0xfffd
	v_cndmask_b32_e32 v16, 0x7fff, v27, vcc_lo
	s_delay_alu instid0(VALU_DEP_1) | instskip(NEXT) | instid1(VALU_DEP_1)
	v_and_b32_e32 v16, 0xffff, v16
	v_and_b32_e32 v16, s9, v16
	s_delay_alu instid0(VALU_DEP_1)
	v_and_b32_e32 v17, 1, v16
	v_lshlrev_b32_e32 v18, 30, v16
	v_lshlrev_b32_e32 v19, 29, v16
	;; [unrolled: 1-line block ×4, first 2 shown]
	v_add_co_u32 v17, s1, v17, -1
	s_wait_alu 0xf1ff
	v_cndmask_b32_e64 v21, 0, 1, s1
	v_not_b32_e32 v35, v18
	v_cmp_gt_i32_e64 s1, 0, v18
	v_not_b32_e32 v18, v19
	v_lshlrev_b32_e32 v23, 26, v16
	v_cmp_ne_u32_e32 vcc_lo, 0, v21
	v_ashrrev_i32_e32 v35, 31, v35
	v_lshlrev_b32_e32 v34, 25, v16
	v_ashrrev_i32_e32 v18, 31, v18
	v_lshlrev_b32_e32 v21, 24, v16
	s_wait_alu 0xfffd
	v_xor_b32_e32 v17, vcc_lo, v17
	v_cmp_gt_i32_e32 vcc_lo, 0, v19
	v_not_b32_e32 v19, v20
	s_wait_alu 0xf1ff
	v_xor_b32_e32 v35, s1, v35
	v_cmp_gt_i32_e64 s1, 0, v20
	v_and_b32_e32 v17, exec_lo, v17
	v_not_b32_e32 v20, v22
	v_ashrrev_i32_e32 v19, 31, v19
	s_wait_alu 0xfffd
	v_xor_b32_e32 v18, vcc_lo, v18
	v_cmp_gt_i32_e32 vcc_lo, 0, v22
	v_and_b32_e32 v17, v17, v35
	v_not_b32_e32 v22, v23
	v_ashrrev_i32_e32 v20, 31, v20
	s_wait_alu 0xf1ff
	v_xor_b32_e32 v19, s1, v19
	v_cmp_gt_i32_e64 s1, 0, v23
	v_and_b32_e32 v17, v17, v18
	v_not_b32_e32 v18, v34
	v_ashrrev_i32_e32 v22, 31, v22
	s_wait_alu 0xfffd
	v_xor_b32_e32 v20, vcc_lo, v20
	v_cmp_gt_i32_e32 vcc_lo, 0, v34
	v_and_b32_e32 v17, v17, v19
	v_not_b32_e32 v19, v21
	v_ashrrev_i32_e32 v18, 31, v18
	s_wait_alu 0xf1ff
	v_xor_b32_e32 v22, s1, v22
	v_lshlrev_b32_e32 v16, 4, v16
	v_and_b32_e32 v17, v17, v20
	v_cmp_gt_i32_e64 s1, 0, v21
	v_ashrrev_i32_e32 v19, 31, v19
	s_wait_alu 0xfffd
	v_xor_b32_e32 v18, vcc_lo, v18
	v_add_nc_u32_e32 v48, v24, v16
	v_and_b32_e32 v17, v17, v22
	s_wait_alu 0xf1ff
	v_xor_b32_e32 v16, s1, v19
	ds_load_b32 v40, v48 offset:16
	v_and_b32_e32 v17, v17, v18
	; wave barrier
	s_delay_alu instid0(VALU_DEP_1) | instskip(NEXT) | instid1(VALU_DEP_1)
	v_and_b32_e32 v16, v17, v16
	v_mbcnt_lo_u32_b32 v47, v16, 0
	v_cmp_ne_u32_e64 s1, 0, v16
	s_delay_alu instid0(VALU_DEP_2)
	v_cmp_eq_u32_e32 vcc_lo, 0, v47
	s_and_b32 s10, s1, vcc_lo
	s_wait_alu 0xfffe
	s_and_saveexec_b32 s1, s10
	s_cbranch_execz .LBB232_90
; %bb.89:
	s_wait_dscnt 0x0
	v_bcnt_u32_b32 v16, v16, v40
	ds_store_b32 v48, v16 offset:16
.LBB232_90:
	s_wait_alu 0xfffe
	s_or_b32 exec_lo, exec_lo, s1
	v_cmp_ne_u16_e32 vcc_lo, 0x8000, v28
	; wave barrier
	s_wait_alu 0xfffd
	v_cndmask_b32_e32 v16, 0x7fff, v28, vcc_lo
	s_delay_alu instid0(VALU_DEP_1) | instskip(NEXT) | instid1(VALU_DEP_1)
	v_and_b32_e32 v16, 0xffff, v16
	v_and_b32_e32 v16, s9, v16
	s_delay_alu instid0(VALU_DEP_1)
	v_and_b32_e32 v17, 1, v16
	v_lshlrev_b32_e32 v18, 30, v16
	v_lshlrev_b32_e32 v19, 29, v16
	;; [unrolled: 1-line block ×4, first 2 shown]
	v_add_co_u32 v17, s1, v17, -1
	s_wait_alu 0xf1ff
	v_cndmask_b32_e64 v21, 0, 1, s1
	v_not_b32_e32 v35, v18
	v_cmp_gt_i32_e64 s1, 0, v18
	v_not_b32_e32 v18, v19
	v_lshlrev_b32_e32 v23, 26, v16
	v_cmp_ne_u32_e32 vcc_lo, 0, v21
	v_ashrrev_i32_e32 v35, 31, v35
	v_lshlrev_b32_e32 v34, 25, v16
	v_ashrrev_i32_e32 v18, 31, v18
	v_lshlrev_b32_e32 v21, 24, v16
	s_wait_alu 0xfffd
	v_xor_b32_e32 v17, vcc_lo, v17
	v_cmp_gt_i32_e32 vcc_lo, 0, v19
	v_not_b32_e32 v19, v20
	s_wait_alu 0xf1ff
	v_xor_b32_e32 v35, s1, v35
	v_cmp_gt_i32_e64 s1, 0, v20
	v_and_b32_e32 v17, exec_lo, v17
	v_not_b32_e32 v20, v22
	v_ashrrev_i32_e32 v19, 31, v19
	s_wait_alu 0xfffd
	v_xor_b32_e32 v18, vcc_lo, v18
	v_cmp_gt_i32_e32 vcc_lo, 0, v22
	v_and_b32_e32 v17, v17, v35
	v_not_b32_e32 v22, v23
	v_ashrrev_i32_e32 v20, 31, v20
	s_wait_alu 0xf1ff
	v_xor_b32_e32 v19, s1, v19
	v_cmp_gt_i32_e64 s1, 0, v23
	v_and_b32_e32 v17, v17, v18
	v_not_b32_e32 v18, v34
	v_ashrrev_i32_e32 v22, 31, v22
	s_wait_alu 0xfffd
	v_xor_b32_e32 v20, vcc_lo, v20
	v_cmp_gt_i32_e32 vcc_lo, 0, v34
	v_and_b32_e32 v17, v17, v19
	v_not_b32_e32 v19, v21
	v_ashrrev_i32_e32 v18, 31, v18
	s_wait_alu 0xf1ff
	v_xor_b32_e32 v22, s1, v22
	v_lshlrev_b32_e32 v16, 4, v16
	v_and_b32_e32 v17, v17, v20
	v_cmp_gt_i32_e64 s1, 0, v21
	v_ashrrev_i32_e32 v19, 31, v19
	s_wait_alu 0xfffd
	v_xor_b32_e32 v18, vcc_lo, v18
	v_add_nc_u32_e32 v71, v24, v16
	v_and_b32_e32 v17, v17, v22
	s_wait_alu 0xf1ff
	v_xor_b32_e32 v16, s1, v19
	ds_load_b32 v49, v71 offset:16
	v_and_b32_e32 v17, v17, v18
	; wave barrier
	s_delay_alu instid0(VALU_DEP_1) | instskip(NEXT) | instid1(VALU_DEP_1)
	v_and_b32_e32 v16, v17, v16
	v_mbcnt_lo_u32_b32 v50, v16, 0
	v_cmp_ne_u32_e64 s1, 0, v16
	s_delay_alu instid0(VALU_DEP_2)
	v_cmp_eq_u32_e32 vcc_lo, 0, v50
	s_and_b32 s10, s1, vcc_lo
	s_wait_alu 0xfffe
	s_and_saveexec_b32 s1, s10
	s_cbranch_execz .LBB232_92
; %bb.91:
	s_wait_dscnt 0x0
	v_bcnt_u32_b32 v16, v16, v49
	ds_store_b32 v71, v16 offset:16
.LBB232_92:
	s_wait_alu 0xfffe
	s_or_b32 exec_lo, exec_lo, s1
	v_cmp_ne_u16_e32 vcc_lo, 0x8000, v29
	; wave barrier
	s_wait_alu 0xfffd
	v_cndmask_b32_e32 v16, 0x7fff, v29, vcc_lo
	s_delay_alu instid0(VALU_DEP_1) | instskip(NEXT) | instid1(VALU_DEP_1)
	v_and_b32_e32 v16, 0xffff, v16
	v_and_b32_e32 v16, s9, v16
	s_delay_alu instid0(VALU_DEP_1)
	v_and_b32_e32 v17, 1, v16
	v_lshlrev_b32_e32 v18, 30, v16
	v_lshlrev_b32_e32 v19, 29, v16
	v_lshlrev_b32_e32 v20, 28, v16
	v_lshlrev_b32_e32 v22, 27, v16
	v_add_co_u32 v17, s1, v17, -1
	s_wait_alu 0xf1ff
	v_cndmask_b32_e64 v21, 0, 1, s1
	v_not_b32_e32 v35, v18
	v_cmp_gt_i32_e64 s1, 0, v18
	v_not_b32_e32 v18, v19
	v_lshlrev_b32_e32 v23, 26, v16
	v_cmp_ne_u32_e32 vcc_lo, 0, v21
	v_ashrrev_i32_e32 v35, 31, v35
	v_lshlrev_b32_e32 v34, 25, v16
	v_ashrrev_i32_e32 v18, 31, v18
	v_lshlrev_b32_e32 v21, 24, v16
	s_wait_alu 0xfffd
	v_xor_b32_e32 v17, vcc_lo, v17
	v_cmp_gt_i32_e32 vcc_lo, 0, v19
	v_not_b32_e32 v19, v20
	s_wait_alu 0xf1ff
	v_xor_b32_e32 v35, s1, v35
	v_cmp_gt_i32_e64 s1, 0, v20
	v_and_b32_e32 v17, exec_lo, v17
	v_not_b32_e32 v20, v22
	v_ashrrev_i32_e32 v19, 31, v19
	s_wait_alu 0xfffd
	v_xor_b32_e32 v18, vcc_lo, v18
	v_cmp_gt_i32_e32 vcc_lo, 0, v22
	v_and_b32_e32 v17, v17, v35
	v_not_b32_e32 v22, v23
	v_ashrrev_i32_e32 v20, 31, v20
	s_wait_alu 0xf1ff
	v_xor_b32_e32 v19, s1, v19
	v_cmp_gt_i32_e64 s1, 0, v23
	v_and_b32_e32 v17, v17, v18
	v_not_b32_e32 v18, v34
	v_ashrrev_i32_e32 v22, 31, v22
	s_wait_alu 0xfffd
	v_xor_b32_e32 v20, vcc_lo, v20
	v_cmp_gt_i32_e32 vcc_lo, 0, v34
	v_and_b32_e32 v17, v17, v19
	v_not_b32_e32 v19, v21
	v_ashrrev_i32_e32 v18, 31, v18
	s_wait_alu 0xf1ff
	v_xor_b32_e32 v22, s1, v22
	v_lshlrev_b32_e32 v16, 4, v16
	v_and_b32_e32 v17, v17, v20
	v_cmp_gt_i32_e64 s1, 0, v21
	v_ashrrev_i32_e32 v19, 31, v19
	s_wait_alu 0xfffd
	v_xor_b32_e32 v18, vcc_lo, v18
	v_add_nc_u32_e32 v74, v24, v16
	v_and_b32_e32 v17, v17, v22
	s_wait_alu 0xf1ff
	v_xor_b32_e32 v16, s1, v19
	ds_load_b32 v72, v74 offset:16
	v_and_b32_e32 v17, v17, v18
	; wave barrier
	s_delay_alu instid0(VALU_DEP_1) | instskip(NEXT) | instid1(VALU_DEP_1)
	v_and_b32_e32 v16, v17, v16
	v_mbcnt_lo_u32_b32 v73, v16, 0
	v_cmp_ne_u32_e64 s1, 0, v16
	s_delay_alu instid0(VALU_DEP_2)
	v_cmp_eq_u32_e32 vcc_lo, 0, v73
	s_and_b32 s10, s1, vcc_lo
	s_wait_alu 0xfffe
	s_and_saveexec_b32 s1, s10
	s_cbranch_execz .LBB232_94
; %bb.93:
	s_wait_dscnt 0x0
	v_bcnt_u32_b32 v16, v16, v72
	ds_store_b32 v74, v16 offset:16
.LBB232_94:
	s_wait_alu 0xfffe
	s_or_b32 exec_lo, exec_lo, s1
	v_cmp_ne_u16_e32 vcc_lo, 0x8000, v30
	; wave barrier
	s_wait_alu 0xfffd
	v_cndmask_b32_e32 v16, 0x7fff, v30, vcc_lo
	s_delay_alu instid0(VALU_DEP_1) | instskip(NEXT) | instid1(VALU_DEP_1)
	v_and_b32_e32 v16, 0xffff, v16
	v_and_b32_e32 v16, s9, v16
	s_delay_alu instid0(VALU_DEP_1)
	v_and_b32_e32 v17, 1, v16
	v_lshlrev_b32_e32 v18, 30, v16
	v_lshlrev_b32_e32 v19, 29, v16
	;; [unrolled: 1-line block ×4, first 2 shown]
	v_add_co_u32 v17, s1, v17, -1
	s_wait_alu 0xf1ff
	v_cndmask_b32_e64 v21, 0, 1, s1
	v_not_b32_e32 v35, v18
	v_cmp_gt_i32_e64 s1, 0, v18
	v_not_b32_e32 v18, v19
	v_lshlrev_b32_e32 v23, 26, v16
	v_cmp_ne_u32_e32 vcc_lo, 0, v21
	v_ashrrev_i32_e32 v35, 31, v35
	v_lshlrev_b32_e32 v34, 25, v16
	v_ashrrev_i32_e32 v18, 31, v18
	v_lshlrev_b32_e32 v21, 24, v16
	s_wait_alu 0xfffd
	v_xor_b32_e32 v17, vcc_lo, v17
	v_cmp_gt_i32_e32 vcc_lo, 0, v19
	v_not_b32_e32 v19, v20
	s_wait_alu 0xf1ff
	v_xor_b32_e32 v35, s1, v35
	v_cmp_gt_i32_e64 s1, 0, v20
	v_and_b32_e32 v17, exec_lo, v17
	v_not_b32_e32 v20, v22
	v_ashrrev_i32_e32 v19, 31, v19
	s_wait_alu 0xfffd
	v_xor_b32_e32 v18, vcc_lo, v18
	v_cmp_gt_i32_e32 vcc_lo, 0, v22
	v_and_b32_e32 v17, v17, v35
	v_not_b32_e32 v22, v23
	v_ashrrev_i32_e32 v20, 31, v20
	s_wait_alu 0xf1ff
	v_xor_b32_e32 v19, s1, v19
	v_cmp_gt_i32_e64 s1, 0, v23
	v_and_b32_e32 v17, v17, v18
	v_not_b32_e32 v18, v34
	v_ashrrev_i32_e32 v22, 31, v22
	s_wait_alu 0xfffd
	v_xor_b32_e32 v20, vcc_lo, v20
	v_cmp_gt_i32_e32 vcc_lo, 0, v34
	v_and_b32_e32 v17, v17, v19
	v_not_b32_e32 v19, v21
	v_ashrrev_i32_e32 v18, 31, v18
	s_wait_alu 0xf1ff
	v_xor_b32_e32 v22, s1, v22
	v_lshlrev_b32_e32 v16, 4, v16
	v_and_b32_e32 v17, v17, v20
	v_cmp_gt_i32_e64 s1, 0, v21
	v_ashrrev_i32_e32 v19, 31, v19
	s_wait_alu 0xfffd
	v_xor_b32_e32 v18, vcc_lo, v18
	v_add_nc_u32_e32 v77, v24, v16
	v_and_b32_e32 v17, v17, v22
	s_wait_alu 0xf1ff
	v_xor_b32_e32 v16, s1, v19
	ds_load_b32 v75, v77 offset:16
	v_and_b32_e32 v17, v17, v18
	; wave barrier
	s_delay_alu instid0(VALU_DEP_1) | instskip(NEXT) | instid1(VALU_DEP_1)
	v_and_b32_e32 v16, v17, v16
	v_mbcnt_lo_u32_b32 v76, v16, 0
	v_cmp_ne_u32_e64 s1, 0, v16
	s_delay_alu instid0(VALU_DEP_2)
	v_cmp_eq_u32_e32 vcc_lo, 0, v76
	s_and_b32 s10, s1, vcc_lo
	s_wait_alu 0xfffe
	s_and_saveexec_b32 s1, s10
	s_cbranch_execz .LBB232_96
; %bb.95:
	s_wait_dscnt 0x0
	v_bcnt_u32_b32 v16, v16, v75
	ds_store_b32 v77, v16 offset:16
.LBB232_96:
	s_wait_alu 0xfffe
	s_or_b32 exec_lo, exec_lo, s1
	v_cmp_ne_u16_e32 vcc_lo, 0x8000, v31
	; wave barrier
	s_wait_alu 0xfffd
	v_cndmask_b32_e32 v16, 0x7fff, v31, vcc_lo
	s_delay_alu instid0(VALU_DEP_1) | instskip(NEXT) | instid1(VALU_DEP_1)
	v_and_b32_e32 v16, 0xffff, v16
	v_and_b32_e32 v16, s9, v16
	s_delay_alu instid0(VALU_DEP_1)
	v_and_b32_e32 v17, 1, v16
	v_lshlrev_b32_e32 v18, 30, v16
	v_lshlrev_b32_e32 v19, 29, v16
	;; [unrolled: 1-line block ×4, first 2 shown]
	v_add_co_u32 v17, s1, v17, -1
	s_wait_alu 0xf1ff
	v_cndmask_b32_e64 v21, 0, 1, s1
	v_not_b32_e32 v35, v18
	v_cmp_gt_i32_e64 s1, 0, v18
	v_not_b32_e32 v18, v19
	v_lshlrev_b32_e32 v23, 26, v16
	v_cmp_ne_u32_e32 vcc_lo, 0, v21
	v_ashrrev_i32_e32 v35, 31, v35
	v_lshlrev_b32_e32 v34, 25, v16
	v_ashrrev_i32_e32 v18, 31, v18
	v_lshlrev_b32_e32 v21, 24, v16
	s_wait_alu 0xfffd
	v_xor_b32_e32 v17, vcc_lo, v17
	v_cmp_gt_i32_e32 vcc_lo, 0, v19
	v_not_b32_e32 v19, v20
	s_wait_alu 0xf1ff
	v_xor_b32_e32 v35, s1, v35
	v_cmp_gt_i32_e64 s1, 0, v20
	v_and_b32_e32 v17, exec_lo, v17
	v_not_b32_e32 v20, v22
	v_ashrrev_i32_e32 v19, 31, v19
	s_wait_alu 0xfffd
	v_xor_b32_e32 v18, vcc_lo, v18
	v_cmp_gt_i32_e32 vcc_lo, 0, v22
	v_and_b32_e32 v17, v17, v35
	v_not_b32_e32 v22, v23
	v_ashrrev_i32_e32 v20, 31, v20
	s_wait_alu 0xf1ff
	v_xor_b32_e32 v19, s1, v19
	v_cmp_gt_i32_e64 s1, 0, v23
	v_and_b32_e32 v17, v17, v18
	v_not_b32_e32 v18, v34
	v_ashrrev_i32_e32 v22, 31, v22
	s_wait_alu 0xfffd
	v_xor_b32_e32 v20, vcc_lo, v20
	v_cmp_gt_i32_e32 vcc_lo, 0, v34
	v_and_b32_e32 v17, v17, v19
	v_not_b32_e32 v19, v21
	v_ashrrev_i32_e32 v18, 31, v18
	s_wait_alu 0xf1ff
	v_xor_b32_e32 v22, s1, v22
	v_lshlrev_b32_e32 v16, 4, v16
	v_and_b32_e32 v17, v17, v20
	v_cmp_gt_i32_e64 s1, 0, v21
	v_ashrrev_i32_e32 v19, 31, v19
	s_wait_alu 0xfffd
	v_xor_b32_e32 v18, vcc_lo, v18
	v_add_nc_u32_e32 v80, v24, v16
	v_and_b32_e32 v17, v17, v22
	s_wait_alu 0xf1ff
	v_xor_b32_e32 v16, s1, v19
	ds_load_b32 v78, v80 offset:16
	v_and_b32_e32 v17, v17, v18
	; wave barrier
	s_delay_alu instid0(VALU_DEP_1) | instskip(NEXT) | instid1(VALU_DEP_1)
	v_and_b32_e32 v16, v17, v16
	v_mbcnt_lo_u32_b32 v79, v16, 0
	v_cmp_ne_u32_e64 s1, 0, v16
	s_delay_alu instid0(VALU_DEP_2)
	v_cmp_eq_u32_e32 vcc_lo, 0, v79
	s_and_b32 s10, s1, vcc_lo
	s_wait_alu 0xfffe
	s_and_saveexec_b32 s1, s10
	s_cbranch_execz .LBB232_98
; %bb.97:
	s_wait_dscnt 0x0
	v_bcnt_u32_b32 v16, v16, v78
	ds_store_b32 v80, v16 offset:16
.LBB232_98:
	s_wait_alu 0xfffe
	s_or_b32 exec_lo, exec_lo, s1
	v_cmp_ne_u16_e32 vcc_lo, 0x8000, v32
	; wave barrier
	s_wait_alu 0xfffd
	v_cndmask_b32_e32 v16, 0x7fff, v32, vcc_lo
	s_delay_alu instid0(VALU_DEP_1) | instskip(NEXT) | instid1(VALU_DEP_1)
	v_and_b32_e32 v16, 0xffff, v16
	v_and_b32_e32 v16, s9, v16
	s_delay_alu instid0(VALU_DEP_1)
	v_and_b32_e32 v17, 1, v16
	v_lshlrev_b32_e32 v18, 30, v16
	v_lshlrev_b32_e32 v19, 29, v16
	;; [unrolled: 1-line block ×4, first 2 shown]
	v_add_co_u32 v17, s1, v17, -1
	s_wait_alu 0xf1ff
	v_cndmask_b32_e64 v21, 0, 1, s1
	v_not_b32_e32 v35, v18
	v_cmp_gt_i32_e64 s1, 0, v18
	v_not_b32_e32 v18, v19
	v_lshlrev_b32_e32 v23, 26, v16
	v_cmp_ne_u32_e32 vcc_lo, 0, v21
	v_ashrrev_i32_e32 v35, 31, v35
	v_lshlrev_b32_e32 v34, 25, v16
	v_ashrrev_i32_e32 v18, 31, v18
	v_lshlrev_b32_e32 v21, 24, v16
	s_wait_alu 0xfffd
	v_xor_b32_e32 v17, vcc_lo, v17
	v_cmp_gt_i32_e32 vcc_lo, 0, v19
	v_not_b32_e32 v19, v20
	s_wait_alu 0xf1ff
	v_xor_b32_e32 v35, s1, v35
	v_cmp_gt_i32_e64 s1, 0, v20
	v_and_b32_e32 v17, exec_lo, v17
	v_not_b32_e32 v20, v22
	v_ashrrev_i32_e32 v19, 31, v19
	s_wait_alu 0xfffd
	v_xor_b32_e32 v18, vcc_lo, v18
	v_cmp_gt_i32_e32 vcc_lo, 0, v22
	v_and_b32_e32 v17, v17, v35
	v_not_b32_e32 v22, v23
	v_ashrrev_i32_e32 v20, 31, v20
	s_wait_alu 0xf1ff
	v_xor_b32_e32 v19, s1, v19
	v_cmp_gt_i32_e64 s1, 0, v23
	v_and_b32_e32 v17, v17, v18
	v_not_b32_e32 v18, v34
	v_ashrrev_i32_e32 v22, 31, v22
	s_wait_alu 0xfffd
	v_xor_b32_e32 v20, vcc_lo, v20
	v_cmp_gt_i32_e32 vcc_lo, 0, v34
	v_and_b32_e32 v17, v17, v19
	v_not_b32_e32 v19, v21
	v_ashrrev_i32_e32 v18, 31, v18
	s_wait_alu 0xf1ff
	v_xor_b32_e32 v22, s1, v22
	v_lshlrev_b32_e32 v16, 4, v16
	v_and_b32_e32 v17, v17, v20
	v_cmp_gt_i32_e64 s1, 0, v21
	v_ashrrev_i32_e32 v19, 31, v19
	s_wait_alu 0xfffd
	v_xor_b32_e32 v18, vcc_lo, v18
	v_add_nc_u32_e32 v83, v24, v16
	v_and_b32_e32 v17, v17, v22
	s_wait_alu 0xf1ff
	v_xor_b32_e32 v16, s1, v19
	ds_load_b32 v81, v83 offset:16
	v_and_b32_e32 v17, v17, v18
	; wave barrier
	s_delay_alu instid0(VALU_DEP_1) | instskip(NEXT) | instid1(VALU_DEP_1)
	v_and_b32_e32 v16, v17, v16
	v_mbcnt_lo_u32_b32 v82, v16, 0
	v_cmp_ne_u32_e64 s1, 0, v16
	s_delay_alu instid0(VALU_DEP_2)
	v_cmp_eq_u32_e32 vcc_lo, 0, v82
	s_and_b32 s10, s1, vcc_lo
	s_wait_alu 0xfffe
	s_and_saveexec_b32 s1, s10
	s_cbranch_execz .LBB232_100
; %bb.99:
	s_wait_dscnt 0x0
	v_bcnt_u32_b32 v16, v16, v81
	ds_store_b32 v83, v16 offset:16
.LBB232_100:
	s_wait_alu 0xfffe
	s_or_b32 exec_lo, exec_lo, s1
	v_cmp_ne_u16_e32 vcc_lo, 0x8000, v33
	; wave barrier
	s_wait_alu 0xfffd
	v_cndmask_b32_e32 v16, 0x7fff, v33, vcc_lo
	s_delay_alu instid0(VALU_DEP_1) | instskip(NEXT) | instid1(VALU_DEP_1)
	v_and_b32_e32 v16, 0xffff, v16
	v_and_b32_e32 v16, s9, v16
	s_delay_alu instid0(VALU_DEP_1)
	v_and_b32_e32 v17, 1, v16
	v_lshlrev_b32_e32 v18, 30, v16
	v_lshlrev_b32_e32 v19, 29, v16
	;; [unrolled: 1-line block ×4, first 2 shown]
	v_add_co_u32 v17, s1, v17, -1
	s_wait_alu 0xf1ff
	v_cndmask_b32_e64 v21, 0, 1, s1
	v_not_b32_e32 v35, v18
	v_cmp_gt_i32_e64 s1, 0, v18
	v_not_b32_e32 v18, v19
	v_lshlrev_b32_e32 v23, 26, v16
	v_cmp_ne_u32_e32 vcc_lo, 0, v21
	v_ashrrev_i32_e32 v35, 31, v35
	v_lshlrev_b32_e32 v34, 25, v16
	v_ashrrev_i32_e32 v18, 31, v18
	v_lshlrev_b32_e32 v21, 24, v16
	s_wait_alu 0xfffd
	v_xor_b32_e32 v17, vcc_lo, v17
	v_cmp_gt_i32_e32 vcc_lo, 0, v19
	v_not_b32_e32 v19, v20
	s_wait_alu 0xf1ff
	v_xor_b32_e32 v35, s1, v35
	v_cmp_gt_i32_e64 s1, 0, v20
	v_and_b32_e32 v17, exec_lo, v17
	v_not_b32_e32 v20, v22
	v_ashrrev_i32_e32 v19, 31, v19
	s_wait_alu 0xfffd
	v_xor_b32_e32 v18, vcc_lo, v18
	v_cmp_gt_i32_e32 vcc_lo, 0, v22
	v_and_b32_e32 v17, v17, v35
	v_not_b32_e32 v22, v23
	v_ashrrev_i32_e32 v20, 31, v20
	s_wait_alu 0xf1ff
	v_xor_b32_e32 v19, s1, v19
	v_cmp_gt_i32_e64 s1, 0, v23
	v_and_b32_e32 v17, v17, v18
	v_not_b32_e32 v18, v34
	v_ashrrev_i32_e32 v22, 31, v22
	s_wait_alu 0xfffd
	v_xor_b32_e32 v20, vcc_lo, v20
	v_cmp_gt_i32_e32 vcc_lo, 0, v34
	v_and_b32_e32 v17, v17, v19
	v_not_b32_e32 v19, v21
	v_ashrrev_i32_e32 v18, 31, v18
	s_wait_alu 0xf1ff
	v_xor_b32_e32 v22, s1, v22
	v_lshlrev_b32_e32 v16, 4, v16
	v_and_b32_e32 v17, v17, v20
	v_cmp_gt_i32_e64 s1, 0, v21
	v_ashrrev_i32_e32 v19, 31, v19
	s_wait_alu 0xfffd
	v_xor_b32_e32 v18, vcc_lo, v18
	v_add_nc_u32_e32 v86, v24, v16
	v_and_b32_e32 v17, v17, v22
	v_min_u32_e32 v34, 0x60, v70
	s_wait_alu 0xf1ff
	v_xor_b32_e32 v16, s1, v19
	ds_load_b32 v84, v86 offset:16
	v_and_b32_e32 v17, v17, v18
	; wave barrier
	s_delay_alu instid0(VALU_DEP_1) | instskip(NEXT) | instid1(VALU_DEP_1)
	v_and_b32_e32 v16, v17, v16
	v_mbcnt_lo_u32_b32 v85, v16, 0
	v_cmp_ne_u32_e64 s1, 0, v16
	s_delay_alu instid0(VALU_DEP_2)
	v_cmp_eq_u32_e32 vcc_lo, 0, v85
	s_and_b32 s9, s1, vcc_lo
	s_wait_alu 0xfffe
	s_and_saveexec_b32 s1, s9
	s_cbranch_execz .LBB232_102
; %bb.101:
	s_wait_dscnt 0x0
	v_bcnt_u32_b32 v16, v16, v84
	ds_store_b32 v86, v16 offset:16
.LBB232_102:
	s_wait_alu 0xfffe
	s_or_b32 exec_lo, exec_lo, s1
	; wave barrier
	s_wait_loadcnt_dscnt 0x0
	s_barrier_signal -1
	s_barrier_wait -1
	global_inv scope:SCOPE_SE
	ds_load_b128 v[20:23], v67 offset:16
	ds_load_b128 v[16:19], v67 offset:32
	v_and_b32_e32 v70, 16, v69
	v_or_b32_e32 v34, 31, v34
	s_delay_alu instid0(VALU_DEP_2) | instskip(NEXT) | instid1(VALU_DEP_2)
	v_cmp_eq_u32_e64 s16, 0, v70
	v_cmp_eq_u32_e64 s14, v46, v34
	v_lshlrev_b32_e32 v34, 2, v68
	s_wait_dscnt 0x1
	v_add_nc_u32_e32 v35, v21, v20
	s_delay_alu instid0(VALU_DEP_1) | instskip(SKIP_1) | instid1(VALU_DEP_1)
	v_add3_u32 v35, v35, v22, v23
	s_wait_dscnt 0x0
	v_add3_u32 v35, v35, v16, v17
	s_delay_alu instid0(VALU_DEP_1) | instskip(SKIP_1) | instid1(VALU_DEP_2)
	v_add3_u32 v19, v35, v18, v19
	v_and_b32_e32 v35, 15, v69
	v_mov_b32_dpp v37, v19 row_shr:1 row_mask:0xf bank_mask:0xf
	s_delay_alu instid0(VALU_DEP_2)
	v_cmp_eq_u32_e64 s1, 0, v35
	v_cmp_lt_u32_e64 s10, 1, v35
	v_cmp_lt_u32_e64 s11, 3, v35
	;; [unrolled: 1-line block ×3, first 2 shown]
	s_wait_alu 0xf1ff
	v_cndmask_b32_e64 v37, v37, 0, s1
	s_delay_alu instid0(VALU_DEP_1) | instskip(NEXT) | instid1(VALU_DEP_1)
	v_add_nc_u32_e32 v19, v37, v19
	v_mov_b32_dpp v37, v19 row_shr:2 row_mask:0xf bank_mask:0xf
	s_delay_alu instid0(VALU_DEP_1) | instskip(NEXT) | instid1(VALU_DEP_1)
	v_cndmask_b32_e64 v37, 0, v37, s10
	v_add_nc_u32_e32 v19, v19, v37
	s_delay_alu instid0(VALU_DEP_1) | instskip(NEXT) | instid1(VALU_DEP_1)
	v_mov_b32_dpp v37, v19 row_shr:4 row_mask:0xf bank_mask:0xf
	v_cndmask_b32_e64 v37, 0, v37, s11
	s_delay_alu instid0(VALU_DEP_1) | instskip(NEXT) | instid1(VALU_DEP_1)
	v_add_nc_u32_e32 v19, v19, v37
	v_mov_b32_dpp v37, v19 row_shr:8 row_mask:0xf bank_mask:0xf
	s_delay_alu instid0(VALU_DEP_1) | instskip(SKIP_1) | instid1(VALU_DEP_2)
	v_cndmask_b32_e64 v35, 0, v37, s13
	v_bfe_i32 v37, v69, 4, 1
	v_add_nc_u32_e32 v35, v19, v35
	ds_swizzle_b32 v19, v35 offset:swizzle(BROADCAST,32,15)
	s_wait_dscnt 0x0
	v_and_b32_e32 v37, v37, v19
	v_mul_i32_i24_e32 v19, 0xffffffe4, v46
	s_delay_alu instid0(VALU_DEP_2)
	v_add_nc_u32_e32 v37, v35, v37
	s_and_saveexec_b32 s9, s14
; %bb.103:
	ds_store_b32 v34, v37
; %bb.104:
	s_wait_alu 0xfffe
	s_or_b32 exec_lo, exec_lo, s9
	v_and_b32_e32 v35, 3, v69
	v_cmp_gt_u32_e64 s15, 4, v46
	s_wait_loadcnt_dscnt 0x0
	s_barrier_signal -1
	s_barrier_wait -1
	v_cmp_eq_u32_e64 s12, 0, v35
	v_cmp_lt_u32_e64 s9, 1, v35
	v_add_nc_u32_e32 v35, v67, v19
	global_inv scope:SCOPE_SE
	s_and_saveexec_b32 s17, s15
	s_cbranch_execz .LBB232_106
; %bb.105:
	ds_load_b32 v19, v35
	s_wait_dscnt 0x0
	v_mov_b32_dpp v68, v19 row_shr:1 row_mask:0xf bank_mask:0xf
	s_delay_alu instid0(VALU_DEP_1) | instskip(NEXT) | instid1(VALU_DEP_1)
	v_cndmask_b32_e64 v68, v68, 0, s12
	v_add_nc_u32_e32 v19, v68, v19
	s_delay_alu instid0(VALU_DEP_1) | instskip(NEXT) | instid1(VALU_DEP_1)
	v_mov_b32_dpp v68, v19 row_shr:2 row_mask:0xf bank_mask:0xf
	v_cndmask_b32_e64 v68, 0, v68, s9
	s_delay_alu instid0(VALU_DEP_1)
	v_add_nc_u32_e32 v19, v19, v68
	ds_store_b32 v35, v19
.LBB232_106:
	s_or_b32 exec_lo, exec_lo, s17
	v_mul_u32_u24_e32 v19, 6, v36
	v_sub_co_u32 v68, vcc_lo, v69, 1
	v_cmp_lt_u32_e64 s17, 31, v46
	v_add_nc_u32_e32 v36, -4, v34
	v_mov_b32_e32 v70, 0
	s_wait_loadcnt_dscnt 0x0
	s_barrier_signal -1
	s_barrier_wait -1
	global_inv scope:SCOPE_SE
	s_and_saveexec_b32 s18, s17
; %bb.107:
	ds_load_b32 v70, v36
; %bb.108:
	s_or_b32 exec_lo, exec_lo, s18
	v_cmp_gt_i32_e64 s18, 0, v68
	s_mov_b32 s24, 0
	s_min_u32 s19, s19, 8
	s_mov_b32 s25, s24
	s_mov_b32 s26, s24
	v_cndmask_b32_e64 v68, v68, v69, s18
	s_wait_dscnt 0x0
	v_add_nc_u32_e32 v69, v70, v37
	s_mov_b32 s27, s24
	v_cmp_eq_u32_e64 s18, 0, v46
	s_lshl_b32 s19, -1, s19
	v_lshlrev_b32_e32 v37, 2, v68
	s_wait_alu 0xfffe
	s_not_b32 s21, s19
	ds_bpermute_b32 v68, v37, v69
	s_wait_dscnt 0x0
	s_wait_alu 0xfffd
	v_cndmask_b32_e32 v68, v68, v70, vcc_lo
	s_delay_alu instid0(VALU_DEP_1) | instskip(NEXT) | instid1(VALU_DEP_1)
	v_cndmask_b32_e64 v87, v68, 0, s18
	v_add_nc_u32_e32 v88, v87, v20
	s_delay_alu instid0(VALU_DEP_1) | instskip(NEXT) | instid1(VALU_DEP_1)
	v_add_nc_u32_e32 v89, v88, v21
	v_add_nc_u32_e32 v90, v89, v22
	s_delay_alu instid0(VALU_DEP_1) | instskip(NEXT) | instid1(VALU_DEP_1)
	v_add_nc_u32_e32 v20, v90, v23
	;; [unrolled: 3-line block ×3, first 2 shown]
	v_add_nc_u32_e32 v23, v22, v18
	ds_store_b128 v67, v[87:90] offset:16
	ds_store_b128 v67, v[20:23] offset:32
	s_wait_loadcnt_dscnt 0x0
	s_barrier_signal -1
	s_barrier_wait -1
	global_inv scope:SCOPE_SE
	ds_load_b32 v16, v39 offset:16
	ds_load_b32 v17, v48 offset:16
	;; [unrolled: 1-line block ×8, first 2 shown]
	v_add_nc_u32_e32 v48, v25, v19
	s_wait_loadcnt_dscnt 0x0
	s_barrier_signal -1
	s_barrier_wait -1
	global_inv scope:SCOPE_SE
	v_add_nc_u32_e32 v38, v16, v38
	v_add3_u32 v40, v47, v40, v17
	v_add3_u32 v47, v50, v49, v18
	;; [unrolled: 1-line block ×7, first 2 shown]
	v_lshlrev_b32_e32 v16, 1, v38
	v_lshlrev_b32_e32 v17, 1, v40
	;; [unrolled: 1-line block ×8, first 2 shown]
	ds_store_b16 v16, v26
	ds_store_b16 v17, v27
	;; [unrolled: 1-line block ×8, first 2 shown]
	s_wait_loadcnt_dscnt 0x0
	s_barrier_signal -1
	s_barrier_wait -1
	global_inv scope:SCOPE_SE
	ds_load_u16 v26, v25
	ds_load_u16 v27, v25 offset:64
	ds_load_u16 v28, v25 offset:128
	;; [unrolled: 1-line block ×7, first 2 shown]
	v_mad_co_u64_u32 v[38:39], null, v38, 6, v[16:17]
	v_mad_co_u64_u32 v[16:17], null, v40, 6, v[17:18]
	;; [unrolled: 1-line block ×3, first 2 shown]
	s_wait_loadcnt_dscnt 0x0
	s_barrier_signal -1
	s_barrier_wait -1
	global_inv scope:SCOPE_SE
	v_mad_co_u64_u32 v[18:19], null, v49, 6, v[19:20]
	v_lshrrev_b16 v33, 8, v26
	v_cmp_ne_u16_e64 s19, 0x8000, v26
	ds_store_b64 v38, v[8:9]
	v_mad_co_u64_u32 v[19:20], null, v50, 6, v[20:21]
	v_mad_co_u64_u32 v[20:21], null, v68, 6, v[21:22]
	s_wait_alu 0xf1ff
	v_cndmask_b32_e64 v33, 0x7f, v33, s19
	v_mad_co_u64_u32 v[21:22], null, v69, 6, v[22:23]
	v_mad_co_u64_u32 v[22:23], null, v70, 6, v[23:24]
	s_delay_alu instid0(VALU_DEP_3)
	v_and_b32_e32 v8, 0xffff, v33
	ds_store_b64 v16, v[10:11]
	ds_store_b64 v17, v[0:1]
	;; [unrolled: 1-line block ×7, first 2 shown]
	s_wait_alu 0xfffe
	v_and_b32_e32 v23, s21, v8
	s_wait_loadcnt_dscnt 0x0
	s_barrier_signal -1
	s_barrier_wait -1
	global_inv scope:SCOPE_SE
	v_and_b32_e32 v0, 1, v23
	v_lshlrev_b32_e32 v1, 30, v23
	v_lshlrev_b32_e32 v2, 29, v23
	;; [unrolled: 1-line block ×4, first 2 shown]
	v_add_co_u32 v0, s19, v0, -1
	s_wait_alu 0xf1ff
	v_cndmask_b32_e64 v4, 0, 1, s19
	v_not_b32_e32 v8, v1
	v_cmp_gt_i32_e64 s20, 0, v1
	v_not_b32_e32 v1, v2
	v_lshlrev_b32_e32 v6, 26, v23
	v_cmp_ne_u32_e64 s19, 0, v4
	v_ashrrev_i32_e32 v8, 31, v8
	v_lshlrev_b32_e32 v7, 25, v23
	v_ashrrev_i32_e32 v1, 31, v1
	v_lshlrev_b32_e32 v4, 24, v23
	s_wait_alu 0xf1ff
	v_xor_b32_e32 v0, s19, v0
	v_cmp_gt_i32_e64 s19, 0, v2
	v_not_b32_e32 v2, v3
	v_xor_b32_e32 v8, s20, v8
	v_cmp_gt_i32_e64 s20, 0, v3
	v_and_b32_e32 v0, exec_lo, v0
	v_not_b32_e32 v3, v5
	v_ashrrev_i32_e32 v2, 31, v2
	s_wait_alu 0xf1ff
	v_xor_b32_e32 v1, s19, v1
	v_cmp_gt_i32_e64 s19, 0, v5
	v_and_b32_e32 v0, v0, v8
	v_not_b32_e32 v5, v6
	v_ashrrev_i32_e32 v3, 31, v3
	v_xor_b32_e32 v2, s20, v2
	v_cmp_gt_i32_e64 s20, 0, v6
	v_and_b32_e32 v0, v0, v1
	v_not_b32_e32 v1, v7
	v_ashrrev_i32_e32 v5, 31, v5
	s_wait_alu 0xf1ff
	v_xor_b32_e32 v3, s19, v3
	v_cmp_gt_i32_e64 s19, 0, v7
	v_and_b32_e32 v0, v0, v2
	v_not_b32_e32 v2, v4
	v_ashrrev_i32_e32 v1, 31, v1
	v_xor_b32_e32 v5, s20, v5
	v_cmp_gt_i32_e64 s20, 0, v4
	v_and_b32_e32 v0, v0, v3
	v_ashrrev_i32_e32 v2, 31, v2
	s_wait_alu 0xf1ff
	v_xor_b32_e32 v1, s19, v1
	v_dual_mov_b32 v17, s24 :: v_dual_mov_b32 v18, s25
	v_and_b32_e32 v0, v0, v5
	v_xor_b32_e32 v16, s20, v2
	ds_load_2addr_b64 v[4:7], v48 offset1:32
	v_dual_mov_b32 v19, s26 :: v_dual_mov_b32 v20, s27
	v_and_b32_e32 v21, v0, v1
	ds_load_2addr_b64 v[12:15], v48 offset0:64 offset1:96
	ds_load_2addr_b64 v[8:11], v48 offset0:128 offset1:160
	;; [unrolled: 1-line block ×3, first 2 shown]
	v_lshl_add_u32 v38, v23, 4, v24
	s_wait_loadcnt_dscnt 0x0
	s_barrier_signal -1
	v_and_b32_e32 v16, v21, v16
	s_barrier_wait -1
	global_inv scope:SCOPE_SE
	ds_store_b128 v67, v[17:20] offset:16
	ds_store_b128 v67, v[17:20] offset:32
	s_wait_loadcnt_dscnt 0x0
	v_mbcnt_lo_u32_b32 v33, v16, 0
	v_cmp_ne_u32_e64 s20, 0, v16
	s_barrier_signal -1
	s_barrier_wait -1
	global_inv scope:SCOPE_SE
	v_cmp_eq_u32_e64 s19, 0, v33
	; wave barrier
	s_and_b32 s20, s20, s19
	s_wait_alu 0xfffe
	s_and_saveexec_b32 s19, s20
; %bb.109:
	v_bcnt_u32_b32 v16, v16, 0
	ds_store_b32 v38, v16 offset:16
; %bb.110:
	s_wait_alu 0xfffe
	s_or_b32 exec_lo, exec_lo, s19
	v_lshrrev_b16 v16, 8, v27
	v_cmp_ne_u16_e64 s19, 0x8000, v27
	; wave barrier
	s_wait_alu 0xf1ff
	s_delay_alu instid0(VALU_DEP_1) | instskip(NEXT) | instid1(VALU_DEP_1)
	v_cndmask_b32_e64 v16, 0x7f, v16, s19
	v_and_b32_e32 v16, s21, v16
	s_delay_alu instid0(VALU_DEP_1)
	v_and_b32_e32 v17, 1, v16
	v_lshlrev_b32_e32 v18, 30, v16
	v_lshlrev_b32_e32 v19, 29, v16
	;; [unrolled: 1-line block ×4, first 2 shown]
	v_add_co_u32 v17, s19, v17, -1
	s_wait_alu 0xf1ff
	v_cndmask_b32_e64 v21, 0, 1, s19
	v_not_b32_e32 v40, v18
	v_cmp_gt_i32_e64 s20, 0, v18
	v_not_b32_e32 v18, v19
	v_lshlrev_b32_e32 v23, 26, v16
	v_cmp_ne_u32_e64 s19, 0, v21
	v_ashrrev_i32_e32 v40, 31, v40
	v_lshlrev_b32_e32 v39, 25, v16
	v_ashrrev_i32_e32 v18, 31, v18
	v_lshlrev_b32_e32 v21, 24, v16
	s_wait_alu 0xf1ff
	v_xor_b32_e32 v17, s19, v17
	v_cmp_gt_i32_e64 s19, 0, v19
	v_not_b32_e32 v19, v20
	v_xor_b32_e32 v40, s20, v40
	v_cmp_gt_i32_e64 s20, 0, v20
	v_and_b32_e32 v17, exec_lo, v17
	v_not_b32_e32 v20, v22
	v_ashrrev_i32_e32 v19, 31, v19
	s_wait_alu 0xf1ff
	v_xor_b32_e32 v18, s19, v18
	v_cmp_gt_i32_e64 s19, 0, v22
	v_and_b32_e32 v17, v17, v40
	v_not_b32_e32 v22, v23
	v_ashrrev_i32_e32 v20, 31, v20
	v_xor_b32_e32 v19, s20, v19
	v_cmp_gt_i32_e64 s20, 0, v23
	v_and_b32_e32 v17, v17, v18
	v_not_b32_e32 v18, v39
	v_ashrrev_i32_e32 v22, 31, v22
	s_wait_alu 0xf1ff
	v_xor_b32_e32 v20, s19, v20
	v_cmp_gt_i32_e64 s19, 0, v39
	v_and_b32_e32 v17, v17, v19
	v_not_b32_e32 v19, v21
	v_ashrrev_i32_e32 v18, 31, v18
	v_xor_b32_e32 v22, s20, v22
	v_cmp_gt_i32_e64 s20, 0, v21
	v_and_b32_e32 v17, v17, v20
	v_ashrrev_i32_e32 v19, 31, v19
	s_wait_alu 0xf1ff
	v_xor_b32_e32 v18, s19, v18
	v_lshl_add_u32 v47, v16, 4, v24
	v_and_b32_e32 v17, v17, v22
	v_xor_b32_e32 v16, s20, v19
	ds_load_b32 v39, v47 offset:16
	v_and_b32_e32 v17, v17, v18
	; wave barrier
	s_delay_alu instid0(VALU_DEP_1) | instskip(NEXT) | instid1(VALU_DEP_1)
	v_and_b32_e32 v16, v17, v16
	v_mbcnt_lo_u32_b32 v40, v16, 0
	v_cmp_ne_u32_e64 s20, 0, v16
	s_delay_alu instid0(VALU_DEP_2)
	v_cmp_eq_u32_e64 s19, 0, v40
	s_and_b32 s20, s20, s19
	s_wait_alu 0xfffe
	s_and_saveexec_b32 s19, s20
	s_cbranch_execz .LBB232_112
; %bb.111:
	s_wait_dscnt 0x0
	v_bcnt_u32_b32 v16, v16, v39
	ds_store_b32 v47, v16 offset:16
.LBB232_112:
	s_wait_alu 0xfffe
	s_or_b32 exec_lo, exec_lo, s19
	v_lshrrev_b16 v16, 8, v28
	v_cmp_ne_u16_e64 s19, 0x8000, v28
	; wave barrier
	s_wait_alu 0xf1ff
	s_delay_alu instid0(VALU_DEP_1) | instskip(NEXT) | instid1(VALU_DEP_1)
	v_cndmask_b32_e64 v16, 0x7f, v16, s19
	v_and_b32_e32 v16, s21, v16
	s_delay_alu instid0(VALU_DEP_1)
	v_and_b32_e32 v17, 1, v16
	v_lshlrev_b32_e32 v18, 30, v16
	v_lshlrev_b32_e32 v19, 29, v16
	;; [unrolled: 1-line block ×4, first 2 shown]
	v_add_co_u32 v17, s19, v17, -1
	s_wait_alu 0xf1ff
	v_cndmask_b32_e64 v21, 0, 1, s19
	v_not_b32_e32 v49, v18
	v_cmp_gt_i32_e64 s20, 0, v18
	v_not_b32_e32 v18, v19
	v_lshlrev_b32_e32 v23, 26, v16
	v_cmp_ne_u32_e64 s19, 0, v21
	v_ashrrev_i32_e32 v49, 31, v49
	v_lshlrev_b32_e32 v48, 25, v16
	v_ashrrev_i32_e32 v18, 31, v18
	v_lshlrev_b32_e32 v21, 24, v16
	s_wait_alu 0xf1ff
	v_xor_b32_e32 v17, s19, v17
	v_cmp_gt_i32_e64 s19, 0, v19
	v_not_b32_e32 v19, v20
	v_xor_b32_e32 v49, s20, v49
	v_cmp_gt_i32_e64 s20, 0, v20
	v_and_b32_e32 v17, exec_lo, v17
	v_not_b32_e32 v20, v22
	v_ashrrev_i32_e32 v19, 31, v19
	s_wait_alu 0xf1ff
	v_xor_b32_e32 v18, s19, v18
	v_cmp_gt_i32_e64 s19, 0, v22
	v_and_b32_e32 v17, v17, v49
	v_not_b32_e32 v22, v23
	v_ashrrev_i32_e32 v20, 31, v20
	v_xor_b32_e32 v19, s20, v19
	v_cmp_gt_i32_e64 s20, 0, v23
	v_and_b32_e32 v17, v17, v18
	v_not_b32_e32 v18, v48
	v_ashrrev_i32_e32 v22, 31, v22
	s_wait_alu 0xf1ff
	v_xor_b32_e32 v20, s19, v20
	v_cmp_gt_i32_e64 s19, 0, v48
	v_and_b32_e32 v17, v17, v19
	v_not_b32_e32 v19, v21
	v_ashrrev_i32_e32 v18, 31, v18
	v_xor_b32_e32 v22, s20, v22
	v_cmp_gt_i32_e64 s20, 0, v21
	v_and_b32_e32 v17, v17, v20
	v_ashrrev_i32_e32 v19, 31, v19
	s_wait_alu 0xf1ff
	v_xor_b32_e32 v18, s19, v18
	v_lshl_add_u32 v50, v16, 4, v24
	v_and_b32_e32 v17, v17, v22
	v_xor_b32_e32 v16, s20, v19
	ds_load_b32 v48, v50 offset:16
	v_and_b32_e32 v17, v17, v18
	; wave barrier
	s_delay_alu instid0(VALU_DEP_1) | instskip(NEXT) | instid1(VALU_DEP_1)
	v_and_b32_e32 v16, v17, v16
	v_mbcnt_lo_u32_b32 v49, v16, 0
	v_cmp_ne_u32_e64 s20, 0, v16
	s_delay_alu instid0(VALU_DEP_2)
	v_cmp_eq_u32_e64 s19, 0, v49
	s_and_b32 s20, s20, s19
	s_wait_alu 0xfffe
	s_and_saveexec_b32 s19, s20
	s_cbranch_execz .LBB232_114
; %bb.113:
	s_wait_dscnt 0x0
	v_bcnt_u32_b32 v16, v16, v48
	ds_store_b32 v50, v16 offset:16
.LBB232_114:
	s_wait_alu 0xfffe
	s_or_b32 exec_lo, exec_lo, s19
	v_lshrrev_b16 v16, 8, v29
	v_cmp_ne_u16_e64 s19, 0x8000, v29
	; wave barrier
	s_wait_alu 0xf1ff
	s_delay_alu instid0(VALU_DEP_1) | instskip(NEXT) | instid1(VALU_DEP_1)
	v_cndmask_b32_e64 v16, 0x7f, v16, s19
	v_and_b32_e32 v16, s21, v16
	s_delay_alu instid0(VALU_DEP_1)
	v_and_b32_e32 v17, 1, v16
	v_lshlrev_b32_e32 v18, 30, v16
	v_lshlrev_b32_e32 v19, 29, v16
	;; [unrolled: 1-line block ×4, first 2 shown]
	v_add_co_u32 v17, s19, v17, -1
	s_wait_alu 0xf1ff
	v_cndmask_b32_e64 v21, 0, 1, s19
	v_not_b32_e32 v69, v18
	v_cmp_gt_i32_e64 s20, 0, v18
	v_not_b32_e32 v18, v19
	v_lshlrev_b32_e32 v23, 26, v16
	v_cmp_ne_u32_e64 s19, 0, v21
	v_ashrrev_i32_e32 v69, 31, v69
	v_lshlrev_b32_e32 v68, 25, v16
	v_ashrrev_i32_e32 v18, 31, v18
	v_lshlrev_b32_e32 v21, 24, v16
	s_wait_alu 0xf1ff
	v_xor_b32_e32 v17, s19, v17
	v_cmp_gt_i32_e64 s19, 0, v19
	v_not_b32_e32 v19, v20
	v_xor_b32_e32 v69, s20, v69
	v_cmp_gt_i32_e64 s20, 0, v20
	v_and_b32_e32 v17, exec_lo, v17
	v_not_b32_e32 v20, v22
	v_ashrrev_i32_e32 v19, 31, v19
	s_wait_alu 0xf1ff
	v_xor_b32_e32 v18, s19, v18
	v_cmp_gt_i32_e64 s19, 0, v22
	v_and_b32_e32 v17, v17, v69
	v_not_b32_e32 v22, v23
	v_ashrrev_i32_e32 v20, 31, v20
	v_xor_b32_e32 v19, s20, v19
	v_cmp_gt_i32_e64 s20, 0, v23
	v_and_b32_e32 v17, v17, v18
	v_not_b32_e32 v18, v68
	v_ashrrev_i32_e32 v22, 31, v22
	s_wait_alu 0xf1ff
	v_xor_b32_e32 v20, s19, v20
	v_cmp_gt_i32_e64 s19, 0, v68
	v_and_b32_e32 v17, v17, v19
	v_not_b32_e32 v19, v21
	v_ashrrev_i32_e32 v18, 31, v18
	v_xor_b32_e32 v22, s20, v22
	v_cmp_gt_i32_e64 s20, 0, v21
	v_and_b32_e32 v17, v17, v20
	v_ashrrev_i32_e32 v19, 31, v19
	s_wait_alu 0xf1ff
	v_xor_b32_e32 v18, s19, v18
	v_lshl_add_u32 v70, v16, 4, v24
	v_and_b32_e32 v17, v17, v22
	v_xor_b32_e32 v16, s20, v19
	ds_load_b32 v68, v70 offset:16
	v_and_b32_e32 v17, v17, v18
	; wave barrier
	s_delay_alu instid0(VALU_DEP_1) | instskip(NEXT) | instid1(VALU_DEP_1)
	v_and_b32_e32 v16, v17, v16
	v_mbcnt_lo_u32_b32 v69, v16, 0
	v_cmp_ne_u32_e64 s20, 0, v16
	s_delay_alu instid0(VALU_DEP_2)
	v_cmp_eq_u32_e64 s19, 0, v69
	s_and_b32 s20, s20, s19
	s_wait_alu 0xfffe
	s_and_saveexec_b32 s19, s20
	s_cbranch_execz .LBB232_116
; %bb.115:
	s_wait_dscnt 0x0
	v_bcnt_u32_b32 v16, v16, v68
	ds_store_b32 v70, v16 offset:16
.LBB232_116:
	s_wait_alu 0xfffe
	s_or_b32 exec_lo, exec_lo, s19
	v_lshrrev_b16 v16, 8, v30
	v_cmp_ne_u16_e64 s19, 0x8000, v30
	; wave barrier
	s_wait_alu 0xf1ff
	s_delay_alu instid0(VALU_DEP_1) | instskip(NEXT) | instid1(VALU_DEP_1)
	v_cndmask_b32_e64 v16, 0x7f, v16, s19
	v_and_b32_e32 v16, s21, v16
	s_delay_alu instid0(VALU_DEP_1)
	v_and_b32_e32 v17, 1, v16
	v_lshlrev_b32_e32 v18, 30, v16
	v_lshlrev_b32_e32 v19, 29, v16
	v_lshlrev_b32_e32 v20, 28, v16
	v_lshlrev_b32_e32 v22, 27, v16
	v_add_co_u32 v17, s19, v17, -1
	s_wait_alu 0xf1ff
	v_cndmask_b32_e64 v21, 0, 1, s19
	v_not_b32_e32 v72, v18
	v_cmp_gt_i32_e64 s20, 0, v18
	v_not_b32_e32 v18, v19
	v_lshlrev_b32_e32 v23, 26, v16
	v_cmp_ne_u32_e64 s19, 0, v21
	v_ashrrev_i32_e32 v72, 31, v72
	v_lshlrev_b32_e32 v71, 25, v16
	v_ashrrev_i32_e32 v18, 31, v18
	v_lshlrev_b32_e32 v21, 24, v16
	s_wait_alu 0xf1ff
	v_xor_b32_e32 v17, s19, v17
	v_cmp_gt_i32_e64 s19, 0, v19
	v_not_b32_e32 v19, v20
	v_xor_b32_e32 v72, s20, v72
	v_cmp_gt_i32_e64 s20, 0, v20
	v_and_b32_e32 v17, exec_lo, v17
	v_not_b32_e32 v20, v22
	v_ashrrev_i32_e32 v19, 31, v19
	s_wait_alu 0xf1ff
	v_xor_b32_e32 v18, s19, v18
	v_cmp_gt_i32_e64 s19, 0, v22
	v_and_b32_e32 v17, v17, v72
	v_not_b32_e32 v22, v23
	v_ashrrev_i32_e32 v20, 31, v20
	v_xor_b32_e32 v19, s20, v19
	v_cmp_gt_i32_e64 s20, 0, v23
	v_and_b32_e32 v17, v17, v18
	v_not_b32_e32 v18, v71
	v_ashrrev_i32_e32 v22, 31, v22
	s_wait_alu 0xf1ff
	v_xor_b32_e32 v20, s19, v20
	v_cmp_gt_i32_e64 s19, 0, v71
	v_and_b32_e32 v17, v17, v19
	v_not_b32_e32 v19, v21
	v_ashrrev_i32_e32 v18, 31, v18
	v_xor_b32_e32 v22, s20, v22
	v_cmp_gt_i32_e64 s20, 0, v21
	v_and_b32_e32 v17, v17, v20
	v_ashrrev_i32_e32 v19, 31, v19
	s_wait_alu 0xf1ff
	v_xor_b32_e32 v18, s19, v18
	v_lshl_add_u32 v73, v16, 4, v24
	v_and_b32_e32 v17, v17, v22
	v_xor_b32_e32 v16, s20, v19
	ds_load_b32 v71, v73 offset:16
	v_and_b32_e32 v17, v17, v18
	; wave barrier
	s_delay_alu instid0(VALU_DEP_1) | instskip(NEXT) | instid1(VALU_DEP_1)
	v_and_b32_e32 v16, v17, v16
	v_mbcnt_lo_u32_b32 v72, v16, 0
	v_cmp_ne_u32_e64 s20, 0, v16
	s_delay_alu instid0(VALU_DEP_2)
	v_cmp_eq_u32_e64 s19, 0, v72
	s_and_b32 s20, s20, s19
	s_wait_alu 0xfffe
	s_and_saveexec_b32 s19, s20
	s_cbranch_execz .LBB232_118
; %bb.117:
	s_wait_dscnt 0x0
	v_bcnt_u32_b32 v16, v16, v71
	ds_store_b32 v73, v16 offset:16
.LBB232_118:
	s_wait_alu 0xfffe
	s_or_b32 exec_lo, exec_lo, s19
	v_lshrrev_b16 v16, 8, v31
	v_cmp_ne_u16_e64 s19, 0x8000, v31
	; wave barrier
	s_wait_alu 0xf1ff
	s_delay_alu instid0(VALU_DEP_1) | instskip(NEXT) | instid1(VALU_DEP_1)
	v_cndmask_b32_e64 v16, 0x7f, v16, s19
	v_and_b32_e32 v16, s21, v16
	s_delay_alu instid0(VALU_DEP_1)
	v_and_b32_e32 v17, 1, v16
	v_lshlrev_b32_e32 v18, 30, v16
	v_lshlrev_b32_e32 v19, 29, v16
	;; [unrolled: 1-line block ×4, first 2 shown]
	v_add_co_u32 v17, s19, v17, -1
	s_wait_alu 0xf1ff
	v_cndmask_b32_e64 v21, 0, 1, s19
	v_not_b32_e32 v75, v18
	v_cmp_gt_i32_e64 s20, 0, v18
	v_not_b32_e32 v18, v19
	v_lshlrev_b32_e32 v23, 26, v16
	v_cmp_ne_u32_e64 s19, 0, v21
	v_ashrrev_i32_e32 v75, 31, v75
	v_lshlrev_b32_e32 v74, 25, v16
	v_ashrrev_i32_e32 v18, 31, v18
	v_lshlrev_b32_e32 v21, 24, v16
	s_wait_alu 0xf1ff
	v_xor_b32_e32 v17, s19, v17
	v_cmp_gt_i32_e64 s19, 0, v19
	v_not_b32_e32 v19, v20
	v_xor_b32_e32 v75, s20, v75
	v_cmp_gt_i32_e64 s20, 0, v20
	v_and_b32_e32 v17, exec_lo, v17
	v_not_b32_e32 v20, v22
	v_ashrrev_i32_e32 v19, 31, v19
	s_wait_alu 0xf1ff
	v_xor_b32_e32 v18, s19, v18
	v_cmp_gt_i32_e64 s19, 0, v22
	v_and_b32_e32 v17, v17, v75
	v_not_b32_e32 v22, v23
	v_ashrrev_i32_e32 v20, 31, v20
	v_xor_b32_e32 v19, s20, v19
	v_cmp_gt_i32_e64 s20, 0, v23
	v_and_b32_e32 v17, v17, v18
	v_not_b32_e32 v18, v74
	v_ashrrev_i32_e32 v22, 31, v22
	s_wait_alu 0xf1ff
	v_xor_b32_e32 v20, s19, v20
	v_cmp_gt_i32_e64 s19, 0, v74
	v_and_b32_e32 v17, v17, v19
	v_not_b32_e32 v19, v21
	v_ashrrev_i32_e32 v18, 31, v18
	v_xor_b32_e32 v22, s20, v22
	v_cmp_gt_i32_e64 s20, 0, v21
	v_and_b32_e32 v17, v17, v20
	v_ashrrev_i32_e32 v19, 31, v19
	s_wait_alu 0xf1ff
	v_xor_b32_e32 v18, s19, v18
	v_lshl_add_u32 v76, v16, 4, v24
	v_and_b32_e32 v17, v17, v22
	v_xor_b32_e32 v16, s20, v19
	ds_load_b32 v74, v76 offset:16
	v_and_b32_e32 v17, v17, v18
	; wave barrier
	s_delay_alu instid0(VALU_DEP_1) | instskip(NEXT) | instid1(VALU_DEP_1)
	v_and_b32_e32 v16, v17, v16
	v_mbcnt_lo_u32_b32 v75, v16, 0
	v_cmp_ne_u32_e64 s20, 0, v16
	s_delay_alu instid0(VALU_DEP_2)
	v_cmp_eq_u32_e64 s19, 0, v75
	s_and_b32 s20, s20, s19
	s_wait_alu 0xfffe
	s_and_saveexec_b32 s19, s20
	s_cbranch_execz .LBB232_120
; %bb.119:
	s_wait_dscnt 0x0
	v_bcnt_u32_b32 v16, v16, v74
	ds_store_b32 v76, v16 offset:16
.LBB232_120:
	s_wait_alu 0xfffe
	s_or_b32 exec_lo, exec_lo, s19
	v_lshrrev_b16 v16, 8, v32
	v_cmp_ne_u16_e64 s19, 0x8000, v32
	; wave barrier
	s_wait_alu 0xf1ff
	s_delay_alu instid0(VALU_DEP_1) | instskip(NEXT) | instid1(VALU_DEP_1)
	v_cndmask_b32_e64 v16, 0x7f, v16, s19
	v_and_b32_e32 v16, s21, v16
	s_delay_alu instid0(VALU_DEP_1)
	v_and_b32_e32 v17, 1, v16
	v_lshlrev_b32_e32 v18, 30, v16
	v_lshlrev_b32_e32 v19, 29, v16
	;; [unrolled: 1-line block ×4, first 2 shown]
	v_add_co_u32 v17, s19, v17, -1
	s_wait_alu 0xf1ff
	v_cndmask_b32_e64 v21, 0, 1, s19
	v_not_b32_e32 v78, v18
	v_cmp_gt_i32_e64 s20, 0, v18
	v_not_b32_e32 v18, v19
	v_lshlrev_b32_e32 v23, 26, v16
	v_cmp_ne_u32_e64 s19, 0, v21
	v_ashrrev_i32_e32 v78, 31, v78
	v_lshlrev_b32_e32 v77, 25, v16
	v_ashrrev_i32_e32 v18, 31, v18
	v_lshlrev_b32_e32 v21, 24, v16
	s_wait_alu 0xf1ff
	v_xor_b32_e32 v17, s19, v17
	v_cmp_gt_i32_e64 s19, 0, v19
	v_not_b32_e32 v19, v20
	v_xor_b32_e32 v78, s20, v78
	v_cmp_gt_i32_e64 s20, 0, v20
	v_and_b32_e32 v17, exec_lo, v17
	v_not_b32_e32 v20, v22
	v_ashrrev_i32_e32 v19, 31, v19
	s_wait_alu 0xf1ff
	v_xor_b32_e32 v18, s19, v18
	v_cmp_gt_i32_e64 s19, 0, v22
	v_and_b32_e32 v17, v17, v78
	v_not_b32_e32 v22, v23
	v_ashrrev_i32_e32 v20, 31, v20
	v_xor_b32_e32 v19, s20, v19
	v_cmp_gt_i32_e64 s20, 0, v23
	v_and_b32_e32 v17, v17, v18
	v_not_b32_e32 v18, v77
	v_ashrrev_i32_e32 v22, 31, v22
	s_wait_alu 0xf1ff
	v_xor_b32_e32 v20, s19, v20
	v_cmp_gt_i32_e64 s19, 0, v77
	v_and_b32_e32 v17, v17, v19
	v_not_b32_e32 v19, v21
	v_ashrrev_i32_e32 v18, 31, v18
	v_xor_b32_e32 v22, s20, v22
	v_cmp_gt_i32_e64 s20, 0, v21
	v_and_b32_e32 v17, v17, v20
	v_ashrrev_i32_e32 v19, 31, v19
	s_wait_alu 0xf1ff
	v_xor_b32_e32 v18, s19, v18
	v_lshl_add_u32 v79, v16, 4, v24
	v_and_b32_e32 v17, v17, v22
	v_xor_b32_e32 v16, s20, v19
	ds_load_b32 v77, v79 offset:16
	v_and_b32_e32 v17, v17, v18
	; wave barrier
	s_delay_alu instid0(VALU_DEP_1) | instskip(NEXT) | instid1(VALU_DEP_1)
	v_and_b32_e32 v16, v17, v16
	v_mbcnt_lo_u32_b32 v78, v16, 0
	v_cmp_ne_u32_e64 s20, 0, v16
	s_delay_alu instid0(VALU_DEP_2)
	v_cmp_eq_u32_e64 s19, 0, v78
	s_and_b32 s20, s20, s19
	s_wait_alu 0xfffe
	s_and_saveexec_b32 s19, s20
	s_cbranch_execz .LBB232_122
; %bb.121:
	s_wait_dscnt 0x0
	v_bcnt_u32_b32 v16, v16, v77
	ds_store_b32 v79, v16 offset:16
.LBB232_122:
	s_wait_alu 0xfffe
	s_or_b32 exec_lo, exec_lo, s19
	v_lshrrev_b16 v16, 8, v25
	v_cmp_ne_u16_e64 s19, 0x8000, v25
	; wave barrier
	s_wait_alu 0xf1ff
	s_delay_alu instid0(VALU_DEP_1) | instskip(NEXT) | instid1(VALU_DEP_1)
	v_cndmask_b32_e64 v16, 0x7f, v16, s19
	v_and_b32_e32 v16, s21, v16
	s_delay_alu instid0(VALU_DEP_1)
	v_and_b32_e32 v17, 1, v16
	v_lshlrev_b32_e32 v18, 30, v16
	v_lshlrev_b32_e32 v19, 29, v16
	;; [unrolled: 1-line block ×4, first 2 shown]
	v_add_co_u32 v17, s19, v17, -1
	s_wait_alu 0xf1ff
	v_cndmask_b32_e64 v21, 0, 1, s19
	v_not_b32_e32 v81, v18
	v_cmp_gt_i32_e64 s20, 0, v18
	v_not_b32_e32 v18, v19
	v_lshlrev_b32_e32 v23, 26, v16
	v_cmp_ne_u32_e64 s19, 0, v21
	v_ashrrev_i32_e32 v81, 31, v81
	v_lshlrev_b32_e32 v80, 25, v16
	v_ashrrev_i32_e32 v18, 31, v18
	v_lshlrev_b32_e32 v21, 24, v16
	s_wait_alu 0xf1ff
	v_xor_b32_e32 v17, s19, v17
	v_cmp_gt_i32_e64 s19, 0, v19
	v_not_b32_e32 v19, v20
	v_xor_b32_e32 v81, s20, v81
	v_cmp_gt_i32_e64 s20, 0, v20
	v_and_b32_e32 v17, exec_lo, v17
	v_not_b32_e32 v20, v22
	v_ashrrev_i32_e32 v19, 31, v19
	s_wait_alu 0xf1ff
	v_xor_b32_e32 v18, s19, v18
	v_cmp_gt_i32_e64 s19, 0, v22
	v_and_b32_e32 v17, v17, v81
	v_not_b32_e32 v22, v23
	v_ashrrev_i32_e32 v20, 31, v20
	v_xor_b32_e32 v19, s20, v19
	v_cmp_gt_i32_e64 s20, 0, v23
	v_and_b32_e32 v17, v17, v18
	v_not_b32_e32 v18, v80
	v_ashrrev_i32_e32 v22, 31, v22
	s_wait_alu 0xf1ff
	v_xor_b32_e32 v20, s19, v20
	v_cmp_gt_i32_e64 s19, 0, v80
	v_and_b32_e32 v17, v17, v19
	v_not_b32_e32 v19, v21
	v_ashrrev_i32_e32 v18, 31, v18
	v_xor_b32_e32 v22, s20, v22
	v_cmp_gt_i32_e64 s20, 0, v21
	v_and_b32_e32 v17, v17, v20
	v_ashrrev_i32_e32 v19, 31, v19
	s_wait_alu 0xf1ff
	v_xor_b32_e32 v18, s19, v18
	v_lshl_add_u32 v81, v16, 4, v24
	v_and_b32_e32 v17, v17, v22
	v_xor_b32_e32 v16, s20, v19
	ds_load_b32 v24, v81 offset:16
	v_and_b32_e32 v17, v17, v18
	; wave barrier
	s_delay_alu instid0(VALU_DEP_1) | instskip(NEXT) | instid1(VALU_DEP_1)
	v_and_b32_e32 v16, v17, v16
	v_mbcnt_lo_u32_b32 v80, v16, 0
	v_cmp_ne_u32_e64 s20, 0, v16
	s_delay_alu instid0(VALU_DEP_2)
	v_cmp_eq_u32_e64 s19, 0, v80
	s_and_b32 s20, s20, s19
	s_wait_alu 0xfffe
	s_and_saveexec_b32 s19, s20
	s_cbranch_execz .LBB232_124
; %bb.123:
	s_wait_dscnt 0x0
	v_bcnt_u32_b32 v16, v16, v24
	ds_store_b32 v81, v16 offset:16
.LBB232_124:
	s_wait_alu 0xfffe
	s_or_b32 exec_lo, exec_lo, s19
	; wave barrier
	s_wait_loadcnt_dscnt 0x0
	s_barrier_signal -1
	s_barrier_wait -1
	global_inv scope:SCOPE_SE
	ds_load_b128 v[20:23], v67 offset:16
	ds_load_b128 v[16:19], v67 offset:32
	s_wait_dscnt 0x1
	v_add_nc_u32_e32 v82, v21, v20
	s_delay_alu instid0(VALU_DEP_1) | instskip(SKIP_1) | instid1(VALU_DEP_1)
	v_add3_u32 v82, v82, v22, v23
	s_wait_dscnt 0x0
	v_add3_u32 v82, v82, v16, v17
	s_delay_alu instid0(VALU_DEP_1) | instskip(NEXT) | instid1(VALU_DEP_1)
	v_add3_u32 v19, v82, v18, v19
	v_mov_b32_dpp v82, v19 row_shr:1 row_mask:0xf bank_mask:0xf
	s_delay_alu instid0(VALU_DEP_1) | instskip(NEXT) | instid1(VALU_DEP_1)
	v_cndmask_b32_e64 v82, v82, 0, s1
	v_add_nc_u32_e32 v19, v82, v19
	s_delay_alu instid0(VALU_DEP_1) | instskip(NEXT) | instid1(VALU_DEP_1)
	v_mov_b32_dpp v82, v19 row_shr:2 row_mask:0xf bank_mask:0xf
	v_cndmask_b32_e64 v82, 0, v82, s10
	s_delay_alu instid0(VALU_DEP_1) | instskip(NEXT) | instid1(VALU_DEP_1)
	v_add_nc_u32_e32 v19, v19, v82
	v_mov_b32_dpp v82, v19 row_shr:4 row_mask:0xf bank_mask:0xf
	s_delay_alu instid0(VALU_DEP_1) | instskip(NEXT) | instid1(VALU_DEP_1)
	v_cndmask_b32_e64 v82, 0, v82, s11
	v_add_nc_u32_e32 v19, v19, v82
	s_delay_alu instid0(VALU_DEP_1) | instskip(NEXT) | instid1(VALU_DEP_1)
	v_mov_b32_dpp v82, v19 row_shr:8 row_mask:0xf bank_mask:0xf
	v_cndmask_b32_e64 v82, 0, v82, s13
	s_delay_alu instid0(VALU_DEP_1) | instskip(SKIP_3) | instid1(VALU_DEP_1)
	v_add_nc_u32_e32 v19, v19, v82
	ds_swizzle_b32 v82, v19 offset:swizzle(BROADCAST,32,15)
	s_wait_dscnt 0x0
	v_cndmask_b32_e64 v82, v82, 0, s16
	v_add_nc_u32_e32 v19, v19, v82
	s_and_saveexec_b32 s1, s14
; %bb.125:
	ds_store_b32 v34, v19
; %bb.126:
	s_wait_alu 0xfffe
	s_or_b32 exec_lo, exec_lo, s1
	s_wait_loadcnt_dscnt 0x0
	s_barrier_signal -1
	s_barrier_wait -1
	global_inv scope:SCOPE_SE
	s_and_saveexec_b32 s1, s15
	s_cbranch_execz .LBB232_128
; %bb.127:
	ds_load_b32 v34, v35
	s_wait_dscnt 0x0
	v_mov_b32_dpp v82, v34 row_shr:1 row_mask:0xf bank_mask:0xf
	s_delay_alu instid0(VALU_DEP_1) | instskip(NEXT) | instid1(VALU_DEP_1)
	v_cndmask_b32_e64 v82, v82, 0, s12
	v_add_nc_u32_e32 v34, v82, v34
	s_delay_alu instid0(VALU_DEP_1) | instskip(NEXT) | instid1(VALU_DEP_1)
	v_mov_b32_dpp v82, v34 row_shr:2 row_mask:0xf bank_mask:0xf
	v_cndmask_b32_e64 v82, 0, v82, s9
	s_delay_alu instid0(VALU_DEP_1)
	v_add_nc_u32_e32 v34, v34, v82
	ds_store_b32 v35, v34
.LBB232_128:
	s_wait_alu 0xfffe
	s_or_b32 exec_lo, exec_lo, s1
	v_mov_b32_e32 v34, 0
	s_wait_loadcnt_dscnt 0x0
	s_barrier_signal -1
	s_barrier_wait -1
	global_inv scope:SCOPE_SE
	s_and_saveexec_b32 s1, s17
; %bb.129:
	ds_load_b32 v34, v36
; %bb.130:
	s_wait_alu 0xfffe
	s_or_b32 exec_lo, exec_lo, s1
	s_wait_dscnt 0x0
	v_add_nc_u32_e32 v19, v34, v19
	ds_bpermute_b32 v19, v37, v19
	s_wait_dscnt 0x0
	v_cndmask_b32_e32 v19, v19, v34, vcc_lo
	s_delay_alu instid0(VALU_DEP_1) | instskip(NEXT) | instid1(VALU_DEP_1)
	v_cndmask_b32_e64 v19, v19, 0, s18
	v_add_nc_u32_e32 v20, v19, v20
	s_delay_alu instid0(VALU_DEP_1) | instskip(NEXT) | instid1(VALU_DEP_1)
	v_add_nc_u32_e32 v21, v20, v21
	v_add_nc_u32_e32 v22, v21, v22
	s_delay_alu instid0(VALU_DEP_1) | instskip(NEXT) | instid1(VALU_DEP_1)
	v_add_nc_u32_e32 v34, v22, v23
	;; [unrolled: 3-line block ×3, first 2 shown]
	v_add_nc_u32_e32 v37, v36, v18
	ds_store_b128 v67, v[19:22] offset:16
	ds_store_b128 v67, v[34:37] offset:32
	s_wait_loadcnt_dscnt 0x0
	s_barrier_signal -1
	s_barrier_wait -1
	global_inv scope:SCOPE_SE
	ds_load_b32 v16, v81 offset:16
	ds_load_b32 v17, v79 offset:16
	;; [unrolled: 1-line block ×8, first 2 shown]
	v_lshlrev_b32_e32 v34, 1, v66
	s_wait_loadcnt_dscnt 0x0
	s_barrier_signal -1
	s_barrier_wait -1
	global_inv scope:SCOPE_SE
	v_mad_u32_u24 v37, v46, 48, v34
	v_add3_u32 v35, v80, v24, v16
	v_add3_u32 v36, v78, v77, v17
	v_add3_u32 v38, v75, v74, v18
	v_add_nc_u32_e32 v24, v19, v33
	v_add3_u32 v33, v40, v39, v20
	v_add3_u32 v39, v49, v48, v21
	;; [unrolled: 1-line block ×4, first 2 shown]
	v_lshlrev_b32_e32 v16, 1, v24
	v_lshlrev_b32_e32 v17, 1, v33
	;; [unrolled: 1-line block ×8, first 2 shown]
	ds_store_b16 v16, v26
	ds_store_b16 v17, v27
	;; [unrolled: 1-line block ×8, first 2 shown]
	v_mad_co_u64_u32 v[24:25], null, v24, 6, v[16:17]
	v_mad_co_u64_u32 v[16:17], null, v33, 6, v[17:18]
	;; [unrolled: 1-line block ×7, first 2 shown]
	s_wait_loadcnt_dscnt 0x0
	s_barrier_signal -1
	s_barrier_wait -1
	global_inv scope:SCOPE_SE
	v_mad_co_u64_u32 v[22:23], null, v35, 6, v[23:24]
	ds_load_b128 v[33:36], v34
	s_wait_loadcnt_dscnt 0x0
	s_barrier_signal -1
	s_barrier_wait -1
	global_inv scope:SCOPE_SE
	ds_store_b64 v24, v[4:5]
	ds_store_b64 v16, v[6:7]
	;; [unrolled: 1-line block ×8, first 2 shown]
	s_wait_loadcnt_dscnt 0x0
	s_barrier_signal -1
	s_barrier_wait -1
	global_inv scope:SCOPE_SE
	ds_load_b128 v[29:32], v37
	ds_load_b128 v[25:28], v37 offset:16
	ds_load_b128 v[21:24], v37 offset:32
	;; [unrolled: 1-line block ×3, first 2 shown]
	v_cmp_gt_i16_e32 vcc_lo, 0, v33
	v_lshrrev_b32_e32 v0, 16, v33
	v_lshrrev_b32_e32 v2, 16, v34
	v_lshrrev_b32_e32 v4, 16, v35
	v_lshrrev_b32_e32 v6, 16, v36
	s_wait_alu 0xfffd
	v_cndmask_b32_e64 v1, 0x7fff, 0, vcc_lo
	v_cmp_gt_i16_e32 vcc_lo, 0, v34
	s_wait_alu 0xfffd
	v_cndmask_b32_e64 v3, 0x7fff, 0, vcc_lo
	v_cmp_gt_i16_e32 vcc_lo, 0, v35
	;; [unrolled: 3-line block ×5, first 2 shown]
	s_delay_alu instid0(VALU_DEP_2) | instskip(SKIP_3) | instid1(VALU_DEP_3)
	v_perm_b32 v0, v0, v1, 0x5040100
	s_wait_alu 0xfffd
	v_cndmask_b32_e64 v2, 0x7fff, 0, vcc_lo
	v_cmp_gt_i16_e32 vcc_lo, 0, v4
	v_xor_b32_e32 v0, v0, v33
	s_delay_alu instid0(VALU_DEP_3) | instskip(SKIP_3) | instid1(VALU_DEP_3)
	v_perm_b32 v1, v2, v3, 0x5040100
	s_wait_alu 0xfffd
	v_cndmask_b32_e64 v4, 0x7fff, 0, vcc_lo
	v_cmp_gt_i16_e32 vcc_lo, 0, v6
	v_xor_b32_e32 v34, v1, v34
	s_delay_alu instid0(VALU_DEP_3) | instskip(SKIP_2) | instid1(VALU_DEP_2)
	v_perm_b32 v2, v4, v5, 0x5040100
	s_wait_alu 0xfffd
	v_cndmask_b32_e64 v6, 0x7fff, 0, vcc_lo
	v_xor_b32_e32 v33, v2, v35
	s_delay_alu instid0(VALU_DEP_2) | instskip(NEXT) | instid1(VALU_DEP_1)
	v_perm_b32 v3, v6, v7, 0x5040100
	v_xor_b32_e32 v35, v3, v36
.LBB232_131:
	s_wait_loadcnt_dscnt 0x0
	s_barrier_signal -1
	s_barrier_wait -1
	global_inv scope:SCOPE_SE
	ds_store_2addr_b32 v58, v0, v34 offset1:1
	ds_store_2addr_b32 v58, v33, v35 offset0:2 offset1:3
	s_wait_loadcnt_dscnt 0x0
	s_barrier_signal -1
	s_barrier_wait -1
	global_inv scope:SCOPE_SE
	ds_load_u16 v8, v45 offset:256
	ds_load_u16 v7, v52 offset:512
	ds_load_u16 v6, v53 offset:768
	ds_load_u16 v5, v54 offset:1024
	ds_load_u16 v4, v55 offset:1280
	ds_load_u16 v3, v56 offset:1536
	ds_load_u16 v2, v57 offset:1792
	v_mov_b32_e32 v45, 0
	s_delay_alu instid0(VALU_DEP_1) | instskip(NEXT) | instid1(VALU_DEP_1)
	v_lshlrev_b64_e32 v[0:1], 1, v[44:45]
	v_add_co_u32 v0, vcc_lo, s30, v0
	s_wait_alu 0xfffd
	s_delay_alu instid0(VALU_DEP_2)
	v_add_co_ci_u32_e64 v1, null, s31, v1, vcc_lo
	s_and_saveexec_b32 s1, s2
	s_cbranch_execnz .LBB232_150
; %bb.132:
	s_wait_alu 0xfffe
	s_or_b32 exec_lo, exec_lo, s1
	s_and_saveexec_b32 s1, s3
	s_cbranch_execnz .LBB232_151
.LBB232_133:
	s_wait_alu 0xfffe
	s_or_b32 exec_lo, exec_lo, s1
	s_and_saveexec_b32 s1, s4
	s_cbranch_execnz .LBB232_152
.LBB232_134:
	s_wait_alu 0xfffe
	s_or_b32 exec_lo, exec_lo, s1
	s_and_saveexec_b32 s1, s5
	s_cbranch_execnz .LBB232_153
.LBB232_135:
	s_wait_alu 0xfffe
	s_or_b32 exec_lo, exec_lo, s1
	s_and_saveexec_b32 s1, s6
	s_cbranch_execnz .LBB232_154
.LBB232_136:
	s_wait_alu 0xfffe
	s_or_b32 exec_lo, exec_lo, s1
	s_and_saveexec_b32 s1, s7
	s_cbranch_execnz .LBB232_155
.LBB232_137:
	s_wait_alu 0xfffe
	s_or_b32 exec_lo, exec_lo, s1
	s_and_saveexec_b32 s1, s8
	s_cbranch_execnz .LBB232_156
.LBB232_138:
	s_wait_alu 0xfffe
	s_or_b32 exec_lo, exec_lo, s1
	s_and_saveexec_b32 s1, s0
	s_cbranch_execz .LBB232_140
.LBB232_139:
	s_mul_i32 s10, s22, 0x380
	s_mov_b32 s11, 0
	s_wait_alu 0xfffe
	s_lshl_b64 s[10:11], s[10:11], 1
	s_wait_alu 0xfffe
	v_add_co_u32 v0, vcc_lo, v0, s10
	s_wait_alu 0xfffd
	v_add_co_ci_u32_e64 v1, null, s11, v1, vcc_lo
	s_wait_dscnt 0x0
	global_store_b16 v[0:1], v2, off
.LBB232_140:
	s_wait_alu 0xfffe
	s_or_b32 exec_lo, exec_lo, s1
	s_wait_storecnt 0x0
	s_wait_loadcnt_dscnt 0x0
	s_barrier_signal -1
	s_barrier_wait -1
	global_inv scope:SCOPE_SE
	ds_store_2addr_b64 v65, v[29:30], v[31:32] offset1:1
	ds_store_2addr_b64 v65, v[25:26], v[27:28] offset0:2 offset1:3
	ds_store_2addr_b64 v65, v[21:22], v[23:24] offset0:4 offset1:5
	;; [unrolled: 1-line block ×3, first 2 shown]
	s_wait_loadcnt_dscnt 0x0
	s_barrier_signal -1
	s_barrier_wait -1
	global_inv scope:SCOPE_SE
	ds_load_b64 v[14:15], v60 offset:1024
	ds_load_b64 v[12:13], v61 offset:2048
	ds_load_b64 v[10:11], v62 offset:3072
	ds_load_b64 v[8:9], v42 offset:4096
	ds_load_b64 v[6:7], v43 offset:5120
	ds_load_b64 v[4:5], v63 offset:6144
	ds_load_b64 v[0:1], v64 offset:7168
	v_mov_b32_e32 v42, 0
	s_delay_alu instid0(VALU_DEP_1) | instskip(NEXT) | instid1(VALU_DEP_1)
	v_lshlrev_b64_e32 v[2:3], 3, v[41:42]
	v_add_co_u32 v2, vcc_lo, s34, v2
	s_wait_alu 0xfffd
	s_delay_alu instid0(VALU_DEP_2)
	v_add_co_ci_u32_e64 v3, null, s35, v3, vcc_lo
	s_and_saveexec_b32 s1, s2
	s_cbranch_execnz .LBB232_157
; %bb.141:
	s_wait_alu 0xfffe
	s_or_b32 exec_lo, exec_lo, s1
	s_and_saveexec_b32 s1, s3
	s_cbranch_execnz .LBB232_158
.LBB232_142:
	s_wait_alu 0xfffe
	s_or_b32 exec_lo, exec_lo, s1
	s_and_saveexec_b32 s1, s4
	s_cbranch_execnz .LBB232_159
.LBB232_143:
	s_wait_alu 0xfffe
	s_or_b32 exec_lo, exec_lo, s1
	s_and_saveexec_b32 s1, s5
	s_cbranch_execnz .LBB232_160
.LBB232_144:
	s_wait_alu 0xfffe
	s_or_b32 exec_lo, exec_lo, s1
	s_and_saveexec_b32 s1, s6
	s_cbranch_execnz .LBB232_161
.LBB232_145:
	s_wait_alu 0xfffe
	s_or_b32 exec_lo, exec_lo, s1
	s_and_saveexec_b32 s1, s7
	s_cbranch_execnz .LBB232_162
.LBB232_146:
	s_wait_alu 0xfffe
	s_or_b32 exec_lo, exec_lo, s1
	s_and_saveexec_b32 s1, s8
	s_cbranch_execnz .LBB232_163
.LBB232_147:
	s_wait_alu 0xfffe
	s_or_b32 exec_lo, exec_lo, s1
	s_and_saveexec_b32 s1, s0
	s_cbranch_execz .LBB232_149
.LBB232_148:
	s_mul_i32 s0, s28, 0x380
	s_mov_b32 s1, 0
	s_wait_alu 0xfffe
	s_lshl_b64 s[0:1], s[0:1], 3
	s_wait_alu 0xfffe
	v_add_co_u32 v2, vcc_lo, v2, s0
	s_wait_alu 0xfffd
	v_add_co_ci_u32_e64 v3, null, s1, v3, vcc_lo
	s_wait_dscnt 0x0
	global_store_b64 v[2:3], v[0:1], off
.LBB232_149:
	s_nop 0
	s_sendmsg sendmsg(MSG_DEALLOC_VGPRS)
	s_endpgm
.LBB232_150:
	ds_load_u16 v9, v51
	s_wait_dscnt 0x0
	global_store_b16 v[0:1], v9, off
	s_wait_alu 0xfffe
	s_or_b32 exec_lo, exec_lo, s1
	s_and_saveexec_b32 s1, s3
	s_cbranch_execz .LBB232_133
.LBB232_151:
	s_lshl_b32 s10, s22, 7
	s_mov_b32 s11, 0
	s_wait_alu 0xfffe
	s_lshl_b64 s[10:11], s[10:11], 1
	s_wait_alu 0xfffe
	v_add_co_u32 v9, vcc_lo, v0, s10
	s_wait_alu 0xfffd
	v_add_co_ci_u32_e64 v10, null, s11, v1, vcc_lo
	s_wait_dscnt 0x6
	global_store_b16 v[9:10], v8, off
	s_or_b32 exec_lo, exec_lo, s1
	s_and_saveexec_b32 s1, s4
	s_cbranch_execz .LBB232_134
.LBB232_152:
	s_lshl_b32 s10, s22, 8
	s_mov_b32 s11, 0
	s_wait_alu 0xfffe
	s_lshl_b64 s[10:11], s[10:11], 1
	s_wait_dscnt 0x6
	s_wait_alu 0xfffe
	v_add_co_u32 v8, vcc_lo, v0, s10
	s_wait_alu 0xfffd
	v_add_co_ci_u32_e64 v9, null, s11, v1, vcc_lo
	s_wait_dscnt 0x5
	global_store_b16 v[8:9], v7, off
	s_or_b32 exec_lo, exec_lo, s1
	s_and_saveexec_b32 s1, s5
	s_cbranch_execz .LBB232_135
.LBB232_153:
	s_mul_i32 s10, s22, 0x180
	s_mov_b32 s11, 0
	s_wait_alu 0xfffe
	s_lshl_b64 s[10:11], s[10:11], 1
	s_wait_dscnt 0x5
	s_wait_alu 0xfffe
	v_add_co_u32 v7, vcc_lo, v0, s10
	s_wait_alu 0xfffd
	v_add_co_ci_u32_e64 v8, null, s11, v1, vcc_lo
	s_wait_dscnt 0x4
	global_store_b16 v[7:8], v6, off
	s_or_b32 exec_lo, exec_lo, s1
	s_and_saveexec_b32 s1, s6
	s_cbranch_execz .LBB232_136
.LBB232_154:
	s_lshl_b32 s10, s22, 9
	s_mov_b32 s11, 0
	s_wait_alu 0xfffe
	s_lshl_b64 s[10:11], s[10:11], 1
	s_wait_dscnt 0x4
	s_wait_alu 0xfffe
	v_add_co_u32 v6, vcc_lo, v0, s10
	s_wait_alu 0xfffd
	v_add_co_ci_u32_e64 v7, null, s11, v1, vcc_lo
	s_wait_dscnt 0x3
	global_store_b16 v[6:7], v5, off
	s_or_b32 exec_lo, exec_lo, s1
	s_and_saveexec_b32 s1, s7
	s_cbranch_execz .LBB232_137
.LBB232_155:
	s_mul_i32 s10, s22, 0x280
	s_mov_b32 s11, 0
	s_wait_alu 0xfffe
	s_lshl_b64 s[10:11], s[10:11], 1
	s_wait_dscnt 0x3
	s_wait_alu 0xfffe
	v_add_co_u32 v5, vcc_lo, v0, s10
	s_wait_alu 0xfffd
	v_add_co_ci_u32_e64 v6, null, s11, v1, vcc_lo
	s_wait_dscnt 0x2
	global_store_b16 v[5:6], v4, off
	s_or_b32 exec_lo, exec_lo, s1
	s_and_saveexec_b32 s1, s8
	s_cbranch_execz .LBB232_138
.LBB232_156:
	s_mul_i32 s10, s22, 0x300
	s_mov_b32 s11, 0
	s_wait_alu 0xfffe
	s_lshl_b64 s[10:11], s[10:11], 1
	s_wait_dscnt 0x2
	s_wait_alu 0xfffe
	v_add_co_u32 v4, vcc_lo, v0, s10
	s_wait_alu 0xfffd
	v_add_co_ci_u32_e64 v5, null, s11, v1, vcc_lo
	s_wait_dscnt 0x1
	global_store_b16 v[4:5], v3, off
	s_or_b32 exec_lo, exec_lo, s1
	s_and_saveexec_b32 s1, s0
	s_cbranch_execnz .LBB232_139
	s_branch .LBB232_140
.LBB232_157:
	ds_load_b64 v[16:17], v59
	s_wait_dscnt 0x0
	global_store_b64 v[2:3], v[16:17], off
	s_wait_alu 0xfffe
	s_or_b32 exec_lo, exec_lo, s1
	s_and_saveexec_b32 s1, s3
	s_cbranch_execz .LBB232_142
.LBB232_158:
	s_lshl_b32 s2, s28, 7
	s_mov_b32 s3, 0
	s_delay_alu instid0(SALU_CYCLE_1) | instskip(NEXT) | instid1(SALU_CYCLE_1)
	s_lshl_b64 s[2:3], s[2:3], 3
	v_add_co_u32 v16, vcc_lo, v2, s2
	s_wait_alu 0xfffd
	v_add_co_ci_u32_e64 v17, null, s3, v3, vcc_lo
	s_wait_dscnt 0x6
	global_store_b64 v[16:17], v[14:15], off
	s_wait_alu 0xfffe
	s_or_b32 exec_lo, exec_lo, s1
	s_and_saveexec_b32 s1, s4
	s_cbranch_execz .LBB232_143
.LBB232_159:
	s_lshl_b32 s2, s28, 8
	s_mov_b32 s3, 0
	s_wait_alu 0xfffe
	s_lshl_b64 s[2:3], s[2:3], 3
	s_wait_dscnt 0x6
	s_wait_alu 0xfffe
	v_add_co_u32 v14, vcc_lo, v2, s2
	s_wait_alu 0xfffd
	v_add_co_ci_u32_e64 v15, null, s3, v3, vcc_lo
	s_wait_dscnt 0x5
	global_store_b64 v[14:15], v[12:13], off
	s_or_b32 exec_lo, exec_lo, s1
	s_and_saveexec_b32 s1, s5
	s_cbranch_execz .LBB232_144
.LBB232_160:
	s_mul_i32 s2, s28, 0x180
	s_mov_b32 s3, 0
	s_wait_alu 0xfffe
	s_lshl_b64 s[2:3], s[2:3], 3
	s_wait_dscnt 0x5
	s_wait_alu 0xfffe
	v_add_co_u32 v12, vcc_lo, v2, s2
	s_wait_alu 0xfffd
	v_add_co_ci_u32_e64 v13, null, s3, v3, vcc_lo
	s_wait_dscnt 0x4
	global_store_b64 v[12:13], v[10:11], off
	s_or_b32 exec_lo, exec_lo, s1
	s_and_saveexec_b32 s1, s6
	s_cbranch_execz .LBB232_145
.LBB232_161:
	s_lshl_b32 s2, s28, 9
	s_mov_b32 s3, 0
	s_wait_alu 0xfffe
	s_lshl_b64 s[2:3], s[2:3], 3
	s_wait_dscnt 0x4
	s_wait_alu 0xfffe
	v_add_co_u32 v10, vcc_lo, v2, s2
	s_wait_alu 0xfffd
	v_add_co_ci_u32_e64 v11, null, s3, v3, vcc_lo
	s_wait_dscnt 0x3
	global_store_b64 v[10:11], v[8:9], off
	s_or_b32 exec_lo, exec_lo, s1
	s_and_saveexec_b32 s1, s7
	s_cbranch_execz .LBB232_146
.LBB232_162:
	s_mul_i32 s2, s28, 0x280
	s_mov_b32 s3, 0
	s_wait_alu 0xfffe
	s_lshl_b64 s[2:3], s[2:3], 3
	s_wait_dscnt 0x3
	s_wait_alu 0xfffe
	v_add_co_u32 v8, vcc_lo, v2, s2
	s_wait_alu 0xfffd
	v_add_co_ci_u32_e64 v9, null, s3, v3, vcc_lo
	s_wait_dscnt 0x2
	global_store_b64 v[8:9], v[6:7], off
	s_or_b32 exec_lo, exec_lo, s1
	s_and_saveexec_b32 s1, s8
	s_cbranch_execz .LBB232_147
.LBB232_163:
	s_mul_i32 s2, s28, 0x300
	s_mov_b32 s3, 0
	s_wait_alu 0xfffe
	s_lshl_b64 s[2:3], s[2:3], 3
	s_wait_dscnt 0x2
	s_wait_alu 0xfffe
	v_add_co_u32 v6, vcc_lo, v2, s2
	s_wait_alu 0xfffd
	v_add_co_ci_u32_e64 v7, null, s3, v3, vcc_lo
	s_wait_dscnt 0x1
	global_store_b64 v[6:7], v[4:5], off
	s_or_b32 exec_lo, exec_lo, s1
	s_and_saveexec_b32 s1, s0
	s_cbranch_execnz .LBB232_148
	s_branch .LBB232_149
	.section	.rodata,"a",@progbits
	.p2align	6, 0x0
	.amdhsa_kernel _ZN2at6native18radixSortKVInPlaceILin1ELin1ELi128ELi8EN3c104HalfEljEEvNS_4cuda6detail10TensorInfoIT3_T5_EES8_S8_S8_NS6_IT4_S8_EES8_b
		.amdhsa_group_segment_fixed_size 8448
		.amdhsa_private_segment_fixed_size 0
		.amdhsa_kernarg_size 712
		.amdhsa_user_sgpr_count 2
		.amdhsa_user_sgpr_dispatch_ptr 0
		.amdhsa_user_sgpr_queue_ptr 0
		.amdhsa_user_sgpr_kernarg_segment_ptr 1
		.amdhsa_user_sgpr_dispatch_id 0
		.amdhsa_user_sgpr_private_segment_size 0
		.amdhsa_wavefront_size32 1
		.amdhsa_uses_dynamic_stack 0
		.amdhsa_enable_private_segment 0
		.amdhsa_system_sgpr_workgroup_id_x 1
		.amdhsa_system_sgpr_workgroup_id_y 1
		.amdhsa_system_sgpr_workgroup_id_z 1
		.amdhsa_system_sgpr_workgroup_info 0
		.amdhsa_system_vgpr_workitem_id 2
		.amdhsa_next_free_vgpr 113
		.amdhsa_next_free_sgpr 38
		.amdhsa_reserve_vcc 1
		.amdhsa_float_round_mode_32 0
		.amdhsa_float_round_mode_16_64 0
		.amdhsa_float_denorm_mode_32 3
		.amdhsa_float_denorm_mode_16_64 3
		.amdhsa_fp16_overflow 0
		.amdhsa_workgroup_processor_mode 1
		.amdhsa_memory_ordered 1
		.amdhsa_forward_progress 1
		.amdhsa_inst_pref_size 181
		.amdhsa_round_robin_scheduling 0
		.amdhsa_exception_fp_ieee_invalid_op 0
		.amdhsa_exception_fp_denorm_src 0
		.amdhsa_exception_fp_ieee_div_zero 0
		.amdhsa_exception_fp_ieee_overflow 0
		.amdhsa_exception_fp_ieee_underflow 0
		.amdhsa_exception_fp_ieee_inexact 0
		.amdhsa_exception_int_div_zero 0
	.end_amdhsa_kernel
	.section	.text._ZN2at6native18radixSortKVInPlaceILin1ELin1ELi128ELi8EN3c104HalfEljEEvNS_4cuda6detail10TensorInfoIT3_T5_EES8_S8_S8_NS6_IT4_S8_EES8_b,"axG",@progbits,_ZN2at6native18radixSortKVInPlaceILin1ELin1ELi128ELi8EN3c104HalfEljEEvNS_4cuda6detail10TensorInfoIT3_T5_EES8_S8_S8_NS6_IT4_S8_EES8_b,comdat
.Lfunc_end232:
	.size	_ZN2at6native18radixSortKVInPlaceILin1ELin1ELi128ELi8EN3c104HalfEljEEvNS_4cuda6detail10TensorInfoIT3_T5_EES8_S8_S8_NS6_IT4_S8_EES8_b, .Lfunc_end232-_ZN2at6native18radixSortKVInPlaceILin1ELin1ELi128ELi8EN3c104HalfEljEEvNS_4cuda6detail10TensorInfoIT3_T5_EES8_S8_S8_NS6_IT4_S8_EES8_b
                                        ; -- End function
	.set _ZN2at6native18radixSortKVInPlaceILin1ELin1ELi128ELi8EN3c104HalfEljEEvNS_4cuda6detail10TensorInfoIT3_T5_EES8_S8_S8_NS6_IT4_S8_EES8_b.num_vgpr, 113
	.set _ZN2at6native18radixSortKVInPlaceILin1ELin1ELi128ELi8EN3c104HalfEljEEvNS_4cuda6detail10TensorInfoIT3_T5_EES8_S8_S8_NS6_IT4_S8_EES8_b.num_agpr, 0
	.set _ZN2at6native18radixSortKVInPlaceILin1ELin1ELi128ELi8EN3c104HalfEljEEvNS_4cuda6detail10TensorInfoIT3_T5_EES8_S8_S8_NS6_IT4_S8_EES8_b.numbered_sgpr, 38
	.set _ZN2at6native18radixSortKVInPlaceILin1ELin1ELi128ELi8EN3c104HalfEljEEvNS_4cuda6detail10TensorInfoIT3_T5_EES8_S8_S8_NS6_IT4_S8_EES8_b.num_named_barrier, 0
	.set _ZN2at6native18radixSortKVInPlaceILin1ELin1ELi128ELi8EN3c104HalfEljEEvNS_4cuda6detail10TensorInfoIT3_T5_EES8_S8_S8_NS6_IT4_S8_EES8_b.private_seg_size, 0
	.set _ZN2at6native18radixSortKVInPlaceILin1ELin1ELi128ELi8EN3c104HalfEljEEvNS_4cuda6detail10TensorInfoIT3_T5_EES8_S8_S8_NS6_IT4_S8_EES8_b.uses_vcc, 1
	.set _ZN2at6native18radixSortKVInPlaceILin1ELin1ELi128ELi8EN3c104HalfEljEEvNS_4cuda6detail10TensorInfoIT3_T5_EES8_S8_S8_NS6_IT4_S8_EES8_b.uses_flat_scratch, 0
	.set _ZN2at6native18radixSortKVInPlaceILin1ELin1ELi128ELi8EN3c104HalfEljEEvNS_4cuda6detail10TensorInfoIT3_T5_EES8_S8_S8_NS6_IT4_S8_EES8_b.has_dyn_sized_stack, 0
	.set _ZN2at6native18radixSortKVInPlaceILin1ELin1ELi128ELi8EN3c104HalfEljEEvNS_4cuda6detail10TensorInfoIT3_T5_EES8_S8_S8_NS6_IT4_S8_EES8_b.has_recursion, 0
	.set _ZN2at6native18radixSortKVInPlaceILin1ELin1ELi128ELi8EN3c104HalfEljEEvNS_4cuda6detail10TensorInfoIT3_T5_EES8_S8_S8_NS6_IT4_S8_EES8_b.has_indirect_call, 0
	.section	.AMDGPU.csdata,"",@progbits
; Kernel info:
; codeLenInByte = 23104
; TotalNumSgprs: 40
; NumVgprs: 113
; ScratchSize: 0
; MemoryBound: 0
; FloatMode: 240
; IeeeMode: 1
; LDSByteSize: 8448 bytes/workgroup (compile time only)
; SGPRBlocks: 0
; VGPRBlocks: 14
; NumSGPRsForWavesPerEU: 40
; NumVGPRsForWavesPerEU: 113
; Occupancy: 12
; WaveLimiterHint : 1
; COMPUTE_PGM_RSRC2:SCRATCH_EN: 0
; COMPUTE_PGM_RSRC2:USER_SGPR: 2
; COMPUTE_PGM_RSRC2:TRAP_HANDLER: 0
; COMPUTE_PGM_RSRC2:TGID_X_EN: 1
; COMPUTE_PGM_RSRC2:TGID_Y_EN: 1
; COMPUTE_PGM_RSRC2:TGID_Z_EN: 1
; COMPUTE_PGM_RSRC2:TIDIG_COMP_CNT: 2
	.section	.text._ZN2at6native18radixSortKVInPlaceILin1ELin1ELi32ELi4EN3c104HalfEljEEvNS_4cuda6detail10TensorInfoIT3_T5_EES8_S8_S8_NS6_IT4_S8_EES8_b,"axG",@progbits,_ZN2at6native18radixSortKVInPlaceILin1ELin1ELi32ELi4EN3c104HalfEljEEvNS_4cuda6detail10TensorInfoIT3_T5_EES8_S8_S8_NS6_IT4_S8_EES8_b,comdat
	.protected	_ZN2at6native18radixSortKVInPlaceILin1ELin1ELi32ELi4EN3c104HalfEljEEvNS_4cuda6detail10TensorInfoIT3_T5_EES8_S8_S8_NS6_IT4_S8_EES8_b ; -- Begin function _ZN2at6native18radixSortKVInPlaceILin1ELin1ELi32ELi4EN3c104HalfEljEEvNS_4cuda6detail10TensorInfoIT3_T5_EES8_S8_S8_NS6_IT4_S8_EES8_b
	.globl	_ZN2at6native18radixSortKVInPlaceILin1ELin1ELi32ELi4EN3c104HalfEljEEvNS_4cuda6detail10TensorInfoIT3_T5_EES8_S8_S8_NS6_IT4_S8_EES8_b
	.p2align	8
	.type	_ZN2at6native18radixSortKVInPlaceILin1ELin1ELi32ELi4EN3c104HalfEljEEvNS_4cuda6detail10TensorInfoIT3_T5_EES8_S8_S8_NS6_IT4_S8_EES8_b,@function
_ZN2at6native18radixSortKVInPlaceILin1ELin1ELi32ELi4EN3c104HalfEljEEvNS_4cuda6detail10TensorInfoIT3_T5_EES8_S8_S8_NS6_IT4_S8_EES8_b: ; @_ZN2at6native18radixSortKVInPlaceILin1ELin1ELi32ELi4EN3c104HalfEljEEvNS_4cuda6detail10TensorInfoIT3_T5_EES8_S8_S8_NS6_IT4_S8_EES8_b
; %bb.0:
	s_clause 0x1
	s_load_b64 s[2:3], s[0:1], 0x1c8
	s_load_b96 s[12:14], s[0:1], 0xd8
	s_lshr_b32 s4, ttmp7, 16
	s_wait_kmcnt 0x0
	s_mul_i32 s3, s3, s4
	s_and_b32 s4, ttmp7, 0xffff
	s_delay_alu instid0(SALU_CYCLE_1) | instskip(NEXT) | instid1(SALU_CYCLE_1)
	s_add_co_i32 s3, s3, s4
	s_mul_i32 s2, s3, s2
	s_delay_alu instid0(SALU_CYCLE_1) | instskip(NEXT) | instid1(SALU_CYCLE_1)
	s_add_co_i32 s8, s2, ttmp9
	s_cmp_ge_u32 s8, s12
	s_cbranch_scc1 .LBB233_77
; %bb.1:
	s_load_b32 s4, s[0:1], 0xd0
	s_mov_b32 s3, 0
	s_mov_b32 s2, s8
	s_wait_kmcnt 0x0
	s_cmp_lt_i32 s4, 2
	s_cbranch_scc1 .LBB233_4
; %bb.2:
	s_add_co_i32 s2, s4, -1
	s_delay_alu instid0(SALU_CYCLE_1)
	s_lshl_b64 s[6:7], s[2:3], 2
	s_mov_b32 s2, s8
	s_add_nc_u64 s[10:11], s[0:1], s[6:7]
	s_add_co_i32 s6, s4, 1
	s_add_nc_u64 s[4:5], s[10:11], 8
.LBB233_3:                              ; =>This Inner Loop Header: Depth=1
	s_clause 0x1
	s_load_b32 s7, s[4:5], 0x0
	s_load_b32 s9, s[4:5], 0x64
	s_mov_b32 s12, s2
	s_add_nc_u64 s[4:5], s[4:5], -4
	s_wait_kmcnt 0x0
	s_cvt_f32_u32 s10, s7
	s_sub_co_i32 s11, 0, s7
	s_wait_alu 0xfffe
	s_delay_alu instid0(SALU_CYCLE_1) | instskip(NEXT) | instid1(TRANS32_DEP_1)
	v_rcp_iflag_f32_e32 v1, s10
	v_readfirstlane_b32 s10, v1
	s_mul_f32 s10, s10, 0x4f7ffffe
	s_wait_alu 0xfffe
	s_delay_alu instid0(SALU_CYCLE_2) | instskip(SKIP_1) | instid1(SALU_CYCLE_2)
	s_cvt_u32_f32 s10, s10
	s_wait_alu 0xfffe
	s_mul_i32 s11, s11, s10
	s_wait_alu 0xfffe
	s_mul_hi_u32 s11, s10, s11
	s_wait_alu 0xfffe
	s_add_co_i32 s10, s10, s11
	s_wait_alu 0xfffe
	s_mul_hi_u32 s2, s2, s10
	s_delay_alu instid0(SALU_CYCLE_1)
	s_mul_i32 s10, s2, s7
	s_add_co_i32 s11, s2, 1
	s_wait_alu 0xfffe
	s_sub_co_i32 s10, s12, s10
	s_wait_alu 0xfffe
	s_sub_co_i32 s15, s10, s7
	s_cmp_ge_u32 s10, s7
	s_cselect_b32 s2, s11, s2
	s_cselect_b32 s10, s15, s10
	s_add_co_i32 s11, s2, 1
	s_wait_alu 0xfffe
	s_cmp_ge_u32 s10, s7
	s_cselect_b32 s2, s11, s2
	s_add_co_i32 s6, s6, -1
	s_mul_i32 s7, s2, s7
	s_delay_alu instid0(SALU_CYCLE_1) | instskip(NEXT) | instid1(SALU_CYCLE_1)
	s_sub_co_i32 s7, s12, s7
	s_mul_i32 s7, s9, s7
	s_delay_alu instid0(SALU_CYCLE_1)
	s_add_co_i32 s3, s7, s3
	s_cmp_gt_u32 s6, 2
	s_cbranch_scc1 .LBB233_3
.LBB233_4:
	s_load_b32 s6, s[0:1], 0x1b8
	s_add_nc_u64 s[22:23], s[0:1], 0x1c8
	s_mov_b32 s5, 0
	s_wait_kmcnt 0x0
	s_cmp_lt_i32 s6, 2
	s_cbranch_scc1 .LBB233_7
; %bb.5:
	s_add_co_i32 s4, s6, -1
	s_delay_alu instid0(SALU_CYCLE_1)
	s_lshl_b64 s[10:11], s[4:5], 2
	s_add_co_i32 s4, s6, 1
	s_wait_alu 0xfffe
	s_add_nc_u64 s[10:11], s[0:1], s[10:11]
	s_wait_alu 0xfffe
	s_add_nc_u64 s[6:7], s[10:11], 0xf0
.LBB233_6:                              ; =>This Inner Loop Header: Depth=1
	s_clause 0x1
	s_load_b32 s9, s[6:7], 0x0
	s_load_b32 s10, s[6:7], 0x64
	s_mov_b32 s15, s8
	s_add_nc_u64 s[6:7], s[6:7], -4
	s_wait_kmcnt 0x0
	s_cvt_f32_u32 s11, s9
	s_sub_co_i32 s12, 0, s9
	s_wait_alu 0xfffe
	s_delay_alu instid0(SALU_CYCLE_1) | instskip(NEXT) | instid1(TRANS32_DEP_1)
	v_rcp_iflag_f32_e32 v1, s11
	v_readfirstlane_b32 s11, v1
	s_mul_f32 s11, s11, 0x4f7ffffe
	s_wait_alu 0xfffe
	s_delay_alu instid0(SALU_CYCLE_2) | instskip(SKIP_1) | instid1(SALU_CYCLE_2)
	s_cvt_u32_f32 s11, s11
	s_wait_alu 0xfffe
	s_mul_i32 s12, s12, s11
	s_delay_alu instid0(SALU_CYCLE_1) | instskip(NEXT) | instid1(SALU_CYCLE_1)
	s_mul_hi_u32 s12, s11, s12
	s_add_co_i32 s11, s11, s12
	s_wait_alu 0xfffe
	s_mul_hi_u32 s8, s8, s11
	s_delay_alu instid0(SALU_CYCLE_1)
	s_mul_i32 s11, s8, s9
	s_add_co_i32 s12, s8, 1
	s_wait_alu 0xfffe
	s_sub_co_i32 s11, s15, s11
	s_wait_alu 0xfffe
	s_sub_co_i32 s16, s11, s9
	s_cmp_ge_u32 s11, s9
	s_cselect_b32 s8, s12, s8
	s_cselect_b32 s11, s16, s11
	s_add_co_i32 s12, s8, 1
	s_wait_alu 0xfffe
	s_cmp_ge_u32 s11, s9
	s_cselect_b32 s8, s12, s8
	s_add_co_i32 s4, s4, -1
	s_mul_i32 s9, s8, s9
	s_delay_alu instid0(SALU_CYCLE_1) | instskip(NEXT) | instid1(SALU_CYCLE_1)
	s_sub_co_i32 s9, s15, s9
	s_mul_i32 s9, s10, s9
	s_delay_alu instid0(SALU_CYCLE_1)
	s_add_co_i32 s5, s9, s5
	s_cmp_gt_u32 s4, 2
	s_cbranch_scc1 .LBB233_6
.LBB233_7:
	s_clause 0x2
	s_load_b32 s4, s[0:1], 0x6c
	s_load_b64 s[16:17], s[0:1], 0x1c0
	s_load_b64 s[6:7], s[0:1], 0x0
	v_and_b32_e32 v21, 0x3ff, v0
	s_mov_b32 s19, 0
	s_delay_alu instid0(VALU_DEP_1) | instskip(SKIP_2) | instid1(SALU_CYCLE_1)
	v_mul_lo_u32 v17, s14, v21
	s_wait_kmcnt 0x0
	s_mul_i32 s2, s4, s2
	s_add_co_i32 s18, s2, s3
	s_bitcmp1_b32 s17, 0
	s_mov_b32 s2, 0xffff
	s_cselect_b32 s9, -1, 0
	s_delay_alu instid0(SALU_CYCLE_1)
	s_and_b32 s3, s9, exec_lo
	s_cselect_b32 s10, s2, 0x7fff
	v_cmp_gt_u32_e64 s2, s13, v21
	s_wait_alu 0xfffe
	v_mov_b32_e32 v1, s10
	s_lshl_b64 s[18:19], s[18:19], 1
	s_delay_alu instid0(SALU_CYCLE_1)
	s_add_nc_u64 s[18:19], s[6:7], s[18:19]
	s_and_saveexec_b32 s3, s2
	s_cbranch_execz .LBB233_9
; %bb.8:
	v_mov_b32_e32 v18, 0
	s_delay_alu instid0(VALU_DEP_1) | instskip(NEXT) | instid1(VALU_DEP_1)
	v_lshlrev_b64_e32 v[1:2], 1, v[17:18]
	v_add_co_u32 v1, vcc_lo, s18, v1
	s_delay_alu instid0(VALU_DEP_1)
	v_add_co_ci_u32_e64 v2, null, s19, v2, vcc_lo
	global_load_u16 v1, v[1:2], off
.LBB233_9:
	s_or_b32 exec_lo, exec_lo, s3
	v_dual_mov_b32 v2, s10 :: v_dual_add_nc_u32 v9, 32, v21
	s_delay_alu instid0(VALU_DEP_1)
	v_cmp_gt_u32_e64 s3, s13, v9
	s_and_saveexec_b32 s4, s3
	s_cbranch_execz .LBB233_11
; %bb.10:
	v_mul_lo_u32 v2, s14, v9
	v_mov_b32_e32 v3, 0
	s_delay_alu instid0(VALU_DEP_1) | instskip(NEXT) | instid1(VALU_DEP_1)
	v_lshlrev_b64_e32 v[2:3], 1, v[2:3]
	v_add_co_u32 v2, vcc_lo, s18, v2
	s_wait_alu 0xfffd
	s_delay_alu instid0(VALU_DEP_2)
	v_add_co_ci_u32_e64 v3, null, s19, v3, vcc_lo
	global_load_u16 v2, v[2:3], off
.LBB233_11:
	s_or_b32 exec_lo, exec_lo, s4
	v_dual_mov_b32 v3, s10 :: v_dual_add_nc_u32 v10, 64, v21
	s_delay_alu instid0(VALU_DEP_1)
	v_cmp_gt_u32_e64 s4, s13, v10
	s_and_saveexec_b32 s6, s4
	s_cbranch_execz .LBB233_13
; %bb.12:
	v_mul_lo_u32 v3, s14, v10
	v_mov_b32_e32 v4, 0
	s_delay_alu instid0(VALU_DEP_1) | instskip(NEXT) | instid1(VALU_DEP_1)
	v_lshlrev_b64_e32 v[3:4], 1, v[3:4]
	v_add_co_u32 v3, vcc_lo, s18, v3
	s_wait_alu 0xfffd
	s_delay_alu instid0(VALU_DEP_2)
	v_add_co_ci_u32_e64 v4, null, s19, v4, vcc_lo
	global_load_u16 v3, v[3:4], off
.LBB233_13:
	s_or_b32 exec_lo, exec_lo, s6
	s_clause 0x1
	s_load_b32 s11, s[0:1], 0x154
	s_load_b64 s[6:7], s[0:1], 0xe8
	v_dual_mov_b32 v4, s10 :: v_dual_add_nc_u32 v11, 0x60, v21
	s_delay_alu instid0(VALU_DEP_1)
	v_cmp_gt_u32_e64 s0, s13, v11
	s_and_saveexec_b32 s1, s0
	s_cbranch_execz .LBB233_15
; %bb.14:
	v_mul_lo_u32 v4, s14, v11
	v_mov_b32_e32 v5, 0
	s_delay_alu instid0(VALU_DEP_1) | instskip(NEXT) | instid1(VALU_DEP_1)
	v_lshlrev_b64_e32 v[4:5], 1, v[4:5]
	v_add_co_u32 v4, vcc_lo, s18, v4
	s_wait_alu 0xfffd
	s_delay_alu instid0(VALU_DEP_2)
	v_add_co_ci_u32_e64 v5, null, s19, v5, vcc_lo
	global_load_u16 v4, v[4:5], off
.LBB233_15:
	s_or_b32 exec_lo, exec_lo, s1
	v_lshrrev_b32_e32 v5, 4, v21
	v_lshrrev_b32_e32 v6, 4, v9
	v_lshlrev_b32_e32 v7, 1, v21
	v_lshrrev_b32_e32 v8, 4, v10
	v_lshrrev_b32_e32 v13, 2, v21
	v_and_b32_e32 v5, 60, v5
	v_and_b32_e32 v6, 0x7c, v6
	v_lshrrev_b32_e32 v12, 4, v11
	v_and_b32_e32 v8, 0x7c, v8
	s_wait_kmcnt 0x0
	s_mul_i32 s1, s11, s8
	v_add_nc_u32_e32 v32, v5, v7
	v_add_nc_u32_e32 v18, v6, v7
	v_and_b32_e32 v5, 0xfc, v13
	v_and_b32_e32 v12, 0x7c, v12
	v_mul_lo_u32 v19, s16, v21
	s_wait_loadcnt 0x0
	ds_store_b16 v32, v1
	ds_store_b16 v18, v2 offset:64
	v_mov_b32_e32 v1, 0
	v_lshl_add_u32 v35, v21, 3, v5
	v_dual_mov_b32 v2, 0 :: v_dual_add_nc_u32 v33, v8, v7
	v_add_nc_u32_e32 v34, v12, v7
	ds_store_b16 v33, v3 offset:128
	ds_store_b16 v34, v4 offset:192
	s_wait_dscnt 0x0
	; wave barrier
	global_inv scope:SCOPE_SE
	ds_load_2addr_b32 v[22:23], v35 offset1:1
	s_add_co_i32 s10, s1, s5
	s_mov_b32 s11, 0
	v_mov_b32_e32 v3, 0
	v_mov_b32_e32 v4, 0
	s_wait_alu 0xfffe
	s_lshl_b64 s[10:11], s[10:11], 3
	s_wait_loadcnt_dscnt 0x0
	s_wait_alu 0xfffe
	s_add_nc_u64 s[20:21], s[6:7], s[10:11]
	; wave barrier
	global_inv scope:SCOPE_SE
	s_and_saveexec_b32 s1, s2
	s_cbranch_execz .LBB233_17
; %bb.16:
	v_mov_b32_e32 v20, 0
	s_delay_alu instid0(VALU_DEP_1) | instskip(NEXT) | instid1(VALU_DEP_1)
	v_lshlrev_b64_e32 v[3:4], 3, v[19:20]
	v_add_co_u32 v3, vcc_lo, s20, v3
	s_wait_alu 0xfffd
	s_delay_alu instid0(VALU_DEP_2)
	v_add_co_ci_u32_e64 v4, null, s21, v4, vcc_lo
	global_load_b64 v[3:4], v[3:4], off
.LBB233_17:
	s_or_b32 exec_lo, exec_lo, s1
	s_and_saveexec_b32 s1, s3
	s_cbranch_execz .LBB233_19
; %bb.18:
	v_mul_lo_u32 v1, s16, v9
	v_mov_b32_e32 v2, 0
	s_delay_alu instid0(VALU_DEP_1) | instskip(NEXT) | instid1(VALU_DEP_1)
	v_lshlrev_b64_e32 v[1:2], 3, v[1:2]
	v_add_co_u32 v1, vcc_lo, s20, v1
	s_wait_alu 0xfffd
	s_delay_alu instid0(VALU_DEP_2)
	v_add_co_ci_u32_e64 v2, null, s21, v2, vcc_lo
	global_load_b64 v[1:2], v[1:2], off
.LBB233_19:
	s_or_b32 exec_lo, exec_lo, s1
	v_mov_b32_e32 v5, 0
	v_dual_mov_b32 v6, 0 :: v_dual_mov_b32 v7, 0
	v_mov_b32_e32 v8, 0
	s_and_saveexec_b32 s1, s4
	s_cbranch_execz .LBB233_21
; %bb.20:
	v_mul_lo_u32 v7, s16, v10
	v_mov_b32_e32 v8, 0
	s_delay_alu instid0(VALU_DEP_1) | instskip(NEXT) | instid1(VALU_DEP_1)
	v_lshlrev_b64_e32 v[7:8], 3, v[7:8]
	v_add_co_u32 v7, vcc_lo, s20, v7
	s_wait_alu 0xfffd
	s_delay_alu instid0(VALU_DEP_2)
	v_add_co_ci_u32_e64 v8, null, s21, v8, vcc_lo
	global_load_b64 v[7:8], v[7:8], off
.LBB233_21:
	s_or_b32 exec_lo, exec_lo, s1
	v_lshrrev_b32_e32 v12, 5, v21
	v_lshrrev_b32_e32 v9, 5, v9
	v_lshrrev_b32_e32 v10, 5, v10
	v_lshrrev_b32_e32 v13, 5, v11
	v_lshlrev_b32_e32 v41, 2, v21
	v_lshrrev_b32_e32 v14, 3, v21
	s_xor_b32 s6, s9, -1
	s_and_saveexec_b32 s1, s0
	s_cbranch_execz .LBB233_23
; %bb.22:
	v_mul_lo_u32 v5, s16, v11
	v_mov_b32_e32 v6, 0
	s_delay_alu instid0(VALU_DEP_1) | instskip(NEXT) | instid1(VALU_DEP_1)
	v_lshlrev_b64_e32 v[5:6], 3, v[5:6]
	v_add_co_u32 v5, vcc_lo, s20, v5
	s_wait_alu 0xfffd
	s_delay_alu instid0(VALU_DEP_2)
	v_add_co_ci_u32_e64 v6, null, s21, v6, vcc_lo
	global_load_b64 v[5:6], v[5:6], off
.LBB233_23:
	s_or_b32 exec_lo, exec_lo, s1
	v_lshlrev_b32_e32 v11, 3, v21
	v_lshlrev_b32_e32 v40, 3, v41
	v_mbcnt_lo_u32_b32 v44, -1, 0
	v_lshrrev_b32_e32 v48, 16, v22
	v_lshrrev_b32_e32 v47, 16, v23
	v_lshl_add_u32 v36, v12, 3, v11
	v_lshl_add_u32 v39, v14, 3, v40
	;; [unrolled: 1-line block ×5, first 2 shown]
	s_wait_loadcnt 0x0
	ds_store_b64 v36, v[3:4]
	ds_store_b64 v20, v[1:2] offset:256
	ds_store_b64 v37, v[7:8] offset:512
	;; [unrolled: 1-line block ×3, first 2 shown]
	s_wait_dscnt 0x0
	; wave barrier
	global_inv scope:SCOPE_SE
	ds_load_2addr_b64 v[5:8], v39 offset1:1
	ds_load_2addr_b64 v[1:4], v39 offset0:2 offset1:3
	v_and_b32_e32 v43, 3, v44
	v_and_b32_e32 v45, 28, v44
	s_and_b32 vcc_lo, exec_lo, s6
	v_bfe_u32 v46, v0, 10, 10
	v_bfe_u32 v0, v0, 20, 10
	v_cmp_eq_u32_e64 s5, 1, v43
	v_cmp_eq_u32_e64 s1, 2, v43
	;; [unrolled: 1-line block ×3, first 2 shown]
	v_lshlrev_b32_e32 v42, 5, v21
	s_mov_b32 s7, -1
	; wave barrier
	s_wait_loadcnt_dscnt 0x0
	global_inv scope:SCOPE_SE
                                        ; implicit-def: $vgpr14
                                        ; implicit-def: $vgpr13
	s_wait_alu 0xfffe
	s_cbranch_vccz .LBB233_45
; %bb.24:
	v_cmp_lt_i16_e32 vcc_lo, -1, v22
	s_getpc_b64 s[8:9]
	s_sext_i32_i16 s9, s9
	s_add_co_u32 s8, s8, _ZN7rocprim17ROCPRIM_400000_NS16block_radix_sortI6__halfLj32ELj4ElLj1ELj1ELj0ELNS0_26block_radix_rank_algorithmE1ELNS0_18block_padding_hintE2ELNS0_4arch9wavefront6targetE0EE19radix_bits_per_passE@rel32@lo+8
	s_add_co_ci_u32 s9, s9, _ZN7rocprim17ROCPRIM_400000_NS16block_radix_sortI6__halfLj32ELj4ElLj1ELj1ELj0ELNS0_26block_radix_rank_algorithmE1ELNS0_18block_padding_hintE2ELNS0_4arch9wavefront6targetE0EE19radix_bits_per_passE@rel32@hi+16
	s_wait_loadcnt 0x0
	s_load_b32 s13, s[8:9], 0x0
	; wave barrier
	global_inv scope:SCOPE_SE
	v_cndmask_b32_e64 v9, -1, 0xffff8000, vcc_lo
	v_cmp_lt_i16_e32 vcc_lo, -1, v48
	s_load_b32 s9, s[22:23], 0xc
	ds_bpermute_b32 v56, v45, v5
	ds_bpermute_b32 v31, v45, v6
	v_xor_b32_e32 v9, v9, v22
	v_cndmask_b32_e64 v10, -1, 0xffff8000, vcc_lo
	v_cmp_lt_i16_e32 vcc_lo, -1, v23
	ds_bpermute_b32 v49, v45, v7
	ds_bpermute_b32 v28, v45, v8
	v_and_b32_e32 v9, 0xffff, v9
	v_xor_b32_e32 v10, v10, v48
	s_wait_alu 0xfffd
	v_cndmask_b32_e64 v11, -1, 0xffff8000, vcc_lo
	v_cmp_lt_i16_e32 vcc_lo, -1, v47
	ds_bpermute_b32 v29, v45, v1
	ds_bpermute_b32 v13, v45, v9
	v_dual_mov_b32 v83, 0 :: v_dual_and_b32 v10, 0xffff, v10
	s_wait_alu 0xfffd
	v_cndmask_b32_e64 v12, -1, 0xffff8000, vcc_lo
	v_xor_b32_e32 v11, v11, v23
	s_wait_kmcnt 0x0
	s_min_u32 s7, s13, 16
	ds_bpermute_b32 v14, v45, v10
	s_lshl_b32 s7, -1, s7
	v_xor_b32_e32 v12, v12, v47
	v_and_b32_e32 v11, 0xffff, v11
	s_not_b32 s8, s7
	ds_bpermute_b32 v25, v45, v2
	ds_bpermute_b32 v26, v45, v3
	v_and_b32_e32 v12, 0xffff, v12
	ds_bpermute_b32 v15, v45, v11
	ds_bpermute_b32 v27, v45, v4
	ds_bpermute_b32 v63, v45, v5 offset:32
	ds_bpermute_b32 v64, v45, v6 offset:32
	ds_bpermute_b32 v16, v45, v12
	ds_bpermute_b32 v55, v45, v7 offset:32
	ds_bpermute_b32 v57, v45, v8 offset:32
	;; [unrolled: 1-line block ×7, first 2 shown]
	s_wait_dscnt 0xe
	v_cndmask_b32_e64 v13, v13, v14, s5
	ds_bpermute_b32 v66, v45, v6 offset:64
	ds_bpermute_b32 v60, v45, v7 offset:64
	ds_bpermute_b32 v61, v45, v8 offset:64
	ds_bpermute_b32 v58, v45, v1 offset:64
	ds_bpermute_b32 v59, v45, v2 offset:64
	ds_bpermute_b32 v51, v45, v3 offset:64
	ds_bpermute_b32 v54, v45, v4 offset:64
	s_wait_dscnt 0x12
	v_cndmask_b32_e64 v13, v13, v15, s1
	ds_bpermute_b32 v67, v45, v5 offset:96
	ds_bpermute_b32 v68, v45, v9 offset:32
	;; [unrolled: 1-line block ×4, first 2 shown]
	s_wait_dscnt 0x12
	v_cndmask_b32_e64 v62, v13, v16, s6
	ds_bpermute_b32 v80, v45, v12 offset:32
	ds_bpermute_b32 v14, v45, v10 offset:64
	;; [unrolled: 1-line block ×4, first 2 shown]
	v_and_b32_e32 v13, 0xffff, v62
	v_cmp_ne_u16_e32 vcc_lo, 0x7fff, v62
	ds_bpermute_b32 v12, v45, v12 offset:96
	ds_store_2addr_b32 v42, v83, v83 offset0:1 offset1:2
	ds_store_2addr_b32 v42, v83, v83 offset0:3 offset1:4
	;; [unrolled: 1-line block ×4, first 2 shown]
	; wave barrier
	s_wait_loadcnt_dscnt 0x0
	global_inv scope:SCOPE_SE
	s_wait_alu 0xfffd
	v_cndmask_b32_e32 v13, 0x8000, v13, vcc_lo
	; wave barrier
	s_delay_alu instid0(VALU_DEP_1)
	v_and_b32_e32 v78, s8, v13
	ds_bpermute_b32 v13, v45, v9 offset:64
	ds_bpermute_b32 v9, v45, v9 offset:96
	v_and_b32_e32 v15, 1, v78
	v_lshlrev_b32_e32 v24, 30, v78
	v_lshlrev_b32_e32 v72, 28, v78
	s_delay_alu instid0(VALU_DEP_3)
	v_add_co_u32 v69, s7, v15, -1
	s_wait_alu 0xf1ff
	v_cndmask_b32_e64 v70, 0, 1, s7
	v_not_b32_e32 v71, v24
	v_cmp_gt_i32_e64 s7, 0, v24
	ds_bpermute_b32 v15, v45, v11 offset:64
	ds_bpermute_b32 v11, v45, v11 offset:96
	v_cmp_ne_u32_e32 vcc_lo, 0, v70
	v_lshlrev_b32_e32 v70, 29, v78
	v_ashrrev_i32_e32 v24, 31, v71
	s_wait_alu 0xfffd
	v_xor_b32_e32 v69, vcc_lo, v69
	s_delay_alu instid0(VALU_DEP_3)
	v_not_b32_e32 v71, v70
	s_wait_alu 0xf1ff
	v_xor_b32_e32 v24, s7, v24
	v_cmp_gt_i32_e32 vcc_lo, 0, v70
	s_lshr_b32 s7, s9, 16
	v_and_b32_e32 v69, exec_lo, v69
	v_ashrrev_i32_e32 v70, 31, v71
	v_not_b32_e32 v71, v72
	s_wait_alu 0xfffe
	v_mad_u32_u24 v75, v0, s7, v46
	s_and_b32 s9, s9, 0xffff
	v_and_b32_e32 v24, v69, v24
	v_lshlrev_b32_e32 v69, 27, v78
	s_wait_alu 0xfffd
	v_xor_b32_e32 v70, vcc_lo, v70
	v_cmp_gt_i32_e32 vcc_lo, 0, v72
	v_ashrrev_i32_e32 v72, 31, v71
	s_wait_alu 0xfffe
	v_mad_co_u64_u32 v[81:82], null, v75, s9, v[21:22]
	v_not_b32_e32 v73, v69
	v_and_b32_e32 v24, v24, v70
	v_lshlrev_b32_e32 v70, 26, v78
	s_wait_alu 0xfffd
	v_xor_b32_e32 v72, vcc_lo, v72
	v_cmp_gt_i32_e32 vcc_lo, 0, v69
	v_ashrrev_i32_e32 v73, 31, v73
	ds_bpermute_b32 v71, v45, v6 offset:96
	v_not_b32_e32 v74, v70
	v_and_b32_e32 v24, v24, v72
	v_lshlrev_b32_e32 v72, 25, v78
	s_wait_alu 0xfffd
	v_xor_b32_e32 v73, vcc_lo, v73
	v_cmp_gt_i32_e32 vcc_lo, 0, v70
	v_ashrrev_i32_e32 v70, 31, v74
	ds_bpermute_b32 v69, v45, v7 offset:96
	;; [unrolled: 8-line block ×3, first 2 shown]
	v_not_b32_e32 v74, v73
	v_and_b32_e32 v24, v24, v70
	v_lshrrev_b32_e32 v82, 5, v81
	s_wait_alu 0xfffd
	v_xor_b32_e32 v70, vcc_lo, v72
	v_cmp_gt_i32_e32 vcc_lo, 0, v73
	v_ashrrev_i32_e32 v72, 31, v74
	ds_bpermute_b32 v73, v45, v1 offset:96
	ds_bpermute_b32 v74, v45, v2 offset:96
	v_and_b32_e32 v24, v24, v70
	ds_bpermute_b32 v70, v45, v3 offset:96
	s_wait_alu 0xfffd
	v_xor_b32_e32 v76, vcc_lo, v72
	ds_bpermute_b32 v72, v45, v4 offset:96
	v_and_b32_e32 v81, v24, v76
	v_lshlrev_b32_e32 v24, 2, v82
	s_delay_alu instid0(VALU_DEP_2) | instskip(SKIP_1) | instid1(VALU_DEP_3)
	v_mbcnt_lo_u32_b32 v76, v81, 0
	v_cmp_ne_u32_e64 s7, 0, v81
	v_lshl_add_u32 v78, v78, 2, v24
	s_delay_alu instid0(VALU_DEP_3)
	v_cmp_eq_u32_e32 vcc_lo, 0, v76
	s_and_b32 s9, s7, vcc_lo
	s_wait_alu 0xfffe
	s_and_saveexec_b32 s7, s9
; %bb.25:
	v_bcnt_u32_b32 v81, v81, 0
	ds_store_b32 v78, v81 offset:4
; %bb.26:
	s_wait_alu 0xfffe
	s_or_b32 exec_lo, exec_lo, s7
	v_cndmask_b32_e64 v68, v68, v77, s5
	; wave barrier
	s_delay_alu instid0(VALU_DEP_1) | instskip(NEXT) | instid1(VALU_DEP_1)
	v_cndmask_b32_e64 v68, v68, v79, s1
	v_cndmask_b32_e64 v77, v68, v80, s6
	s_delay_alu instid0(VALU_DEP_1) | instskip(SKIP_2) | instid1(VALU_DEP_2)
	v_and_b32_e32 v68, 0xffff, v77
	v_cmp_ne_u16_e32 vcc_lo, 0x7fff, v77
	s_wait_alu 0xfffd
	v_cndmask_b32_e32 v68, 0x8000, v68, vcc_lo
	s_delay_alu instid0(VALU_DEP_1) | instskip(NEXT) | instid1(VALU_DEP_1)
	v_and_b32_e32 v68, s8, v68
	v_and_b32_e32 v79, 1, v68
	v_lshlrev_b32_e32 v80, 30, v68
	v_lshlrev_b32_e32 v81, 29, v68
	;; [unrolled: 1-line block ×4, first 2 shown]
	v_add_co_u32 v79, s7, v79, -1
	s_wait_alu 0xf1ff
	v_cndmask_b32_e64 v83, 0, 1, s7
	v_not_b32_e32 v87, v80
	v_cmp_gt_i32_e64 s7, 0, v80
	v_not_b32_e32 v80, v81
	v_lshlrev_b32_e32 v85, 26, v68
	v_cmp_ne_u32_e32 vcc_lo, 0, v83
	v_ashrrev_i32_e32 v87, 31, v87
	v_lshlrev_b32_e32 v86, 25, v68
	v_ashrrev_i32_e32 v80, 31, v80
	v_lshlrev_b32_e32 v83, 24, v68
	s_wait_alu 0xfffd
	v_xor_b32_e32 v79, vcc_lo, v79
	v_cmp_gt_i32_e32 vcc_lo, 0, v81
	v_not_b32_e32 v81, v82
	s_wait_alu 0xf1ff
	v_xor_b32_e32 v87, s7, v87
	v_cmp_gt_i32_e64 s7, 0, v82
	v_and_b32_e32 v79, exec_lo, v79
	v_not_b32_e32 v82, v84
	v_ashrrev_i32_e32 v81, 31, v81
	s_wait_alu 0xfffd
	v_xor_b32_e32 v80, vcc_lo, v80
	v_cmp_gt_i32_e32 vcc_lo, 0, v84
	v_and_b32_e32 v79, v79, v87
	v_not_b32_e32 v84, v85
	v_ashrrev_i32_e32 v82, 31, v82
	s_wait_alu 0xf1ff
	v_xor_b32_e32 v81, s7, v81
	v_cmp_gt_i32_e64 s7, 0, v85
	v_and_b32_e32 v79, v79, v80
	v_not_b32_e32 v80, v86
	v_ashrrev_i32_e32 v84, 31, v84
	s_wait_alu 0xfffd
	v_xor_b32_e32 v82, vcc_lo, v82
	v_cmp_gt_i32_e32 vcc_lo, 0, v86
	v_and_b32_e32 v79, v79, v81
	v_not_b32_e32 v81, v83
	v_ashrrev_i32_e32 v80, 31, v80
	s_wait_alu 0xf1ff
	v_xor_b32_e32 v84, s7, v84
	v_cmp_gt_i32_e64 s7, 0, v83
	v_and_b32_e32 v79, v79, v82
	v_ashrrev_i32_e32 v81, 31, v81
	s_wait_alu 0xfffd
	v_xor_b32_e32 v80, vcc_lo, v80
	v_lshl_add_u32 v82, v68, 2, v24
	v_and_b32_e32 v79, v79, v84
	s_wait_alu 0xf1ff
	v_xor_b32_e32 v68, s7, v81
	s_delay_alu instid0(VALU_DEP_2) | instskip(SKIP_2) | instid1(VALU_DEP_1)
	v_and_b32_e32 v80, v79, v80
	ds_load_b32 v79, v82 offset:4
	; wave barrier
	v_and_b32_e32 v68, v80, v68
	v_mbcnt_lo_u32_b32 v80, v68, 0
	v_cmp_ne_u32_e64 s7, 0, v68
	s_delay_alu instid0(VALU_DEP_2)
	v_cmp_eq_u32_e32 vcc_lo, 0, v80
	s_and_b32 s9, s7, vcc_lo
	s_wait_alu 0xfffe
	s_and_saveexec_b32 s7, s9
	s_cbranch_execz .LBB233_28
; %bb.27:
	s_wait_dscnt 0x0
	v_bcnt_u32_b32 v68, v68, v79
	ds_store_b32 v82, v68 offset:4
.LBB233_28:
	s_wait_alu 0xfffe
	s_or_b32 exec_lo, exec_lo, s7
	s_wait_dscnt 0xb
	v_cndmask_b32_e64 v13, v13, v14, s5
	; wave barrier
	s_wait_dscnt 0x9
	s_delay_alu instid0(VALU_DEP_1) | instskip(NEXT) | instid1(VALU_DEP_1)
	v_cndmask_b32_e64 v13, v13, v15, s1
	v_cndmask_b32_e64 v81, v13, v16, s6
	s_delay_alu instid0(VALU_DEP_1) | instskip(SKIP_2) | instid1(VALU_DEP_2)
	v_and_b32_e32 v13, 0xffff, v81
	v_cmp_ne_u16_e32 vcc_lo, 0x7fff, v81
	s_wait_alu 0xfffd
	v_cndmask_b32_e32 v13, 0x8000, v13, vcc_lo
	s_delay_alu instid0(VALU_DEP_1) | instskip(NEXT) | instid1(VALU_DEP_1)
	v_and_b32_e32 v13, s8, v13
	v_and_b32_e32 v14, 1, v13
	v_lshlrev_b32_e32 v15, 30, v13
	v_lshlrev_b32_e32 v16, 29, v13
	;; [unrolled: 1-line block ×4, first 2 shown]
	v_add_co_u32 v14, s7, v14, -1
	s_wait_alu 0xf1ff
	v_cndmask_b32_e64 v83, 0, 1, s7
	v_not_b32_e32 v87, v15
	v_cmp_gt_i32_e64 s7, 0, v15
	v_not_b32_e32 v15, v16
	v_lshlrev_b32_e32 v85, 26, v13
	v_cmp_ne_u32_e32 vcc_lo, 0, v83
	v_ashrrev_i32_e32 v87, 31, v87
	v_lshlrev_b32_e32 v86, 25, v13
	v_ashrrev_i32_e32 v15, 31, v15
	v_lshlrev_b32_e32 v83, 24, v13
	s_wait_alu 0xfffd
	v_xor_b32_e32 v14, vcc_lo, v14
	v_cmp_gt_i32_e32 vcc_lo, 0, v16
	v_not_b32_e32 v16, v68
	s_wait_alu 0xf1ff
	v_xor_b32_e32 v87, s7, v87
	v_cmp_gt_i32_e64 s7, 0, v68
	v_and_b32_e32 v14, exec_lo, v14
	v_not_b32_e32 v68, v84
	v_ashrrev_i32_e32 v16, 31, v16
	s_wait_alu 0xfffd
	v_xor_b32_e32 v15, vcc_lo, v15
	v_cmp_gt_i32_e32 vcc_lo, 0, v84
	v_and_b32_e32 v14, v14, v87
	v_not_b32_e32 v84, v85
	v_ashrrev_i32_e32 v68, 31, v68
	s_wait_alu 0xf1ff
	v_xor_b32_e32 v16, s7, v16
	v_cmp_gt_i32_e64 s7, 0, v85
	v_and_b32_e32 v14, v14, v15
	v_not_b32_e32 v15, v86
	v_ashrrev_i32_e32 v84, 31, v84
	s_wait_alu 0xfffd
	v_xor_b32_e32 v68, vcc_lo, v68
	v_cmp_gt_i32_e32 vcc_lo, 0, v86
	v_and_b32_e32 v14, v14, v16
	v_not_b32_e32 v16, v83
	v_ashrrev_i32_e32 v15, 31, v15
	s_wait_alu 0xf1ff
	v_xor_b32_e32 v84, s7, v84
	v_cmp_gt_i32_e64 s7, 0, v83
	v_and_b32_e32 v14, v14, v68
	v_ashrrev_i32_e32 v16, 31, v16
	s_wait_alu 0xfffd
	v_xor_b32_e32 v15, vcc_lo, v15
	v_lshl_add_u32 v86, v13, 2, v24
	v_and_b32_e32 v14, v14, v84
	s_wait_alu 0xf1ff
	v_xor_b32_e32 v13, s7, v16
	ds_load_b32 v83, v86 offset:4
	v_and_b32_e32 v14, v14, v15
	; wave barrier
	s_delay_alu instid0(VALU_DEP_1) | instskip(NEXT) | instid1(VALU_DEP_1)
	v_and_b32_e32 v13, v14, v13
	v_mbcnt_lo_u32_b32 v84, v13, 0
	v_cmp_ne_u32_e64 s7, 0, v13
	s_delay_alu instid0(VALU_DEP_2)
	v_cmp_eq_u32_e32 vcc_lo, 0, v84
	s_and_b32 s9, s7, vcc_lo
	s_wait_alu 0xfffe
	s_and_saveexec_b32 s7, s9
	s_cbranch_execz .LBB233_30
; %bb.29:
	s_wait_dscnt 0x0
	v_bcnt_u32_b32 v13, v13, v83
	ds_store_b32 v86, v13 offset:4
.LBB233_30:
	s_wait_alu 0xfffe
	s_or_b32 exec_lo, exec_lo, s7
	v_cndmask_b32_e64 v9, v9, v10, s5
	; wave barrier
	v_and_or_b32 v90, 0xf80, v41, v44
	s_wait_dscnt 0x9
	s_delay_alu instid0(VALU_DEP_2) | instskip(NEXT) | instid1(VALU_DEP_1)
	v_cndmask_b32_e64 v9, v9, v11, s1
	v_cndmask_b32_e64 v85, v9, v12, s6
	s_delay_alu instid0(VALU_DEP_1) | instskip(SKIP_2) | instid1(VALU_DEP_2)
	v_and_b32_e32 v9, 0xffff, v85
	v_cmp_ne_u16_e32 vcc_lo, 0x7fff, v85
	s_wait_alu 0xfffd
	v_cndmask_b32_e32 v9, 0x8000, v9, vcc_lo
	s_delay_alu instid0(VALU_DEP_1) | instskip(NEXT) | instid1(VALU_DEP_1)
	v_and_b32_e32 v9, s8, v9
	v_and_b32_e32 v10, 1, v9
	v_lshlrev_b32_e32 v11, 30, v9
	v_lshlrev_b32_e32 v12, 29, v9
	;; [unrolled: 1-line block ×4, first 2 shown]
	v_add_co_u32 v10, s7, v10, -1
	s_wait_alu 0xf1ff
	v_cndmask_b32_e64 v14, 0, 1, s7
	v_not_b32_e32 v87, v11
	v_cmp_gt_i32_e64 s7, 0, v11
	v_not_b32_e32 v11, v12
	v_lshlrev_b32_e32 v16, 26, v9
	v_cmp_ne_u32_e32 vcc_lo, 0, v14
	v_ashrrev_i32_e32 v87, 31, v87
	v_lshlrev_b32_e32 v68, 25, v9
	v_ashrrev_i32_e32 v11, 31, v11
	v_lshlrev_b32_e32 v14, 24, v9
	s_wait_alu 0xfffd
	v_xor_b32_e32 v10, vcc_lo, v10
	v_cmp_gt_i32_e32 vcc_lo, 0, v12
	v_not_b32_e32 v12, v13
	s_wait_alu 0xf1ff
	v_xor_b32_e32 v87, s7, v87
	v_cmp_gt_i32_e64 s7, 0, v13
	v_and_b32_e32 v10, exec_lo, v10
	v_not_b32_e32 v13, v15
	v_ashrrev_i32_e32 v12, 31, v12
	s_wait_alu 0xfffd
	v_xor_b32_e32 v11, vcc_lo, v11
	v_cmp_gt_i32_e32 vcc_lo, 0, v15
	v_and_b32_e32 v10, v10, v87
	v_not_b32_e32 v15, v16
	v_ashrrev_i32_e32 v13, 31, v13
	s_wait_alu 0xf1ff
	v_xor_b32_e32 v12, s7, v12
	v_cmp_gt_i32_e64 s7, 0, v16
	v_and_b32_e32 v10, v10, v11
	v_not_b32_e32 v11, v68
	v_ashrrev_i32_e32 v15, 31, v15
	s_wait_alu 0xfffd
	v_xor_b32_e32 v13, vcc_lo, v13
	v_cmp_gt_i32_e32 vcc_lo, 0, v68
	v_and_b32_e32 v10, v10, v12
	v_not_b32_e32 v12, v14
	v_ashrrev_i32_e32 v11, 31, v11
	s_wait_alu 0xf1ff
	v_xor_b32_e32 v15, s7, v15
	v_cmp_gt_i32_e64 s7, 0, v14
	v_and_b32_e32 v10, v10, v13
	v_ashrrev_i32_e32 v12, 31, v12
	s_wait_alu 0xfffd
	v_xor_b32_e32 v11, vcc_lo, v11
	v_lshl_add_u32 v89, v9, 2, v24
	v_and_b32_e32 v10, v10, v15
	s_wait_alu 0xf1ff
	v_xor_b32_e32 v9, s7, v12
	ds_load_b32 v87, v89 offset:4
	v_and_b32_e32 v10, v10, v11
	; wave barrier
	s_delay_alu instid0(VALU_DEP_1) | instskip(NEXT) | instid1(VALU_DEP_1)
	v_and_b32_e32 v9, v10, v9
	v_mbcnt_lo_u32_b32 v88, v9, 0
	v_cmp_ne_u32_e64 s7, 0, v9
	s_delay_alu instid0(VALU_DEP_2)
	v_cmp_eq_u32_e32 vcc_lo, 0, v88
	s_and_b32 s8, s7, vcc_lo
	s_wait_alu 0xfffe
	s_and_saveexec_b32 s7, s8
	s_cbranch_execz .LBB233_32
; %bb.31:
	s_wait_dscnt 0x0
	v_bcnt_u32_b32 v9, v9, v87
	ds_store_b32 v89, v9 offset:4
.LBB233_32:
	s_wait_alu 0xfffe
	s_or_b32 exec_lo, exec_lo, s7
	; wave barrier
	; wave barrier
	s_wait_loadcnt_dscnt 0x0
	global_inv scope:SCOPE_SE
	ds_load_2addr_b32 v[15:16], v42 offset0:1 offset1:2
	ds_load_2addr_b32 v[13:14], v42 offset0:3 offset1:4
	;; [unrolled: 1-line block ×4, first 2 shown]
	v_and_b32_e32 v92, 16, v44
	v_cmp_eq_u32_e64 s10, 31, v21
	s_delay_alu instid0(VALU_DEP_2) | instskip(SKIP_3) | instid1(VALU_DEP_1)
	v_cmp_eq_u32_e64 s11, 0, v92
	s_wait_dscnt 0x3
	v_add_nc_u32_e32 v68, v16, v15
	s_wait_dscnt 0x2
	v_add3_u32 v68, v68, v13, v14
	s_wait_dscnt 0x1
	s_delay_alu instid0(VALU_DEP_1) | instskip(SKIP_1) | instid1(VALU_DEP_1)
	v_add3_u32 v68, v68, v11, v12
	s_wait_dscnt 0x0
	v_add3_u32 v10, v68, v9, v10
	v_and_b32_e32 v68, 15, v44
	s_delay_alu instid0(VALU_DEP_2) | instskip(NEXT) | instid1(VALU_DEP_2)
	v_mov_b32_dpp v91, v10 row_shr:1 row_mask:0xf bank_mask:0xf
	v_cmp_eq_u32_e32 vcc_lo, 0, v68
	v_cmp_lt_u32_e64 s7, 1, v68
	v_cmp_lt_u32_e64 s8, 3, v68
	;; [unrolled: 1-line block ×3, first 2 shown]
	s_wait_alu 0xfffd
	v_cndmask_b32_e64 v91, v91, 0, vcc_lo
	s_delay_alu instid0(VALU_DEP_1) | instskip(NEXT) | instid1(VALU_DEP_1)
	v_add_nc_u32_e32 v10, v91, v10
	v_mov_b32_dpp v91, v10 row_shr:2 row_mask:0xf bank_mask:0xf
	s_wait_alu 0xf1ff
	s_delay_alu instid0(VALU_DEP_1) | instskip(NEXT) | instid1(VALU_DEP_1)
	v_cndmask_b32_e64 v91, 0, v91, s7
	v_add_nc_u32_e32 v10, v10, v91
	s_delay_alu instid0(VALU_DEP_1) | instskip(NEXT) | instid1(VALU_DEP_1)
	v_mov_b32_dpp v91, v10 row_shr:4 row_mask:0xf bank_mask:0xf
	v_cndmask_b32_e64 v91, 0, v91, s8
	s_delay_alu instid0(VALU_DEP_1) | instskip(NEXT) | instid1(VALU_DEP_1)
	v_add_nc_u32_e32 v10, v10, v91
	v_mov_b32_dpp v91, v10 row_shr:8 row_mask:0xf bank_mask:0xf
	s_delay_alu instid0(VALU_DEP_1) | instskip(NEXT) | instid1(VALU_DEP_1)
	v_cndmask_b32_e64 v68, 0, v91, s9
	v_add_nc_u32_e32 v91, v10, v68
	v_bfe_i32 v68, v44, 4, 1
	ds_swizzle_b32 v10, v91 offset:swizzle(BROADCAST,32,15)
	s_wait_dscnt 0x0
	v_and_b32_e32 v93, v68, v10
	v_sub_co_u32 v68, s15, v44, 1
	v_mul_u32_u24_e32 v10, 6, v90
	s_delay_alu instid0(VALU_DEP_3)
	v_add_nc_u32_e32 v91, v91, v93
	s_and_saveexec_b32 s12, s10
; %bb.33:
	v_mov_b32_e32 v92, 0
	ds_store_b32 v92, v91
; %bb.34:
	s_wait_alu 0xfffe
	s_or_b32 exec_lo, exec_lo, s12
	v_cmp_gt_i32_e64 s12, 0, v68
	; wave barrier
	s_wait_loadcnt_dscnt 0x0
	global_inv scope:SCOPE_SE
	s_min_u32 s13, s13, 8
	s_wait_alu 0xfffe
	s_lshl_b32 s13, -1, s13
	v_cndmask_b32_e64 v68, v68, v44, s12
	v_cmp_eq_u32_e64 s12, 0, v21
	s_wait_alu 0xfffe
	s_not_b32 s13, s13
	v_lshlrev_b32_e32 v68, 2, v68
	s_or_b32 s15, s12, s15
	v_cmp_eq_u32_e64 s12, 0, v43
	ds_bpermute_b32 v91, v68, v91
	s_wait_dscnt 0x0
	s_wait_alu 0xfffe
	v_cndmask_b32_e64 v91, v91, 0, s15
	s_delay_alu instid0(VALU_DEP_1) | instskip(NEXT) | instid1(VALU_DEP_1)
	v_add_nc_u32_e32 v15, v91, v15
	v_add_nc_u32_e32 v16, v15, v16
	s_delay_alu instid0(VALU_DEP_1) | instskip(NEXT) | instid1(VALU_DEP_1)
	v_add_nc_u32_e32 v13, v16, v13
	v_add_nc_u32_e32 v14, v13, v14
	s_delay_alu instid0(VALU_DEP_1) | instskip(NEXT) | instid1(VALU_DEP_1)
	v_add_nc_u32_e32 v11, v14, v11
	v_add_nc_u32_e32 v12, v11, v12
	s_delay_alu instid0(VALU_DEP_1)
	v_add_nc_u32_e32 v9, v12, v9
	ds_store_2addr_b32 v42, v91, v15 offset0:1 offset1:2
	ds_store_2addr_b32 v42, v16, v13 offset0:3 offset1:4
	ds_store_2addr_b32 v42, v14, v11 offset0:5 offset1:6
	ds_store_2addr_b32 v42, v12, v9 offset0:7 offset1:8
	; wave barrier
	s_wait_loadcnt_dscnt 0x0
	global_inv scope:SCOPE_SE
	ds_load_b32 v9, v78 offset:4
	ds_load_b32 v11, v82 offset:4
	;; [unrolled: 1-line block ×4, first 2 shown]
	s_wait_alu 0xf1ff
	v_cndmask_b32_e64 v14, 0, v56, s12
	v_lshlrev_b32_e32 v15, 1, v90
	v_cndmask_b32_e64 v56, 0, v64, s12
	v_cndmask_b32_e64 v64, 0, v66, s12
	;; [unrolled: 1-line block ×9, first 2 shown]
	v_add_nc_u32_e32 v67, v15, v10
	; wave barrier
	s_wait_loadcnt_dscnt 0x0
	global_inv scope:SCOPE_SE
	v_cndmask_b32_e64 v16, v16, v28, s5
	v_cndmask_b32_e64 v28, v56, v57, s5
	v_add_nc_u32_e32 v29, v9, v76
	v_add3_u32 v71, v80, v79, v11
	v_add3_u32 v76, v84, v83, v12
	;; [unrolled: 1-line block ×3, first 2 shown]
	v_cndmask_b32_e64 v31, v31, v55, s5
	v_lshlrev_b32_e32 v9, 1, v29
	v_lshlrev_b32_e32 v10, 1, v71
	;; [unrolled: 1-line block ×4, first 2 shown]
	ds_store_b16 v9, v62
	ds_store_b16 v10, v77
	;; [unrolled: 1-line block ×4, first 2 shown]
	; wave barrier
	s_wait_loadcnt_dscnt 0x0
	global_inv scope:SCOPE_SE
	ds_load_u16 v49, v15
	v_cndmask_b32_e64 v16, v16, v25, s1
	v_cndmask_b32_e64 v55, v64, v61, s5
	;; [unrolled: 1-line block ×10, first 2 shown]
	ds_load_u16 v50, v15 offset:64
	ds_load_u16 v52, v15 offset:128
	;; [unrolled: 1-line block ×3, first 2 shown]
	v_cndmask_b32_e64 v15, v25, v30, s6
	v_cndmask_b32_e64 v26, v31, v54, s6
	;; [unrolled: 1-line block ×5, first 2 shown]
	; wave barrier
	s_wait_loadcnt_dscnt 0x0
	global_inv scope:SCOPE_SE
	v_cndmask_b32_e64 v55, v60, v73, s1
	v_lshrrev_b16 v27, 8, v49
	v_cmp_ne_u16_e64 s12, 0x7fff, v49
	v_cndmask_b32_e64 v25, v28, v51, s6
	v_cndmask_b32_e64 v28, v56, v72, s6
	s_wait_alu 0xf1ff
	s_delay_alu instid0(VALU_DEP_3) | instskip(SKIP_1) | instid1(VALU_DEP_2)
	v_cndmask_b32_e64 v30, 0x80, v27, s12
	v_cndmask_b32_e64 v27, v55, v70, s6
	v_and_b32_e32 v31, 0xffff, v30
	v_mad_co_u64_u32 v[29:30], null, v29, 6, v[9:10]
	v_mad_co_u64_u32 v[9:10], null, v71, 6, v[10:11]
	s_delay_alu instid0(VALU_DEP_3) | instskip(SKIP_2) | instid1(VALU_DEP_3)
	v_and_b32_e32 v30, s13, v31
	v_mad_co_u64_u32 v[10:11], null, v76, 6, v[11:12]
	v_mad_co_u64_u32 v[11:12], null, v78, 6, v[12:13]
	v_and_b32_e32 v12, 1, v30
	ds_store_b64 v29, v[13:14]
	v_lshlrev_b32_e32 v13, 30, v30
	v_lshlrev_b32_e32 v14, 29, v30
	;; [unrolled: 1-line block ×3, first 2 shown]
	v_add_co_u32 v12, s6, v12, -1
	s_wait_alu 0xf1ff
	v_cndmask_b32_e64 v31, 0, 1, s6
	v_not_b32_e32 v56, v13
	v_cmp_gt_i32_e64 s12, 0, v13
	v_not_b32_e32 v13, v14
	v_lshlrev_b32_e32 v51, 27, v30
	v_cmp_ne_u32_e64 s6, 0, v31
	v_ashrrev_i32_e32 v56, 31, v56
	v_lshlrev_b32_e32 v54, 26, v30
	v_ashrrev_i32_e32 v13, 31, v13
	v_lshlrev_b32_e32 v55, 25, v30
	s_wait_alu 0xf1ff
	v_xor_b32_e32 v12, s6, v12
	v_cmp_gt_i32_e64 s6, 0, v14
	v_not_b32_e32 v14, v29
	v_xor_b32_e32 v56, s12, v56
	v_cmp_gt_i32_e64 s12, 0, v29
	v_and_b32_e32 v12, exec_lo, v12
	v_not_b32_e32 v29, v51
	v_ashrrev_i32_e32 v14, 31, v14
	s_wait_alu 0xf1ff
	v_xor_b32_e32 v13, s6, v13
	v_cmp_gt_i32_e64 s6, 0, v51
	v_and_b32_e32 v12, v12, v56
	v_not_b32_e32 v51, v54
	v_ashrrev_i32_e32 v29, 31, v29
	v_xor_b32_e32 v14, s12, v14
	v_lshlrev_b32_e32 v31, 24, v30
	v_and_b32_e32 v12, v12, v13
	v_cmp_gt_i32_e64 s12, 0, v54
	v_not_b32_e32 v13, v55
	v_ashrrev_i32_e32 v51, 31, v51
	s_wait_alu 0xf1ff
	v_xor_b32_e32 v29, s6, v29
	v_and_b32_e32 v12, v12, v14
	v_cmp_gt_i32_e64 s6, 0, v55
	v_not_b32_e32 v14, v31
	v_ashrrev_i32_e32 v13, 31, v13
	v_xor_b32_e32 v51, s12, v51
	v_and_b32_e32 v12, v12, v29
	ds_store_b64 v9, v[15:16]
	v_cmp_gt_i32_e64 s12, 0, v31
	v_ashrrev_i32_e32 v9, 31, v14
	s_wait_alu 0xf1ff
	v_xor_b32_e32 v13, s6, v13
	v_and_b32_e32 v12, v12, v51
	ds_store_b64 v10, v[25:26]
	ds_store_b64 v11, v[27:28]
	s_wait_loadcnt_dscnt 0x0
	v_xor_b32_e32 v25, s12, v9
	; wave barrier
	global_inv scope:SCOPE_SE
	v_and_b32_e32 v26, v12, v13
	ds_load_2addr_b64 v[13:16], v67 offset1:32
	ds_load_2addr_b64 v[9:12], v67 offset0:64 offset1:96
	v_lshl_add_u32 v54, v30, 2, v24
	; wave barrier
	s_wait_loadcnt_dscnt 0x0
	global_inv scope:SCOPE_SE
	v_dual_mov_b32 v26, 0 :: v_dual_and_b32 v25, v26, v25
	ds_store_2addr_b32 v42, v26, v26 offset0:1 offset1:2
	ds_store_2addr_b32 v42, v26, v26 offset0:3 offset1:4
	;; [unrolled: 1-line block ×4, first 2 shown]
	v_mbcnt_lo_u32_b32 v51, v25, 0
	v_cmp_ne_u32_e64 s12, 0, v25
	; wave barrier
	s_wait_loadcnt_dscnt 0x0
	global_inv scope:SCOPE_SE
	v_cmp_eq_u32_e64 s6, 0, v51
	; wave barrier
	s_and_b32 s12, s12, s6
	s_wait_alu 0xfffe
	s_and_saveexec_b32 s6, s12
; %bb.35:
	v_bcnt_u32_b32 v25, v25, 0
	ds_store_b32 v54, v25 offset:4
; %bb.36:
	s_wait_alu 0xfffe
	s_or_b32 exec_lo, exec_lo, s6
	v_lshrrev_b16 v25, 8, v50
	v_cmp_ne_u16_e64 s6, 0x7fff, v50
	; wave barrier
	s_wait_alu 0xf1ff
	s_delay_alu instid0(VALU_DEP_1) | instskip(NEXT) | instid1(VALU_DEP_1)
	v_cndmask_b32_e64 v25, 0x80, v25, s6
	v_and_b32_e32 v25, s13, v25
	s_delay_alu instid0(VALU_DEP_1)
	v_and_b32_e32 v26, 1, v25
	v_lshlrev_b32_e32 v27, 30, v25
	v_lshlrev_b32_e32 v28, 29, v25
	;; [unrolled: 1-line block ×4, first 2 shown]
	v_add_co_u32 v26, s6, v26, -1
	s_wait_alu 0xf1ff
	v_cndmask_b32_e64 v30, 0, 1, s6
	v_not_b32_e32 v57, v27
	v_cmp_gt_i32_e64 s12, 0, v27
	v_not_b32_e32 v27, v28
	v_lshlrev_b32_e32 v55, 26, v25
	v_cmp_ne_u32_e64 s6, 0, v30
	v_ashrrev_i32_e32 v57, 31, v57
	v_lshlrev_b32_e32 v56, 25, v25
	v_ashrrev_i32_e32 v27, 31, v27
	v_lshlrev_b32_e32 v30, 24, v25
	s_wait_alu 0xf1ff
	v_xor_b32_e32 v26, s6, v26
	v_cmp_gt_i32_e64 s6, 0, v28
	v_not_b32_e32 v28, v29
	v_xor_b32_e32 v57, s12, v57
	v_cmp_gt_i32_e64 s12, 0, v29
	v_and_b32_e32 v26, exec_lo, v26
	v_not_b32_e32 v29, v31
	v_ashrrev_i32_e32 v28, 31, v28
	s_wait_alu 0xf1ff
	v_xor_b32_e32 v27, s6, v27
	v_cmp_gt_i32_e64 s6, 0, v31
	v_and_b32_e32 v26, v26, v57
	v_not_b32_e32 v31, v55
	v_ashrrev_i32_e32 v29, 31, v29
	v_xor_b32_e32 v28, s12, v28
	v_cmp_gt_i32_e64 s12, 0, v55
	v_and_b32_e32 v26, v26, v27
	v_not_b32_e32 v27, v56
	v_ashrrev_i32_e32 v31, 31, v31
	s_wait_alu 0xf1ff
	v_xor_b32_e32 v29, s6, v29
	v_cmp_gt_i32_e64 s6, 0, v56
	v_and_b32_e32 v26, v26, v28
	v_not_b32_e32 v28, v30
	v_ashrrev_i32_e32 v27, 31, v27
	v_xor_b32_e32 v31, s12, v31
	v_cmp_gt_i32_e64 s12, 0, v30
	v_and_b32_e32 v26, v26, v29
	v_ashrrev_i32_e32 v28, 31, v28
	s_wait_alu 0xf1ff
	v_xor_b32_e32 v27, s6, v27
	v_lshl_add_u32 v57, v25, 2, v24
	v_and_b32_e32 v26, v26, v31
	v_xor_b32_e32 v25, s12, v28
	ds_load_b32 v55, v57 offset:4
	v_and_b32_e32 v26, v26, v27
	; wave barrier
	s_delay_alu instid0(VALU_DEP_1) | instskip(NEXT) | instid1(VALU_DEP_1)
	v_and_b32_e32 v25, v26, v25
	v_mbcnt_lo_u32_b32 v56, v25, 0
	v_cmp_ne_u32_e64 s12, 0, v25
	s_delay_alu instid0(VALU_DEP_2)
	v_cmp_eq_u32_e64 s6, 0, v56
	s_and_b32 s12, s12, s6
	s_wait_alu 0xfffe
	s_and_saveexec_b32 s6, s12
	s_cbranch_execz .LBB233_38
; %bb.37:
	s_wait_dscnt 0x0
	v_bcnt_u32_b32 v25, v25, v55
	ds_store_b32 v57, v25 offset:4
.LBB233_38:
	s_wait_alu 0xfffe
	s_or_b32 exec_lo, exec_lo, s6
	v_lshrrev_b16 v25, 8, v52
	v_cmp_ne_u16_e64 s6, 0x7fff, v52
	; wave barrier
	s_wait_alu 0xf1ff
	s_delay_alu instid0(VALU_DEP_1) | instskip(NEXT) | instid1(VALU_DEP_1)
	v_cndmask_b32_e64 v25, 0x80, v25, s6
	v_and_b32_e32 v25, s13, v25
	s_delay_alu instid0(VALU_DEP_1)
	v_and_b32_e32 v26, 1, v25
	v_lshlrev_b32_e32 v27, 30, v25
	v_lshlrev_b32_e32 v28, 29, v25
	;; [unrolled: 1-line block ×4, first 2 shown]
	v_add_co_u32 v26, s6, v26, -1
	s_wait_alu 0xf1ff
	v_cndmask_b32_e64 v30, 0, 1, s6
	v_not_b32_e32 v60, v27
	v_cmp_gt_i32_e64 s12, 0, v27
	v_not_b32_e32 v27, v28
	v_lshlrev_b32_e32 v58, 26, v25
	v_cmp_ne_u32_e64 s6, 0, v30
	v_ashrrev_i32_e32 v60, 31, v60
	v_lshlrev_b32_e32 v59, 25, v25
	v_ashrrev_i32_e32 v27, 31, v27
	v_lshlrev_b32_e32 v30, 24, v25
	s_wait_alu 0xf1ff
	v_xor_b32_e32 v26, s6, v26
	v_cmp_gt_i32_e64 s6, 0, v28
	v_not_b32_e32 v28, v29
	v_xor_b32_e32 v60, s12, v60
	v_cmp_gt_i32_e64 s12, 0, v29
	v_and_b32_e32 v26, exec_lo, v26
	v_not_b32_e32 v29, v31
	v_ashrrev_i32_e32 v28, 31, v28
	s_wait_alu 0xf1ff
	v_xor_b32_e32 v27, s6, v27
	v_cmp_gt_i32_e64 s6, 0, v31
	v_and_b32_e32 v26, v26, v60
	v_not_b32_e32 v31, v58
	v_ashrrev_i32_e32 v29, 31, v29
	v_xor_b32_e32 v28, s12, v28
	v_cmp_gt_i32_e64 s12, 0, v58
	v_and_b32_e32 v26, v26, v27
	v_not_b32_e32 v27, v59
	v_ashrrev_i32_e32 v31, 31, v31
	s_wait_alu 0xf1ff
	v_xor_b32_e32 v29, s6, v29
	v_cmp_gt_i32_e64 s6, 0, v59
	v_and_b32_e32 v26, v26, v28
	v_not_b32_e32 v28, v30
	v_ashrrev_i32_e32 v27, 31, v27
	v_xor_b32_e32 v31, s12, v31
	v_cmp_gt_i32_e64 s12, 0, v30
	v_and_b32_e32 v26, v26, v29
	v_ashrrev_i32_e32 v28, 31, v28
	s_wait_alu 0xf1ff
	v_xor_b32_e32 v27, s6, v27
	v_lshl_add_u32 v60, v25, 2, v24
	v_and_b32_e32 v26, v26, v31
	v_xor_b32_e32 v25, s12, v28
	ds_load_b32 v58, v60 offset:4
	v_and_b32_e32 v26, v26, v27
	; wave barrier
	s_delay_alu instid0(VALU_DEP_1) | instskip(NEXT) | instid1(VALU_DEP_1)
	v_and_b32_e32 v25, v26, v25
	v_mbcnt_lo_u32_b32 v59, v25, 0
	v_cmp_ne_u32_e64 s12, 0, v25
	s_delay_alu instid0(VALU_DEP_2)
	v_cmp_eq_u32_e64 s6, 0, v59
	s_and_b32 s12, s12, s6
	s_wait_alu 0xfffe
	s_and_saveexec_b32 s6, s12
	s_cbranch_execz .LBB233_40
; %bb.39:
	s_wait_dscnt 0x0
	v_bcnt_u32_b32 v25, v25, v58
	ds_store_b32 v60, v25 offset:4
.LBB233_40:
	s_wait_alu 0xfffe
	s_or_b32 exec_lo, exec_lo, s6
	v_lshrrev_b16 v25, 8, v53
	v_cmp_ne_u16_e64 s6, 0x7fff, v53
	; wave barrier
	s_wait_alu 0xf1ff
	s_delay_alu instid0(VALU_DEP_1) | instskip(NEXT) | instid1(VALU_DEP_1)
	v_cndmask_b32_e64 v25, 0x80, v25, s6
	v_and_b32_e32 v25, s13, v25
	s_delay_alu instid0(VALU_DEP_1)
	v_and_b32_e32 v26, 1, v25
	v_lshlrev_b32_e32 v27, 30, v25
	v_lshlrev_b32_e32 v28, 29, v25
	;; [unrolled: 1-line block ×4, first 2 shown]
	v_add_co_u32 v26, s6, v26, -1
	s_wait_alu 0xf1ff
	v_cndmask_b32_e64 v30, 0, 1, s6
	v_not_b32_e32 v63, v27
	v_cmp_gt_i32_e64 s12, 0, v27
	v_not_b32_e32 v27, v28
	v_lshlrev_b32_e32 v61, 26, v25
	v_cmp_ne_u32_e64 s6, 0, v30
	v_ashrrev_i32_e32 v63, 31, v63
	v_lshlrev_b32_e32 v62, 25, v25
	v_ashrrev_i32_e32 v27, 31, v27
	v_lshlrev_b32_e32 v30, 24, v25
	s_wait_alu 0xf1ff
	v_xor_b32_e32 v26, s6, v26
	v_cmp_gt_i32_e64 s6, 0, v28
	v_not_b32_e32 v28, v29
	v_xor_b32_e32 v63, s12, v63
	v_cmp_gt_i32_e64 s12, 0, v29
	v_and_b32_e32 v26, exec_lo, v26
	v_not_b32_e32 v29, v31
	v_ashrrev_i32_e32 v28, 31, v28
	s_wait_alu 0xf1ff
	v_xor_b32_e32 v27, s6, v27
	v_cmp_gt_i32_e64 s6, 0, v31
	v_and_b32_e32 v26, v26, v63
	v_not_b32_e32 v31, v61
	v_ashrrev_i32_e32 v29, 31, v29
	v_xor_b32_e32 v28, s12, v28
	v_cmp_gt_i32_e64 s12, 0, v61
	v_and_b32_e32 v26, v26, v27
	v_not_b32_e32 v27, v62
	v_ashrrev_i32_e32 v31, 31, v31
	s_wait_alu 0xf1ff
	v_xor_b32_e32 v29, s6, v29
	v_cmp_gt_i32_e64 s6, 0, v62
	v_and_b32_e32 v26, v26, v28
	v_not_b32_e32 v28, v30
	v_ashrrev_i32_e32 v27, 31, v27
	v_xor_b32_e32 v31, s12, v31
	v_cmp_gt_i32_e64 s12, 0, v30
	v_and_b32_e32 v26, v26, v29
	v_ashrrev_i32_e32 v28, 31, v28
	s_wait_alu 0xf1ff
	v_xor_b32_e32 v27, s6, v27
	v_lshl_add_u32 v63, v25, 2, v24
	v_and_b32_e32 v26, v26, v31
	v_xor_b32_e32 v24, s12, v28
	ds_load_b32 v61, v63 offset:4
	v_and_b32_e32 v25, v26, v27
	; wave barrier
	s_delay_alu instid0(VALU_DEP_1) | instskip(NEXT) | instid1(VALU_DEP_1)
	v_and_b32_e32 v24, v25, v24
	v_mbcnt_lo_u32_b32 v62, v24, 0
	v_cmp_ne_u32_e64 s12, 0, v24
	s_delay_alu instid0(VALU_DEP_2)
	v_cmp_eq_u32_e64 s6, 0, v62
	s_and_b32 s12, s12, s6
	s_wait_alu 0xfffe
	s_and_saveexec_b32 s6, s12
	s_cbranch_execz .LBB233_42
; %bb.41:
	s_wait_dscnt 0x0
	v_bcnt_u32_b32 v24, v24, v61
	ds_store_b32 v63, v24 offset:4
.LBB233_42:
	s_wait_alu 0xfffe
	s_or_b32 exec_lo, exec_lo, s6
	; wave barrier
	; wave barrier
	s_wait_loadcnt_dscnt 0x0
	global_inv scope:SCOPE_SE
	ds_load_2addr_b32 v[30:31], v42 offset0:1 offset1:2
	ds_load_2addr_b32 v[28:29], v42 offset0:3 offset1:4
	ds_load_2addr_b32 v[26:27], v42 offset0:5 offset1:6
	ds_load_2addr_b32 v[24:25], v42 offset0:7 offset1:8
	s_wait_dscnt 0x3
	v_add_nc_u32_e32 v64, v31, v30
	s_wait_dscnt 0x2
	s_delay_alu instid0(VALU_DEP_1) | instskip(SKIP_1) | instid1(VALU_DEP_1)
	v_add3_u32 v64, v64, v28, v29
	s_wait_dscnt 0x1
	v_add3_u32 v64, v64, v26, v27
	s_wait_dscnt 0x0
	s_delay_alu instid0(VALU_DEP_1) | instskip(NEXT) | instid1(VALU_DEP_1)
	v_add3_u32 v25, v64, v24, v25
	v_mov_b32_dpp v64, v25 row_shr:1 row_mask:0xf bank_mask:0xf
	s_delay_alu instid0(VALU_DEP_1) | instskip(NEXT) | instid1(VALU_DEP_1)
	v_cndmask_b32_e64 v64, v64, 0, vcc_lo
	v_add_nc_u32_e32 v25, v64, v25
	s_delay_alu instid0(VALU_DEP_1) | instskip(NEXT) | instid1(VALU_DEP_1)
	v_mov_b32_dpp v64, v25 row_shr:2 row_mask:0xf bank_mask:0xf
	v_cndmask_b32_e64 v64, 0, v64, s7
	s_mov_b32 s7, 0
	s_delay_alu instid0(VALU_DEP_1) | instskip(NEXT) | instid1(VALU_DEP_1)
	v_add_nc_u32_e32 v25, v25, v64
	v_mov_b32_dpp v64, v25 row_shr:4 row_mask:0xf bank_mask:0xf
	s_delay_alu instid0(VALU_DEP_1) | instskip(NEXT) | instid1(VALU_DEP_1)
	v_cndmask_b32_e64 v64, 0, v64, s8
	v_add_nc_u32_e32 v25, v25, v64
	s_delay_alu instid0(VALU_DEP_1) | instskip(NEXT) | instid1(VALU_DEP_1)
	v_mov_b32_dpp v64, v25 row_shr:8 row_mask:0xf bank_mask:0xf
	v_cndmask_b32_e64 v64, 0, v64, s9
	s_delay_alu instid0(VALU_DEP_1) | instskip(SKIP_3) | instid1(VALU_DEP_1)
	v_add_nc_u32_e32 v25, v25, v64
	ds_swizzle_b32 v64, v25 offset:swizzle(BROADCAST,32,15)
	s_wait_dscnt 0x0
	v_cndmask_b32_e64 v64, v64, 0, s11
	v_add_nc_u32_e32 v25, v25, v64
	s_and_saveexec_b32 s6, s10
; %bb.43:
	v_mov_b32_e32 v64, 0
	ds_store_b32 v64, v25
; %bb.44:
	s_wait_alu 0xfffe
	s_or_b32 exec_lo, exec_lo, s6
	ds_bpermute_b32 v25, v68, v25
	; wave barrier
	s_wait_loadcnt_dscnt 0x0
	global_inv scope:SCOPE_SE
	v_cndmask_b32_e64 v25, v25, 0, s15
	s_delay_alu instid0(VALU_DEP_1) | instskip(NEXT) | instid1(VALU_DEP_1)
	v_add_nc_u32_e32 v30, v25, v30
	v_add_nc_u32_e32 v31, v30, v31
	s_delay_alu instid0(VALU_DEP_1) | instskip(NEXT) | instid1(VALU_DEP_1)
	v_add_nc_u32_e32 v28, v31, v28
	v_add_nc_u32_e32 v29, v28, v29
	;; [unrolled: 3-line block ×3, first 2 shown]
	s_delay_alu instid0(VALU_DEP_1)
	v_add_nc_u32_e32 v24, v27, v24
	ds_store_2addr_b32 v42, v25, v30 offset0:1 offset1:2
	ds_store_2addr_b32 v42, v31, v28 offset0:3 offset1:4
	;; [unrolled: 1-line block ×4, first 2 shown]
	; wave barrier
	s_wait_loadcnt_dscnt 0x0
	global_inv scope:SCOPE_SE
	ds_load_b32 v24, v54 offset:4
	ds_load_b32 v25, v57 offset:4
	;; [unrolled: 1-line block ×4, first 2 shown]
	v_lshlrev_b32_e32 v28, 1, v41
	; wave barrier
	s_wait_loadcnt_dscnt 0x0
	global_inv scope:SCOPE_SE
	v_add_nc_u32_e32 v30, v24, v51
	v_add3_u32 v51, v56, v55, v25
	v_add3_u32 v54, v59, v58, v26
	;; [unrolled: 1-line block ×3, first 2 shown]
	s_delay_alu instid0(VALU_DEP_4) | instskip(NEXT) | instid1(VALU_DEP_4)
	v_lshlrev_b32_e32 v24, 1, v30
	v_lshlrev_b32_e32 v25, 1, v51
	s_delay_alu instid0(VALU_DEP_4) | instskip(NEXT) | instid1(VALU_DEP_4)
	v_lshlrev_b32_e32 v26, 1, v54
	v_lshlrev_b32_e32 v27, 1, v55
	ds_store_b16 v24, v49
	ds_store_b16 v25, v50
	;; [unrolled: 1-line block ×4, first 2 shown]
	; wave barrier
	s_wait_loadcnt_dscnt 0x0
	global_inv scope:SCOPE_SE
	ds_load_b64 v[28:29], v28
	v_mad_co_u64_u32 v[30:31], null, v30, 6, v[24:25]
	v_mad_co_u64_u32 v[24:25], null, v51, 6, v[25:26]
	;; [unrolled: 1-line block ×3, first 2 shown]
	; wave barrier
	s_wait_loadcnt_dscnt 0x0
	global_inv scope:SCOPE_SE
	ds_store_b64 v30, v[13:14]
	ds_store_b64 v24, v[15:16]
	v_cmp_lt_i16_e32 vcc_lo, -1, v28
	v_lshrrev_b32_e32 v26, 16, v28
	v_lshrrev_b32_e32 v49, 16, v29
	s_wait_alu 0xfffd
	v_cndmask_b32_e64 v31, 0xffff8000, -1, vcc_lo
	v_cmp_lt_i16_e32 vcc_lo, -1, v29
	s_wait_alu 0xfffd
	v_cndmask_b32_e64 v50, 0xffff8000, -1, vcc_lo
	v_cmp_lt_i16_e32 vcc_lo, -1, v26
	v_mad_co_u64_u32 v[26:27], null, v55, 6, v[27:28]
	ds_store_b64 v25, v[9:10]
	ds_store_b64 v26, v[11:12]
	s_wait_alu 0xfffd
	v_cndmask_b32_e64 v51, 0xffff8000, -1, vcc_lo
	v_cmp_lt_i16_e32 vcc_lo, -1, v49
	; wave barrier
	s_wait_loadcnt_dscnt 0x0
	global_inv scope:SCOPE_SE
	v_perm_b32 v27, v51, v31, 0x5040100
	s_wait_alu 0xfffd
	v_cndmask_b32_e64 v49, 0xffff8000, -1, vcc_lo
	s_delay_alu instid0(VALU_DEP_2) | instskip(NEXT) | instid1(VALU_DEP_2)
	v_xor_b32_e32 v13, v27, v28
	v_perm_b32 v31, v49, v50, 0x5040100
	s_delay_alu instid0(VALU_DEP_1)
	v_xor_b32_e32 v14, v31, v29
.LBB233_45:
	s_and_b32 vcc_lo, exec_lo, s7
	s_wait_alu 0xfffe
	s_cbranch_vccz .LBB233_67
; %bb.46:
	v_cmp_gt_i16_e32 vcc_lo, 0, v22
	s_getpc_b64 s[6:7]
	s_wait_alu 0xfffe
	s_sext_i32_i16 s7, s7
	s_add_co_u32 s6, s6, _ZN7rocprim17ROCPRIM_400000_NS16block_radix_sortI6__halfLj32ELj4ElLj1ELj1ELj0ELNS0_26block_radix_rank_algorithmE1ELNS0_18block_padding_hintE2ELNS0_4arch9wavefront6targetE0EE19radix_bits_per_passE@rel32@lo+12
	s_wait_alu 0xfffe
	s_add_co_ci_u32 s7, s7, _ZN7rocprim17ROCPRIM_400000_NS16block_radix_sortI6__halfLj32ELj4ElLj1ELj1ELj0ELNS0_26block_radix_rank_algorithmE1ELNS0_18block_padding_hintE2ELNS0_4arch9wavefront6targetE0EE19radix_bits_per_passE@rel32@hi+24
	ds_bpermute_b32 v27, v45, v5
	s_load_b32 s13, s[6:7], 0x0
	ds_bpermute_b32 v50, v45, v5 offset:32
	v_cndmask_b32_e64 v9, 0x7fff, 0, vcc_lo
	v_cmp_gt_i16_e32 vcc_lo, 0, v48
	ds_bpermute_b32 v52, v45, v5 offset:64
	ds_bpermute_b32 v54, v45, v5 offset:96
	ds_bpermute_b32 v15, v45, v6
	v_xor_b32_e32 v9, v9, v22
	s_wait_alu 0xfffd
	v_cndmask_b32_e64 v10, 0x7fff, 0, vcc_lo
	v_cmp_gt_i16_e32 vcc_lo, 0, v23
	ds_bpermute_b32 v51, v45, v6 offset:32
	ds_bpermute_b32 v53, v45, v6 offset:64
	v_and_b32_e32 v55, 0xffff, v9
	v_xor_b32_e32 v10, v10, v48
	s_wait_alu 0xfffd
	v_cndmask_b32_e64 v11, 0x7fff, 0, vcc_lo
	v_cmp_gt_i16_e32 vcc_lo, 0, v47
	s_wait_loadcnt_dscnt 0x0
	ds_bpermute_b32 v14, v45, v55
	ds_bpermute_b32 v61, v45, v55 offset:32
	v_xor_b32_e32 v11, v11, v23
	s_wait_alu 0xfffd
	v_cndmask_b32_e64 v12, 0x7fff, 0, vcc_lo
	v_cmp_eq_u32_e32 vcc_lo, 3, v43
	s_wait_kmcnt 0x0
	s_min_u32 s7, s13, 16
	ds_bpermute_b32 v65, v45, v55 offset:64
	v_and_b32_e32 v57, 0xffff, v11
	v_xor_b32_e32 v9, v12, v47
	; wave barrier
	s_wait_dscnt 0x0
	global_inv scope:SCOPE_SE
	ds_bpermute_b32 v16, v45, v7
	ds_bpermute_b32 v26, v45, v7 offset:32
	ds_bpermute_b32 v23, v45, v57
	v_and_b32_e32 v58, 0xffff, v9
	ds_bpermute_b32 v64, v45, v57 offset:32
	ds_bpermute_b32 v69, v45, v57 offset:64
	;; [unrolled: 1-line block ×4, first 2 shown]
	ds_bpermute_b32 v29, v45, v58
	v_and_b32_e32 v56, 0xffff, v10
	ds_bpermute_b32 v66, v45, v58 offset:32
	ds_bpermute_b32 v72, v45, v58 offset:64
	ds_bpermute_b32 v13, v45, v1
	ds_bpermute_b32 v24, v45, v1 offset:32
	ds_bpermute_b32 v22, v45, v56
	ds_bpermute_b32 v12, v45, v8
	ds_bpermute_b32 v9, v45, v2
	ds_bpermute_b32 v10, v45, v3
	ds_bpermute_b32 v11, v45, v4
	ds_bpermute_b32 v28, v45, v8 offset:32
	ds_bpermute_b32 v25, v45, v2 offset:32
	;; [unrolled: 1-line block ×4, first 2 shown]
	s_wait_dscnt 0x8
	v_cndmask_b32_e64 v30, v14, v22, s5
	ds_bpermute_b32 v22, v45, v4 offset:32
	ds_bpermute_b32 v14, v45, v3 offset:32
	v_cndmask_b32_e64 v23, v30, v23, s1
	ds_bpermute_b32 v30, v45, v2 offset:64
	s_wait_alu 0xfffd
	v_cndmask_b32_e32 v49, v23, v29, vcc_lo
	ds_bpermute_b32 v63, v45, v56 offset:32
	ds_bpermute_b32 v67, v45, v56 offset:64
	;; [unrolled: 1-line block ×4, first 2 shown]
	v_and_b32_e32 v59, 0xffff, v49
	v_cmp_ne_u16_e64 s6, 0x8000, v49
	ds_bpermute_b32 v23, v45, v3 offset:64
	s_wait_alu 0xf1ff
	v_cndmask_b32_e64 v5, 0x7fff, v59, s6
	s_wait_alu 0xfffe
	s_lshl_b32 s6, -1, s7
	s_wait_alu 0xfffe
	s_not_b32 s8, s6
	s_wait_alu 0xfffe
	v_and_b32_e32 v62, s8, v5
	s_delay_alu instid0(VALU_DEP_1) | instskip(SKIP_2) | instid1(VALU_DEP_3)
	v_and_b32_e32 v5, 1, v62
	v_lshlrev_b32_e32 v71, 30, v62
	v_lshlrev_b32_e32 v56, 29, v62
	v_add_co_u32 v59, s6, v5, -1
	s_wait_alu 0xf1ff
	v_cndmask_b32_e64 v60, 0, 1, s6
	ds_bpermute_b32 v5, v45, v55 offset:96
	v_not_b32_e32 v55, v71
	v_cmp_gt_i32_e64 s7, 0, v71
	ds_bpermute_b32 v71, v45, v58 offset:96
	v_cmp_ne_u32_e64 s6, 0, v60
	v_not_b32_e32 v58, v56
	v_ashrrev_i32_e32 v55, 31, v55
	s_wait_alu 0xf1ff
	s_delay_alu instid0(VALU_DEP_3) | instskip(SKIP_1) | instid1(VALU_DEP_3)
	v_xor_b32_e32 v57, s6, v59
	v_lshlrev_b32_e32 v59, 28, v62
	v_xor_b32_e32 v55, s7, v55
	v_cmp_gt_i32_e64 s6, 0, v56
	v_ashrrev_i32_e32 v56, 31, v58
	v_and_b32_e32 v57, exec_lo, v57
	v_not_b32_e32 v58, v59
	s_load_b32 s7, s[22:23], 0xc
	s_delay_alu instid0(VALU_DEP_3) | instskip(NEXT) | instid1(VALU_DEP_3)
	v_xor_b32_e32 v60, s6, v56
	v_and_b32_e32 v55, v57, v55
	v_lshlrev_b32_e32 v57, 27, v62
	v_cmp_gt_i32_e64 s6, 0, v59
	v_ashrrev_i32_e32 v58, 31, v58
	ds_bpermute_b32 v56, v45, v6 offset:96
	v_and_b32_e32 v59, v55, v60
	v_not_b32_e32 v6, v57
	v_lshlrev_b32_e32 v60, 26, v62
	s_wait_alu 0xf1ff
	v_xor_b32_e32 v58, s6, v58
	v_cmp_gt_i32_e64 s6, 0, v57
	ds_bpermute_b32 v55, v45, v7 offset:96
	v_ashrrev_i32_e32 v6, 31, v6
	v_not_b32_e32 v7, v60
	v_and_b32_e32 v57, v59, v58
	v_lshlrev_b32_e32 v58, 25, v62
	s_wait_alu 0xf1ff
	v_xor_b32_e32 v6, s6, v6
	v_cmp_gt_i32_e64 s6, 0, v60
	v_ashrrev_i32_e32 v7, 31, v7
	v_not_b32_e32 v59, v58
	s_wait_kmcnt 0x0
	s_lshr_b32 s9, s7, 16
	v_and_b32_e32 v6, v57, v6
	v_lshlrev_b32_e32 v57, 24, v62
	v_xor_b32_e32 v7, s6, v7
	v_cmp_gt_i32_e64 s6, 0, v58
	v_ashrrev_i32_e32 v58, 31, v59
	s_wait_alu 0xfffe
	v_mad_u32_u24 v0, v0, s9, v46
	v_not_b32_e32 v59, v57
	v_and_b32_e32 v46, v6, v7
	s_and_b32 s7, s7, 0xffff
	v_xor_b32_e32 v58, s6, v58
	v_cmp_gt_i32_e64 s6, 0, v57
	v_ashrrev_i32_e32 v60, 31, v59
	s_wait_dscnt 0xb
	s_wait_alu 0xfffe
	v_mad_co_u64_u32 v[6:7], null, v0, s7, v[21:22]
	ds_bpermute_b32 v57, v45, v1 offset:96
	v_and_b32_e32 v0, v46, v58
	s_wait_alu 0xf1ff
	v_xor_b32_e32 v1, s6, v60
	ds_bpermute_b32 v59, v45, v8 offset:96
	ds_bpermute_b32 v58, v45, v2 offset:96
	;; [unrolled: 1-line block ×4, first 2 shown]
	v_and_b32_e32 v0, v0, v1
	v_lshrrev_b32_e32 v2, 5, v6
	v_mov_b32_e32 v1, 0
	ds_store_2addr_b32 v42, v1, v1 offset0:1 offset1:2
	ds_store_2addr_b32 v42, v1, v1 offset0:3 offset1:4
	;; [unrolled: 1-line block ×4, first 2 shown]
	v_mbcnt_lo_u32_b32 v60, v0, 0
	v_lshlrev_b32_e32 v8, 2, v2
	v_cmp_ne_u32_e64 s7, 0, v0
	; wave barrier
	s_wait_loadcnt_dscnt 0x0
	global_inv scope:SCOPE_SE
	v_cmp_eq_u32_e64 s6, 0, v60
	v_lshl_add_u32 v62, v62, 2, v8
	; wave barrier
	s_and_b32 s7, s7, s6
	s_wait_alu 0xfffe
	s_and_saveexec_b32 s6, s7
; %bb.47:
	v_bcnt_u32_b32 v0, v0, 0
	ds_store_b32 v62, v0 offset:4
; %bb.48:
	s_wait_alu 0xfffe
	s_or_b32 exec_lo, exec_lo, s6
	v_cndmask_b32_e64 v0, v61, v63, s5
	; wave barrier
	s_delay_alu instid0(VALU_DEP_1) | instskip(NEXT) | instid1(VALU_DEP_1)
	v_cndmask_b32_e64 v0, v0, v64, s1
	v_cndmask_b32_e32 v61, v0, v66, vcc_lo
	s_delay_alu instid0(VALU_DEP_1) | instskip(SKIP_2) | instid1(VALU_DEP_1)
	v_and_b32_e32 v0, 0xffff, v61
	v_cmp_ne_u16_e64 s6, 0x8000, v61
	s_wait_alu 0xf1ff
	v_cndmask_b32_e64 v0, 0x7fff, v0, s6
	s_delay_alu instid0(VALU_DEP_1) | instskip(NEXT) | instid1(VALU_DEP_1)
	v_and_b32_e32 v0, s8, v0
	v_and_b32_e32 v1, 1, v0
	v_lshlrev_b32_e32 v2, 30, v0
	v_lshlrev_b32_e32 v3, 29, v0
	;; [unrolled: 1-line block ×4, first 2 shown]
	v_add_co_u32 v1, s6, v1, -1
	s_wait_alu 0xf1ff
	v_cndmask_b32_e64 v6, 0, 1, s6
	v_not_b32_e32 v66, v2
	v_cmp_gt_i32_e64 s7, 0, v2
	v_not_b32_e32 v2, v3
	v_lshlrev_b32_e32 v63, 26, v0
	v_cmp_ne_u32_e64 s6, 0, v6
	v_ashrrev_i32_e32 v66, 31, v66
	v_lshlrev_b32_e32 v64, 25, v0
	v_ashrrev_i32_e32 v2, 31, v2
	v_lshlrev_b32_e32 v6, 24, v0
	s_wait_alu 0xf1ff
	v_xor_b32_e32 v1, s6, v1
	v_cmp_gt_i32_e64 s6, 0, v3
	v_not_b32_e32 v3, v4
	v_xor_b32_e32 v66, s7, v66
	v_cmp_gt_i32_e64 s7, 0, v4
	v_and_b32_e32 v1, exec_lo, v1
	v_not_b32_e32 v4, v7
	v_ashrrev_i32_e32 v3, 31, v3
	s_wait_alu 0xf1ff
	v_xor_b32_e32 v2, s6, v2
	v_cmp_gt_i32_e64 s6, 0, v7
	v_and_b32_e32 v1, v1, v66
	v_not_b32_e32 v7, v63
	v_ashrrev_i32_e32 v4, 31, v4
	v_xor_b32_e32 v3, s7, v3
	v_cmp_gt_i32_e64 s7, 0, v63
	v_and_b32_e32 v1, v1, v2
	v_not_b32_e32 v2, v64
	v_ashrrev_i32_e32 v7, 31, v7
	s_wait_alu 0xf1ff
	v_xor_b32_e32 v4, s6, v4
	v_cmp_gt_i32_e64 s6, 0, v64
	v_and_b32_e32 v1, v1, v3
	v_not_b32_e32 v3, v6
	v_ashrrev_i32_e32 v2, 31, v2
	v_xor_b32_e32 v7, s7, v7
	v_cmp_gt_i32_e64 s7, 0, v6
	v_and_b32_e32 v1, v1, v4
	v_ashrrev_i32_e32 v3, 31, v3
	s_wait_alu 0xf1ff
	v_xor_b32_e32 v2, s6, v2
	v_lshl_add_u32 v66, v0, 2, v8
	v_and_b32_e32 v1, v1, v7
	v_xor_b32_e32 v0, s7, v3
	ds_load_b32 v63, v66 offset:4
	v_and_b32_e32 v1, v1, v2
	; wave barrier
	s_delay_alu instid0(VALU_DEP_1) | instskip(NEXT) | instid1(VALU_DEP_1)
	v_and_b32_e32 v0, v1, v0
	v_mbcnt_lo_u32_b32 v64, v0, 0
	v_cmp_ne_u32_e64 s7, 0, v0
	s_delay_alu instid0(VALU_DEP_2)
	v_cmp_eq_u32_e64 s6, 0, v64
	s_and_b32 s7, s7, s6
	s_wait_alu 0xfffe
	s_and_saveexec_b32 s6, s7
	s_cbranch_execz .LBB233_50
; %bb.49:
	s_wait_dscnt 0x0
	v_bcnt_u32_b32 v0, v0, v63
	ds_store_b32 v66, v0 offset:4
.LBB233_50:
	s_wait_alu 0xfffe
	s_or_b32 exec_lo, exec_lo, s6
	v_cndmask_b32_e64 v0, v65, v67, s5
	; wave barrier
	s_delay_alu instid0(VALU_DEP_1) | instskip(NEXT) | instid1(VALU_DEP_1)
	v_cndmask_b32_e64 v0, v0, v69, s1
	v_cndmask_b32_e32 v65, v0, v72, vcc_lo
	s_delay_alu instid0(VALU_DEP_1) | instskip(SKIP_2) | instid1(VALU_DEP_1)
	v_and_b32_e32 v0, 0xffff, v65
	v_cmp_ne_u16_e64 s6, 0x8000, v65
	s_wait_alu 0xf1ff
	v_cndmask_b32_e64 v0, 0x7fff, v0, s6
	s_delay_alu instid0(VALU_DEP_1) | instskip(NEXT) | instid1(VALU_DEP_1)
	v_and_b32_e32 v0, s8, v0
	v_and_b32_e32 v1, 1, v0
	v_lshlrev_b32_e32 v2, 30, v0
	v_lshlrev_b32_e32 v3, 29, v0
	;; [unrolled: 1-line block ×4, first 2 shown]
	v_add_co_u32 v1, s6, v1, -1
	s_wait_alu 0xf1ff
	v_cndmask_b32_e64 v6, 0, 1, s6
	v_not_b32_e32 v72, v2
	v_cmp_gt_i32_e64 s7, 0, v2
	v_not_b32_e32 v2, v3
	v_lshlrev_b32_e32 v67, 26, v0
	v_cmp_ne_u32_e64 s6, 0, v6
	v_ashrrev_i32_e32 v72, 31, v72
	v_lshlrev_b32_e32 v69, 25, v0
	v_ashrrev_i32_e32 v2, 31, v2
	v_lshlrev_b32_e32 v6, 24, v0
	s_wait_alu 0xf1ff
	v_xor_b32_e32 v1, s6, v1
	v_cmp_gt_i32_e64 s6, 0, v3
	v_not_b32_e32 v3, v4
	v_xor_b32_e32 v72, s7, v72
	v_cmp_gt_i32_e64 s7, 0, v4
	v_and_b32_e32 v1, exec_lo, v1
	v_not_b32_e32 v4, v7
	v_ashrrev_i32_e32 v3, 31, v3
	s_wait_alu 0xf1ff
	v_xor_b32_e32 v2, s6, v2
	v_cmp_gt_i32_e64 s6, 0, v7
	v_and_b32_e32 v1, v1, v72
	v_not_b32_e32 v7, v67
	v_ashrrev_i32_e32 v4, 31, v4
	v_xor_b32_e32 v3, s7, v3
	v_cmp_gt_i32_e64 s7, 0, v67
	v_and_b32_e32 v1, v1, v2
	v_not_b32_e32 v2, v69
	v_ashrrev_i32_e32 v7, 31, v7
	s_wait_alu 0xf1ff
	v_xor_b32_e32 v4, s6, v4
	v_cmp_gt_i32_e64 s6, 0, v69
	v_and_b32_e32 v1, v1, v3
	v_not_b32_e32 v3, v6
	v_ashrrev_i32_e32 v2, 31, v2
	v_xor_b32_e32 v7, s7, v7
	v_cmp_gt_i32_e64 s7, 0, v6
	v_and_b32_e32 v1, v1, v4
	v_ashrrev_i32_e32 v3, 31, v3
	s_wait_alu 0xf1ff
	v_xor_b32_e32 v2, s6, v2
	v_lshl_add_u32 v72, v0, 2, v8
	v_and_b32_e32 v1, v1, v7
	v_xor_b32_e32 v0, s7, v3
	ds_load_b32 v67, v72 offset:4
	v_and_b32_e32 v1, v1, v2
	; wave barrier
	s_delay_alu instid0(VALU_DEP_1) | instskip(NEXT) | instid1(VALU_DEP_1)
	v_and_b32_e32 v0, v1, v0
	v_mbcnt_lo_u32_b32 v69, v0, 0
	v_cmp_ne_u32_e64 s7, 0, v0
	s_delay_alu instid0(VALU_DEP_2)
	v_cmp_eq_u32_e64 s6, 0, v69
	s_and_b32 s7, s7, s6
	s_wait_alu 0xfffe
	s_and_saveexec_b32 s6, s7
	s_cbranch_execz .LBB233_52
; %bb.51:
	s_wait_dscnt 0x0
	v_bcnt_u32_b32 v0, v0, v67
	ds_store_b32 v72, v0 offset:4
.LBB233_52:
	s_wait_alu 0xfffe
	s_or_b32 exec_lo, exec_lo, s6
	v_cndmask_b32_e64 v0, v5, v68, s5
	; wave barrier
	v_and_or_b32 v74, 0xf80, v41, v44
	s_delay_alu instid0(VALU_DEP_2) | instskip(NEXT) | instid1(VALU_DEP_1)
	v_cndmask_b32_e64 v0, v0, v70, s1
	v_cndmask_b32_e32 v68, v0, v71, vcc_lo
	s_delay_alu instid0(VALU_DEP_1) | instskip(SKIP_2) | instid1(VALU_DEP_1)
	v_and_b32_e32 v0, 0xffff, v68
	v_cmp_ne_u16_e64 s6, 0x8000, v68
	s_wait_alu 0xf1ff
	v_cndmask_b32_e64 v0, 0x7fff, v0, s6
	s_delay_alu instid0(VALU_DEP_1) | instskip(NEXT) | instid1(VALU_DEP_1)
	v_and_b32_e32 v0, s8, v0
	v_and_b32_e32 v1, 1, v0
	v_lshlrev_b32_e32 v2, 30, v0
	v_lshlrev_b32_e32 v3, 29, v0
	;; [unrolled: 1-line block ×4, first 2 shown]
	v_add_co_u32 v1, s6, v1, -1
	s_wait_alu 0xf1ff
	v_cndmask_b32_e64 v5, 0, 1, s6
	v_not_b32_e32 v71, v2
	v_cmp_gt_i32_e64 s7, 0, v2
	v_not_b32_e32 v2, v3
	v_lshlrev_b32_e32 v7, 26, v0
	v_cmp_ne_u32_e64 s6, 0, v5
	v_ashrrev_i32_e32 v71, 31, v71
	v_lshlrev_b32_e32 v70, 25, v0
	v_ashrrev_i32_e32 v2, 31, v2
	v_lshlrev_b32_e32 v5, 24, v0
	s_wait_alu 0xf1ff
	v_xor_b32_e32 v1, s6, v1
	v_cmp_gt_i32_e64 s6, 0, v3
	v_not_b32_e32 v3, v4
	v_xor_b32_e32 v71, s7, v71
	v_cmp_gt_i32_e64 s7, 0, v4
	v_and_b32_e32 v1, exec_lo, v1
	v_not_b32_e32 v4, v6
	v_ashrrev_i32_e32 v3, 31, v3
	s_wait_alu 0xf1ff
	v_xor_b32_e32 v2, s6, v2
	v_cmp_gt_i32_e64 s6, 0, v6
	v_and_b32_e32 v1, v1, v71
	v_not_b32_e32 v6, v7
	v_ashrrev_i32_e32 v4, 31, v4
	v_xor_b32_e32 v3, s7, v3
	v_cmp_gt_i32_e64 s7, 0, v7
	v_and_b32_e32 v1, v1, v2
	v_not_b32_e32 v2, v70
	v_ashrrev_i32_e32 v6, 31, v6
	s_wait_alu 0xf1ff
	v_xor_b32_e32 v4, s6, v4
	v_cmp_gt_i32_e64 s6, 0, v70
	v_and_b32_e32 v1, v1, v3
	v_not_b32_e32 v3, v5
	v_ashrrev_i32_e32 v2, 31, v2
	v_xor_b32_e32 v6, s7, v6
	v_cmp_gt_i32_e64 s7, 0, v5
	v_and_b32_e32 v1, v1, v4
	v_ashrrev_i32_e32 v3, 31, v3
	s_wait_alu 0xf1ff
	v_xor_b32_e32 v2, s6, v2
	v_lshl_add_u32 v73, v0, 2, v8
	v_and_b32_e32 v1, v1, v6
	v_xor_b32_e32 v0, s7, v3
	ds_load_b32 v70, v73 offset:4
	v_and_b32_e32 v1, v1, v2
	; wave barrier
	s_delay_alu instid0(VALU_DEP_1) | instskip(NEXT) | instid1(VALU_DEP_1)
	v_and_b32_e32 v0, v1, v0
	v_mbcnt_lo_u32_b32 v71, v0, 0
	v_cmp_ne_u32_e64 s7, 0, v0
	s_delay_alu instid0(VALU_DEP_2)
	v_cmp_eq_u32_e64 s6, 0, v71
	s_and_b32 s7, s7, s6
	s_wait_alu 0xfffe
	s_and_saveexec_b32 s6, s7
	s_cbranch_execz .LBB233_54
; %bb.53:
	s_wait_dscnt 0x0
	v_bcnt_u32_b32 v0, v0, v70
	ds_store_b32 v73, v0 offset:4
.LBB233_54:
	s_wait_alu 0xfffe
	s_or_b32 exec_lo, exec_lo, s6
	; wave barrier
	; wave barrier
	s_wait_loadcnt_dscnt 0x0
	global_inv scope:SCOPE_SE
	ds_load_2addr_b32 v[6:7], v42 offset0:1 offset1:2
	ds_load_2addr_b32 v[4:5], v42 offset0:3 offset1:4
	;; [unrolled: 1-line block ×4, first 2 shown]
	v_and_b32_e32 v77, 16, v44
	v_cmp_eq_u32_e64 s10, 31, v21
	s_delay_alu instid0(VALU_DEP_2) | instskip(SKIP_3) | instid1(VALU_DEP_1)
	v_cmp_eq_u32_e64 s11, 0, v77
	s_wait_dscnt 0x3
	v_add_nc_u32_e32 v75, v7, v6
	s_wait_dscnt 0x2
	v_add3_u32 v75, v75, v4, v5
	s_wait_dscnt 0x1
	s_delay_alu instid0(VALU_DEP_1) | instskip(SKIP_1) | instid1(VALU_DEP_1)
	v_add3_u32 v75, v75, v2, v3
	s_wait_dscnt 0x0
	v_add3_u32 v1, v75, v0, v1
	v_and_b32_e32 v75, 15, v44
	s_delay_alu instid0(VALU_DEP_2) | instskip(NEXT) | instid1(VALU_DEP_2)
	v_mov_b32_dpp v76, v1 row_shr:1 row_mask:0xf bank_mask:0xf
	v_cmp_eq_u32_e64 s6, 0, v75
	v_cmp_lt_u32_e64 s7, 1, v75
	v_cmp_lt_u32_e64 s8, 3, v75
	;; [unrolled: 1-line block ×3, first 2 shown]
	s_wait_alu 0xf1ff
	v_cndmask_b32_e64 v76, v76, 0, s6
	s_delay_alu instid0(VALU_DEP_1) | instskip(NEXT) | instid1(VALU_DEP_1)
	v_add_nc_u32_e32 v1, v76, v1
	v_mov_b32_dpp v76, v1 row_shr:2 row_mask:0xf bank_mask:0xf
	s_delay_alu instid0(VALU_DEP_1) | instskip(NEXT) | instid1(VALU_DEP_1)
	v_cndmask_b32_e64 v76, 0, v76, s7
	v_add_nc_u32_e32 v1, v1, v76
	s_delay_alu instid0(VALU_DEP_1) | instskip(NEXT) | instid1(VALU_DEP_1)
	v_mov_b32_dpp v76, v1 row_shr:4 row_mask:0xf bank_mask:0xf
	v_cndmask_b32_e64 v76, 0, v76, s8
	s_delay_alu instid0(VALU_DEP_1) | instskip(NEXT) | instid1(VALU_DEP_1)
	v_add_nc_u32_e32 v1, v1, v76
	v_mov_b32_dpp v76, v1 row_shr:8 row_mask:0xf bank_mask:0xf
	s_delay_alu instid0(VALU_DEP_1) | instskip(SKIP_1) | instid1(VALU_DEP_2)
	v_cndmask_b32_e64 v75, 0, v76, s9
	v_bfe_i32 v76, v44, 4, 1
	v_add_nc_u32_e32 v75, v1, v75
	ds_swizzle_b32 v1, v75 offset:swizzle(BROADCAST,32,15)
	s_wait_dscnt 0x0
	v_and_b32_e32 v78, v76, v1
	v_sub_co_u32 v76, s15, v44, 1
	v_mul_u32_u24_e32 v1, 6, v74
	s_delay_alu instid0(VALU_DEP_3)
	v_add_nc_u32_e32 v75, v75, v78
	s_and_saveexec_b32 s12, s10
; %bb.55:
	v_mov_b32_e32 v77, 0
	ds_store_b32 v77, v75
; %bb.56:
	s_wait_alu 0xfffe
	s_or_b32 exec_lo, exec_lo, s12
	v_cmp_gt_i32_e64 s12, 0, v76
	; wave barrier
	s_wait_loadcnt_dscnt 0x0
	global_inv scope:SCOPE_SE
	s_min_u32 s13, s13, 8
	s_wait_alu 0xfffe
	s_lshl_b32 s13, -1, s13
	v_cndmask_b32_e64 v44, v76, v44, s12
	v_cmp_eq_u32_e64 s12, 0, v21
	s_wait_alu 0xfffe
	s_not_b32 s13, s13
	v_lshlrev_b32_e32 v44, 2, v44
	s_or_b32 s15, s12, s15
	v_cmp_eq_u32_e64 s12, 0, v43
	ds_bpermute_b32 v75, v44, v75
	s_wait_alu 0xf1ff
	v_cndmask_b32_e64 v43, 0, v53, s12
	s_wait_dscnt 0x0
	s_wait_alu 0xfffe
	v_cndmask_b32_e64 v21, v75, 0, s15
	s_delay_alu instid0(VALU_DEP_1) | instskip(NEXT) | instid1(VALU_DEP_1)
	v_add_nc_u32_e32 v6, v21, v6
	v_add_nc_u32_e32 v7, v6, v7
	s_delay_alu instid0(VALU_DEP_1) | instskip(NEXT) | instid1(VALU_DEP_1)
	v_add_nc_u32_e32 v4, v7, v4
	v_add_nc_u32_e32 v5, v4, v5
	;; [unrolled: 3-line block ×3, first 2 shown]
	s_delay_alu instid0(VALU_DEP_1)
	v_add_nc_u32_e32 v0, v3, v0
	ds_store_2addr_b32 v42, v21, v6 offset0:1 offset1:2
	ds_store_2addr_b32 v42, v7, v4 offset0:3 offset1:4
	;; [unrolled: 1-line block ×4, first 2 shown]
	; wave barrier
	s_wait_loadcnt_dscnt 0x0
	global_inv scope:SCOPE_SE
	ds_load_b32 v0, v62 offset:4
	ds_load_b32 v2, v66 offset:4
	ds_load_b32 v3, v72 offset:4
	ds_load_b32 v4, v73 offset:4
	v_cndmask_b32_e64 v5, 0, v27, s12
	v_cndmask_b32_e64 v7, 0, v15, s12
	;; [unrolled: 1-line block ×13, first 2 shown]
	v_lshlrev_b32_e32 v6, 1, v74
	v_cndmask_b32_e64 v50, 0, v54, s12
	; wave barrier
	s_wait_loadcnt_dscnt 0x0
	global_inv scope:SCOPE_SE
	v_add3_u32 v53, v64, v63, v2
	v_add3_u32 v54, v69, v67, v3
	v_add3_u32 v56, v71, v70, v4
	v_cndmask_b32_e32 v4, v5, v10, vcc_lo
	v_cndmask_b32_e64 v10, v12, v25, s1
	v_cndmask_b32_e64 v12, v26, v29, s1
	;; [unrolled: 1-line block ×3, first 2 shown]
	v_add_nc_u32_e32 v13, v0, v60
	v_add_nc_u32_e32 v52, v6, v1
	v_lshlrev_b32_e32 v1, 1, v53
	v_lshlrev_b32_e32 v2, 1, v54
	;; [unrolled: 1-line block ×4, first 2 shown]
	ds_store_b16 v0, v49
	ds_store_b16 v1, v61
	;; [unrolled: 1-line block ×4, first 2 shown]
	; wave barrier
	s_wait_loadcnt_dscnt 0x0
	global_inv scope:SCOPE_SE
	ds_load_u16 v16, v6
	v_cndmask_b32_e64 v21, v43, v47, s5
	v_cndmask_b32_e64 v28, v50, v55, s5
	;; [unrolled: 1-line block ×4, first 2 shown]
	s_delay_alu instid0(VALU_DEP_4) | instskip(NEXT) | instid1(VALU_DEP_4)
	v_cndmask_b32_e64 v15, v21, v30, s1
	v_cndmask_b32_e64 v25, v28, v57, s1
	s_delay_alu instid0(VALU_DEP_4)
	v_cndmask_b32_e32 v5, v7, v11, vcc_lo
	v_cndmask_b32_e32 v7, v10, v22, vcc_lo
	ds_load_u16 v21, v6 offset:64
	ds_load_u16 v22, v6 offset:128
	;; [unrolled: 1-line block ×3, first 2 shown]
	v_cndmask_b32_e32 v6, v9, v14, vcc_lo
	v_dual_cndmask_b32 v10, v15, v48 :: v_dual_cndmask_b32 v9, v12, v23
	v_cndmask_b32_e32 v12, v26, v45, vcc_lo
	; wave barrier
	s_wait_loadcnt_dscnt 0x0
	global_inv scope:SCOPE_SE
	v_lshrrev_b16 v11, 8, v16
	v_cmp_ne_u16_e64 s1, 0x8000, v16
	s_wait_alu 0xf1ff
	s_delay_alu instid0(VALU_DEP_1) | instskip(SKIP_1) | instid1(VALU_DEP_2)
	v_cndmask_b32_e64 v14, 0x7f, v11, s1
	v_cndmask_b32_e32 v11, v25, v46, vcc_lo
	v_and_b32_e32 v15, 0xffff, v14
	v_mad_co_u64_u32 v[13:14], null, v13, 6, v[0:1]
	v_mad_co_u64_u32 v[0:1], null, v53, 6, v[1:2]
	s_delay_alu instid0(VALU_DEP_3) | instskip(SKIP_2) | instid1(VALU_DEP_3)
	v_and_b32_e32 v14, s13, v15
	v_mad_co_u64_u32 v[1:2], null, v54, 6, v[2:3]
	v_mad_co_u64_u32 v[2:3], null, v56, 6, v[3:4]
	v_and_b32_e32 v3, 1, v14
	ds_store_b64 v13, v[4:5]
	v_lshlrev_b32_e32 v4, 30, v14
	v_lshlrev_b32_e32 v5, 29, v14
	;; [unrolled: 1-line block ×3, first 2 shown]
	v_add_co_u32 v3, s1, v3, -1
	s_wait_alu 0xf1ff
	v_cndmask_b32_e64 v15, 0, 1, s1
	v_not_b32_e32 v27, v4
	v_cmp_gt_i32_e64 s1, 0, v4
	v_not_b32_e32 v4, v5
	v_lshlrev_b32_e32 v23, 27, v14
	v_cmp_ne_u32_e32 vcc_lo, 0, v15
	v_ashrrev_i32_e32 v27, 31, v27
	v_lshlrev_b32_e32 v25, 26, v14
	v_ashrrev_i32_e32 v4, 31, v4
	v_lshlrev_b32_e32 v26, 25, v14
	s_wait_alu 0xfffd
	v_xor_b32_e32 v3, vcc_lo, v3
	v_cmp_gt_i32_e32 vcc_lo, 0, v5
	v_not_b32_e32 v5, v13
	s_wait_alu 0xf1ff
	v_xor_b32_e32 v27, s1, v27
	v_cmp_gt_i32_e64 s1, 0, v13
	v_and_b32_e32 v3, exec_lo, v3
	v_not_b32_e32 v13, v23
	v_ashrrev_i32_e32 v5, 31, v5
	s_wait_alu 0xfffd
	v_xor_b32_e32 v4, vcc_lo, v4
	v_cmp_gt_i32_e32 vcc_lo, 0, v23
	v_and_b32_e32 v3, v3, v27
	v_not_b32_e32 v23, v25
	v_ashrrev_i32_e32 v13, 31, v13
	s_wait_alu 0xf1ff
	v_xor_b32_e32 v5, s1, v5
	v_lshlrev_b32_e32 v15, 24, v14
	v_and_b32_e32 v3, v3, v4
	v_cmp_gt_i32_e64 s1, 0, v25
	v_not_b32_e32 v4, v26
	v_ashrrev_i32_e32 v23, 31, v23
	s_wait_alu 0xfffd
	v_xor_b32_e32 v13, vcc_lo, v13
	v_and_b32_e32 v3, v3, v5
	v_cmp_gt_i32_e32 vcc_lo, 0, v26
	v_not_b32_e32 v5, v15
	v_ashrrev_i32_e32 v4, 31, v4
	s_wait_alu 0xf1ff
	v_xor_b32_e32 v23, s1, v23
	v_and_b32_e32 v3, v3, v13
	ds_store_b64 v0, v[6:7]
	v_cmp_gt_i32_e64 s1, 0, v15
	v_ashrrev_i32_e32 v0, 31, v5
	s_wait_alu 0xfffd
	v_xor_b32_e32 v4, vcc_lo, v4
	v_and_b32_e32 v3, v3, v23
	ds_store_b64 v1, v[9:10]
	ds_store_b64 v2, v[11:12]
	s_wait_loadcnt_dscnt 0x0
	s_wait_alu 0xf1ff
	v_xor_b32_e32 v9, s1, v0
	; wave barrier
	global_inv scope:SCOPE_SE
	v_and_b32_e32 v10, v3, v4
	ds_load_2addr_b64 v[4:7], v52 offset1:32
	ds_load_2addr_b64 v[0:3], v52 offset0:64 offset1:96
	v_lshl_add_u32 v25, v14, 2, v8
	; wave barrier
	s_wait_loadcnt_dscnt 0x0
	global_inv scope:SCOPE_SE
	v_dual_mov_b32 v10, 0 :: v_dual_and_b32 v9, v10, v9
	ds_store_2addr_b32 v42, v10, v10 offset0:1 offset1:2
	ds_store_2addr_b32 v42, v10, v10 offset0:3 offset1:4
	;; [unrolled: 1-line block ×4, first 2 shown]
	v_mbcnt_lo_u32_b32 v23, v9, 0
	v_cmp_ne_u32_e64 s1, 0, v9
	; wave barrier
	s_wait_loadcnt_dscnt 0x0
	global_inv scope:SCOPE_SE
	v_cmp_eq_u32_e32 vcc_lo, 0, v23
	; wave barrier
	s_and_b32 s5, s1, vcc_lo
	s_wait_alu 0xfffe
	s_and_saveexec_b32 s1, s5
; %bb.57:
	v_bcnt_u32_b32 v9, v9, 0
	ds_store_b32 v25, v9 offset:4
; %bb.58:
	s_wait_alu 0xfffe
	s_or_b32 exec_lo, exec_lo, s1
	v_lshrrev_b16 v9, 8, v21
	v_cmp_ne_u16_e32 vcc_lo, 0x8000, v21
	; wave barrier
	s_wait_alu 0xfffd
	s_delay_alu instid0(VALU_DEP_2) | instskip(NEXT) | instid1(VALU_DEP_1)
	v_cndmask_b32_e32 v9, 0x7f, v9, vcc_lo
	v_and_b32_e32 v9, s13, v9
	s_delay_alu instid0(VALU_DEP_1)
	v_and_b32_e32 v10, 1, v9
	v_lshlrev_b32_e32 v11, 30, v9
	v_lshlrev_b32_e32 v12, 29, v9
	;; [unrolled: 1-line block ×4, first 2 shown]
	v_add_co_u32 v10, s1, v10, -1
	s_wait_alu 0xf1ff
	v_cndmask_b32_e64 v14, 0, 1, s1
	v_not_b32_e32 v28, v11
	v_cmp_gt_i32_e64 s1, 0, v11
	v_not_b32_e32 v11, v12
	v_lshlrev_b32_e32 v26, 26, v9
	v_cmp_ne_u32_e32 vcc_lo, 0, v14
	v_ashrrev_i32_e32 v28, 31, v28
	v_lshlrev_b32_e32 v27, 25, v9
	v_ashrrev_i32_e32 v11, 31, v11
	v_lshlrev_b32_e32 v14, 24, v9
	s_wait_alu 0xfffd
	v_xor_b32_e32 v10, vcc_lo, v10
	v_cmp_gt_i32_e32 vcc_lo, 0, v12
	v_not_b32_e32 v12, v13
	s_wait_alu 0xf1ff
	v_xor_b32_e32 v28, s1, v28
	v_cmp_gt_i32_e64 s1, 0, v13
	v_and_b32_e32 v10, exec_lo, v10
	v_not_b32_e32 v13, v15
	v_ashrrev_i32_e32 v12, 31, v12
	s_wait_alu 0xfffd
	v_xor_b32_e32 v11, vcc_lo, v11
	v_cmp_gt_i32_e32 vcc_lo, 0, v15
	v_and_b32_e32 v10, v10, v28
	v_not_b32_e32 v15, v26
	v_ashrrev_i32_e32 v13, 31, v13
	s_wait_alu 0xf1ff
	v_xor_b32_e32 v12, s1, v12
	v_cmp_gt_i32_e64 s1, 0, v26
	v_and_b32_e32 v10, v10, v11
	v_not_b32_e32 v11, v27
	v_ashrrev_i32_e32 v15, 31, v15
	s_wait_alu 0xfffd
	v_xor_b32_e32 v13, vcc_lo, v13
	v_cmp_gt_i32_e32 vcc_lo, 0, v27
	v_and_b32_e32 v10, v10, v12
	v_not_b32_e32 v12, v14
	v_ashrrev_i32_e32 v11, 31, v11
	s_wait_alu 0xf1ff
	v_xor_b32_e32 v15, s1, v15
	v_cmp_gt_i32_e64 s1, 0, v14
	v_and_b32_e32 v10, v10, v13
	v_ashrrev_i32_e32 v12, 31, v12
	s_wait_alu 0xfffd
	v_xor_b32_e32 v11, vcc_lo, v11
	v_lshl_add_u32 v28, v9, 2, v8
	v_and_b32_e32 v10, v10, v15
	s_wait_alu 0xf1ff
	v_xor_b32_e32 v9, s1, v12
	ds_load_b32 v26, v28 offset:4
	v_and_b32_e32 v10, v10, v11
	; wave barrier
	s_delay_alu instid0(VALU_DEP_1) | instskip(NEXT) | instid1(VALU_DEP_1)
	v_and_b32_e32 v9, v10, v9
	v_mbcnt_lo_u32_b32 v27, v9, 0
	v_cmp_ne_u32_e64 s1, 0, v9
	s_delay_alu instid0(VALU_DEP_2)
	v_cmp_eq_u32_e32 vcc_lo, 0, v27
	s_and_b32 s5, s1, vcc_lo
	s_wait_alu 0xfffe
	s_and_saveexec_b32 s1, s5
	s_cbranch_execz .LBB233_60
; %bb.59:
	s_wait_dscnt 0x0
	v_bcnt_u32_b32 v9, v9, v26
	ds_store_b32 v28, v9 offset:4
.LBB233_60:
	s_wait_alu 0xfffe
	s_or_b32 exec_lo, exec_lo, s1
	v_lshrrev_b16 v9, 8, v22
	v_cmp_ne_u16_e32 vcc_lo, 0x8000, v22
	; wave barrier
	s_wait_alu 0xfffd
	s_delay_alu instid0(VALU_DEP_2) | instskip(NEXT) | instid1(VALU_DEP_1)
	v_cndmask_b32_e32 v9, 0x7f, v9, vcc_lo
	v_and_b32_e32 v9, s13, v9
	s_delay_alu instid0(VALU_DEP_1)
	v_and_b32_e32 v10, 1, v9
	v_lshlrev_b32_e32 v11, 30, v9
	v_lshlrev_b32_e32 v12, 29, v9
	;; [unrolled: 1-line block ×4, first 2 shown]
	v_add_co_u32 v10, s1, v10, -1
	s_wait_alu 0xf1ff
	v_cndmask_b32_e64 v14, 0, 1, s1
	v_not_b32_e32 v31, v11
	v_cmp_gt_i32_e64 s1, 0, v11
	v_not_b32_e32 v11, v12
	v_lshlrev_b32_e32 v29, 26, v9
	v_cmp_ne_u32_e32 vcc_lo, 0, v14
	v_ashrrev_i32_e32 v31, 31, v31
	v_lshlrev_b32_e32 v30, 25, v9
	v_ashrrev_i32_e32 v11, 31, v11
	v_lshlrev_b32_e32 v14, 24, v9
	s_wait_alu 0xfffd
	v_xor_b32_e32 v10, vcc_lo, v10
	v_cmp_gt_i32_e32 vcc_lo, 0, v12
	v_not_b32_e32 v12, v13
	s_wait_alu 0xf1ff
	v_xor_b32_e32 v31, s1, v31
	v_cmp_gt_i32_e64 s1, 0, v13
	v_and_b32_e32 v10, exec_lo, v10
	v_not_b32_e32 v13, v15
	v_ashrrev_i32_e32 v12, 31, v12
	s_wait_alu 0xfffd
	v_xor_b32_e32 v11, vcc_lo, v11
	v_cmp_gt_i32_e32 vcc_lo, 0, v15
	v_and_b32_e32 v10, v10, v31
	v_not_b32_e32 v15, v29
	v_ashrrev_i32_e32 v13, 31, v13
	s_wait_alu 0xf1ff
	v_xor_b32_e32 v12, s1, v12
	v_cmp_gt_i32_e64 s1, 0, v29
	v_and_b32_e32 v10, v10, v11
	v_not_b32_e32 v11, v30
	v_ashrrev_i32_e32 v15, 31, v15
	s_wait_alu 0xfffd
	v_xor_b32_e32 v13, vcc_lo, v13
	v_cmp_gt_i32_e32 vcc_lo, 0, v30
	v_and_b32_e32 v10, v10, v12
	v_not_b32_e32 v12, v14
	v_ashrrev_i32_e32 v11, 31, v11
	s_wait_alu 0xf1ff
	v_xor_b32_e32 v15, s1, v15
	v_cmp_gt_i32_e64 s1, 0, v14
	v_and_b32_e32 v10, v10, v13
	v_ashrrev_i32_e32 v12, 31, v12
	s_wait_alu 0xfffd
	v_xor_b32_e32 v11, vcc_lo, v11
	v_lshl_add_u32 v31, v9, 2, v8
	v_and_b32_e32 v10, v10, v15
	s_wait_alu 0xf1ff
	v_xor_b32_e32 v9, s1, v12
	ds_load_b32 v29, v31 offset:4
	v_and_b32_e32 v10, v10, v11
	; wave barrier
	s_delay_alu instid0(VALU_DEP_1) | instskip(NEXT) | instid1(VALU_DEP_1)
	v_and_b32_e32 v9, v10, v9
	v_mbcnt_lo_u32_b32 v30, v9, 0
	v_cmp_ne_u32_e64 s1, 0, v9
	s_delay_alu instid0(VALU_DEP_2)
	v_cmp_eq_u32_e32 vcc_lo, 0, v30
	s_and_b32 s5, s1, vcc_lo
	s_wait_alu 0xfffe
	s_and_saveexec_b32 s1, s5
	s_cbranch_execz .LBB233_62
; %bb.61:
	s_wait_dscnt 0x0
	v_bcnt_u32_b32 v9, v9, v29
	ds_store_b32 v31, v9 offset:4
.LBB233_62:
	s_wait_alu 0xfffe
	s_or_b32 exec_lo, exec_lo, s1
	v_lshrrev_b16 v9, 8, v24
	v_cmp_ne_u16_e32 vcc_lo, 0x8000, v24
	; wave barrier
	s_wait_alu 0xfffd
	s_delay_alu instid0(VALU_DEP_2) | instskip(NEXT) | instid1(VALU_DEP_1)
	v_cndmask_b32_e32 v9, 0x7f, v9, vcc_lo
	v_and_b32_e32 v9, s13, v9
	s_delay_alu instid0(VALU_DEP_1)
	v_and_b32_e32 v10, 1, v9
	v_lshlrev_b32_e32 v11, 30, v9
	v_lshlrev_b32_e32 v12, 29, v9
	;; [unrolled: 1-line block ×4, first 2 shown]
	v_add_co_u32 v10, s1, v10, -1
	s_wait_alu 0xf1ff
	v_cndmask_b32_e64 v14, 0, 1, s1
	v_not_b32_e32 v46, v11
	v_cmp_gt_i32_e64 s1, 0, v11
	v_not_b32_e32 v11, v12
	v_lshlrev_b32_e32 v43, 26, v9
	v_cmp_ne_u32_e32 vcc_lo, 0, v14
	v_ashrrev_i32_e32 v46, 31, v46
	v_lshlrev_b32_e32 v45, 25, v9
	v_ashrrev_i32_e32 v11, 31, v11
	v_lshlrev_b32_e32 v14, 24, v9
	s_wait_alu 0xfffd
	v_xor_b32_e32 v10, vcc_lo, v10
	v_cmp_gt_i32_e32 vcc_lo, 0, v12
	v_not_b32_e32 v12, v13
	s_wait_alu 0xf1ff
	v_xor_b32_e32 v46, s1, v46
	v_cmp_gt_i32_e64 s1, 0, v13
	v_and_b32_e32 v10, exec_lo, v10
	v_not_b32_e32 v13, v15
	v_ashrrev_i32_e32 v12, 31, v12
	s_wait_alu 0xfffd
	v_xor_b32_e32 v11, vcc_lo, v11
	v_cmp_gt_i32_e32 vcc_lo, 0, v15
	v_and_b32_e32 v10, v10, v46
	v_not_b32_e32 v15, v43
	v_ashrrev_i32_e32 v13, 31, v13
	s_wait_alu 0xf1ff
	v_xor_b32_e32 v12, s1, v12
	v_cmp_gt_i32_e64 s1, 0, v43
	v_and_b32_e32 v10, v10, v11
	v_not_b32_e32 v11, v45
	v_ashrrev_i32_e32 v15, 31, v15
	s_wait_alu 0xfffd
	v_xor_b32_e32 v13, vcc_lo, v13
	v_cmp_gt_i32_e32 vcc_lo, 0, v45
	v_and_b32_e32 v10, v10, v12
	v_not_b32_e32 v12, v14
	v_ashrrev_i32_e32 v11, 31, v11
	s_wait_alu 0xf1ff
	v_xor_b32_e32 v15, s1, v15
	v_cmp_gt_i32_e64 s1, 0, v14
	v_and_b32_e32 v10, v10, v13
	v_ashrrev_i32_e32 v12, 31, v12
	s_wait_alu 0xfffd
	v_xor_b32_e32 v11, vcc_lo, v11
	v_lshl_add_u32 v46, v9, 2, v8
	v_and_b32_e32 v10, v10, v15
	s_wait_alu 0xf1ff
	v_xor_b32_e32 v8, s1, v12
	ds_load_b32 v43, v46 offset:4
	v_and_b32_e32 v9, v10, v11
	; wave barrier
	s_delay_alu instid0(VALU_DEP_1) | instskip(NEXT) | instid1(VALU_DEP_1)
	v_and_b32_e32 v8, v9, v8
	v_mbcnt_lo_u32_b32 v45, v8, 0
	v_cmp_ne_u32_e64 s1, 0, v8
	s_delay_alu instid0(VALU_DEP_2)
	v_cmp_eq_u32_e32 vcc_lo, 0, v45
	s_and_b32 s5, s1, vcc_lo
	s_wait_alu 0xfffe
	s_and_saveexec_b32 s1, s5
	s_cbranch_execz .LBB233_64
; %bb.63:
	s_wait_dscnt 0x0
	v_bcnt_u32_b32 v8, v8, v43
	ds_store_b32 v46, v8 offset:4
.LBB233_64:
	s_wait_alu 0xfffe
	s_or_b32 exec_lo, exec_lo, s1
	; wave barrier
	; wave barrier
	s_wait_loadcnt_dscnt 0x0
	global_inv scope:SCOPE_SE
	ds_load_2addr_b32 v[14:15], v42 offset0:1 offset1:2
	ds_load_2addr_b32 v[12:13], v42 offset0:3 offset1:4
	;; [unrolled: 1-line block ×4, first 2 shown]
	s_wait_dscnt 0x3
	v_add_nc_u32_e32 v47, v15, v14
	s_wait_dscnt 0x2
	s_delay_alu instid0(VALU_DEP_1) | instskip(SKIP_1) | instid1(VALU_DEP_1)
	v_add3_u32 v47, v47, v12, v13
	s_wait_dscnt 0x1
	v_add3_u32 v47, v47, v10, v11
	s_wait_dscnt 0x0
	s_delay_alu instid0(VALU_DEP_1) | instskip(NEXT) | instid1(VALU_DEP_1)
	v_add3_u32 v9, v47, v8, v9
	v_mov_b32_dpp v47, v9 row_shr:1 row_mask:0xf bank_mask:0xf
	s_delay_alu instid0(VALU_DEP_1) | instskip(NEXT) | instid1(VALU_DEP_1)
	v_cndmask_b32_e64 v47, v47, 0, s6
	v_add_nc_u32_e32 v9, v47, v9
	s_delay_alu instid0(VALU_DEP_1) | instskip(NEXT) | instid1(VALU_DEP_1)
	v_mov_b32_dpp v47, v9 row_shr:2 row_mask:0xf bank_mask:0xf
	v_cndmask_b32_e64 v47, 0, v47, s7
	s_delay_alu instid0(VALU_DEP_1) | instskip(NEXT) | instid1(VALU_DEP_1)
	v_add_nc_u32_e32 v9, v9, v47
	v_mov_b32_dpp v47, v9 row_shr:4 row_mask:0xf bank_mask:0xf
	s_delay_alu instid0(VALU_DEP_1) | instskip(NEXT) | instid1(VALU_DEP_1)
	v_cndmask_b32_e64 v47, 0, v47, s8
	v_add_nc_u32_e32 v9, v9, v47
	s_delay_alu instid0(VALU_DEP_1) | instskip(NEXT) | instid1(VALU_DEP_1)
	v_mov_b32_dpp v47, v9 row_shr:8 row_mask:0xf bank_mask:0xf
	v_cndmask_b32_e64 v47, 0, v47, s9
	s_delay_alu instid0(VALU_DEP_1) | instskip(SKIP_3) | instid1(VALU_DEP_1)
	v_add_nc_u32_e32 v9, v9, v47
	ds_swizzle_b32 v47, v9 offset:swizzle(BROADCAST,32,15)
	s_wait_dscnt 0x0
	v_cndmask_b32_e64 v47, v47, 0, s11
	v_add_nc_u32_e32 v9, v9, v47
	s_and_saveexec_b32 s1, s10
; %bb.65:
	v_mov_b32_e32 v47, 0
	ds_store_b32 v47, v9
; %bb.66:
	s_wait_alu 0xfffe
	s_or_b32 exec_lo, exec_lo, s1
	ds_bpermute_b32 v9, v44, v9
	; wave barrier
	s_wait_loadcnt_dscnt 0x0
	global_inv scope:SCOPE_SE
	v_cndmask_b32_e64 v9, v9, 0, s15
	s_delay_alu instid0(VALU_DEP_1) | instskip(NEXT) | instid1(VALU_DEP_1)
	v_add_nc_u32_e32 v14, v9, v14
	v_add_nc_u32_e32 v15, v14, v15
	s_delay_alu instid0(VALU_DEP_1) | instskip(NEXT) | instid1(VALU_DEP_1)
	v_add_nc_u32_e32 v12, v15, v12
	v_add_nc_u32_e32 v13, v12, v13
	s_delay_alu instid0(VALU_DEP_1) | instskip(NEXT) | instid1(VALU_DEP_1)
	v_add_nc_u32_e32 v10, v13, v10
	v_add_nc_u32_e32 v11, v10, v11
	s_delay_alu instid0(VALU_DEP_1)
	v_add_nc_u32_e32 v8, v11, v8
	ds_store_2addr_b32 v42, v9, v14 offset0:1 offset1:2
	ds_store_2addr_b32 v42, v15, v12 offset0:3 offset1:4
	;; [unrolled: 1-line block ×4, first 2 shown]
	; wave barrier
	s_wait_loadcnt_dscnt 0x0
	global_inv scope:SCOPE_SE
	ds_load_b32 v8, v25 offset:4
	ds_load_b32 v9, v28 offset:4
	;; [unrolled: 1-line block ×4, first 2 shown]
	v_lshlrev_b32_e32 v12, 1, v41
	; wave barrier
	s_wait_loadcnt_dscnt 0x0
	global_inv scope:SCOPE_SE
	v_add_nc_u32_e32 v15, v8, v23
	v_add3_u32 v23, v27, v26, v9
	v_add3_u32 v25, v30, v29, v10
	v_add3_u32 v26, v45, v43, v11
	s_delay_alu instid0(VALU_DEP_4) | instskip(NEXT) | instid1(VALU_DEP_4)
	v_lshlrev_b32_e32 v8, 1, v15
	v_lshlrev_b32_e32 v9, 1, v23
	s_delay_alu instid0(VALU_DEP_4) | instskip(NEXT) | instid1(VALU_DEP_4)
	v_lshlrev_b32_e32 v10, 1, v25
	v_lshlrev_b32_e32 v11, 1, v26
	ds_store_b16 v8, v16
	ds_store_b16 v9, v21
	;; [unrolled: 1-line block ×4, first 2 shown]
	; wave barrier
	s_wait_loadcnt_dscnt 0x0
	global_inv scope:SCOPE_SE
	ds_load_b64 v[13:14], v12
	v_mad_co_u64_u32 v[15:16], null, v15, 6, v[8:9]
	v_mad_co_u64_u32 v[8:9], null, v23, 6, v[9:10]
	;; [unrolled: 1-line block ×3, first 2 shown]
	; wave barrier
	s_wait_loadcnt_dscnt 0x0
	global_inv scope:SCOPE_SE
	ds_store_b64 v15, v[4:5]
	ds_store_b64 v8, v[6:7]
	v_cmp_gt_i16_e32 vcc_lo, 0, v13
	v_lshrrev_b32_e32 v10, 16, v13
	v_lshrrev_b32_e32 v16, 16, v14
	s_wait_alu 0xfffd
	v_cndmask_b32_e64 v12, 0x7fff, 0, vcc_lo
	v_cmp_gt_i16_e32 vcc_lo, 0, v14
	s_wait_alu 0xfffd
	v_cndmask_b32_e64 v21, 0x7fff, 0, vcc_lo
	v_cmp_gt_i16_e32 vcc_lo, 0, v10
	v_mad_co_u64_u32 v[10:11], null, v26, 6, v[11:12]
	ds_store_b64 v9, v[0:1]
	ds_store_b64 v10, v[2:3]
	s_wait_alu 0xfffd
	v_cndmask_b32_e64 v22, 0x7fff, 0, vcc_lo
	v_cmp_gt_i16_e32 vcc_lo, 0, v16
	; wave barrier
	s_wait_loadcnt_dscnt 0x0
	global_inv scope:SCOPE_SE
	v_perm_b32 v11, v22, v12, 0x5040100
	s_wait_alu 0xfffd
	v_cndmask_b32_e64 v16, 0x7fff, 0, vcc_lo
	s_delay_alu instid0(VALU_DEP_2) | instskip(NEXT) | instid1(VALU_DEP_2)
	v_xor_b32_e32 v13, v11, v13
	v_perm_b32 v12, v16, v21, 0x5040100
	s_delay_alu instid0(VALU_DEP_1)
	v_xor_b32_e32 v14, v12, v14
.LBB233_67:
	ds_load_b128 v[0:3], v40
	ds_load_b128 v[4:7], v40 offset:16
	; wave barrier
	s_wait_loadcnt_dscnt 0x0
	global_inv scope:SCOPE_SE
	ds_store_2addr_b32 v35, v13, v14 offset1:1
	; wave barrier
	s_wait_loadcnt_dscnt 0x0
	global_inv scope:SCOPE_SE
	ds_load_u16 v12, v18 offset:64
	ds_load_u16 v11, v33 offset:128
	;; [unrolled: 1-line block ×3, first 2 shown]
	v_mov_b32_e32 v18, 0
	s_delay_alu instid0(VALU_DEP_1) | instskip(NEXT) | instid1(VALU_DEP_1)
	v_lshlrev_b64_e32 v[8:9], 1, v[17:18]
	v_add_co_u32 v8, vcc_lo, s18, v8
	s_wait_alu 0xfffd
	s_delay_alu instid0(VALU_DEP_2)
	v_add_co_ci_u32_e64 v9, null, s19, v9, vcc_lo
	s_and_saveexec_b32 s1, s2
	s_cbranch_execnz .LBB233_78
; %bb.68:
	s_wait_alu 0xfffe
	s_or_b32 exec_lo, exec_lo, s1
	s_and_saveexec_b32 s1, s3
	s_cbranch_execnz .LBB233_79
.LBB233_69:
	s_wait_alu 0xfffe
	s_or_b32 exec_lo, exec_lo, s1
	s_and_saveexec_b32 s1, s4
	s_cbranch_execnz .LBB233_80
.LBB233_70:
	s_wait_alu 0xfffe
	s_or_b32 exec_lo, exec_lo, s1
	s_and_saveexec_b32 s1, s0
	s_cbranch_execz .LBB233_72
.LBB233_71:
	s_mul_i32 s6, s14, 0x60
	s_mov_b32 s7, 0
	s_wait_alu 0xfffe
	s_lshl_b64 s[6:7], s[6:7], 1
	s_wait_alu 0xfffe
	v_add_co_u32 v8, vcc_lo, v8, s6
	s_wait_alu 0xfffd
	v_add_co_ci_u32_e64 v9, null, s7, v9, vcc_lo
	s_wait_dscnt 0x0
	global_store_b16 v[8:9], v10, off
.LBB233_72:
	s_wait_alu 0xfffe
	s_or_b32 exec_lo, exec_lo, s1
	s_wait_storecnt 0x0
	; wave barrier
	s_wait_loadcnt_dscnt 0x0
	global_inv scope:SCOPE_SE
	ds_store_2addr_b64 v39, v[0:1], v[2:3] offset1:1
	ds_store_2addr_b64 v39, v[4:5], v[6:7] offset0:2 offset1:3
	; wave barrier
	s_wait_loadcnt_dscnt 0x0
	global_inv scope:SCOPE_SE
	ds_load_b64 v[6:7], v20 offset:256
	ds_load_b64 v[4:5], v37 offset:512
	ds_load_b64 v[0:1], v38 offset:768
	v_mov_b32_e32 v20, 0
	s_delay_alu instid0(VALU_DEP_1) | instskip(NEXT) | instid1(VALU_DEP_1)
	v_lshlrev_b64_e32 v[2:3], 3, v[19:20]
	v_add_co_u32 v2, vcc_lo, s20, v2
	s_wait_alu 0xfffd
	s_delay_alu instid0(VALU_DEP_2)
	v_add_co_ci_u32_e64 v3, null, s21, v3, vcc_lo
	s_and_saveexec_b32 s1, s2
	s_cbranch_execnz .LBB233_81
; %bb.73:
	s_wait_alu 0xfffe
	s_or_b32 exec_lo, exec_lo, s1
	s_and_saveexec_b32 s1, s3
	s_cbranch_execnz .LBB233_82
.LBB233_74:
	s_wait_alu 0xfffe
	s_or_b32 exec_lo, exec_lo, s1
	s_and_saveexec_b32 s1, s4
	s_cbranch_execnz .LBB233_83
.LBB233_75:
	s_wait_alu 0xfffe
	s_or_b32 exec_lo, exec_lo, s1
	s_and_saveexec_b32 s1, s0
	s_cbranch_execz .LBB233_77
.LBB233_76:
	s_mul_i32 s0, s16, 0x60
	s_mov_b32 s1, 0
	s_wait_alu 0xfffe
	s_lshl_b64 s[0:1], s[0:1], 3
	s_wait_alu 0xfffe
	v_add_co_u32 v2, vcc_lo, v2, s0
	s_wait_alu 0xfffd
	v_add_co_ci_u32_e64 v3, null, s1, v3, vcc_lo
	s_wait_dscnt 0x0
	global_store_b64 v[2:3], v[0:1], off
.LBB233_77:
	s_endpgm
.LBB233_78:
	ds_load_u16 v13, v32
	s_wait_dscnt 0x0
	global_store_b16 v[8:9], v13, off
	s_wait_alu 0xfffe
	s_or_b32 exec_lo, exec_lo, s1
	s_and_saveexec_b32 s1, s3
	s_cbranch_execz .LBB233_69
.LBB233_79:
	s_lshl_b32 s6, s14, 5
	s_mov_b32 s7, 0
	s_wait_alu 0xfffe
	s_lshl_b64 s[6:7], s[6:7], 1
	s_wait_alu 0xfffe
	v_add_co_u32 v13, vcc_lo, v8, s6
	s_wait_alu 0xfffd
	v_add_co_ci_u32_e64 v14, null, s7, v9, vcc_lo
	s_wait_dscnt 0x2
	global_store_b16 v[13:14], v12, off
	s_or_b32 exec_lo, exec_lo, s1
	s_and_saveexec_b32 s1, s4
	s_cbranch_execz .LBB233_70
.LBB233_80:
	s_lshl_b32 s6, s14, 6
	s_mov_b32 s7, 0
	s_wait_alu 0xfffe
	s_lshl_b64 s[6:7], s[6:7], 1
	s_wait_dscnt 0x2
	s_wait_alu 0xfffe
	v_add_co_u32 v12, vcc_lo, v8, s6
	s_wait_alu 0xfffd
	v_add_co_ci_u32_e64 v13, null, s7, v9, vcc_lo
	s_wait_dscnt 0x1
	global_store_b16 v[12:13], v11, off
	s_or_b32 exec_lo, exec_lo, s1
	s_and_saveexec_b32 s1, s0
	s_cbranch_execnz .LBB233_71
	s_branch .LBB233_72
.LBB233_81:
	ds_load_b64 v[8:9], v36
	s_wait_dscnt 0x0
	global_store_b64 v[2:3], v[8:9], off
	s_wait_alu 0xfffe
	s_or_b32 exec_lo, exec_lo, s1
	s_and_saveexec_b32 s1, s3
	s_cbranch_execz .LBB233_74
.LBB233_82:
	s_lshl_b32 s2, s16, 5
	s_mov_b32 s3, 0
	s_delay_alu instid0(SALU_CYCLE_1) | instskip(NEXT) | instid1(SALU_CYCLE_1)
	s_lshl_b64 s[2:3], s[2:3], 3
	v_add_co_u32 v8, vcc_lo, v2, s2
	s_wait_alu 0xfffd
	v_add_co_ci_u32_e64 v9, null, s3, v3, vcc_lo
	s_wait_dscnt 0x2
	global_store_b64 v[8:9], v[6:7], off
	s_wait_alu 0xfffe
	s_or_b32 exec_lo, exec_lo, s1
	s_and_saveexec_b32 s1, s4
	s_cbranch_execz .LBB233_75
.LBB233_83:
	s_lshl_b32 s2, s16, 6
	s_mov_b32 s3, 0
	s_wait_alu 0xfffe
	s_lshl_b64 s[2:3], s[2:3], 3
	s_wait_dscnt 0x2
	s_wait_alu 0xfffe
	v_add_co_u32 v6, vcc_lo, v2, s2
	s_wait_alu 0xfffd
	v_add_co_ci_u32_e64 v7, null, s3, v3, vcc_lo
	s_wait_dscnt 0x1
	global_store_b64 v[6:7], v[4:5], off
	s_or_b32 exec_lo, exec_lo, s1
	s_and_saveexec_b32 s1, s0
	s_cbranch_execnz .LBB233_76
	s_branch .LBB233_77
	.section	.rodata,"a",@progbits
	.p2align	6, 0x0
	.amdhsa_kernel _ZN2at6native18radixSortKVInPlaceILin1ELin1ELi32ELi4EN3c104HalfEljEEvNS_4cuda6detail10TensorInfoIT3_T5_EES8_S8_S8_NS6_IT4_S8_EES8_b
		.amdhsa_group_segment_fixed_size 1056
		.amdhsa_private_segment_fixed_size 0
		.amdhsa_kernarg_size 712
		.amdhsa_user_sgpr_count 2
		.amdhsa_user_sgpr_dispatch_ptr 0
		.amdhsa_user_sgpr_queue_ptr 0
		.amdhsa_user_sgpr_kernarg_segment_ptr 1
		.amdhsa_user_sgpr_dispatch_id 0
		.amdhsa_user_sgpr_private_segment_size 0
		.amdhsa_wavefront_size32 1
		.amdhsa_uses_dynamic_stack 0
		.amdhsa_enable_private_segment 0
		.amdhsa_system_sgpr_workgroup_id_x 1
		.amdhsa_system_sgpr_workgroup_id_y 1
		.amdhsa_system_sgpr_workgroup_id_z 1
		.amdhsa_system_sgpr_workgroup_info 0
		.amdhsa_system_vgpr_workitem_id 2
		.amdhsa_next_free_vgpr 94
		.amdhsa_next_free_sgpr 24
		.amdhsa_reserve_vcc 1
		.amdhsa_float_round_mode_32 0
		.amdhsa_float_round_mode_16_64 0
		.amdhsa_float_denorm_mode_32 3
		.amdhsa_float_denorm_mode_16_64 3
		.amdhsa_fp16_overflow 0
		.amdhsa_workgroup_processor_mode 1
		.amdhsa_memory_ordered 1
		.amdhsa_forward_progress 1
		.amdhsa_inst_pref_size 111
		.amdhsa_round_robin_scheduling 0
		.amdhsa_exception_fp_ieee_invalid_op 0
		.amdhsa_exception_fp_denorm_src 0
		.amdhsa_exception_fp_ieee_div_zero 0
		.amdhsa_exception_fp_ieee_overflow 0
		.amdhsa_exception_fp_ieee_underflow 0
		.amdhsa_exception_fp_ieee_inexact 0
		.amdhsa_exception_int_div_zero 0
	.end_amdhsa_kernel
	.section	.text._ZN2at6native18radixSortKVInPlaceILin1ELin1ELi32ELi4EN3c104HalfEljEEvNS_4cuda6detail10TensorInfoIT3_T5_EES8_S8_S8_NS6_IT4_S8_EES8_b,"axG",@progbits,_ZN2at6native18radixSortKVInPlaceILin1ELin1ELi32ELi4EN3c104HalfEljEEvNS_4cuda6detail10TensorInfoIT3_T5_EES8_S8_S8_NS6_IT4_S8_EES8_b,comdat
.Lfunc_end233:
	.size	_ZN2at6native18radixSortKVInPlaceILin1ELin1ELi32ELi4EN3c104HalfEljEEvNS_4cuda6detail10TensorInfoIT3_T5_EES8_S8_S8_NS6_IT4_S8_EES8_b, .Lfunc_end233-_ZN2at6native18radixSortKVInPlaceILin1ELin1ELi32ELi4EN3c104HalfEljEEvNS_4cuda6detail10TensorInfoIT3_T5_EES8_S8_S8_NS6_IT4_S8_EES8_b
                                        ; -- End function
	.set _ZN2at6native18radixSortKVInPlaceILin1ELin1ELi32ELi4EN3c104HalfEljEEvNS_4cuda6detail10TensorInfoIT3_T5_EES8_S8_S8_NS6_IT4_S8_EES8_b.num_vgpr, 94
	.set _ZN2at6native18radixSortKVInPlaceILin1ELin1ELi32ELi4EN3c104HalfEljEEvNS_4cuda6detail10TensorInfoIT3_T5_EES8_S8_S8_NS6_IT4_S8_EES8_b.num_agpr, 0
	.set _ZN2at6native18radixSortKVInPlaceILin1ELin1ELi32ELi4EN3c104HalfEljEEvNS_4cuda6detail10TensorInfoIT3_T5_EES8_S8_S8_NS6_IT4_S8_EES8_b.numbered_sgpr, 24
	.set _ZN2at6native18radixSortKVInPlaceILin1ELin1ELi32ELi4EN3c104HalfEljEEvNS_4cuda6detail10TensorInfoIT3_T5_EES8_S8_S8_NS6_IT4_S8_EES8_b.num_named_barrier, 0
	.set _ZN2at6native18radixSortKVInPlaceILin1ELin1ELi32ELi4EN3c104HalfEljEEvNS_4cuda6detail10TensorInfoIT3_T5_EES8_S8_S8_NS6_IT4_S8_EES8_b.private_seg_size, 0
	.set _ZN2at6native18radixSortKVInPlaceILin1ELin1ELi32ELi4EN3c104HalfEljEEvNS_4cuda6detail10TensorInfoIT3_T5_EES8_S8_S8_NS6_IT4_S8_EES8_b.uses_vcc, 1
	.set _ZN2at6native18radixSortKVInPlaceILin1ELin1ELi32ELi4EN3c104HalfEljEEvNS_4cuda6detail10TensorInfoIT3_T5_EES8_S8_S8_NS6_IT4_S8_EES8_b.uses_flat_scratch, 0
	.set _ZN2at6native18radixSortKVInPlaceILin1ELin1ELi32ELi4EN3c104HalfEljEEvNS_4cuda6detail10TensorInfoIT3_T5_EES8_S8_S8_NS6_IT4_S8_EES8_b.has_dyn_sized_stack, 0
	.set _ZN2at6native18radixSortKVInPlaceILin1ELin1ELi32ELi4EN3c104HalfEljEEvNS_4cuda6detail10TensorInfoIT3_T5_EES8_S8_S8_NS6_IT4_S8_EES8_b.has_recursion, 0
	.set _ZN2at6native18radixSortKVInPlaceILin1ELin1ELi32ELi4EN3c104HalfEljEEvNS_4cuda6detail10TensorInfoIT3_T5_EES8_S8_S8_NS6_IT4_S8_EES8_b.has_indirect_call, 0
	.section	.AMDGPU.csdata,"",@progbits
; Kernel info:
; codeLenInByte = 14184
; TotalNumSgprs: 26
; NumVgprs: 94
; ScratchSize: 0
; MemoryBound: 0
; FloatMode: 240
; IeeeMode: 1
; LDSByteSize: 1056 bytes/workgroup (compile time only)
; SGPRBlocks: 0
; VGPRBlocks: 11
; NumSGPRsForWavesPerEU: 26
; NumVGPRsForWavesPerEU: 94
; Occupancy: 16
; WaveLimiterHint : 1
; COMPUTE_PGM_RSRC2:SCRATCH_EN: 0
; COMPUTE_PGM_RSRC2:USER_SGPR: 2
; COMPUTE_PGM_RSRC2:TRAP_HANDLER: 0
; COMPUTE_PGM_RSRC2:TGID_X_EN: 1
; COMPUTE_PGM_RSRC2:TGID_Y_EN: 1
; COMPUTE_PGM_RSRC2:TGID_Z_EN: 1
; COMPUTE_PGM_RSRC2:TIDIG_COMP_CNT: 2
	.section	.text._ZN2at6native18radixSortKVInPlaceILin1ELin1ELi16ELi2EN3c104HalfEljEEvNS_4cuda6detail10TensorInfoIT3_T5_EES8_S8_S8_NS6_IT4_S8_EES8_b,"axG",@progbits,_ZN2at6native18radixSortKVInPlaceILin1ELin1ELi16ELi2EN3c104HalfEljEEvNS_4cuda6detail10TensorInfoIT3_T5_EES8_S8_S8_NS6_IT4_S8_EES8_b,comdat
	.protected	_ZN2at6native18radixSortKVInPlaceILin1ELin1ELi16ELi2EN3c104HalfEljEEvNS_4cuda6detail10TensorInfoIT3_T5_EES8_S8_S8_NS6_IT4_S8_EES8_b ; -- Begin function _ZN2at6native18radixSortKVInPlaceILin1ELin1ELi16ELi2EN3c104HalfEljEEvNS_4cuda6detail10TensorInfoIT3_T5_EES8_S8_S8_NS6_IT4_S8_EES8_b
	.globl	_ZN2at6native18radixSortKVInPlaceILin1ELin1ELi16ELi2EN3c104HalfEljEEvNS_4cuda6detail10TensorInfoIT3_T5_EES8_S8_S8_NS6_IT4_S8_EES8_b
	.p2align	8
	.type	_ZN2at6native18radixSortKVInPlaceILin1ELin1ELi16ELi2EN3c104HalfEljEEvNS_4cuda6detail10TensorInfoIT3_T5_EES8_S8_S8_NS6_IT4_S8_EES8_b,@function
_ZN2at6native18radixSortKVInPlaceILin1ELin1ELi16ELi2EN3c104HalfEljEEvNS_4cuda6detail10TensorInfoIT3_T5_EES8_S8_S8_NS6_IT4_S8_EES8_b: ; @_ZN2at6native18radixSortKVInPlaceILin1ELin1ELi16ELi2EN3c104HalfEljEEvNS_4cuda6detail10TensorInfoIT3_T5_EES8_S8_S8_NS6_IT4_S8_EES8_b
; %bb.0:
	s_clause 0x1
	s_load_b64 s[2:3], s[0:1], 0x1c8
	s_load_b96 s[8:10], s[0:1], 0xd8
	s_lshr_b32 s4, ttmp7, 16
	s_wait_kmcnt 0x0
	s_mul_i32 s3, s3, s4
	s_and_b32 s4, ttmp7, 0xffff
	s_delay_alu instid0(SALU_CYCLE_1) | instskip(NEXT) | instid1(SALU_CYCLE_1)
	s_add_co_i32 s3, s3, s4
	s_mul_i32 s2, s3, s2
	s_delay_alu instid0(SALU_CYCLE_1) | instskip(NEXT) | instid1(SALU_CYCLE_1)
	s_add_co_i32 s11, s2, ttmp9
	s_cmp_ge_u32 s11, s8
	s_cbranch_scc1 .LBB234_115
; %bb.1:
	s_load_b32 s4, s[0:1], 0xd0
	s_mov_b32 s3, 0
	s_mov_b32 s2, s11
	s_wait_kmcnt 0x0
	s_cmp_lt_i32 s4, 2
	s_cbranch_scc1 .LBB234_4
; %bb.2:
	s_add_co_i32 s2, s4, -1
	s_delay_alu instid0(SALU_CYCLE_1)
	s_lshl_b64 s[6:7], s[2:3], 2
	s_mov_b32 s2, s11
	s_add_nc_u64 s[12:13], s[0:1], s[6:7]
	s_add_co_i32 s6, s4, 1
	s_add_nc_u64 s[4:5], s[12:13], 8
.LBB234_3:                              ; =>This Inner Loop Header: Depth=1
	s_clause 0x1
	s_load_b32 s7, s[4:5], 0x0
	s_load_b32 s8, s[4:5], 0x64
	s_mov_b32 s14, s2
	s_add_nc_u64 s[4:5], s[4:5], -4
	s_wait_kmcnt 0x0
	s_cvt_f32_u32 s12, s7
	s_sub_co_i32 s13, 0, s7
	s_wait_alu 0xfffe
	s_delay_alu instid0(SALU_CYCLE_1) | instskip(NEXT) | instid1(TRANS32_DEP_1)
	v_rcp_iflag_f32_e32 v1, s12
	v_readfirstlane_b32 s12, v1
	s_mul_f32 s12, s12, 0x4f7ffffe
	s_wait_alu 0xfffe
	s_delay_alu instid0(SALU_CYCLE_2) | instskip(SKIP_1) | instid1(SALU_CYCLE_2)
	s_cvt_u32_f32 s12, s12
	s_wait_alu 0xfffe
	s_mul_i32 s13, s13, s12
	s_wait_alu 0xfffe
	s_mul_hi_u32 s13, s12, s13
	s_wait_alu 0xfffe
	s_add_co_i32 s12, s12, s13
	s_wait_alu 0xfffe
	s_mul_hi_u32 s2, s2, s12
	s_delay_alu instid0(SALU_CYCLE_1)
	s_mul_i32 s12, s2, s7
	s_add_co_i32 s13, s2, 1
	s_wait_alu 0xfffe
	s_sub_co_i32 s12, s14, s12
	s_wait_alu 0xfffe
	s_sub_co_i32 s15, s12, s7
	s_cmp_ge_u32 s12, s7
	s_cselect_b32 s2, s13, s2
	s_cselect_b32 s12, s15, s12
	s_add_co_i32 s13, s2, 1
	s_wait_alu 0xfffe
	s_cmp_ge_u32 s12, s7
	s_cselect_b32 s2, s13, s2
	s_add_co_i32 s6, s6, -1
	s_mul_i32 s7, s2, s7
	s_delay_alu instid0(SALU_CYCLE_1) | instskip(NEXT) | instid1(SALU_CYCLE_1)
	s_sub_co_i32 s7, s14, s7
	s_mul_i32 s7, s8, s7
	s_delay_alu instid0(SALU_CYCLE_1)
	s_add_co_i32 s3, s7, s3
	s_cmp_gt_u32 s6, 2
	s_cbranch_scc1 .LBB234_3
.LBB234_4:
	s_load_b32 s6, s[0:1], 0x1b8
	s_mov_b32 s5, 0
	s_wait_kmcnt 0x0
	s_cmp_lt_i32 s6, 2
	s_cbranch_scc1 .LBB234_7
; %bb.5:
	s_add_co_i32 s4, s6, -1
	s_delay_alu instid0(SALU_CYCLE_1)
	s_lshl_b64 s[12:13], s[4:5], 2
	s_add_co_i32 s4, s6, 1
	s_wait_alu 0xfffe
	s_add_nc_u64 s[12:13], s[0:1], s[12:13]
	s_wait_alu 0xfffe
	s_add_nc_u64 s[6:7], s[12:13], 0xf0
.LBB234_6:                              ; =>This Inner Loop Header: Depth=1
	s_clause 0x1
	s_load_b32 s8, s[6:7], 0x0
	s_load_b32 s12, s[6:7], 0x64
	s_mov_b32 s15, s11
	s_add_nc_u64 s[6:7], s[6:7], -4
	s_wait_kmcnt 0x0
	s_cvt_f32_u32 s13, s8
	s_sub_co_i32 s14, 0, s8
	s_wait_alu 0xfffe
	s_delay_alu instid0(SALU_CYCLE_1) | instskip(NEXT) | instid1(TRANS32_DEP_1)
	v_rcp_iflag_f32_e32 v1, s13
	v_readfirstlane_b32 s13, v1
	s_mul_f32 s13, s13, 0x4f7ffffe
	s_wait_alu 0xfffe
	s_delay_alu instid0(SALU_CYCLE_2) | instskip(SKIP_1) | instid1(SALU_CYCLE_2)
	s_cvt_u32_f32 s13, s13
	s_wait_alu 0xfffe
	s_mul_i32 s14, s14, s13
	s_delay_alu instid0(SALU_CYCLE_1) | instskip(NEXT) | instid1(SALU_CYCLE_1)
	s_mul_hi_u32 s14, s13, s14
	s_add_co_i32 s13, s13, s14
	s_wait_alu 0xfffe
	s_mul_hi_u32 s11, s11, s13
	s_delay_alu instid0(SALU_CYCLE_1)
	s_mul_i32 s13, s11, s8
	s_add_co_i32 s14, s11, 1
	s_wait_alu 0xfffe
	s_sub_co_i32 s13, s15, s13
	s_wait_alu 0xfffe
	s_sub_co_i32 s16, s13, s8
	s_cmp_ge_u32 s13, s8
	s_cselect_b32 s11, s14, s11
	s_cselect_b32 s13, s16, s13
	s_add_co_i32 s14, s11, 1
	s_wait_alu 0xfffe
	s_cmp_ge_u32 s13, s8
	s_cselect_b32 s11, s14, s11
	s_add_co_i32 s4, s4, -1
	s_mul_i32 s8, s11, s8
	s_delay_alu instid0(SALU_CYCLE_1) | instskip(NEXT) | instid1(SALU_CYCLE_1)
	s_sub_co_i32 s8, s15, s8
	s_mul_i32 s8, s12, s8
	s_delay_alu instid0(SALU_CYCLE_1)
	s_add_co_i32 s5, s8, s5
	s_cmp_gt_u32 s4, 2
	s_cbranch_scc1 .LBB234_6
.LBB234_7:
	s_clause 0x2
	s_load_b32 s4, s[0:1], 0x6c
	s_load_b64 s[12:13], s[0:1], 0x1c0
	s_load_b64 s[6:7], s[0:1], 0x0
	v_mul_lo_u32 v20, s10, v0
	s_mov_b32 s15, 0
	s_wait_kmcnt 0x0
	s_mul_i32 s2, s4, s2
	s_delay_alu instid0(SALU_CYCLE_1) | instskip(SKIP_3) | instid1(SALU_CYCLE_1)
	s_add_co_i32 s14, s2, s3
	s_bitcmp1_b32 s13, 0
	s_mov_b32 s2, 0xffff
	s_cselect_b32 s3, -1, 0
	s_and_b32 s4, s3, exec_lo
	s_cselect_b32 s8, s2, 0x7fff
	v_cmp_gt_u32_e64 s2, s9, v0
	v_mov_b32_e32 v1, s8
	s_lshl_b64 s[14:15], s[14:15], 1
	s_delay_alu instid0(SALU_CYCLE_1)
	s_add_nc_u64 s[14:15], s[6:7], s[14:15]
	s_and_saveexec_b32 s4, s2
	s_cbranch_execz .LBB234_9
; %bb.8:
	v_mov_b32_e32 v21, 0
	s_delay_alu instid0(VALU_DEP_1) | instskip(NEXT) | instid1(VALU_DEP_1)
	v_lshlrev_b64_e32 v[1:2], 1, v[20:21]
	v_add_co_u32 v1, vcc_lo, s14, v1
	s_delay_alu instid0(VALU_DEP_1)
	v_add_co_ci_u32_e64 v2, null, s15, v2, vcc_lo
	global_load_u16 v1, v[1:2], off
.LBB234_9:
	s_or_b32 exec_lo, exec_lo, s4
	s_clause 0x1
	s_load_b32 s4, s[0:1], 0x154
	s_load_b64 s[6:7], s[0:1], 0xe8
	v_or_b32_e32 v3, 16, v0
	v_mov_b32_e32 v2, s8
	s_delay_alu instid0(VALU_DEP_2)
	v_cmp_gt_u32_e64 s0, s9, v3
	s_and_saveexec_b32 s1, s0
	s_cbranch_execz .LBB234_11
; %bb.10:
	v_mul_lo_u32 v4, s10, v3
	v_mov_b32_e32 v5, 0
	s_delay_alu instid0(VALU_DEP_1) | instskip(NEXT) | instid1(VALU_DEP_1)
	v_lshlrev_b64_e32 v[4:5], 1, v[4:5]
	v_add_co_u32 v4, vcc_lo, s14, v4
	s_wait_alu 0xfffd
	s_delay_alu instid0(VALU_DEP_2)
	v_add_co_ci_u32_e64 v5, null, s15, v5, vcc_lo
	global_load_u16 v2, v[4:5], off
.LBB234_11:
	s_or_b32 exec_lo, exec_lo, s1
	v_lshlrev_b32_e32 v22, 1, v0
	v_dual_mov_b32 v18, 0 :: v_dual_lshlrev_b32 v21, 2, v0
	s_wait_kmcnt 0x0
	s_mul_i32 s1, s4, s11
	v_mul_lo_u32 v17, s12, v0
	s_wait_loadcnt 0x0
	ds_store_b16 v22, v1
	ds_store_b16 v22, v2 offset:32
	s_wait_dscnt 0x0
	; wave barrier
	global_inv scope:SCOPE_SE
	ds_load_b32 v27, v21
	s_add_co_i32 s4, s1, s5
	s_mov_b32 s5, 0
	v_mov_b32_e32 v1, 0
	v_dual_mov_b32 v2, 0 :: v_dual_mov_b32 v19, v18
	s_lshl_b64 s[4:5], s[4:5], 3
	s_wait_loadcnt_dscnt 0x0
	s_add_nc_u64 s[8:9], s[6:7], s[4:5]
	; wave barrier
	global_inv scope:SCOPE_SE
	s_and_saveexec_b32 s1, s2
	s_cbranch_execz .LBB234_13
; %bb.12:
	v_lshlrev_b64_e32 v[1:2], 3, v[17:18]
	v_mov_b32_e32 v19, v18
	s_wait_alu 0xfffe
	s_delay_alu instid0(VALU_DEP_2) | instskip(SKIP_1) | instid1(VALU_DEP_3)
	v_add_co_u32 v1, vcc_lo, s8, v1
	s_wait_alu 0xfffd
	v_add_co_ci_u32_e64 v2, null, s9, v2, vcc_lo
	global_load_b64 v[1:2], v[1:2], off
.LBB234_13:
	s_or_b32 exec_lo, exec_lo, s1
	s_xor_b32 s16, s3, -1
	s_and_saveexec_b32 s1, s0
	s_cbranch_execz .LBB234_15
; %bb.14:
	v_mul_lo_u32 v3, s12, v3
	v_mov_b32_e32 v4, 0
	s_delay_alu instid0(VALU_DEP_1) | instskip(SKIP_1) | instid1(VALU_DEP_1)
	v_lshlrev_b64_e32 v[3:4], 3, v[3:4]
	s_wait_alu 0xfffe
	v_add_co_u32 v3, vcc_lo, s8, v3
	s_wait_alu 0xfffd
	s_delay_alu instid0(VALU_DEP_2)
	v_add_co_ci_u32_e64 v4, null, s9, v4, vcc_lo
	global_load_b64 v[18:19], v[3:4], off
.LBB234_15:
	s_or_b32 exec_lo, exec_lo, s1
	v_mbcnt_lo_u32_b32 v5, -1, 0
	v_lshlrev_b32_e32 v23, 3, v0
	s_getpc_b64 s[4:5]
	s_sext_i32_i16 s5, s5
	s_add_co_u32 s4, s4, _ZN7rocprim17ROCPRIM_400000_NS16block_radix_sortI6__halfLj16ELj2ElLj1ELj1ELj0ELNS0_26block_radix_rank_algorithmE1ELNS0_18block_padding_hintE2ELNS0_4arch9wavefront6targetE0EE19radix_bits_per_passE@rel32@lo+8
	s_add_co_ci_u32 s5, s5, _ZN7rocprim17ROCPRIM_400000_NS16block_radix_sortI6__halfLj16ELj2ElLj1ELj1ELj0ELNS0_26block_radix_rank_algorithmE1ELNS0_18block_padding_hintE2ELNS0_4arch9wavefront6targetE0EE19radix_bits_per_passE@rel32@hi+16
	v_lshlrev_b32_e32 v25, 5, v0
	s_load_b32 s13, s[4:5], 0x0
	v_sub_co_u32 v7, s11, v5, 1
	v_and_b32_e32 v8, 16, v5
	s_wait_loadcnt 0x0
	ds_store_2addr_b64 v23, v[1:2], v[18:19] offset1:16
	s_wait_dscnt 0x0
	; wave barrier
	global_inv scope:SCOPE_SE
	v_and_b32_e32 v6, 15, v5
	v_cmp_lt_i32_e32 vcc_lo, v7, v8
	v_lshlrev_b32_e32 v24, 3, v22
	v_mad_i32_i24 v19, 0xffffffe4, v0, v25
	v_lshrrev_b32_e32 v28, 16, v27
	v_cmp_gt_u32_e64 s7, 0x80, v0
	s_wait_alu 0xfffd
	v_cndmask_b32_e32 v5, v7, v5, vcc_lo
	ds_load_2addr_b64 v[1:4], v24 offset1:1
	v_cmp_eq_u32_e64 s5, 0, v6
	v_cmp_lt_u32_e64 s3, 1, v6
	v_cmp_lt_u32_e64 s6, 3, v6
	;; [unrolled: 1-line block ×3, first 2 shown]
	v_cmp_eq_u32_e64 s1, 15, v0
	v_lshlrev_b32_e32 v26, 2, v5
	v_mad_u32_u24 v18, v0, 12, v19
	s_and_b32 vcc_lo, exec_lo, s16
	s_mov_b32 s16, -1
	; wave barrier
	s_wait_loadcnt_dscnt 0x0
	global_inv scope:SCOPE_SE
	s_wait_alu 0xfffe
	s_cbranch_vccz .LBB234_61
; %bb.16:
	s_and_saveexec_b32 s16, s7
	s_cbranch_execz .LBB234_25
; %bb.17:
	v_mov_b32_e32 v5, 0
	v_cmp_gt_u32_e32 vcc_lo, 0x70, v0
	ds_store_b32 v21, v5
	s_and_b32 exec_lo, exec_lo, vcc_lo
	s_cbranch_execz .LBB234_25
; %bb.18:
	v_cmp_gt_u32_e32 vcc_lo, 0x60, v0
	ds_store_b32 v21, v5 offset:64
	s_and_b32 exec_lo, exec_lo, vcc_lo
	s_cbranch_execz .LBB234_25
; %bb.19:
	v_mov_b32_e32 v5, 0
	v_cmp_gt_u32_e32 vcc_lo, 0x50, v0
	ds_store_b32 v21, v5 offset:128
	s_and_b32 exec_lo, exec_lo, vcc_lo
	s_cbranch_execz .LBB234_25
; %bb.20:
	v_cmp_gt_u32_e32 vcc_lo, 64, v0
	ds_store_b32 v21, v5 offset:192
	s_and_b32 exec_lo, exec_lo, vcc_lo
	s_cbranch_execz .LBB234_25
; %bb.21:
	v_mov_b32_e32 v5, 0
	v_cmp_gt_u32_e32 vcc_lo, 48, v0
	ds_store_b32 v21, v5 offset:256
	;; [unrolled: 11-line block ×3, first 2 shown]
	s_and_b32 exec_lo, exec_lo, vcc_lo
; %bb.24:
	ds_store_b32 v21, v5 offset:448
.LBB234_25:
	s_or_b32 exec_lo, exec_lo, s16
	v_cmp_lt_i16_e32 vcc_lo, -1, v27
	s_wait_kmcnt 0x0
	s_min_u32 s16, s13, 16
	s_delay_alu instid0(SALU_CYCLE_1) | instskip(NEXT) | instid1(SALU_CYCLE_1)
	s_lshl_b32 s16, -1, s16
	s_not_b32 s16, s16
	s_wait_alu 0xfffd
	v_cndmask_b32_e64 v5, -1, 0xffff8000, vcc_lo
	s_delay_alu instid0(VALU_DEP_1) | instskip(NEXT) | instid1(VALU_DEP_1)
	v_xor_b32_e32 v13, v5, v27
	v_cmp_ne_u16_e32 vcc_lo, 0x7fff, v13
	s_wait_alu 0xfffd
	v_cndmask_b32_e32 v5, 0xffff8000, v13, vcc_lo
	v_cmp_lt_i16_e32 vcc_lo, -1, v28
	s_delay_alu instid0(VALU_DEP_2) | instskip(SKIP_2) | instid1(VALU_DEP_2)
	v_and_b32_e32 v5, 0xffff, v5
	s_wait_alu 0xfffd
	v_cndmask_b32_e64 v7, -1, 0xffff8000, vcc_lo
	v_and_b32_e32 v5, s16, v5
	s_delay_alu instid0(VALU_DEP_2) | instskip(NEXT) | instid1(VALU_DEP_1)
	v_xor_b32_e32 v14, v7, v28
	v_cmp_ne_u16_e32 vcc_lo, 0x7fff, v14
	s_delay_alu instid0(VALU_DEP_3) | instskip(SKIP_1) | instid1(VALU_DEP_2)
	v_lshlrev_b32_e32 v6, 4, v5
	v_lshrrev_b32_e32 v5, 2, v5
	v_and_or_b32 v6, 0x70, v6, v0
	s_delay_alu instid0(VALU_DEP_2) | instskip(NEXT) | instid1(VALU_DEP_1)
	v_and_b32_e32 v5, 0x3ffe, v5
	v_lshl_add_u32 v15, v6, 2, v5
	s_wait_alu 0xfffd
	v_cndmask_b32_e32 v5, 0xffff8000, v14, vcc_lo
	ds_load_u16 v16, v15
	v_and_b32_e32 v5, 0xffff, v5
	s_delay_alu instid0(VALU_DEP_1) | instskip(NEXT) | instid1(VALU_DEP_1)
	v_and_b32_e32 v5, s16, v5
	v_lshlrev_b32_e32 v6, 4, v5
	v_lshrrev_b32_e32 v5, 2, v5
	s_delay_alu instid0(VALU_DEP_2) | instskip(NEXT) | instid1(VALU_DEP_2)
	v_and_or_b32 v6, 0x70, v6, v0
	v_and_b32_e32 v5, 0x3ffe, v5
	s_wait_dscnt 0x0
	v_add_nc_u16 v7, v16, 1
	s_delay_alu instid0(VALU_DEP_2)
	v_lshl_add_u32 v29, v6, 2, v5
	ds_store_b16 v15, v7
	ds_load_u16 v31, v29
	s_wait_dscnt 0x0
	v_add_nc_u16 v5, v31, 1
	ds_store_b16 v29, v5
	; wave barrier
	s_wait_loadcnt_dscnt 0x0
	global_inv scope:SCOPE_SE
	ds_load_b128 v[9:12], v25
	ds_load_b128 v[5:8], v25 offset:16
	s_wait_dscnt 0x1
	v_add_nc_u32_e32 v30, v10, v9
	s_delay_alu instid0(VALU_DEP_1) | instskip(SKIP_1) | instid1(VALU_DEP_1)
	v_add3_u32 v30, v30, v11, v12
	s_wait_dscnt 0x0
	v_add3_u32 v30, v30, v5, v6
	s_delay_alu instid0(VALU_DEP_1) | instskip(NEXT) | instid1(VALU_DEP_1)
	v_add3_u32 v8, v30, v7, v8
	v_mov_b32_dpp v30, v8 row_shr:1 row_mask:0xf bank_mask:0xf
	s_delay_alu instid0(VALU_DEP_1) | instskip(NEXT) | instid1(VALU_DEP_1)
	v_cndmask_b32_e64 v30, v30, 0, s5
	v_add_nc_u32_e32 v8, v30, v8
	s_delay_alu instid0(VALU_DEP_1) | instskip(NEXT) | instid1(VALU_DEP_1)
	v_mov_b32_dpp v30, v8 row_shr:2 row_mask:0xf bank_mask:0xf
	v_cndmask_b32_e64 v30, 0, v30, s3
	s_delay_alu instid0(VALU_DEP_1) | instskip(NEXT) | instid1(VALU_DEP_1)
	v_add_nc_u32_e32 v8, v8, v30
	v_mov_b32_dpp v30, v8 row_shr:4 row_mask:0xf bank_mask:0xf
	s_delay_alu instid0(VALU_DEP_1) | instskip(NEXT) | instid1(VALU_DEP_1)
	v_cndmask_b32_e64 v30, 0, v30, s6
	v_add_nc_u32_e32 v8, v8, v30
	s_delay_alu instid0(VALU_DEP_1) | instskip(NEXT) | instid1(VALU_DEP_1)
	v_mov_b32_dpp v30, v8 row_shr:8 row_mask:0xf bank_mask:0xf
	v_cndmask_b32_e64 v30, 0, v30, s4
	s_delay_alu instid0(VALU_DEP_1)
	v_add_nc_u32_e32 v8, v8, v30
	s_and_saveexec_b32 s16, s1
; %bb.26:
	v_mov_b32_e32 v30, 0
	ds_store_b32 v30, v8 offset:512
; %bb.27:
	s_wait_alu 0xfffe
	s_or_b32 exec_lo, exec_lo, s16
	ds_bpermute_b32 v8, v26, v8
	v_mov_b32_e32 v30, 0
	; wave barrier
	s_wait_loadcnt_dscnt 0x0
	global_inv scope:SCOPE_SE
	ds_load_b32 v32, v30 offset:512
	v_cndmask_b32_e64 v8, v8, 0, s11
	s_wait_dscnt 0x0
	s_delay_alu instid0(VALU_DEP_1) | instskip(NEXT) | instid1(VALU_DEP_1)
	v_lshl_add_u32 v8, v32, 16, v8
	v_add_nc_u32_e32 v9, v8, v9
	s_delay_alu instid0(VALU_DEP_1) | instskip(NEXT) | instid1(VALU_DEP_1)
	v_add_nc_u32_e32 v10, v9, v10
	v_add_nc_u32_e32 v11, v10, v11
	s_delay_alu instid0(VALU_DEP_1) | instskip(NEXT) | instid1(VALU_DEP_1)
	v_add_nc_u32_e32 v32, v11, v12
	v_add_nc_u32_e32 v33, v32, v5
	s_delay_alu instid0(VALU_DEP_1) | instskip(NEXT) | instid1(VALU_DEP_1)
	v_add_nc_u32_e32 v34, v33, v6
	v_add_nc_u32_e32 v35, v34, v7
	v_and_b32_e32 v7, 0xffff, v16
	ds_store_b128 v25, v[8:11]
	ds_store_b128 v25, v[32:35] offset:16
	; wave barrier
	s_wait_loadcnt_dscnt 0x0
	global_inv scope:SCOPE_SE
	ds_load_u16 v5, v15
	ds_load_u16 v6, v29
	v_and_b32_e32 v8, 0xffff, v31
	; wave barrier
	s_wait_loadcnt_dscnt 0x0
	global_inv scope:SCOPE_SE
	v_add_nc_u32_e32 v5, v5, v7
	v_add_nc_u32_e32 v6, v6, v8
	s_delay_alu instid0(VALU_DEP_2) | instskip(NEXT) | instid1(VALU_DEP_2)
	v_lshlrev_b32_e32 v7, 1, v5
	v_lshlrev_b32_e32 v8, 1, v6
	ds_store_b16 v7, v13
	ds_store_b16 v8, v14
	v_mad_u32_u24 v5, v5, 6, v7
	v_mad_u32_u24 v6, v6, 6, v8
	; wave barrier
	s_wait_loadcnt_dscnt 0x0
	global_inv scope:SCOPE_SE
	ds_load_b32 v29, v19
	; wave barrier
	s_wait_loadcnt_dscnt 0x0
	global_inv scope:SCOPE_SE
	ds_store_b64 v5, v[1:2]
	ds_store_b64 v6, v[3:4]
	; wave barrier
	s_wait_loadcnt_dscnt 0x0
	global_inv scope:SCOPE_SE
	ds_load_b128 v[5:8], v18
	; wave barrier
	s_wait_loadcnt_dscnt 0x0
	global_inv scope:SCOPE_SE
	s_and_saveexec_b32 s16, s7
	s_cbranch_execz .LBB234_36
; %bb.28:
	v_cmp_gt_u32_e32 vcc_lo, 0x70, v0
	ds_store_b32 v21, v30
	s_and_b32 exec_lo, exec_lo, vcc_lo
	s_cbranch_execz .LBB234_36
; %bb.29:
	v_mov_b32_e32 v9, 0
	v_cmp_gt_u32_e32 vcc_lo, 0x60, v0
	ds_store_b32 v21, v9 offset:64
	s_and_b32 exec_lo, exec_lo, vcc_lo
	s_cbranch_execz .LBB234_36
; %bb.30:
	v_cmp_gt_u32_e32 vcc_lo, 0x50, v0
	ds_store_b32 v21, v9 offset:128
	s_and_b32 exec_lo, exec_lo, vcc_lo
	s_cbranch_execz .LBB234_36
; %bb.31:
	v_mov_b32_e32 v9, 0
	v_cmp_gt_u32_e32 vcc_lo, 64, v0
	ds_store_b32 v21, v9 offset:192
	s_and_b32 exec_lo, exec_lo, vcc_lo
	s_cbranch_execz .LBB234_36
; %bb.32:
	v_cmp_gt_u32_e32 vcc_lo, 48, v0
	ds_store_b32 v21, v9 offset:256
	;; [unrolled: 11-line block ×3, first 2 shown]
	s_and_b32 exec_lo, exec_lo, vcc_lo
; %bb.35:
	v_mov_b32_e32 v9, 0
	ds_store_b32 v21, v9 offset:448
.LBB234_36:
	s_wait_alu 0xfffe
	s_or_b32 exec_lo, exec_lo, s16
	v_lshrrev_b16 v9, 4, v29
	v_cmp_ne_u16_e32 vcc_lo, 0x7fff, v29
	s_min_u32 s16, s13, 12
	v_lshrrev_b32_e32 v30, 16, v29
	s_wait_alu 0xfffe
	s_lshl_b32 s16, -1, s16
	v_lshrrev_b32_e32 v11, 20, v29
	s_wait_alu 0xfffd
	v_cndmask_b32_e32 v9, 0x800, v9, vcc_lo
	s_wait_alu 0xfffe
	s_not_b32 s16, s16
	v_cmp_ne_u16_e32 vcc_lo, 0x7fff, v30
	s_delay_alu instid0(VALU_DEP_2) | instskip(SKIP_1) | instid1(VALU_DEP_1)
	v_and_b32_e32 v9, 0xffff, v9
	s_wait_alu 0xfffe
	v_and_b32_e32 v9, s16, v9
	s_delay_alu instid0(VALU_DEP_1) | instskip(SKIP_1) | instid1(VALU_DEP_2)
	v_lshlrev_b32_e32 v10, 4, v9
	v_lshrrev_b32_e32 v9, 2, v9
	v_and_or_b32 v10, 0x70, v10, v0
	s_delay_alu instid0(VALU_DEP_2) | instskip(NEXT) | instid1(VALU_DEP_1)
	v_and_b32_e32 v9, 0x3fe, v9
	v_lshl_add_u32 v31, v10, 2, v9
	s_wait_alu 0xfffd
	v_cndmask_b32_e32 v9, 0x800, v11, vcc_lo
	ds_load_u16 v32, v31
	v_and_b32_e32 v9, 0xffff, v9
	s_delay_alu instid0(VALU_DEP_1) | instskip(NEXT) | instid1(VALU_DEP_1)
	v_and_b32_e32 v9, s16, v9
	v_lshlrev_b32_e32 v10, 4, v9
	v_lshrrev_b32_e32 v9, 2, v9
	s_delay_alu instid0(VALU_DEP_2) | instskip(NEXT) | instid1(VALU_DEP_2)
	v_and_or_b32 v10, 0x70, v10, v0
	v_and_b32_e32 v9, 0x3fe, v9
	s_wait_dscnt 0x0
	v_add_nc_u16 v11, v32, 1
	s_delay_alu instid0(VALU_DEP_2)
	v_lshl_add_u32 v33, v10, 2, v9
	ds_store_b16 v31, v11
	ds_load_u16 v34, v33
	s_wait_dscnt 0x0
	v_add_nc_u16 v9, v34, 1
	ds_store_b16 v33, v9
	; wave barrier
	s_wait_loadcnt_dscnt 0x0
	global_inv scope:SCOPE_SE
	ds_load_b128 v[13:16], v25
	ds_load_b128 v[9:12], v25 offset:16
	s_wait_dscnt 0x1
	v_add_nc_u32_e32 v35, v14, v13
	s_delay_alu instid0(VALU_DEP_1) | instskip(SKIP_1) | instid1(VALU_DEP_1)
	v_add3_u32 v35, v35, v15, v16
	s_wait_dscnt 0x0
	v_add3_u32 v35, v35, v9, v10
	s_delay_alu instid0(VALU_DEP_1) | instskip(NEXT) | instid1(VALU_DEP_1)
	v_add3_u32 v12, v35, v11, v12
	v_mov_b32_dpp v35, v12 row_shr:1 row_mask:0xf bank_mask:0xf
	s_delay_alu instid0(VALU_DEP_1) | instskip(NEXT) | instid1(VALU_DEP_1)
	v_cndmask_b32_e64 v35, v35, 0, s5
	v_add_nc_u32_e32 v12, v35, v12
	s_delay_alu instid0(VALU_DEP_1) | instskip(NEXT) | instid1(VALU_DEP_1)
	v_mov_b32_dpp v35, v12 row_shr:2 row_mask:0xf bank_mask:0xf
	v_cndmask_b32_e64 v35, 0, v35, s3
	s_delay_alu instid0(VALU_DEP_1) | instskip(NEXT) | instid1(VALU_DEP_1)
	v_add_nc_u32_e32 v12, v12, v35
	v_mov_b32_dpp v35, v12 row_shr:4 row_mask:0xf bank_mask:0xf
	s_delay_alu instid0(VALU_DEP_1) | instskip(NEXT) | instid1(VALU_DEP_1)
	v_cndmask_b32_e64 v35, 0, v35, s6
	v_add_nc_u32_e32 v12, v12, v35
	s_delay_alu instid0(VALU_DEP_1) | instskip(NEXT) | instid1(VALU_DEP_1)
	v_mov_b32_dpp v35, v12 row_shr:8 row_mask:0xf bank_mask:0xf
	v_cndmask_b32_e64 v35, 0, v35, s4
	s_delay_alu instid0(VALU_DEP_1)
	v_add_nc_u32_e32 v12, v12, v35
	s_and_saveexec_b32 s16, s1
; %bb.37:
	v_mov_b32_e32 v35, 0
	ds_store_b32 v35, v12 offset:512
; %bb.38:
	s_wait_alu 0xfffe
	s_or_b32 exec_lo, exec_lo, s16
	ds_bpermute_b32 v35, v26, v12
	v_mov_b32_e32 v12, 0
	; wave barrier
	s_wait_loadcnt_dscnt 0x0
	global_inv scope:SCOPE_SE
	ds_load_b32 v36, v12 offset:512
	v_cndmask_b32_e64 v35, v35, 0, s11
	s_wait_dscnt 0x0
	s_delay_alu instid0(VALU_DEP_1) | instskip(NEXT) | instid1(VALU_DEP_1)
	v_lshl_add_u32 v35, v36, 16, v35
	v_add_nc_u32_e32 v36, v35, v13
	s_delay_alu instid0(VALU_DEP_1) | instskip(NEXT) | instid1(VALU_DEP_1)
	v_add_nc_u32_e32 v37, v36, v14
	v_add_nc_u32_e32 v38, v37, v15
	s_delay_alu instid0(VALU_DEP_1) | instskip(NEXT) | instid1(VALU_DEP_1)
	v_add_nc_u32_e32 v13, v38, v16
	v_add_nc_u32_e32 v14, v13, v9
	s_delay_alu instid0(VALU_DEP_1) | instskip(NEXT) | instid1(VALU_DEP_1)
	v_add_nc_u32_e32 v15, v14, v10
	v_add_nc_u32_e32 v16, v15, v11
	v_and_b32_e32 v11, 0xffff, v32
	ds_store_b128 v25, v[35:38]
	ds_store_b128 v25, v[13:16] offset:16
	; wave barrier
	s_wait_loadcnt_dscnt 0x0
	global_inv scope:SCOPE_SE
	ds_load_u16 v9, v31
	ds_load_u16 v10, v33
	v_and_b32_e32 v13, 0xffff, v34
	; wave barrier
	s_wait_loadcnt_dscnt 0x0
	global_inv scope:SCOPE_SE
	v_add_nc_u32_e32 v9, v9, v11
	v_add_nc_u32_e32 v10, v10, v13
	s_delay_alu instid0(VALU_DEP_2) | instskip(NEXT) | instid1(VALU_DEP_2)
	v_lshlrev_b32_e32 v11, 1, v9
	v_lshlrev_b32_e32 v13, 1, v10
	ds_store_b16 v11, v29
	ds_store_b16 v13, v30
	v_mad_u32_u24 v9, v9, 6, v11
	v_mad_u32_u24 v10, v10, 6, v13
	; wave barrier
	s_wait_loadcnt_dscnt 0x0
	global_inv scope:SCOPE_SE
	ds_load_b32 v29, v19
	; wave barrier
	s_wait_loadcnt_dscnt 0x0
	global_inv scope:SCOPE_SE
	ds_store_b64 v9, v[5:6]
	ds_store_b64 v10, v[7:8]
	; wave barrier
	s_wait_loadcnt_dscnt 0x0
	global_inv scope:SCOPE_SE
	ds_load_b128 v[5:8], v18
	; wave barrier
	s_wait_loadcnt_dscnt 0x0
	global_inv scope:SCOPE_SE
	s_and_saveexec_b32 s16, s7
	s_cbranch_execz .LBB234_47
; %bb.39:
	v_cmp_gt_u32_e32 vcc_lo, 0x70, v0
	ds_store_b32 v21, v12
	s_and_b32 exec_lo, exec_lo, vcc_lo
	s_cbranch_execz .LBB234_47
; %bb.40:
	v_mov_b32_e32 v9, 0
	v_cmp_gt_u32_e32 vcc_lo, 0x60, v0
	ds_store_b32 v21, v9 offset:64
	s_and_b32 exec_lo, exec_lo, vcc_lo
	s_cbranch_execz .LBB234_47
; %bb.41:
	v_cmp_gt_u32_e32 vcc_lo, 0x50, v0
	ds_store_b32 v21, v9 offset:128
	s_and_b32 exec_lo, exec_lo, vcc_lo
	s_cbranch_execz .LBB234_47
; %bb.42:
	v_mov_b32_e32 v9, 0
	v_cmp_gt_u32_e32 vcc_lo, 64, v0
	ds_store_b32 v21, v9 offset:192
	s_and_b32 exec_lo, exec_lo, vcc_lo
	s_cbranch_execz .LBB234_47
; %bb.43:
	v_cmp_gt_u32_e32 vcc_lo, 48, v0
	ds_store_b32 v21, v9 offset:256
	;; [unrolled: 11-line block ×3, first 2 shown]
	s_and_b32 exec_lo, exec_lo, vcc_lo
; %bb.46:
	v_mov_b32_e32 v9, 0
	ds_store_b32 v21, v9 offset:448
.LBB234_47:
	s_wait_alu 0xfffe
	s_or_b32 exec_lo, exec_lo, s16
	v_lshrrev_b16 v9, 8, v29
	v_cmp_ne_u16_e32 vcc_lo, 0x7fff, v29
	s_min_u32 s16, s13, 8
	v_lshrrev_b32_e32 v30, 16, v29
	s_wait_alu 0xfffe
	s_lshl_b32 s16, -1, s16
	v_lshrrev_b32_e32 v11, 24, v29
	s_wait_alu 0xfffd
	v_cndmask_b32_e32 v9, 0x80, v9, vcc_lo
	s_wait_alu 0xfffe
	s_not_b32 s16, s16
	v_cmp_ne_u16_e32 vcc_lo, 0x7fff, v30
	s_delay_alu instid0(VALU_DEP_2) | instskip(SKIP_1) | instid1(VALU_DEP_1)
	v_and_b32_e32 v9, 0xffff, v9
	s_wait_alu 0xfffe
	v_and_b32_e32 v9, s16, v9
	s_delay_alu instid0(VALU_DEP_1) | instskip(SKIP_1) | instid1(VALU_DEP_2)
	v_lshlrev_b32_e32 v10, 4, v9
	v_lshrrev_b32_e32 v9, 2, v9
	v_and_or_b32 v10, 0x70, v10, v0
	s_delay_alu instid0(VALU_DEP_2) | instskip(NEXT) | instid1(VALU_DEP_1)
	v_and_b32_e32 v9, 62, v9
	v_lshl_add_u32 v31, v10, 2, v9
	s_wait_alu 0xfffd
	v_cndmask_b32_e32 v9, 0x80, v11, vcc_lo
	ds_load_u16 v32, v31
	v_and_b32_e32 v9, 0xffff, v9
	s_delay_alu instid0(VALU_DEP_1) | instskip(NEXT) | instid1(VALU_DEP_1)
	v_and_b32_e32 v9, s16, v9
	v_lshlrev_b32_e32 v10, 4, v9
	v_lshrrev_b32_e32 v9, 2, v9
	s_delay_alu instid0(VALU_DEP_2) | instskip(NEXT) | instid1(VALU_DEP_2)
	v_and_or_b32 v10, 0x70, v10, v0
	v_and_b32_e32 v9, 62, v9
	s_wait_dscnt 0x0
	v_add_nc_u16 v11, v32, 1
	s_delay_alu instid0(VALU_DEP_2)
	v_lshl_add_u32 v33, v10, 2, v9
	ds_store_b16 v31, v11
	ds_load_u16 v34, v33
	s_wait_dscnt 0x0
	v_add_nc_u16 v9, v34, 1
	ds_store_b16 v33, v9
	; wave barrier
	s_wait_loadcnt_dscnt 0x0
	global_inv scope:SCOPE_SE
	ds_load_b128 v[13:16], v25
	ds_load_b128 v[9:12], v25 offset:16
	s_wait_dscnt 0x1
	v_add_nc_u32_e32 v35, v14, v13
	s_delay_alu instid0(VALU_DEP_1) | instskip(SKIP_1) | instid1(VALU_DEP_1)
	v_add3_u32 v35, v35, v15, v16
	s_wait_dscnt 0x0
	v_add3_u32 v35, v35, v9, v10
	s_delay_alu instid0(VALU_DEP_1) | instskip(NEXT) | instid1(VALU_DEP_1)
	v_add3_u32 v12, v35, v11, v12
	v_mov_b32_dpp v35, v12 row_shr:1 row_mask:0xf bank_mask:0xf
	s_delay_alu instid0(VALU_DEP_1) | instskip(NEXT) | instid1(VALU_DEP_1)
	v_cndmask_b32_e64 v35, v35, 0, s5
	v_add_nc_u32_e32 v12, v35, v12
	s_delay_alu instid0(VALU_DEP_1) | instskip(NEXT) | instid1(VALU_DEP_1)
	v_mov_b32_dpp v35, v12 row_shr:2 row_mask:0xf bank_mask:0xf
	v_cndmask_b32_e64 v35, 0, v35, s3
	s_delay_alu instid0(VALU_DEP_1) | instskip(NEXT) | instid1(VALU_DEP_1)
	v_add_nc_u32_e32 v12, v12, v35
	v_mov_b32_dpp v35, v12 row_shr:4 row_mask:0xf bank_mask:0xf
	s_delay_alu instid0(VALU_DEP_1) | instskip(NEXT) | instid1(VALU_DEP_1)
	v_cndmask_b32_e64 v35, 0, v35, s6
	v_add_nc_u32_e32 v12, v12, v35
	s_delay_alu instid0(VALU_DEP_1) | instskip(NEXT) | instid1(VALU_DEP_1)
	v_mov_b32_dpp v35, v12 row_shr:8 row_mask:0xf bank_mask:0xf
	v_cndmask_b32_e64 v35, 0, v35, s4
	s_delay_alu instid0(VALU_DEP_1)
	v_add_nc_u32_e32 v12, v12, v35
	s_and_saveexec_b32 s16, s1
; %bb.48:
	v_mov_b32_e32 v35, 0
	ds_store_b32 v35, v12 offset:512
; %bb.49:
	s_wait_alu 0xfffe
	s_or_b32 exec_lo, exec_lo, s16
	ds_bpermute_b32 v35, v26, v12
	v_mov_b32_e32 v12, 0
	; wave barrier
	s_wait_loadcnt_dscnt 0x0
	global_inv scope:SCOPE_SE
	ds_load_b32 v36, v12 offset:512
	v_cndmask_b32_e64 v35, v35, 0, s11
	s_wait_dscnt 0x0
	s_delay_alu instid0(VALU_DEP_1) | instskip(NEXT) | instid1(VALU_DEP_1)
	v_lshl_add_u32 v35, v36, 16, v35
	v_add_nc_u32_e32 v36, v35, v13
	s_delay_alu instid0(VALU_DEP_1) | instskip(NEXT) | instid1(VALU_DEP_1)
	v_add_nc_u32_e32 v37, v36, v14
	v_add_nc_u32_e32 v38, v37, v15
	s_delay_alu instid0(VALU_DEP_1) | instskip(NEXT) | instid1(VALU_DEP_1)
	v_add_nc_u32_e32 v13, v38, v16
	;; [unrolled: 3-line block ×3, first 2 shown]
	v_add_nc_u32_e32 v16, v15, v11
	v_and_b32_e32 v11, 0xffff, v32
	ds_store_b128 v25, v[35:38]
	ds_store_b128 v25, v[13:16] offset:16
	; wave barrier
	s_wait_loadcnt_dscnt 0x0
	global_inv scope:SCOPE_SE
	ds_load_u16 v9, v31
	ds_load_u16 v10, v33
	v_and_b32_e32 v13, 0xffff, v34
	; wave barrier
	s_wait_loadcnt_dscnt 0x0
	global_inv scope:SCOPE_SE
	v_add_nc_u32_e32 v9, v9, v11
	v_add_nc_u32_e32 v10, v10, v13
	s_delay_alu instid0(VALU_DEP_2) | instskip(NEXT) | instid1(VALU_DEP_2)
	v_lshlrev_b32_e32 v11, 1, v9
	v_lshlrev_b32_e32 v13, 1, v10
	ds_store_b16 v11, v29
	ds_store_b16 v13, v30
	v_mad_u32_u24 v9, v9, 6, v11
	v_mad_u32_u24 v10, v10, 6, v13
	; wave barrier
	s_wait_loadcnt_dscnt 0x0
	global_inv scope:SCOPE_SE
	ds_load_b32 v29, v19
	; wave barrier
	s_wait_loadcnt_dscnt 0x0
	global_inv scope:SCOPE_SE
	ds_store_b64 v9, v[5:6]
	ds_store_b64 v10, v[7:8]
	; wave barrier
	s_wait_loadcnt_dscnt 0x0
	global_inv scope:SCOPE_SE
	ds_load_b128 v[5:8], v18
	; wave barrier
	s_wait_loadcnt_dscnt 0x0
	global_inv scope:SCOPE_SE
	s_and_saveexec_b32 s16, s7
	s_cbranch_execz .LBB234_58
; %bb.50:
	v_cmp_gt_u32_e32 vcc_lo, 0x70, v0
	ds_store_b32 v21, v12
	s_and_b32 exec_lo, exec_lo, vcc_lo
	s_cbranch_execz .LBB234_58
; %bb.51:
	v_mov_b32_e32 v9, 0
	v_cmp_gt_u32_e32 vcc_lo, 0x60, v0
	ds_store_b32 v21, v9 offset:64
	s_and_b32 exec_lo, exec_lo, vcc_lo
	s_cbranch_execz .LBB234_58
; %bb.52:
	v_cmp_gt_u32_e32 vcc_lo, 0x50, v0
	ds_store_b32 v21, v9 offset:128
	s_and_b32 exec_lo, exec_lo, vcc_lo
	s_cbranch_execz .LBB234_58
; %bb.53:
	v_mov_b32_e32 v9, 0
	v_cmp_gt_u32_e32 vcc_lo, 64, v0
	ds_store_b32 v21, v9 offset:192
	s_and_b32 exec_lo, exec_lo, vcc_lo
	s_cbranch_execz .LBB234_58
; %bb.54:
	v_cmp_gt_u32_e32 vcc_lo, 48, v0
	ds_store_b32 v21, v9 offset:256
	;; [unrolled: 11-line block ×3, first 2 shown]
	s_and_b32 exec_lo, exec_lo, vcc_lo
; %bb.57:
	v_mov_b32_e32 v9, 0
	ds_store_b32 v21, v9 offset:448
.LBB234_58:
	s_wait_alu 0xfffe
	s_or_b32 exec_lo, exec_lo, s16
	v_lshrrev_b16 v9, 12, v29
	v_cmp_ne_u16_e32 vcc_lo, 0x7fff, v29
	s_min_u32 s16, s13, 4
	v_lshrrev_b32_e32 v30, 16, v29
	s_wait_alu 0xfffe
	s_lshl_b32 s16, -1, s16
	v_lshrrev_b32_e32 v11, 28, v29
	s_wait_alu 0xfffd
	v_cndmask_b32_e32 v9, 8, v9, vcc_lo
	s_wait_alu 0xfffe
	s_not_b32 s16, s16
	v_cmp_ne_u16_e32 vcc_lo, 0x7fff, v30
	s_delay_alu instid0(VALU_DEP_2) | instskip(SKIP_1) | instid1(VALU_DEP_1)
	v_and_b32_e32 v9, 0xffff, v9
	s_wait_alu 0xfffe
	v_and_b32_e32 v9, s16, v9
	s_delay_alu instid0(VALU_DEP_1) | instskip(SKIP_1) | instid1(VALU_DEP_2)
	v_lshlrev_b32_e32 v10, 4, v9
	v_lshrrev_b32_e32 v9, 2, v9
	v_and_or_b32 v10, 0x70, v10, v0
	s_delay_alu instid0(VALU_DEP_2) | instskip(NEXT) | instid1(VALU_DEP_1)
	v_and_b32_e32 v9, 2, v9
	v_lshl_or_b32 v31, v10, 2, v9
	s_wait_alu 0xfffd
	v_cndmask_b32_e32 v9, 8, v11, vcc_lo
	ds_load_u16 v32, v31
	v_and_b32_e32 v9, 0xffff, v9
	s_delay_alu instid0(VALU_DEP_1) | instskip(SKIP_1) | instid1(VALU_DEP_1)
	v_and_b32_e32 v9, s16, v9
	s_mov_b32 s16, 0
	v_lshlrev_b32_e32 v10, 4, v9
	v_lshrrev_b32_e32 v9, 2, v9
	s_delay_alu instid0(VALU_DEP_2) | instskip(NEXT) | instid1(VALU_DEP_2)
	v_and_or_b32 v10, 0x70, v10, v0
	v_and_b32_e32 v9, 2, v9
	s_wait_dscnt 0x0
	v_add_nc_u16 v11, v32, 1
	s_delay_alu instid0(VALU_DEP_2)
	v_lshl_or_b32 v33, v10, 2, v9
	ds_store_b16 v31, v11
	ds_load_u16 v34, v33
	s_wait_dscnt 0x0
	v_add_nc_u16 v9, v34, 1
	ds_store_b16 v33, v9
	; wave barrier
	s_wait_loadcnt_dscnt 0x0
	global_inv scope:SCOPE_SE
	ds_load_b128 v[13:16], v25
	ds_load_b128 v[9:12], v25 offset:16
	s_wait_dscnt 0x1
	v_add_nc_u32_e32 v35, v14, v13
	s_delay_alu instid0(VALU_DEP_1) | instskip(SKIP_1) | instid1(VALU_DEP_1)
	v_add3_u32 v35, v35, v15, v16
	s_wait_dscnt 0x0
	v_add3_u32 v35, v35, v9, v10
	s_delay_alu instid0(VALU_DEP_1) | instskip(NEXT) | instid1(VALU_DEP_1)
	v_add3_u32 v12, v35, v11, v12
	v_mov_b32_dpp v35, v12 row_shr:1 row_mask:0xf bank_mask:0xf
	s_delay_alu instid0(VALU_DEP_1) | instskip(NEXT) | instid1(VALU_DEP_1)
	v_cndmask_b32_e64 v35, v35, 0, s5
	v_add_nc_u32_e32 v12, v35, v12
	s_delay_alu instid0(VALU_DEP_1) | instskip(NEXT) | instid1(VALU_DEP_1)
	v_mov_b32_dpp v35, v12 row_shr:2 row_mask:0xf bank_mask:0xf
	v_cndmask_b32_e64 v35, 0, v35, s3
	s_delay_alu instid0(VALU_DEP_1) | instskip(NEXT) | instid1(VALU_DEP_1)
	v_add_nc_u32_e32 v12, v12, v35
	v_mov_b32_dpp v35, v12 row_shr:4 row_mask:0xf bank_mask:0xf
	s_delay_alu instid0(VALU_DEP_1) | instskip(NEXT) | instid1(VALU_DEP_1)
	v_cndmask_b32_e64 v35, 0, v35, s6
	v_add_nc_u32_e32 v12, v12, v35
	s_delay_alu instid0(VALU_DEP_1) | instskip(NEXT) | instid1(VALU_DEP_1)
	v_mov_b32_dpp v35, v12 row_shr:8 row_mask:0xf bank_mask:0xf
	v_cndmask_b32_e64 v35, 0, v35, s4
	s_delay_alu instid0(VALU_DEP_1)
	v_add_nc_u32_e32 v12, v12, v35
	s_and_saveexec_b32 s17, s1
; %bb.59:
	v_mov_b32_e32 v35, 0
	ds_store_b32 v35, v12 offset:512
; %bb.60:
	s_wait_alu 0xfffe
	s_or_b32 exec_lo, exec_lo, s17
	ds_bpermute_b32 v12, v26, v12
	v_mov_b32_e32 v35, 0
	; wave barrier
	s_wait_loadcnt_dscnt 0x0
	global_inv scope:SCOPE_SE
	ds_load_b32 v35, v35 offset:512
	v_cndmask_b32_e64 v12, v12, 0, s11
	s_wait_dscnt 0x0
	s_delay_alu instid0(VALU_DEP_1) | instskip(NEXT) | instid1(VALU_DEP_1)
	v_lshl_add_u32 v12, v35, 16, v12
	v_add_nc_u32_e32 v13, v12, v13
	s_delay_alu instid0(VALU_DEP_1) | instskip(NEXT) | instid1(VALU_DEP_1)
	v_add_nc_u32_e32 v14, v13, v14
	v_add_nc_u32_e32 v15, v14, v15
	s_delay_alu instid0(VALU_DEP_1) | instskip(NEXT) | instid1(VALU_DEP_1)
	v_add_nc_u32_e32 v35, v15, v16
	;; [unrolled: 3-line block ×3, first 2 shown]
	v_add_nc_u32_e32 v38, v37, v11
	v_and_b32_e32 v11, 0xffff, v32
	ds_store_b128 v25, v[12:15]
	ds_store_b128 v25, v[35:38] offset:16
	; wave barrier
	s_wait_loadcnt_dscnt 0x0
	global_inv scope:SCOPE_SE
	ds_load_u16 v9, v31
	ds_load_u16 v10, v33
	v_and_b32_e32 v12, 0xffff, v34
	; wave barrier
	s_wait_loadcnt_dscnt 0x0
	global_inv scope:SCOPE_SE
	v_add_nc_u32_e32 v9, v9, v11
	v_add_nc_u32_e32 v10, v10, v12
	s_delay_alu instid0(VALU_DEP_2) | instskip(NEXT) | instid1(VALU_DEP_2)
	v_lshlrev_b32_e32 v11, 1, v9
	v_lshlrev_b32_e32 v12, 1, v10
	ds_store_b16 v11, v29
	ds_store_b16 v12, v30
	; wave barrier
	s_wait_loadcnt_dscnt 0x0
	global_inv scope:SCOPE_SE
	ds_load_b32 v13, v19
	v_mad_u32_u24 v9, v9, 6, v11
	v_mad_u32_u24 v10, v10, 6, v12
	; wave barrier
	s_wait_loadcnt_dscnt 0x0
	global_inv scope:SCOPE_SE
	ds_store_b64 v9, v[5:6]
	ds_store_b64 v10, v[7:8]
	; wave barrier
	s_wait_loadcnt_dscnt 0x0
	global_inv scope:SCOPE_SE
	ds_load_b128 v[5:8], v18
	v_lshrrev_b32_e32 v9, 16, v13
	v_cmp_lt_i16_e32 vcc_lo, -1, v13
	s_wait_alu 0xfffd
	v_cndmask_b32_e64 v10, 0xffff8000, -1, vcc_lo
	s_delay_alu instid0(VALU_DEP_3) | instskip(SKIP_2) | instid1(VALU_DEP_1)
	v_cmp_lt_i16_e32 vcc_lo, -1, v9
	s_wait_alu 0xfffd
	v_cndmask_b32_e64 v9, 0xffff8000, -1, vcc_lo
	v_perm_b32 v9, v9, v10, 0x5040100
	s_delay_alu instid0(VALU_DEP_1)
	v_xor_b32_e32 v9, v9, v13
	s_and_b32 vcc_lo, exec_lo, s16
	s_wait_alu 0xfffe
	s_cbranch_vccnz .LBB234_62
	s_branch .LBB234_107
.LBB234_61:
                                        ; implicit-def: $vgpr7_vgpr8
                                        ; implicit-def: $vgpr9
	s_and_b32 vcc_lo, exec_lo, s16
	s_wait_alu 0xfffe
	s_cbranch_vccz .LBB234_107
.LBB234_62:
	s_and_saveexec_b32 s16, s7
	s_cbranch_execz .LBB234_71
; %bb.63:
	s_wait_dscnt 0x0
	v_mad_i32_i24 v5, v0, -12, v18
	v_mov_b32_e32 v6, 0
	v_cmp_gt_u32_e32 vcc_lo, 0x70, v0
	ds_store_b32 v5, v6
	s_and_b32 exec_lo, exec_lo, vcc_lo
	s_cbranch_execz .LBB234_71
; %bb.64:
	v_mul_i32_i24_e32 v5, -12, v0
	v_cmp_gt_u32_e32 vcc_lo, 0x60, v0
	s_delay_alu instid0(VALU_DEP_2)
	v_add_nc_u32_e32 v5, v18, v5
	ds_store_b32 v5, v6 offset:64
	s_and_b32 exec_lo, exec_lo, vcc_lo
	s_cbranch_execz .LBB234_71
; %bb.65:
	v_mov_b32_e32 v6, 0
	v_cmp_gt_u32_e32 vcc_lo, 0x50, v0
	ds_store_b32 v5, v6 offset:128
	s_and_b32 exec_lo, exec_lo, vcc_lo
	s_cbranch_execz .LBB234_71
; %bb.66:
	v_cmp_gt_u32_e32 vcc_lo, 64, v0
	ds_store_b32 v5, v6 offset:192
	s_and_b32 exec_lo, exec_lo, vcc_lo
	s_cbranch_execz .LBB234_71
; %bb.67:
	v_mov_b32_e32 v6, 0
	v_cmp_gt_u32_e32 vcc_lo, 48, v0
	ds_store_b32 v5, v6 offset:256
	s_and_b32 exec_lo, exec_lo, vcc_lo
	s_cbranch_execz .LBB234_71
; %bb.68:
	v_cmp_gt_u32_e32 vcc_lo, 32, v0
	ds_store_b32 v5, v6 offset:320
	s_and_b32 exec_lo, exec_lo, vcc_lo
	s_cbranch_execz .LBB234_71
; %bb.69:
	v_mov_b32_e32 v6, 0
	v_cmp_gt_u32_e32 vcc_lo, 16, v0
	ds_store_b32 v5, v6 offset:384
	s_and_b32 exec_lo, exec_lo, vcc_lo
; %bb.70:
	ds_store_b32 v5, v6 offset:448
.LBB234_71:
	s_wait_alu 0xfffe
	s_or_b32 exec_lo, exec_lo, s16
	v_cmp_gt_i16_e32 vcc_lo, 0, v27
	s_wait_kmcnt 0x0
	s_min_u32 s16, s13, 16
	s_wait_alu 0xfffe
	s_lshl_b32 s16, -1, s16
	s_wait_alu 0xfffe
	s_not_b32 s16, s16
	s_wait_dscnt 0x0
	s_wait_alu 0xfffd
	v_cndmask_b32_e64 v5, 0x7fff, 0, vcc_lo
	s_delay_alu instid0(VALU_DEP_1) | instskip(NEXT) | instid1(VALU_DEP_1)
	v_xor_b32_e32 v13, v5, v27
	v_cmp_ne_u16_e32 vcc_lo, 0x8000, v13
	s_wait_alu 0xfffd
	v_cndmask_b32_e32 v5, 0x7fff, v13, vcc_lo
	v_cmp_gt_i16_e32 vcc_lo, 0, v28
	s_delay_alu instid0(VALU_DEP_2) | instskip(SKIP_3) | instid1(VALU_DEP_2)
	v_and_b32_e32 v5, 0xffff, v5
	s_wait_alu 0xfffd
	v_cndmask_b32_e64 v7, 0x7fff, 0, vcc_lo
	s_wait_alu 0xfffe
	v_and_b32_e32 v5, s16, v5
	s_delay_alu instid0(VALU_DEP_2) | instskip(NEXT) | instid1(VALU_DEP_1)
	v_xor_b32_e32 v14, v7, v28
	v_cmp_ne_u16_e32 vcc_lo, 0x8000, v14
	s_delay_alu instid0(VALU_DEP_3) | instskip(SKIP_1) | instid1(VALU_DEP_2)
	v_lshlrev_b32_e32 v6, 4, v5
	v_lshrrev_b32_e32 v5, 2, v5
	v_and_or_b32 v6, 0x70, v6, v0
	s_delay_alu instid0(VALU_DEP_2) | instskip(NEXT) | instid1(VALU_DEP_1)
	v_and_b32_e32 v5, 0x3ffe, v5
	v_lshl_add_u32 v15, v6, 2, v5
	s_wait_alu 0xfffd
	v_cndmask_b32_e32 v5, 0x7fff, v14, vcc_lo
	ds_load_u16 v16, v15
	v_and_b32_e32 v5, 0xffff, v5
	s_delay_alu instid0(VALU_DEP_1) | instskip(NEXT) | instid1(VALU_DEP_1)
	v_and_b32_e32 v5, s16, v5
	v_lshlrev_b32_e32 v6, 4, v5
	v_lshrrev_b32_e32 v5, 2, v5
	s_delay_alu instid0(VALU_DEP_2) | instskip(NEXT) | instid1(VALU_DEP_2)
	v_and_or_b32 v6, 0x70, v6, v0
	v_and_b32_e32 v5, 0x3ffe, v5
	s_wait_dscnt 0x0
	v_add_nc_u16 v7, v16, 1
	s_delay_alu instid0(VALU_DEP_2)
	v_lshl_add_u32 v27, v6, 2, v5
	ds_store_b16 v15, v7
	ds_load_u16 v28, v27
	s_wait_dscnt 0x0
	v_add_nc_u16 v5, v28, 1
	ds_store_b16 v27, v5
	; wave barrier
	s_wait_loadcnt_dscnt 0x0
	global_inv scope:SCOPE_SE
	ds_load_b128 v[9:12], v25
	ds_load_b128 v[5:8], v25 offset:16
	s_wait_dscnt 0x1
	v_add_nc_u32_e32 v29, v10, v9
	s_delay_alu instid0(VALU_DEP_1) | instskip(SKIP_1) | instid1(VALU_DEP_1)
	v_add3_u32 v29, v29, v11, v12
	s_wait_dscnt 0x0
	v_add3_u32 v29, v29, v5, v6
	s_delay_alu instid0(VALU_DEP_1) | instskip(NEXT) | instid1(VALU_DEP_1)
	v_add3_u32 v8, v29, v7, v8
	v_mov_b32_dpp v29, v8 row_shr:1 row_mask:0xf bank_mask:0xf
	s_delay_alu instid0(VALU_DEP_1) | instskip(NEXT) | instid1(VALU_DEP_1)
	v_cndmask_b32_e64 v29, v29, 0, s5
	v_add_nc_u32_e32 v8, v29, v8
	s_delay_alu instid0(VALU_DEP_1) | instskip(NEXT) | instid1(VALU_DEP_1)
	v_mov_b32_dpp v29, v8 row_shr:2 row_mask:0xf bank_mask:0xf
	v_cndmask_b32_e64 v29, 0, v29, s3
	s_delay_alu instid0(VALU_DEP_1) | instskip(NEXT) | instid1(VALU_DEP_1)
	v_add_nc_u32_e32 v8, v8, v29
	v_mov_b32_dpp v29, v8 row_shr:4 row_mask:0xf bank_mask:0xf
	s_delay_alu instid0(VALU_DEP_1) | instskip(NEXT) | instid1(VALU_DEP_1)
	v_cndmask_b32_e64 v29, 0, v29, s6
	v_add_nc_u32_e32 v8, v8, v29
	s_delay_alu instid0(VALU_DEP_1) | instskip(NEXT) | instid1(VALU_DEP_1)
	v_mov_b32_dpp v29, v8 row_shr:8 row_mask:0xf bank_mask:0xf
	v_cndmask_b32_e64 v29, 0, v29, s4
	s_delay_alu instid0(VALU_DEP_1)
	v_add_nc_u32_e32 v8, v8, v29
	s_and_saveexec_b32 s16, s1
; %bb.72:
	v_mov_b32_e32 v29, 0
	ds_store_b32 v29, v8 offset:512
; %bb.73:
	s_wait_alu 0xfffe
	s_or_b32 exec_lo, exec_lo, s16
	ds_bpermute_b32 v29, v26, v8
	v_mov_b32_e32 v8, 0
	; wave barrier
	s_wait_loadcnt_dscnt 0x0
	global_inv scope:SCOPE_SE
	ds_load_b32 v30, v8 offset:512
	v_cndmask_b32_e64 v29, v29, 0, s11
	s_wait_dscnt 0x0
	s_delay_alu instid0(VALU_DEP_1) | instskip(NEXT) | instid1(VALU_DEP_1)
	v_lshl_add_u32 v29, v30, 16, v29
	v_add_nc_u32_e32 v30, v29, v9
	s_delay_alu instid0(VALU_DEP_1) | instskip(NEXT) | instid1(VALU_DEP_1)
	v_add_nc_u32_e32 v31, v30, v10
	v_add_nc_u32_e32 v32, v31, v11
	s_delay_alu instid0(VALU_DEP_1) | instskip(NEXT) | instid1(VALU_DEP_1)
	v_add_nc_u32_e32 v9, v32, v12
	;; [unrolled: 3-line block ×3, first 2 shown]
	v_add_nc_u32_e32 v12, v11, v7
	v_and_b32_e32 v7, 0xffff, v16
	ds_store_b128 v25, v[29:32]
	ds_store_b128 v25, v[9:12] offset:16
	; wave barrier
	s_wait_loadcnt_dscnt 0x0
	global_inv scope:SCOPE_SE
	ds_load_u16 v5, v15
	ds_load_u16 v6, v27
	v_and_b32_e32 v9, 0xffff, v28
	; wave barrier
	s_wait_loadcnt_dscnt 0x0
	global_inv scope:SCOPE_SE
	v_add_nc_u32_e32 v5, v5, v7
	v_add_nc_u32_e32 v6, v6, v9
	s_delay_alu instid0(VALU_DEP_2) | instskip(NEXT) | instid1(VALU_DEP_2)
	v_lshlrev_b32_e32 v7, 1, v5
	v_lshlrev_b32_e32 v9, 1, v6
	ds_store_b16 v7, v13
	ds_store_b16 v9, v14
	v_mad_u32_u24 v5, v5, 6, v7
	v_mad_u32_u24 v6, v6, 6, v9
	; wave barrier
	s_wait_loadcnt_dscnt 0x0
	global_inv scope:SCOPE_SE
	ds_load_b32 v13, v19
	; wave barrier
	s_wait_loadcnt_dscnt 0x0
	global_inv scope:SCOPE_SE
	ds_store_b64 v5, v[1:2]
	ds_store_b64 v6, v[3:4]
	; wave barrier
	s_wait_loadcnt_dscnt 0x0
	global_inv scope:SCOPE_SE
	ds_load_b128 v[1:4], v18
	; wave barrier
	s_wait_loadcnt_dscnt 0x0
	global_inv scope:SCOPE_SE
	s_and_saveexec_b32 s16, s7
	s_cbranch_execz .LBB234_82
; %bb.74:
	v_cmp_gt_u32_e32 vcc_lo, 0x70, v0
	ds_store_b32 v21, v8
	s_and_b32 exec_lo, exec_lo, vcc_lo
	s_cbranch_execz .LBB234_82
; %bb.75:
	v_mov_b32_e32 v5, 0
	v_cmp_gt_u32_e32 vcc_lo, 0x60, v0
	ds_store_b32 v21, v5 offset:64
	s_and_b32 exec_lo, exec_lo, vcc_lo
	s_cbranch_execz .LBB234_82
; %bb.76:
	v_cmp_gt_u32_e32 vcc_lo, 0x50, v0
	ds_store_b32 v21, v5 offset:128
	s_and_b32 exec_lo, exec_lo, vcc_lo
	s_cbranch_execz .LBB234_82
; %bb.77:
	v_mov_b32_e32 v5, 0
	v_cmp_gt_u32_e32 vcc_lo, 64, v0
	ds_store_b32 v21, v5 offset:192
	s_and_b32 exec_lo, exec_lo, vcc_lo
	s_cbranch_execz .LBB234_82
; %bb.78:
	v_cmp_gt_u32_e32 vcc_lo, 48, v0
	ds_store_b32 v21, v5 offset:256
	;; [unrolled: 11-line block ×3, first 2 shown]
	s_and_b32 exec_lo, exec_lo, vcc_lo
; %bb.81:
	v_mov_b32_e32 v5, 0
	ds_store_b32 v21, v5 offset:448
.LBB234_82:
	s_wait_alu 0xfffe
	s_or_b32 exec_lo, exec_lo, s16
	v_lshrrev_b16 v5, 4, v13
	v_cmp_ne_u16_e32 vcc_lo, 0x8000, v13
	s_min_u32 s16, s13, 12
	v_lshrrev_b32_e32 v14, 16, v13
	s_wait_alu 0xfffe
	s_lshl_b32 s16, -1, s16
	v_lshrrev_b32_e32 v7, 20, v13
	s_wait_alu 0xfffd
	v_cndmask_b32_e32 v5, 0x7ff, v5, vcc_lo
	s_wait_alu 0xfffe
	s_not_b32 s16, s16
	v_cmp_ne_u16_e32 vcc_lo, 0x8000, v14
	s_delay_alu instid0(VALU_DEP_2) | instskip(SKIP_1) | instid1(VALU_DEP_1)
	v_and_b32_e32 v5, 0xffff, v5
	s_wait_alu 0xfffe
	v_and_b32_e32 v5, s16, v5
	s_delay_alu instid0(VALU_DEP_1) | instskip(SKIP_1) | instid1(VALU_DEP_2)
	v_lshlrev_b32_e32 v6, 4, v5
	v_lshrrev_b32_e32 v5, 2, v5
	v_and_or_b32 v6, 0x70, v6, v0
	s_delay_alu instid0(VALU_DEP_2) | instskip(NEXT) | instid1(VALU_DEP_1)
	v_and_b32_e32 v5, 0x3fe, v5
	v_lshl_add_u32 v15, v6, 2, v5
	s_wait_alu 0xfffd
	v_cndmask_b32_e32 v5, 0x7ff, v7, vcc_lo
	ds_load_u16 v16, v15
	v_and_b32_e32 v5, 0xffff, v5
	s_delay_alu instid0(VALU_DEP_1) | instskip(NEXT) | instid1(VALU_DEP_1)
	v_and_b32_e32 v5, s16, v5
	v_lshlrev_b32_e32 v6, 4, v5
	v_lshrrev_b32_e32 v5, 2, v5
	s_delay_alu instid0(VALU_DEP_2) | instskip(NEXT) | instid1(VALU_DEP_2)
	v_and_or_b32 v6, 0x70, v6, v0
	v_and_b32_e32 v5, 0x3fe, v5
	s_wait_dscnt 0x0
	v_add_nc_u16 v7, v16, 1
	s_delay_alu instid0(VALU_DEP_2)
	v_lshl_add_u32 v27, v6, 2, v5
	ds_store_b16 v15, v7
	ds_load_u16 v28, v27
	s_wait_dscnt 0x0
	v_add_nc_u16 v5, v28, 1
	ds_store_b16 v27, v5
	; wave barrier
	s_wait_loadcnt_dscnt 0x0
	global_inv scope:SCOPE_SE
	ds_load_b128 v[9:12], v25
	ds_load_b128 v[5:8], v25 offset:16
	s_wait_dscnt 0x1
	v_add_nc_u32_e32 v29, v10, v9
	s_delay_alu instid0(VALU_DEP_1) | instskip(SKIP_1) | instid1(VALU_DEP_1)
	v_add3_u32 v29, v29, v11, v12
	s_wait_dscnt 0x0
	v_add3_u32 v29, v29, v5, v6
	s_delay_alu instid0(VALU_DEP_1) | instskip(NEXT) | instid1(VALU_DEP_1)
	v_add3_u32 v8, v29, v7, v8
	v_mov_b32_dpp v29, v8 row_shr:1 row_mask:0xf bank_mask:0xf
	s_delay_alu instid0(VALU_DEP_1) | instskip(NEXT) | instid1(VALU_DEP_1)
	v_cndmask_b32_e64 v29, v29, 0, s5
	v_add_nc_u32_e32 v8, v29, v8
	s_delay_alu instid0(VALU_DEP_1) | instskip(NEXT) | instid1(VALU_DEP_1)
	v_mov_b32_dpp v29, v8 row_shr:2 row_mask:0xf bank_mask:0xf
	v_cndmask_b32_e64 v29, 0, v29, s3
	s_delay_alu instid0(VALU_DEP_1) | instskip(NEXT) | instid1(VALU_DEP_1)
	v_add_nc_u32_e32 v8, v8, v29
	v_mov_b32_dpp v29, v8 row_shr:4 row_mask:0xf bank_mask:0xf
	s_delay_alu instid0(VALU_DEP_1) | instskip(NEXT) | instid1(VALU_DEP_1)
	v_cndmask_b32_e64 v29, 0, v29, s6
	v_add_nc_u32_e32 v8, v8, v29
	s_delay_alu instid0(VALU_DEP_1) | instskip(NEXT) | instid1(VALU_DEP_1)
	v_mov_b32_dpp v29, v8 row_shr:8 row_mask:0xf bank_mask:0xf
	v_cndmask_b32_e64 v29, 0, v29, s4
	s_delay_alu instid0(VALU_DEP_1)
	v_add_nc_u32_e32 v8, v8, v29
	s_and_saveexec_b32 s16, s1
; %bb.83:
	v_mov_b32_e32 v29, 0
	ds_store_b32 v29, v8 offset:512
; %bb.84:
	s_wait_alu 0xfffe
	s_or_b32 exec_lo, exec_lo, s16
	ds_bpermute_b32 v29, v26, v8
	v_mov_b32_e32 v8, 0
	; wave barrier
	s_wait_loadcnt_dscnt 0x0
	global_inv scope:SCOPE_SE
	ds_load_b32 v30, v8 offset:512
	v_cndmask_b32_e64 v29, v29, 0, s11
	s_wait_dscnt 0x0
	s_delay_alu instid0(VALU_DEP_1) | instskip(NEXT) | instid1(VALU_DEP_1)
	v_lshl_add_u32 v29, v30, 16, v29
	v_add_nc_u32_e32 v30, v29, v9
	s_delay_alu instid0(VALU_DEP_1) | instskip(NEXT) | instid1(VALU_DEP_1)
	v_add_nc_u32_e32 v31, v30, v10
	v_add_nc_u32_e32 v32, v31, v11
	s_delay_alu instid0(VALU_DEP_1) | instskip(NEXT) | instid1(VALU_DEP_1)
	v_add_nc_u32_e32 v9, v32, v12
	;; [unrolled: 3-line block ×3, first 2 shown]
	v_add_nc_u32_e32 v12, v11, v7
	v_and_b32_e32 v7, 0xffff, v16
	ds_store_b128 v25, v[29:32]
	ds_store_b128 v25, v[9:12] offset:16
	; wave barrier
	s_wait_loadcnt_dscnt 0x0
	global_inv scope:SCOPE_SE
	ds_load_u16 v5, v15
	ds_load_u16 v6, v27
	v_and_b32_e32 v9, 0xffff, v28
	; wave barrier
	s_wait_loadcnt_dscnt 0x0
	global_inv scope:SCOPE_SE
	v_add_nc_u32_e32 v5, v5, v7
	v_add_nc_u32_e32 v6, v6, v9
	s_delay_alu instid0(VALU_DEP_2) | instskip(NEXT) | instid1(VALU_DEP_2)
	v_lshlrev_b32_e32 v7, 1, v5
	v_lshlrev_b32_e32 v9, 1, v6
	ds_store_b16 v7, v13
	ds_store_b16 v9, v14
	v_mad_u32_u24 v5, v5, 6, v7
	v_mad_u32_u24 v6, v6, 6, v9
	; wave barrier
	s_wait_loadcnt_dscnt 0x0
	global_inv scope:SCOPE_SE
	ds_load_b32 v13, v19
	; wave barrier
	s_wait_loadcnt_dscnt 0x0
	global_inv scope:SCOPE_SE
	ds_store_b64 v5, v[1:2]
	ds_store_b64 v6, v[3:4]
	; wave barrier
	s_wait_loadcnt_dscnt 0x0
	global_inv scope:SCOPE_SE
	ds_load_b128 v[1:4], v18
	; wave barrier
	s_wait_loadcnt_dscnt 0x0
	global_inv scope:SCOPE_SE
	s_and_saveexec_b32 s16, s7
	s_cbranch_execz .LBB234_93
; %bb.85:
	v_cmp_gt_u32_e32 vcc_lo, 0x70, v0
	ds_store_b32 v21, v8
	s_and_b32 exec_lo, exec_lo, vcc_lo
	s_cbranch_execz .LBB234_93
; %bb.86:
	v_mov_b32_e32 v5, 0
	v_cmp_gt_u32_e32 vcc_lo, 0x60, v0
	ds_store_b32 v21, v5 offset:64
	s_and_b32 exec_lo, exec_lo, vcc_lo
	s_cbranch_execz .LBB234_93
; %bb.87:
	v_cmp_gt_u32_e32 vcc_lo, 0x50, v0
	ds_store_b32 v21, v5 offset:128
	s_and_b32 exec_lo, exec_lo, vcc_lo
	s_cbranch_execz .LBB234_93
; %bb.88:
	v_mov_b32_e32 v5, 0
	v_cmp_gt_u32_e32 vcc_lo, 64, v0
	ds_store_b32 v21, v5 offset:192
	s_and_b32 exec_lo, exec_lo, vcc_lo
	s_cbranch_execz .LBB234_93
; %bb.89:
	v_cmp_gt_u32_e32 vcc_lo, 48, v0
	ds_store_b32 v21, v5 offset:256
	;; [unrolled: 11-line block ×3, first 2 shown]
	s_and_b32 exec_lo, exec_lo, vcc_lo
; %bb.92:
	v_mov_b32_e32 v5, 0
	ds_store_b32 v21, v5 offset:448
.LBB234_93:
	s_wait_alu 0xfffe
	s_or_b32 exec_lo, exec_lo, s16
	v_lshrrev_b16 v5, 8, v13
	v_cmp_ne_u16_e32 vcc_lo, 0x8000, v13
	s_min_u32 s16, s13, 8
	v_lshrrev_b32_e32 v14, 16, v13
	s_wait_alu 0xfffe
	s_lshl_b32 s16, -1, s16
	v_lshrrev_b32_e32 v7, 24, v13
	s_wait_alu 0xfffd
	v_cndmask_b32_e32 v5, 0x7f, v5, vcc_lo
	s_wait_alu 0xfffe
	s_not_b32 s16, s16
	v_cmp_ne_u16_e32 vcc_lo, 0x8000, v14
	s_delay_alu instid0(VALU_DEP_2) | instskip(SKIP_1) | instid1(VALU_DEP_1)
	v_and_b32_e32 v5, 0xffff, v5
	s_wait_alu 0xfffe
	v_and_b32_e32 v5, s16, v5
	s_delay_alu instid0(VALU_DEP_1) | instskip(SKIP_1) | instid1(VALU_DEP_2)
	v_lshlrev_b32_e32 v6, 4, v5
	v_lshrrev_b32_e32 v5, 2, v5
	v_and_or_b32 v6, 0x70, v6, v0
	s_delay_alu instid0(VALU_DEP_2) | instskip(NEXT) | instid1(VALU_DEP_1)
	v_and_b32_e32 v5, 62, v5
	v_lshl_add_u32 v15, v6, 2, v5
	s_wait_alu 0xfffd
	v_cndmask_b32_e32 v5, 0x7f, v7, vcc_lo
	ds_load_u16 v16, v15
	v_and_b32_e32 v5, 0xffff, v5
	s_delay_alu instid0(VALU_DEP_1) | instskip(NEXT) | instid1(VALU_DEP_1)
	v_and_b32_e32 v5, s16, v5
	v_lshlrev_b32_e32 v6, 4, v5
	v_lshrrev_b32_e32 v5, 2, v5
	s_delay_alu instid0(VALU_DEP_2) | instskip(NEXT) | instid1(VALU_DEP_2)
	v_and_or_b32 v6, 0x70, v6, v0
	v_and_b32_e32 v5, 62, v5
	s_wait_dscnt 0x0
	v_add_nc_u16 v7, v16, 1
	s_delay_alu instid0(VALU_DEP_2)
	v_lshl_add_u32 v27, v6, 2, v5
	ds_store_b16 v15, v7
	ds_load_u16 v28, v27
	s_wait_dscnt 0x0
	v_add_nc_u16 v5, v28, 1
	ds_store_b16 v27, v5
	; wave barrier
	s_wait_loadcnt_dscnt 0x0
	global_inv scope:SCOPE_SE
	ds_load_b128 v[9:12], v25
	ds_load_b128 v[5:8], v25 offset:16
	s_wait_dscnt 0x1
	v_add_nc_u32_e32 v29, v10, v9
	s_delay_alu instid0(VALU_DEP_1) | instskip(SKIP_1) | instid1(VALU_DEP_1)
	v_add3_u32 v29, v29, v11, v12
	s_wait_dscnt 0x0
	v_add3_u32 v29, v29, v5, v6
	s_delay_alu instid0(VALU_DEP_1) | instskip(NEXT) | instid1(VALU_DEP_1)
	v_add3_u32 v8, v29, v7, v8
	v_mov_b32_dpp v29, v8 row_shr:1 row_mask:0xf bank_mask:0xf
	s_delay_alu instid0(VALU_DEP_1) | instskip(NEXT) | instid1(VALU_DEP_1)
	v_cndmask_b32_e64 v29, v29, 0, s5
	v_add_nc_u32_e32 v8, v29, v8
	s_delay_alu instid0(VALU_DEP_1) | instskip(NEXT) | instid1(VALU_DEP_1)
	v_mov_b32_dpp v29, v8 row_shr:2 row_mask:0xf bank_mask:0xf
	v_cndmask_b32_e64 v29, 0, v29, s3
	s_delay_alu instid0(VALU_DEP_1) | instskip(NEXT) | instid1(VALU_DEP_1)
	v_add_nc_u32_e32 v8, v8, v29
	v_mov_b32_dpp v29, v8 row_shr:4 row_mask:0xf bank_mask:0xf
	s_delay_alu instid0(VALU_DEP_1) | instskip(NEXT) | instid1(VALU_DEP_1)
	v_cndmask_b32_e64 v29, 0, v29, s6
	v_add_nc_u32_e32 v8, v8, v29
	s_delay_alu instid0(VALU_DEP_1) | instskip(NEXT) | instid1(VALU_DEP_1)
	v_mov_b32_dpp v29, v8 row_shr:8 row_mask:0xf bank_mask:0xf
	v_cndmask_b32_e64 v29, 0, v29, s4
	s_delay_alu instid0(VALU_DEP_1)
	v_add_nc_u32_e32 v8, v8, v29
	s_and_saveexec_b32 s16, s1
; %bb.94:
	v_mov_b32_e32 v29, 0
	ds_store_b32 v29, v8 offset:512
; %bb.95:
	s_wait_alu 0xfffe
	s_or_b32 exec_lo, exec_lo, s16
	ds_bpermute_b32 v29, v26, v8
	v_mov_b32_e32 v8, 0
	; wave barrier
	s_wait_loadcnt_dscnt 0x0
	global_inv scope:SCOPE_SE
	ds_load_b32 v30, v8 offset:512
	v_cndmask_b32_e64 v29, v29, 0, s11
	s_wait_dscnt 0x0
	s_delay_alu instid0(VALU_DEP_1) | instskip(NEXT) | instid1(VALU_DEP_1)
	v_lshl_add_u32 v29, v30, 16, v29
	v_add_nc_u32_e32 v30, v29, v9
	s_delay_alu instid0(VALU_DEP_1) | instskip(NEXT) | instid1(VALU_DEP_1)
	v_add_nc_u32_e32 v31, v30, v10
	v_add_nc_u32_e32 v32, v31, v11
	s_delay_alu instid0(VALU_DEP_1) | instskip(NEXT) | instid1(VALU_DEP_1)
	v_add_nc_u32_e32 v9, v32, v12
	;; [unrolled: 3-line block ×3, first 2 shown]
	v_add_nc_u32_e32 v12, v11, v7
	v_and_b32_e32 v7, 0xffff, v16
	ds_store_b128 v25, v[29:32]
	ds_store_b128 v25, v[9:12] offset:16
	; wave barrier
	s_wait_loadcnt_dscnt 0x0
	global_inv scope:SCOPE_SE
	ds_load_u16 v5, v15
	ds_load_u16 v6, v27
	v_and_b32_e32 v9, 0xffff, v28
	; wave barrier
	s_wait_loadcnt_dscnt 0x0
	global_inv scope:SCOPE_SE
	v_add_nc_u32_e32 v5, v5, v7
	v_add_nc_u32_e32 v6, v6, v9
	s_delay_alu instid0(VALU_DEP_2) | instskip(NEXT) | instid1(VALU_DEP_2)
	v_lshlrev_b32_e32 v7, 1, v5
	v_lshlrev_b32_e32 v9, 1, v6
	ds_store_b16 v7, v13
	ds_store_b16 v9, v14
	v_mad_u32_u24 v5, v5, 6, v7
	v_mad_u32_u24 v6, v6, 6, v9
	; wave barrier
	s_wait_loadcnt_dscnt 0x0
	global_inv scope:SCOPE_SE
	ds_load_b32 v13, v19
	; wave barrier
	s_wait_loadcnt_dscnt 0x0
	global_inv scope:SCOPE_SE
	ds_store_b64 v5, v[1:2]
	ds_store_b64 v6, v[3:4]
	; wave barrier
	s_wait_loadcnt_dscnt 0x0
	global_inv scope:SCOPE_SE
	ds_load_b128 v[1:4], v18
	; wave barrier
	s_wait_loadcnt_dscnt 0x0
	global_inv scope:SCOPE_SE
	s_and_saveexec_b32 s16, s7
	s_cbranch_execz .LBB234_104
; %bb.96:
	v_cmp_gt_u32_e32 vcc_lo, 0x70, v0
	ds_store_b32 v21, v8
	s_and_b32 exec_lo, exec_lo, vcc_lo
	s_cbranch_execz .LBB234_104
; %bb.97:
	v_mov_b32_e32 v5, 0
	v_cmp_gt_u32_e32 vcc_lo, 0x60, v0
	ds_store_b32 v21, v5 offset:64
	s_and_b32 exec_lo, exec_lo, vcc_lo
	s_cbranch_execz .LBB234_104
; %bb.98:
	v_cmp_gt_u32_e32 vcc_lo, 0x50, v0
	ds_store_b32 v21, v5 offset:128
	s_and_b32 exec_lo, exec_lo, vcc_lo
	s_cbranch_execz .LBB234_104
; %bb.99:
	v_mov_b32_e32 v5, 0
	v_cmp_gt_u32_e32 vcc_lo, 64, v0
	ds_store_b32 v21, v5 offset:192
	s_and_b32 exec_lo, exec_lo, vcc_lo
	s_cbranch_execz .LBB234_104
; %bb.100:
	v_cmp_gt_u32_e32 vcc_lo, 48, v0
	ds_store_b32 v21, v5 offset:256
	;; [unrolled: 11-line block ×3, first 2 shown]
	s_and_b32 exec_lo, exec_lo, vcc_lo
; %bb.103:
	v_mov_b32_e32 v5, 0
	ds_store_b32 v21, v5 offset:448
.LBB234_104:
	s_wait_alu 0xfffe
	s_or_b32 exec_lo, exec_lo, s16
	v_lshrrev_b16 v5, 12, v13
	v_cmp_ne_u16_e32 vcc_lo, 0x8000, v13
	s_min_u32 s7, s13, 4
	v_lshrrev_b32_e32 v14, 16, v13
	s_wait_alu 0xfffe
	s_lshl_b32 s7, -1, s7
	v_lshrrev_b32_e32 v7, 28, v13
	s_wait_alu 0xfffd
	v_cndmask_b32_e32 v5, 7, v5, vcc_lo
	s_wait_alu 0xfffe
	s_not_b32 s7, s7
	v_cmp_ne_u16_e32 vcc_lo, 0x8000, v14
	s_delay_alu instid0(VALU_DEP_2) | instskip(SKIP_1) | instid1(VALU_DEP_1)
	v_and_b32_e32 v5, 0xffff, v5
	s_wait_alu 0xfffe
	v_and_b32_e32 v5, s7, v5
	s_delay_alu instid0(VALU_DEP_1) | instskip(SKIP_1) | instid1(VALU_DEP_2)
	v_lshlrev_b32_e32 v6, 4, v5
	v_lshrrev_b32_e32 v5, 2, v5
	v_and_or_b32 v6, 0x70, v6, v0
	s_delay_alu instid0(VALU_DEP_2) | instskip(NEXT) | instid1(VALU_DEP_1)
	v_and_b32_e32 v5, 2, v5
	v_lshl_or_b32 v15, v6, 2, v5
	s_wait_alu 0xfffd
	v_cndmask_b32_e32 v5, 7, v7, vcc_lo
	ds_load_u16 v16, v15
	v_and_b32_e32 v5, 0xffff, v5
	s_delay_alu instid0(VALU_DEP_1) | instskip(NEXT) | instid1(VALU_DEP_1)
	v_and_b32_e32 v5, s7, v5
	v_lshlrev_b32_e32 v6, 4, v5
	v_lshrrev_b32_e32 v5, 2, v5
	s_delay_alu instid0(VALU_DEP_2) | instskip(NEXT) | instid1(VALU_DEP_2)
	v_and_or_b32 v0, 0x70, v6, v0
	v_and_b32_e32 v5, 2, v5
	s_wait_dscnt 0x0
	v_add_nc_u16 v6, v16, 1
	s_delay_alu instid0(VALU_DEP_2)
	v_lshl_or_b32 v0, v0, 2, v5
	ds_store_b16 v15, v6
	ds_load_u16 v27, v0
	s_wait_dscnt 0x0
	v_add_nc_u16 v5, v27, 1
	ds_store_b16 v0, v5
	; wave barrier
	s_wait_loadcnt_dscnt 0x0
	global_inv scope:SCOPE_SE
	ds_load_b128 v[9:12], v25
	ds_load_b128 v[5:8], v25 offset:16
	s_wait_dscnt 0x1
	v_add_nc_u32_e32 v28, v10, v9
	s_delay_alu instid0(VALU_DEP_1) | instskip(SKIP_1) | instid1(VALU_DEP_1)
	v_add3_u32 v28, v28, v11, v12
	s_wait_dscnt 0x0
	v_add3_u32 v28, v28, v5, v6
	s_delay_alu instid0(VALU_DEP_1) | instskip(NEXT) | instid1(VALU_DEP_1)
	v_add3_u32 v8, v28, v7, v8
	v_mov_b32_dpp v28, v8 row_shr:1 row_mask:0xf bank_mask:0xf
	s_delay_alu instid0(VALU_DEP_1) | instskip(NEXT) | instid1(VALU_DEP_1)
	v_cndmask_b32_e64 v28, v28, 0, s5
	v_add_nc_u32_e32 v8, v28, v8
	s_delay_alu instid0(VALU_DEP_1) | instskip(NEXT) | instid1(VALU_DEP_1)
	v_mov_b32_dpp v28, v8 row_shr:2 row_mask:0xf bank_mask:0xf
	v_cndmask_b32_e64 v28, 0, v28, s3
	s_delay_alu instid0(VALU_DEP_1) | instskip(NEXT) | instid1(VALU_DEP_1)
	v_add_nc_u32_e32 v8, v8, v28
	v_mov_b32_dpp v28, v8 row_shr:4 row_mask:0xf bank_mask:0xf
	s_delay_alu instid0(VALU_DEP_1) | instskip(NEXT) | instid1(VALU_DEP_1)
	v_cndmask_b32_e64 v28, 0, v28, s6
	v_add_nc_u32_e32 v8, v8, v28
	s_delay_alu instid0(VALU_DEP_1) | instskip(NEXT) | instid1(VALU_DEP_1)
	v_mov_b32_dpp v28, v8 row_shr:8 row_mask:0xf bank_mask:0xf
	v_cndmask_b32_e64 v28, 0, v28, s4
	s_delay_alu instid0(VALU_DEP_1)
	v_add_nc_u32_e32 v8, v8, v28
	s_and_saveexec_b32 s3, s1
; %bb.105:
	v_mov_b32_e32 v28, 0
	ds_store_b32 v28, v8 offset:512
; %bb.106:
	s_wait_alu 0xfffe
	s_or_b32 exec_lo, exec_lo, s3
	ds_bpermute_b32 v8, v26, v8
	v_mov_b32_e32 v26, 0
	; wave barrier
	s_wait_loadcnt_dscnt 0x0
	global_inv scope:SCOPE_SE
	ds_load_b32 v26, v26 offset:512
	v_cndmask_b32_e64 v8, v8, 0, s11
	s_wait_dscnt 0x0
	s_delay_alu instid0(VALU_DEP_1) | instskip(NEXT) | instid1(VALU_DEP_1)
	v_lshl_add_u32 v8, v26, 16, v8
	v_add_nc_u32_e32 v9, v8, v9
	s_delay_alu instid0(VALU_DEP_1) | instskip(NEXT) | instid1(VALU_DEP_1)
	v_add_nc_u32_e32 v10, v9, v10
	v_add_nc_u32_e32 v11, v10, v11
	s_delay_alu instid0(VALU_DEP_1) | instskip(NEXT) | instid1(VALU_DEP_1)
	v_add_nc_u32_e32 v28, v11, v12
	v_add_nc_u32_e32 v29, v28, v5
	s_delay_alu instid0(VALU_DEP_1) | instskip(SKIP_1) | instid1(VALU_DEP_2)
	v_add_nc_u32_e32 v30, v29, v6
	v_and_b32_e32 v6, 0xffff, v16
	v_add_nc_u32_e32 v31, v30, v7
	v_and_b32_e32 v7, 0xffff, v27
	ds_store_b128 v25, v[8:11]
	ds_store_b128 v25, v[28:31] offset:16
	; wave barrier
	s_wait_loadcnt_dscnt 0x0
	global_inv scope:SCOPE_SE
	ds_load_u16 v5, v15
	ds_load_u16 v0, v0
	; wave barrier
	s_wait_loadcnt_dscnt 0x0
	global_inv scope:SCOPE_SE
	v_add_nc_u32_e32 v5, v5, v6
	v_add_nc_u32_e32 v0, v0, v7
	s_delay_alu instid0(VALU_DEP_2) | instskip(NEXT) | instid1(VALU_DEP_2)
	v_lshlrev_b32_e32 v6, 1, v5
	v_lshlrev_b32_e32 v7, 1, v0
	ds_store_b16 v6, v13
	ds_store_b16 v7, v14
	; wave barrier
	s_wait_loadcnt_dscnt 0x0
	global_inv scope:SCOPE_SE
	ds_load_b32 v9, v19
	v_mad_u32_u24 v5, v5, 6, v6
	v_mad_u32_u24 v0, v0, 6, v7
	; wave barrier
	s_wait_loadcnt_dscnt 0x0
	global_inv scope:SCOPE_SE
	ds_store_b64 v5, v[1:2]
	ds_store_b64 v0, v[3:4]
	; wave barrier
	s_wait_loadcnt_dscnt 0x0
	global_inv scope:SCOPE_SE
	ds_load_b128 v[5:8], v18
	v_lshrrev_b32_e32 v0, 16, v9
	v_cmp_gt_i16_e32 vcc_lo, 0, v9
	s_wait_alu 0xfffd
	v_cndmask_b32_e64 v1, 0x7fff, 0, vcc_lo
	s_delay_alu instid0(VALU_DEP_3) | instskip(SKIP_2) | instid1(VALU_DEP_1)
	v_cmp_gt_i16_e32 vcc_lo, 0, v0
	s_wait_alu 0xfffd
	v_cndmask_b32_e64 v0, 0x7fff, 0, vcc_lo
	v_perm_b32 v0, v0, v1, 0x5040100
	s_delay_alu instid0(VALU_DEP_1)
	v_xor_b32_e32 v9, v0, v9
.LBB234_107:
	; wave barrier
	s_wait_loadcnt_dscnt 0x0
	global_inv scope:SCOPE_SE
	ds_store_b32 v21, v9
	; wave barrier
	s_wait_loadcnt_dscnt 0x0
	global_inv scope:SCOPE_SE
	ds_load_u16 v2, v22 offset:32
	v_mov_b32_e32 v21, 0
	s_delay_alu instid0(VALU_DEP_1) | instskip(NEXT) | instid1(VALU_DEP_1)
	v_lshlrev_b64_e32 v[0:1], 1, v[20:21]
	v_add_co_u32 v0, vcc_lo, s14, v0
	s_wait_alu 0xfffd
	s_delay_alu instid0(VALU_DEP_2)
	v_add_co_ci_u32_e64 v1, null, s15, v1, vcc_lo
	s_and_saveexec_b32 s1, s2
	s_cbranch_execz .LBB234_109
; %bb.108:
	ds_load_u16 v3, v22
	s_wait_dscnt 0x0
	global_store_b16 v[0:1], v3, off
.LBB234_109:
	s_or_b32 exec_lo, exec_lo, s1
	s_and_saveexec_b32 s1, s0
	s_cbranch_execz .LBB234_111
; %bb.110:
	s_lshl_b32 s4, s10, 4
	s_mov_b32 s5, 0
	s_wait_alu 0xfffe
	s_lshl_b64 s[4:5], s[4:5], 1
	s_wait_alu 0xfffe
	v_add_co_u32 v0, vcc_lo, v0, s4
	s_wait_alu 0xfffd
	v_add_co_ci_u32_e64 v1, null, s5, v1, vcc_lo
	s_wait_dscnt 0x0
	global_store_b16 v[0:1], v2, off
.LBB234_111:
	s_or_b32 exec_lo, exec_lo, s1
	s_wait_storecnt 0x0
	; wave barrier
	s_wait_loadcnt_dscnt 0x0
	global_inv scope:SCOPE_SE
	ds_store_2addr_b64 v24, v[5:6], v[7:8] offset1:1
	; wave barrier
	s_wait_loadcnt_dscnt 0x0
	global_inv scope:SCOPE_SE
	ds_load_b64 v[0:1], v23 offset:128
	v_mov_b32_e32 v18, 0
	s_delay_alu instid0(VALU_DEP_1) | instskip(NEXT) | instid1(VALU_DEP_1)
	v_lshlrev_b64_e32 v[2:3], 3, v[17:18]
	v_add_co_u32 v2, vcc_lo, s8, v2
	s_wait_alu 0xfffd
	s_delay_alu instid0(VALU_DEP_2)
	v_add_co_ci_u32_e64 v3, null, s9, v3, vcc_lo
	s_and_saveexec_b32 s1, s2
	s_cbranch_execz .LBB234_113
; %bb.112:
	ds_load_b64 v[4:5], v23
	s_wait_dscnt 0x0
	global_store_b64 v[2:3], v[4:5], off
.LBB234_113:
	s_or_b32 exec_lo, exec_lo, s1
	s_and_saveexec_b32 s1, s0
	s_cbranch_execz .LBB234_115
; %bb.114:
	s_lshl_b32 s0, s12, 4
	s_mov_b32 s1, 0
	s_delay_alu instid0(SALU_CYCLE_1) | instskip(NEXT) | instid1(SALU_CYCLE_1)
	s_lshl_b64 s[0:1], s[0:1], 3
	v_add_co_u32 v2, vcc_lo, v2, s0
	s_wait_alu 0xfffd
	v_add_co_ci_u32_e64 v3, null, s1, v3, vcc_lo
	s_wait_dscnt 0x0
	global_store_b64 v[2:3], v[0:1], off
.LBB234_115:
	s_endpgm
	.section	.rodata,"a",@progbits
	.p2align	6, 0x0
	.amdhsa_kernel _ZN2at6native18radixSortKVInPlaceILin1ELin1ELi16ELi2EN3c104HalfEljEEvNS_4cuda6detail10TensorInfoIT3_T5_EES8_S8_S8_NS6_IT4_S8_EES8_b
		.amdhsa_group_segment_fixed_size 528
		.amdhsa_private_segment_fixed_size 0
		.amdhsa_kernarg_size 712
		.amdhsa_user_sgpr_count 2
		.amdhsa_user_sgpr_dispatch_ptr 0
		.amdhsa_user_sgpr_queue_ptr 0
		.amdhsa_user_sgpr_kernarg_segment_ptr 1
		.amdhsa_user_sgpr_dispatch_id 0
		.amdhsa_user_sgpr_private_segment_size 0
		.amdhsa_wavefront_size32 1
		.amdhsa_uses_dynamic_stack 0
		.amdhsa_enable_private_segment 0
		.amdhsa_system_sgpr_workgroup_id_x 1
		.amdhsa_system_sgpr_workgroup_id_y 1
		.amdhsa_system_sgpr_workgroup_id_z 1
		.amdhsa_system_sgpr_workgroup_info 0
		.amdhsa_system_vgpr_workitem_id 0
		.amdhsa_next_free_vgpr 39
		.amdhsa_next_free_sgpr 18
		.amdhsa_reserve_vcc 1
		.amdhsa_float_round_mode_32 0
		.amdhsa_float_round_mode_16_64 0
		.amdhsa_float_denorm_mode_32 3
		.amdhsa_float_denorm_mode_16_64 3
		.amdhsa_fp16_overflow 0
		.amdhsa_workgroup_processor_mode 1
		.amdhsa_memory_ordered 1
		.amdhsa_forward_progress 1
		.amdhsa_inst_pref_size 76
		.amdhsa_round_robin_scheduling 0
		.amdhsa_exception_fp_ieee_invalid_op 0
		.amdhsa_exception_fp_denorm_src 0
		.amdhsa_exception_fp_ieee_div_zero 0
		.amdhsa_exception_fp_ieee_overflow 0
		.amdhsa_exception_fp_ieee_underflow 0
		.amdhsa_exception_fp_ieee_inexact 0
		.amdhsa_exception_int_div_zero 0
	.end_amdhsa_kernel
	.section	.text._ZN2at6native18radixSortKVInPlaceILin1ELin1ELi16ELi2EN3c104HalfEljEEvNS_4cuda6detail10TensorInfoIT3_T5_EES8_S8_S8_NS6_IT4_S8_EES8_b,"axG",@progbits,_ZN2at6native18radixSortKVInPlaceILin1ELin1ELi16ELi2EN3c104HalfEljEEvNS_4cuda6detail10TensorInfoIT3_T5_EES8_S8_S8_NS6_IT4_S8_EES8_b,comdat
.Lfunc_end234:
	.size	_ZN2at6native18radixSortKVInPlaceILin1ELin1ELi16ELi2EN3c104HalfEljEEvNS_4cuda6detail10TensorInfoIT3_T5_EES8_S8_S8_NS6_IT4_S8_EES8_b, .Lfunc_end234-_ZN2at6native18radixSortKVInPlaceILin1ELin1ELi16ELi2EN3c104HalfEljEEvNS_4cuda6detail10TensorInfoIT3_T5_EES8_S8_S8_NS6_IT4_S8_EES8_b
                                        ; -- End function
	.set _ZN2at6native18radixSortKVInPlaceILin1ELin1ELi16ELi2EN3c104HalfEljEEvNS_4cuda6detail10TensorInfoIT3_T5_EES8_S8_S8_NS6_IT4_S8_EES8_b.num_vgpr, 39
	.set _ZN2at6native18radixSortKVInPlaceILin1ELin1ELi16ELi2EN3c104HalfEljEEvNS_4cuda6detail10TensorInfoIT3_T5_EES8_S8_S8_NS6_IT4_S8_EES8_b.num_agpr, 0
	.set _ZN2at6native18radixSortKVInPlaceILin1ELin1ELi16ELi2EN3c104HalfEljEEvNS_4cuda6detail10TensorInfoIT3_T5_EES8_S8_S8_NS6_IT4_S8_EES8_b.numbered_sgpr, 18
	.set _ZN2at6native18radixSortKVInPlaceILin1ELin1ELi16ELi2EN3c104HalfEljEEvNS_4cuda6detail10TensorInfoIT3_T5_EES8_S8_S8_NS6_IT4_S8_EES8_b.num_named_barrier, 0
	.set _ZN2at6native18radixSortKVInPlaceILin1ELin1ELi16ELi2EN3c104HalfEljEEvNS_4cuda6detail10TensorInfoIT3_T5_EES8_S8_S8_NS6_IT4_S8_EES8_b.private_seg_size, 0
	.set _ZN2at6native18radixSortKVInPlaceILin1ELin1ELi16ELi2EN3c104HalfEljEEvNS_4cuda6detail10TensorInfoIT3_T5_EES8_S8_S8_NS6_IT4_S8_EES8_b.uses_vcc, 1
	.set _ZN2at6native18radixSortKVInPlaceILin1ELin1ELi16ELi2EN3c104HalfEljEEvNS_4cuda6detail10TensorInfoIT3_T5_EES8_S8_S8_NS6_IT4_S8_EES8_b.uses_flat_scratch, 0
	.set _ZN2at6native18radixSortKVInPlaceILin1ELin1ELi16ELi2EN3c104HalfEljEEvNS_4cuda6detail10TensorInfoIT3_T5_EES8_S8_S8_NS6_IT4_S8_EES8_b.has_dyn_sized_stack, 0
	.set _ZN2at6native18radixSortKVInPlaceILin1ELin1ELi16ELi2EN3c104HalfEljEEvNS_4cuda6detail10TensorInfoIT3_T5_EES8_S8_S8_NS6_IT4_S8_EES8_b.has_recursion, 0
	.set _ZN2at6native18radixSortKVInPlaceILin1ELin1ELi16ELi2EN3c104HalfEljEEvNS_4cuda6detail10TensorInfoIT3_T5_EES8_S8_S8_NS6_IT4_S8_EES8_b.has_indirect_call, 0
	.section	.AMDGPU.csdata,"",@progbits
; Kernel info:
; codeLenInByte = 9708
; TotalNumSgprs: 20
; NumVgprs: 39
; ScratchSize: 0
; MemoryBound: 0
; FloatMode: 240
; IeeeMode: 1
; LDSByteSize: 528 bytes/workgroup (compile time only)
; SGPRBlocks: 0
; VGPRBlocks: 4
; NumSGPRsForWavesPerEU: 20
; NumVGPRsForWavesPerEU: 39
; Occupancy: 16
; WaveLimiterHint : 1
; COMPUTE_PGM_RSRC2:SCRATCH_EN: 0
; COMPUTE_PGM_RSRC2:USER_SGPR: 2
; COMPUTE_PGM_RSRC2:TRAP_HANDLER: 0
; COMPUTE_PGM_RSRC2:TGID_X_EN: 1
; COMPUTE_PGM_RSRC2:TGID_Y_EN: 1
; COMPUTE_PGM_RSRC2:TGID_Z_EN: 1
; COMPUTE_PGM_RSRC2:TIDIG_COMP_CNT: 0
	.section	.text._ZN2at6native18radixSortKVInPlaceILin1ELin1ELi512ELi8EN3c104HalfElmEEvNS_4cuda6detail10TensorInfoIT3_T5_EES8_S8_S8_NS6_IT4_S8_EES8_b,"axG",@progbits,_ZN2at6native18radixSortKVInPlaceILin1ELin1ELi512ELi8EN3c104HalfElmEEvNS_4cuda6detail10TensorInfoIT3_T5_EES8_S8_S8_NS6_IT4_S8_EES8_b,comdat
	.protected	_ZN2at6native18radixSortKVInPlaceILin1ELin1ELi512ELi8EN3c104HalfElmEEvNS_4cuda6detail10TensorInfoIT3_T5_EES8_S8_S8_NS6_IT4_S8_EES8_b ; -- Begin function _ZN2at6native18radixSortKVInPlaceILin1ELin1ELi512ELi8EN3c104HalfElmEEvNS_4cuda6detail10TensorInfoIT3_T5_EES8_S8_S8_NS6_IT4_S8_EES8_b
	.globl	_ZN2at6native18radixSortKVInPlaceILin1ELin1ELi512ELi8EN3c104HalfElmEEvNS_4cuda6detail10TensorInfoIT3_T5_EES8_S8_S8_NS6_IT4_S8_EES8_b
	.p2align	8
	.type	_ZN2at6native18radixSortKVInPlaceILin1ELin1ELi512ELi8EN3c104HalfElmEEvNS_4cuda6detail10TensorInfoIT3_T5_EES8_S8_S8_NS6_IT4_S8_EES8_b,@function
_ZN2at6native18radixSortKVInPlaceILin1ELin1ELi512ELi8EN3c104HalfElmEEvNS_4cuda6detail10TensorInfoIT3_T5_EES8_S8_S8_NS6_IT4_S8_EES8_b: ; @_ZN2at6native18radixSortKVInPlaceILin1ELin1ELi512ELi8EN3c104HalfElmEEvNS_4cuda6detail10TensorInfoIT3_T5_EES8_S8_S8_NS6_IT4_S8_EES8_b
; %bb.0:
	s_clause 0x1
	s_load_b64 s[2:3], s[0:1], 0x368
	s_load_b128 s[8:11], s[0:1], 0x1a0
	s_lshr_b32 s4, ttmp7, 16
	s_and_b32 s5, ttmp7, 0xffff
	s_wait_kmcnt 0x0
	s_mul_i32 s3, s3, s4
	s_delay_alu instid0(SALU_CYCLE_1) | instskip(NEXT) | instid1(SALU_CYCLE_1)
	s_add_co_i32 s3, s3, s5
	s_mul_i32 s2, s3, s2
	s_mov_b32 s3, 0
	s_add_co_i32 s2, s2, ttmp9
	s_delay_alu instid0(SALU_CYCLE_1)
	v_cmp_le_u64_e64 s4, s[8:9], s[2:3]
	s_and_b32 vcc_lo, exec_lo, s4
	s_cbranch_vccnz .LBB235_160
; %bb.1:
	s_clause 0x1
	s_load_b32 s9, s[0:1], 0x198
	s_load_b64 s[24:25], s[0:1], 0x1b0
	s_mov_b64 s[4:5], 0
	s_mov_b64 s[6:7], s[2:3]
	s_wait_kmcnt 0x0
	s_cmp_lt_i32 s9, 2
	s_cbranch_scc1 .LBB235_9
; %bb.2:
	s_mov_b32 s8, 0
	s_add_co_i32 s4, s9, -1
	s_wait_alu 0xfffe
	s_mov_b32 s5, s8
	s_add_co_i32 s11, s9, 1
	s_lshl_b64 s[4:5], s[4:5], 3
	s_mov_b64 s[14:15], s[2:3]
	s_add_nc_u64 s[6:7], s[0:1], s[4:5]
	s_mov_b64 s[4:5], 0
	s_add_nc_u64 s[12:13], s[6:7], 8
.LBB235_3:                              ; =>This Inner Loop Header: Depth=1
	s_load_b64 s[16:17], s[12:13], 0x0
	s_wait_kmcnt 0x0
	s_or_b64 s[6:7], s[14:15], s[16:17]
	s_wait_alu 0xfffe
	s_mov_b32 s9, s7
                                        ; implicit-def: $sgpr6_sgpr7
	s_wait_alu 0xfffe
	s_cmp_lg_u64 s[8:9], 0
	s_mov_b32 s9, -1
	s_cbranch_scc0 .LBB235_5
; %bb.4:                                ;   in Loop: Header=BB235_3 Depth=1
	s_cvt_f32_u32 s6, s16
	s_cvt_f32_u32 s7, s17
	s_sub_nc_u64 s[18:19], 0, s[16:17]
	s_mov_b32 s21, s8
	s_mov_b32 s27, s8
	s_wait_alu 0xfffe
	s_fmamk_f32 s6, s7, 0x4f800000, s6
	s_wait_alu 0xfffe
	s_delay_alu instid0(SALU_CYCLE_2) | instskip(NEXT) | instid1(TRANS32_DEP_1)
	v_s_rcp_f32 s6, s6
	s_mul_f32 s6, s6, 0x5f7ffffc
	s_wait_alu 0xfffe
	s_delay_alu instid0(SALU_CYCLE_2) | instskip(SKIP_1) | instid1(SALU_CYCLE_2)
	s_mul_f32 s7, s6, 0x2f800000
	s_wait_alu 0xfffe
	s_trunc_f32 s7, s7
	s_wait_alu 0xfffe
	s_delay_alu instid0(SALU_CYCLE_2) | instskip(SKIP_2) | instid1(SALU_CYCLE_1)
	s_fmamk_f32 s6, s7, 0xcf800000, s6
	s_cvt_u32_f32 s7, s7
	s_wait_alu 0xfffe
	s_cvt_u32_f32 s6, s6
	s_wait_alu 0xfffe
	s_delay_alu instid0(SALU_CYCLE_2) | instskip(NEXT) | instid1(SALU_CYCLE_1)
	s_mul_u64 s[22:23], s[18:19], s[6:7]
	s_mul_hi_u32 s29, s6, s23
	s_mul_i32 s28, s6, s23
	s_mul_hi_u32 s20, s6, s22
	s_mul_i32 s26, s7, s22
	s_add_nc_u64 s[20:21], s[20:21], s[28:29]
	s_mul_hi_u32 s9, s7, s22
	s_mul_hi_u32 s30, s7, s23
	s_add_co_u32 s20, s20, s26
	s_wait_alu 0xfffe
	s_add_co_ci_u32 s26, s21, s9
	s_mul_i32 s22, s7, s23
	s_add_co_ci_u32 s23, s30, 0
	s_delay_alu instid0(SALU_CYCLE_1)
	s_add_nc_u64 s[20:21], s[26:27], s[22:23]
	s_mov_b32 s23, s8
	s_add_co_u32 s6, s6, s20
	s_cselect_b32 s9, -1, 0
	s_wait_alu 0xfffe
	s_cmp_lg_u32 s9, 0
	s_add_co_ci_u32 s7, s7, s21
	s_mov_b32 s21, s8
	s_wait_alu 0xfffe
	s_mul_u64 s[18:19], s[18:19], s[6:7]
	s_delay_alu instid0(SALU_CYCLE_1)
	s_mul_hi_u32 s27, s6, s19
	s_mul_i32 s26, s6, s19
	s_mul_hi_u32 s20, s6, s18
	s_mul_i32 s22, s7, s18
	s_add_nc_u64 s[20:21], s[20:21], s[26:27]
	s_mul_hi_u32 s9, s7, s18
	s_mul_hi_u32 s28, s7, s19
	s_mul_i32 s18, s7, s19
	s_add_co_u32 s19, s20, s22
	s_wait_alu 0xfffe
	s_add_co_ci_u32 s22, s21, s9
	s_add_co_ci_u32 s19, s28, 0
	s_mov_b32 s21, s8
	s_add_nc_u64 s[18:19], s[22:23], s[18:19]
	s_delay_alu instid0(SALU_CYCLE_1)
	s_add_co_u32 s6, s6, s18
	s_cselect_b32 s9, -1, 0
	s_wait_alu 0xfffe
	s_mul_hi_u32 s20, s14, s6
	s_cmp_lg_u32 s9, 0
	s_mul_hi_u32 s9, s15, s6
	s_add_co_ci_u32 s18, s7, s19
	s_mul_i32 s19, s15, s6
	s_mul_hi_u32 s7, s14, s18
	s_mul_i32 s6, s14, s18
	s_mul_hi_u32 s26, s15, s18
	s_wait_alu 0xfffe
	s_add_nc_u64 s[6:7], s[20:21], s[6:7]
	s_mul_i32 s18, s15, s18
	s_wait_alu 0xfffe
	s_add_co_u32 s6, s6, s19
	s_add_co_ci_u32 s22, s7, s9
	s_add_co_ci_u32 s19, s26, 0
	s_delay_alu instid0(SALU_CYCLE_1) | instskip(SKIP_2) | instid1(SALU_CYCLE_1)
	s_add_nc_u64 s[6:7], s[22:23], s[18:19]
	s_wait_alu 0xfffe
	s_mul_u64 s[18:19], s[16:17], s[6:7]
	s_sub_co_u32 s9, s14, s18
	s_cselect_b32 s18, -1, 0
	s_sub_co_i32 s20, s15, s19
	s_cmp_lg_u32 s18, 0
	s_sub_co_ci_u32 s20, s20, s17
	s_wait_alu 0xfffe
	s_sub_co_u32 s21, s9, s16
	s_cselect_b32 s22, -1, 0
	s_delay_alu instid0(SALU_CYCLE_1) | instskip(SKIP_1) | instid1(SALU_CYCLE_1)
	s_cmp_lg_u32 s22, 0
	s_sub_co_ci_u32 s20, s20, 0
	s_cmp_ge_u32 s20, s17
	s_cselect_b32 s22, -1, 0
	s_cmp_ge_u32 s21, s16
	s_cselect_b32 s23, -1, 0
	s_cmp_eq_u32 s20, s17
	s_add_nc_u64 s[20:21], s[6:7], 1
	s_cselect_b32 s26, s23, s22
	s_add_nc_u64 s[22:23], s[6:7], 2
	s_cmp_lg_u32 s26, 0
	s_cselect_b32 s20, s22, s20
	s_cselect_b32 s21, s23, s21
	s_cmp_lg_u32 s18, 0
	s_sub_co_ci_u32 s18, s15, s19
	s_delay_alu instid0(SALU_CYCLE_1)
	s_cmp_ge_u32 s18, s17
	s_cselect_b32 s19, -1, 0
	s_cmp_ge_u32 s9, s16
	s_cselect_b32 s9, -1, 0
	s_cmp_eq_u32 s18, s17
	s_wait_alu 0xfffe
	s_cselect_b32 s9, s9, s19
	s_wait_alu 0xfffe
	s_cmp_lg_u32 s9, 0
	s_mov_b32 s9, 0
	s_cselect_b32 s7, s21, s7
	s_cselect_b32 s6, s20, s6
.LBB235_5:                              ;   in Loop: Header=BB235_3 Depth=1
	s_wait_alu 0xfffe
	s_and_not1_b32 vcc_lo, exec_lo, s9
	s_cbranch_vccnz .LBB235_7
; %bb.6:                                ;   in Loop: Header=BB235_3 Depth=1
	v_cvt_f32_u32_e32 v1, s16
	s_sub_co_i32 s7, 0, s16
	s_delay_alu instid0(VALU_DEP_1) | instskip(NEXT) | instid1(TRANS32_DEP_1)
	v_rcp_iflag_f32_e32 v1, v1
	v_mul_f32_e32 v1, 0x4f7ffffe, v1
	s_delay_alu instid0(VALU_DEP_1) | instskip(NEXT) | instid1(VALU_DEP_1)
	v_cvt_u32_f32_e32 v1, v1
	v_readfirstlane_b32 s6, v1
	s_wait_alu 0xfffe
	s_mul_i32 s7, s7, s6
	s_wait_alu 0xfffe
	s_mul_hi_u32 s7, s6, s7
	s_wait_alu 0xfffe
	s_add_co_i32 s6, s6, s7
	s_wait_alu 0xfffe
	s_mul_hi_u32 s6, s14, s6
	s_wait_alu 0xfffe
	s_mul_i32 s7, s6, s16
	s_add_co_i32 s9, s6, 1
	s_wait_alu 0xfffe
	s_sub_co_i32 s7, s14, s7
	s_wait_alu 0xfffe
	s_sub_co_i32 s18, s7, s16
	s_cmp_ge_u32 s7, s16
	s_cselect_b32 s6, s9, s6
	s_cselect_b32 s7, s18, s7
	s_wait_alu 0xfffe
	s_add_co_i32 s9, s6, 1
	s_cmp_ge_u32 s7, s16
	s_mov_b32 s7, s8
	s_wait_alu 0xfffe
	s_cselect_b32 s6, s9, s6
.LBB235_7:                              ;   in Loop: Header=BB235_3 Depth=1
	s_load_b64 s[18:19], s[12:13], 0xc8
	s_mul_u64 s[16:17], s[6:7], s[16:17]
	s_add_co_i32 s11, s11, -1
	s_wait_alu 0xfffe
	s_sub_nc_u64 s[14:15], s[14:15], s[16:17]
	s_cmp_gt_u32 s11, 2
	s_add_nc_u64 s[12:13], s[12:13], -8
	s_wait_kmcnt 0x0
	s_mul_u64 s[14:15], s[18:19], s[14:15]
	s_delay_alu instid0(SALU_CYCLE_1)
	s_add_nc_u64 s[4:5], s[14:15], s[4:5]
	s_cbranch_scc0 .LBB235_9
; %bb.8:                                ;   in Loop: Header=BB235_3 Depth=1
	s_mov_b64 s[14:15], s[6:7]
	s_branch .LBB235_3
.LBB235_9:
	s_load_b32 s9, s[0:1], 0x350
	s_add_nc_u64 s[34:35], s[0:1], 0x368
	s_mov_b64 s[12:13], 0
	s_wait_kmcnt 0x0
	s_cmp_lt_i32 s9, 2
	s_cbranch_scc1 .LBB235_17
; %bb.10:
	s_mov_b32 s8, 0
	s_add_co_i32 s12, s9, -1
	s_wait_alu 0xfffe
	s_mov_b32 s13, s8
	s_add_co_i32 s11, s9, 1
	s_lshl_b64 s[12:13], s[12:13], 3
	s_delay_alu instid0(SALU_CYCLE_1) | instskip(NEXT) | instid1(SALU_CYCLE_1)
	s_add_nc_u64 s[12:13], s[0:1], s[12:13]
	s_add_nc_u64 s[16:17], s[12:13], 0x1c0
	s_mov_b64 s[12:13], 0
.LBB235_11:                             ; =>This Inner Loop Header: Depth=1
	s_load_b64 s[18:19], s[16:17], 0x0
	s_wait_kmcnt 0x0
	s_or_b64 s[14:15], s[2:3], s[18:19]
	s_delay_alu instid0(SALU_CYCLE_1)
	s_mov_b32 s9, s15
                                        ; implicit-def: $sgpr14_sgpr15
	s_wait_alu 0xfffe
	s_cmp_lg_u64 s[8:9], 0
	s_mov_b32 s9, -1
	s_cbranch_scc0 .LBB235_13
; %bb.12:                               ;   in Loop: Header=BB235_11 Depth=1
	s_cvt_f32_u32 s9, s18
	s_cvt_f32_u32 s14, s19
	s_sub_nc_u64 s[20:21], 0, s[18:19]
	s_mov_b32 s23, s8
	s_mov_b32 s29, s8
	s_wait_alu 0xfffe
	s_fmamk_f32 s9, s14, 0x4f800000, s9
	s_wait_alu 0xfffe
	s_delay_alu instid0(SALU_CYCLE_2) | instskip(NEXT) | instid1(TRANS32_DEP_1)
	v_s_rcp_f32 s9, s9
	s_mul_f32 s9, s9, 0x5f7ffffc
	s_wait_alu 0xfffe
	s_delay_alu instid0(SALU_CYCLE_2) | instskip(NEXT) | instid1(SALU_CYCLE_3)
	s_mul_f32 s14, s9, 0x2f800000
	s_trunc_f32 s14, s14
	s_delay_alu instid0(SALU_CYCLE_3) | instskip(SKIP_2) | instid1(SALU_CYCLE_1)
	s_fmamk_f32 s9, s14, 0xcf800000, s9
	s_cvt_u32_f32 s15, s14
	s_wait_alu 0xfffe
	s_cvt_u32_f32 s14, s9
	s_delay_alu instid0(SALU_CYCLE_3) | instskip(NEXT) | instid1(SALU_CYCLE_1)
	s_mul_u64 s[26:27], s[20:21], s[14:15]
	s_mul_hi_u32 s31, s14, s27
	s_mul_i32 s30, s14, s27
	s_mul_hi_u32 s22, s14, s26
	s_mul_i32 s28, s15, s26
	s_add_nc_u64 s[22:23], s[22:23], s[30:31]
	s_mul_hi_u32 s9, s15, s26
	s_mul_hi_u32 s33, s15, s27
	s_add_co_u32 s22, s22, s28
	s_wait_alu 0xfffe
	s_add_co_ci_u32 s28, s23, s9
	s_mul_i32 s26, s15, s27
	s_add_co_ci_u32 s27, s33, 0
	s_delay_alu instid0(SALU_CYCLE_1)
	s_add_nc_u64 s[22:23], s[28:29], s[26:27]
	s_mov_b32 s27, s8
	s_add_co_u32 s14, s14, s22
	s_cselect_b32 s9, -1, 0
	s_wait_alu 0xfffe
	s_cmp_lg_u32 s9, 0
	s_add_co_ci_u32 s15, s15, s23
	s_mov_b32 s23, s8
	s_mul_u64 s[20:21], s[20:21], s[14:15]
	s_delay_alu instid0(SALU_CYCLE_1)
	s_mul_hi_u32 s29, s14, s21
	s_mul_i32 s28, s14, s21
	s_mul_hi_u32 s22, s14, s20
	s_mul_i32 s26, s15, s20
	s_add_nc_u64 s[22:23], s[22:23], s[28:29]
	s_mul_hi_u32 s9, s15, s20
	s_mul_hi_u32 s30, s15, s21
	s_mul_i32 s20, s15, s21
	s_add_co_u32 s21, s22, s26
	s_wait_alu 0xfffe
	s_add_co_ci_u32 s26, s23, s9
	s_add_co_ci_u32 s21, s30, 0
	s_mov_b32 s23, s8
	s_add_nc_u64 s[20:21], s[26:27], s[20:21]
	s_delay_alu instid0(SALU_CYCLE_1)
	s_add_co_u32 s9, s14, s20
	s_cselect_b32 s14, -1, 0
	s_wait_alu 0xfffe
	s_mul_hi_u32 s22, s2, s9
	s_cmp_lg_u32 s14, 0
	s_mul_hi_u32 s26, s3, s9
	s_add_co_ci_u32 s20, s15, s21
	s_mul_i32 s9, s3, s9
	s_mul_hi_u32 s15, s2, s20
	s_mul_i32 s14, s2, s20
	s_mul_hi_u32 s21, s3, s20
	s_add_nc_u64 s[14:15], s[22:23], s[14:15]
	s_mul_i32 s20, s3, s20
	s_wait_alu 0xfffe
	s_add_co_u32 s9, s14, s9
	s_add_co_ci_u32 s26, s15, s26
	s_add_co_ci_u32 s21, s21, 0
	s_delay_alu instid0(SALU_CYCLE_1) | instskip(NEXT) | instid1(SALU_CYCLE_1)
	s_add_nc_u64 s[14:15], s[26:27], s[20:21]
	s_mul_u64 s[20:21], s[18:19], s[14:15]
	s_delay_alu instid0(SALU_CYCLE_1)
	s_sub_co_u32 s9, s2, s20
	s_cselect_b32 s20, -1, 0
	s_sub_co_i32 s22, s3, s21
	s_cmp_lg_u32 s20, 0
	s_sub_co_ci_u32 s22, s22, s19
	s_wait_alu 0xfffe
	s_sub_co_u32 s23, s9, s18
	s_cselect_b32 s26, -1, 0
	s_delay_alu instid0(SALU_CYCLE_1) | instskip(SKIP_1) | instid1(SALU_CYCLE_1)
	s_cmp_lg_u32 s26, 0
	s_sub_co_ci_u32 s22, s22, 0
	s_cmp_ge_u32 s22, s19
	s_cselect_b32 s26, -1, 0
	s_cmp_ge_u32 s23, s18
	s_cselect_b32 s27, -1, 0
	s_cmp_eq_u32 s22, s19
	s_add_nc_u64 s[22:23], s[14:15], 1
	s_cselect_b32 s28, s27, s26
	s_add_nc_u64 s[26:27], s[14:15], 2
	s_cmp_lg_u32 s28, 0
	s_cselect_b32 s22, s26, s22
	s_cselect_b32 s23, s27, s23
	s_cmp_lg_u32 s20, 0
	s_sub_co_ci_u32 s20, s3, s21
	s_delay_alu instid0(SALU_CYCLE_1)
	s_cmp_ge_u32 s20, s19
	s_cselect_b32 s21, -1, 0
	s_cmp_ge_u32 s9, s18
	s_cselect_b32 s9, -1, 0
	s_cmp_eq_u32 s20, s19
	s_wait_alu 0xfffe
	s_cselect_b32 s9, s9, s21
	s_wait_alu 0xfffe
	s_cmp_lg_u32 s9, 0
	s_mov_b32 s9, 0
	s_cselect_b32 s15, s23, s15
	s_cselect_b32 s14, s22, s14
.LBB235_13:                             ;   in Loop: Header=BB235_11 Depth=1
	s_wait_alu 0xfffe
	s_and_not1_b32 vcc_lo, exec_lo, s9
	s_cbranch_vccnz .LBB235_15
; %bb.14:                               ;   in Loop: Header=BB235_11 Depth=1
	v_cvt_f32_u32_e32 v1, s18
	s_sub_co_i32 s14, 0, s18
	s_delay_alu instid0(VALU_DEP_1) | instskip(NEXT) | instid1(TRANS32_DEP_1)
	v_rcp_iflag_f32_e32 v1, v1
	v_mul_f32_e32 v1, 0x4f7ffffe, v1
	s_delay_alu instid0(VALU_DEP_1) | instskip(NEXT) | instid1(VALU_DEP_1)
	v_cvt_u32_f32_e32 v1, v1
	v_readfirstlane_b32 s9, v1
	s_mul_i32 s14, s14, s9
	s_delay_alu instid0(SALU_CYCLE_1) | instskip(NEXT) | instid1(SALU_CYCLE_1)
	s_mul_hi_u32 s14, s9, s14
	s_add_co_i32 s9, s9, s14
	s_wait_alu 0xfffe
	s_mul_hi_u32 s9, s2, s9
	s_wait_alu 0xfffe
	s_mul_i32 s14, s9, s18
	s_add_co_i32 s15, s9, 1
	s_sub_co_i32 s14, s2, s14
	s_delay_alu instid0(SALU_CYCLE_1)
	s_sub_co_i32 s20, s14, s18
	s_cmp_ge_u32 s14, s18
	s_cselect_b32 s9, s15, s9
	s_cselect_b32 s14, s20, s14
	s_wait_alu 0xfffe
	s_add_co_i32 s15, s9, 1
	s_cmp_ge_u32 s14, s18
	s_cselect_b32 s14, s15, s9
	s_mov_b32 s15, s8
.LBB235_15:                             ;   in Loop: Header=BB235_11 Depth=1
	s_load_b64 s[20:21], s[16:17], 0xc8
	s_mul_u64 s[18:19], s[14:15], s[18:19]
	s_add_co_i32 s11, s11, -1
	s_wait_alu 0xfffe
	s_sub_nc_u64 s[2:3], s[2:3], s[18:19]
	s_cmp_gt_u32 s11, 2
	s_add_nc_u64 s[16:17], s[16:17], -8
	s_wait_kmcnt 0x0
	s_wait_alu 0xfffe
	s_mul_u64 s[2:3], s[20:21], s[2:3]
	s_wait_alu 0xfffe
	s_add_nc_u64 s[12:13], s[2:3], s[12:13]
	s_cbranch_scc0 .LBB235_18
; %bb.16:                               ;   in Loop: Header=BB235_11 Depth=1
	s_mov_b64 s[2:3], s[14:15]
	s_branch .LBB235_11
.LBB235_17:
	s_mov_b64 s[14:15], s[2:3]
.LBB235_18:
	s_clause 0x2
	s_load_b64 s[2:3], s[0:1], 0xd0
	s_load_b32 s11, s[0:1], 0x360
	s_load_b64 s[8:9], s[0:1], 0x0
	v_and_b32_e32 v41, 0x3ff, v0
	s_wait_kmcnt 0x0
	s_mul_u64 s[2:3], s[2:3], s[6:7]
	s_bitcmp1_b32 s11, 0
	s_mov_b32 s6, 0xffff
	s_cselect_b32 s11, -1, 0
	s_delay_alu instid0(SALU_CYCLE_1)
	s_and_b32 s7, s11, exec_lo
	s_wait_alu 0xfffe
	s_cselect_b32 s20, s6, 0x7fff
	s_lshl_b64 s[6:7], s[2:3], 1
	v_cmp_gt_u32_e64 s2, s10, v41
	v_mov_b32_e32 v1, s20
	s_wait_alu 0xfffe
	s_add_nc_u64 s[6:7], s[8:9], s[6:7]
	s_lshl_b64 s[4:5], s[4:5], 1
	s_wait_alu 0xfffe
	s_add_nc_u64 s[28:29], s[6:7], s[4:5]
	s_and_saveexec_b32 s3, s2
	s_cbranch_execz .LBB235_20
; %bb.19:
	v_mad_co_u64_u32 v[1:2], null, s24, v41, 0
	s_delay_alu instid0(VALU_DEP_1) | instskip(NEXT) | instid1(VALU_DEP_1)
	v_mad_co_u64_u32 v[2:3], null, s25, v41, v[2:3]
	v_lshlrev_b64_e32 v[1:2], 1, v[1:2]
	s_delay_alu instid0(VALU_DEP_1) | instskip(NEXT) | instid1(VALU_DEP_1)
	v_add_co_u32 v1, vcc_lo, s28, v1
	v_add_co_ci_u32_e64 v2, null, s29, v2, vcc_lo
	global_load_u16 v1, v[1:2], off
.LBB235_20:
	s_wait_alu 0xfffe
	s_or_b32 exec_lo, exec_lo, s3
	v_dual_mov_b32 v2, s20 :: v_dual_add_nc_u32 v17, 0x200, v41
	s_delay_alu instid0(VALU_DEP_1)
	v_cmp_gt_u32_e64 s3, s10, v17
	s_and_saveexec_b32 s4, s3
	s_cbranch_execz .LBB235_22
; %bb.21:
	v_mad_co_u64_u32 v[2:3], null, s24, v17, 0
	s_delay_alu instid0(VALU_DEP_1) | instskip(NEXT) | instid1(VALU_DEP_1)
	v_mad_co_u64_u32 v[3:4], null, s25, v17, v[3:4]
	v_lshlrev_b64_e32 v[2:3], 1, v[2:3]
	s_delay_alu instid0(VALU_DEP_1) | instskip(SKIP_1) | instid1(VALU_DEP_2)
	v_add_co_u32 v2, vcc_lo, s28, v2
	s_wait_alu 0xfffd
	v_add_co_ci_u32_e64 v3, null, s29, v3, vcc_lo
	global_load_u16 v2, v[2:3], off
.LBB235_22:
	s_or_b32 exec_lo, exec_lo, s4
	v_or_b32_e32 v18, 0x400, v41
	v_mov_b32_e32 v3, s20
	s_delay_alu instid0(VALU_DEP_2)
	v_cmp_gt_u32_e64 s4, s10, v18
	s_and_saveexec_b32 s5, s4
	s_cbranch_execz .LBB235_24
; %bb.23:
	v_mad_co_u64_u32 v[3:4], null, s24, v18, 0
	s_delay_alu instid0(VALU_DEP_1) | instskip(NEXT) | instid1(VALU_DEP_1)
	v_mad_co_u64_u32 v[4:5], null, s25, v18, v[4:5]
	v_lshlrev_b64_e32 v[3:4], 1, v[3:4]
	s_delay_alu instid0(VALU_DEP_1) | instskip(SKIP_1) | instid1(VALU_DEP_2)
	v_add_co_u32 v3, vcc_lo, s28, v3
	s_wait_alu 0xfffd
	v_add_co_ci_u32_e64 v4, null, s29, v4, vcc_lo
	global_load_u16 v3, v[3:4], off
.LBB235_24:
	s_or_b32 exec_lo, exec_lo, s5
	v_dual_mov_b32 v4, s20 :: v_dual_add_nc_u32 v19, 0x600, v41
	s_delay_alu instid0(VALU_DEP_1)
	v_cmp_gt_u32_e64 s5, s10, v19
	s_and_saveexec_b32 s6, s5
	s_cbranch_execz .LBB235_26
; %bb.25:
	v_mad_co_u64_u32 v[4:5], null, s24, v19, 0
	s_delay_alu instid0(VALU_DEP_1) | instskip(NEXT) | instid1(VALU_DEP_1)
	v_mad_co_u64_u32 v[5:6], null, s25, v19, v[5:6]
	v_lshlrev_b64_e32 v[4:5], 1, v[4:5]
	s_delay_alu instid0(VALU_DEP_1) | instskip(SKIP_1) | instid1(VALU_DEP_2)
	v_add_co_u32 v4, vcc_lo, s28, v4
	s_wait_alu 0xfffd
	v_add_co_ci_u32_e64 v5, null, s29, v5, vcc_lo
	global_load_u16 v4, v[4:5], off
.LBB235_26:
	s_wait_alu 0xfffe
	s_or_b32 exec_lo, exec_lo, s6
	v_or_b32_e32 v20, 0x800, v41
	v_mov_b32_e32 v5, s20
	s_delay_alu instid0(VALU_DEP_2)
	v_cmp_gt_u32_e64 s6, s10, v20
	s_and_saveexec_b32 s7, s6
	s_cbranch_execz .LBB235_28
; %bb.27:
	v_mad_co_u64_u32 v[5:6], null, s24, v20, 0
	s_delay_alu instid0(VALU_DEP_1) | instskip(NEXT) | instid1(VALU_DEP_1)
	v_mad_co_u64_u32 v[6:7], null, s25, v20, v[6:7]
	v_lshlrev_b64_e32 v[5:6], 1, v[5:6]
	s_delay_alu instid0(VALU_DEP_1) | instskip(SKIP_1) | instid1(VALU_DEP_2)
	v_add_co_u32 v5, vcc_lo, s28, v5
	s_wait_alu 0xfffd
	v_add_co_ci_u32_e64 v6, null, s29, v6, vcc_lo
	global_load_u16 v5, v[5:6], off
.LBB235_28:
	s_wait_alu 0xfffe
	s_or_b32 exec_lo, exec_lo, s7
	v_dual_mov_b32 v6, s20 :: v_dual_add_nc_u32 v21, 0xa00, v41
	s_delay_alu instid0(VALU_DEP_1)
	v_cmp_gt_u32_e64 s7, s10, v21
	s_and_saveexec_b32 s8, s7
	s_cbranch_execz .LBB235_30
; %bb.29:
	v_mad_co_u64_u32 v[6:7], null, s24, v21, 0
	s_delay_alu instid0(VALU_DEP_1) | instskip(NEXT) | instid1(VALU_DEP_1)
	v_mad_co_u64_u32 v[7:8], null, s25, v21, v[7:8]
	v_lshlrev_b64_e32 v[6:7], 1, v[6:7]
	s_delay_alu instid0(VALU_DEP_1) | instskip(SKIP_1) | instid1(VALU_DEP_2)
	v_add_co_u32 v6, vcc_lo, s28, v6
	s_wait_alu 0xfffd
	v_add_co_ci_u32_e64 v7, null, s29, v7, vcc_lo
	global_load_u16 v6, v[6:7], off
.LBB235_30:
	s_wait_alu 0xfffe
	s_or_b32 exec_lo, exec_lo, s8
	v_or_b32_e32 v22, 0xc00, v41
	v_mov_b32_e32 v7, s20
	s_delay_alu instid0(VALU_DEP_2)
	v_cmp_gt_u32_e64 s8, s10, v22
	s_and_saveexec_b32 s9, s8
	s_cbranch_execz .LBB235_32
; %bb.31:
	v_mad_co_u64_u32 v[7:8], null, s24, v22, 0
	s_delay_alu instid0(VALU_DEP_1) | instskip(NEXT) | instid1(VALU_DEP_1)
	v_mad_co_u64_u32 v[8:9], null, s25, v22, v[8:9]
	v_lshlrev_b64_e32 v[7:8], 1, v[7:8]
	s_delay_alu instid0(VALU_DEP_1) | instskip(SKIP_1) | instid1(VALU_DEP_2)
	v_add_co_u32 v7, vcc_lo, s28, v7
	s_wait_alu 0xfffd
	v_add_co_ci_u32_e64 v8, null, s29, v8, vcc_lo
	global_load_u16 v7, v[7:8], off
.LBB235_32:
	s_wait_alu 0xfffe
	s_or_b32 exec_lo, exec_lo, s9
	s_clause 0x1
	s_load_b64 s[18:19], s[0:1], 0x288
	s_load_b64 s[16:17], s[0:1], 0x1b8
	v_dual_mov_b32 v8, s20 :: v_dual_add_nc_u32 v23, 0xe00, v41
	s_delay_alu instid0(VALU_DEP_1)
	v_cmp_gt_u32_e64 s9, s10, v23
	s_and_saveexec_b32 s10, s9
	s_cbranch_execz .LBB235_34
; %bb.33:
	v_mad_co_u64_u32 v[8:9], null, s24, v23, 0
	s_delay_alu instid0(VALU_DEP_1) | instskip(NEXT) | instid1(VALU_DEP_1)
	v_mad_co_u64_u32 v[9:10], null, s25, v23, v[9:10]
	v_lshlrev_b64_e32 v[8:9], 1, v[8:9]
	s_delay_alu instid0(VALU_DEP_1) | instskip(SKIP_1) | instid1(VALU_DEP_2)
	v_add_co_u32 v8, vcc_lo, s28, v8
	s_wait_alu 0xfffd
	v_add_co_ci_u32_e64 v9, null, s29, v9, vcc_lo
	global_load_u16 v8, v[8:9], off
.LBB235_34:
	s_wait_alu 0xfffe
	s_or_b32 exec_lo, exec_lo, s10
	v_lshrrev_b32_e32 v9, 4, v41
	v_lshrrev_b32_e32 v10, 4, v17
	;; [unrolled: 1-line block ×3, first 2 shown]
	v_lshlrev_b32_e32 v12, 1, v41
	v_lshrrev_b32_e32 v13, 4, v19
	v_and_b32_e32 v9, 60, v9
	v_and_b32_e32 v10, 0x7c, v10
	;; [unrolled: 1-line block ×3, first 2 shown]
	v_lshrrev_b32_e32 v14, 4, v23
	s_load_b64 s[26:27], s[0:1], 0x358
	v_add_nc_u32_e32 v46, v9, v12
	v_add_nc_u32_e32 v47, v10, v12
	;; [unrolled: 1-line block ×3, first 2 shown]
	v_and_b32_e32 v9, 0xfc, v13
	v_lshrrev_b32_e32 v10, 4, v20
	v_lshrrev_b32_e32 v11, 4, v21
	;; [unrolled: 1-line block ×3, first 2 shown]
	s_wait_kmcnt 0x0
	s_mul_u64 s[14:15], s[18:19], s[14:15]
	v_add_nc_u32_e32 v49, v9, v12
	v_and_b32_e32 v9, 0xbc, v10
	v_and_b32_e32 v10, 0xfc, v11
	;; [unrolled: 1-line block ×4, first 2 shown]
	v_lshrrev_b32_e32 v14, 1, v41
	v_add_nc_u32_e32 v50, v9, v12
	v_add_nc_u32_e32 v51, v10, v12
	;; [unrolled: 1-line block ×4, first 2 shown]
	v_and_b32_e32 v9, 0x1fc, v14
	v_mov_b32_e32 v11, 0
	v_mov_b32_e32 v12, 0
	s_wait_loadcnt 0x0
	ds_store_b16 v46, v1
	ds_store_b16 v47, v2 offset:1024
	ds_store_b16 v48, v3 offset:2048
	;; [unrolled: 1-line block ×7, first 2 shown]
	s_wait_dscnt 0x0
	v_lshl_add_u32 v54, v41, 4, v9
	s_barrier_signal -1
	s_barrier_wait -1
	global_inv scope:SCOPE_SE
	ds_load_2addr_b32 v[44:45], v54 offset1:1
	ds_load_2addr_b32 v[42:43], v54 offset0:2 offset1:3
	v_mov_b32_e32 v1, 0
	s_lshl_b64 s[14:15], s[14:15], 3
	s_lshl_b64 s[12:13], s[12:13], 3
	s_add_nc_u64 s[14:15], s[16:17], s[14:15]
	s_wait_loadcnt_dscnt 0x0
	v_dual_mov_b32 v2, v1 :: v_dual_mov_b32 v13, v1
	v_dual_mov_b32 v14, v1 :: v_dual_mov_b32 v15, v1
	v_dual_mov_b32 v16, v1 :: v_dual_mov_b32 v3, v1
	v_dual_mov_b32 v4, v1 :: v_dual_mov_b32 v5, v1
	v_dual_mov_b32 v6, v1 :: v_dual_mov_b32 v7, v1
	v_dual_mov_b32 v8, v1 :: v_dual_mov_b32 v9, v1
	v_mov_b32_e32 v10, v1
	s_add_nc_u64 s[30:31], s[14:15], s[12:13]
	s_barrier_signal -1
	s_barrier_wait -1
	global_inv scope:SCOPE_SE
	s_and_saveexec_b32 s0, s2
	s_cbranch_execnz .LBB235_90
; %bb.35:
	s_or_b32 exec_lo, exec_lo, s0
	s_and_saveexec_b32 s0, s3
	s_cbranch_execnz .LBB235_91
.LBB235_36:
	s_or_b32 exec_lo, exec_lo, s0
	s_and_saveexec_b32 s0, s4
	s_cbranch_execnz .LBB235_92
.LBB235_37:
	s_or_b32 exec_lo, exec_lo, s0
	s_and_saveexec_b32 s0, s5
	s_cbranch_execnz .LBB235_93
.LBB235_38:
	s_or_b32 exec_lo, exec_lo, s0
	s_and_saveexec_b32 s0, s6
	s_cbranch_execnz .LBB235_94
.LBB235_39:
	s_or_b32 exec_lo, exec_lo, s0
	s_and_saveexec_b32 s0, s7
	s_cbranch_execnz .LBB235_95
.LBB235_40:
	s_or_b32 exec_lo, exec_lo, s0
	s_and_saveexec_b32 s0, s8
	s_cbranch_execz .LBB235_42
.LBB235_41:
	v_mad_co_u64_u32 v[7:8], null, s26, v22, 0
	s_delay_alu instid0(VALU_DEP_1) | instskip(NEXT) | instid1(VALU_DEP_1)
	v_mad_co_u64_u32 v[24:25], null, s27, v22, v[8:9]
	v_mov_b32_e32 v8, v24
	s_delay_alu instid0(VALU_DEP_1) | instskip(NEXT) | instid1(VALU_DEP_1)
	v_lshlrev_b64_e32 v[7:8], 3, v[7:8]
	v_add_co_u32 v7, vcc_lo, s30, v7
	s_wait_alu 0xfffd
	s_delay_alu instid0(VALU_DEP_2)
	v_add_co_ci_u32_e64 v8, null, s31, v8, vcc_lo
	global_load_b64 v[7:8], v[7:8], off
.LBB235_42:
	s_or_b32 exec_lo, exec_lo, s0
	v_lshrrev_b32_e32 v66, 5, v41
	v_lshrrev_b32_e32 v27, 5, v17
	;; [unrolled: 1-line block ×8, first 2 shown]
	v_lshlrev_b32_e32 v64, 3, v41
	v_lshrrev_b32_e32 v17, 2, v41
	s_xor_b32 s0, s11, -1
	s_and_saveexec_b32 s1, s9
	s_cbranch_execz .LBB235_44
; %bb.43:
	v_mad_co_u64_u32 v[9:10], null, s26, v23, 0
	s_wait_loadcnt 0x0
	s_delay_alu instid0(VALU_DEP_1) | instskip(NEXT) | instid1(VALU_DEP_1)
	v_mad_co_u64_u32 v[21:22], null, s27, v23, v[10:11]
	v_mov_b32_e32 v10, v21
	s_delay_alu instid0(VALU_DEP_1) | instskip(NEXT) | instid1(VALU_DEP_1)
	v_lshlrev_b64_e32 v[9:10], 3, v[9:10]
	v_add_co_u32 v9, vcc_lo, s30, v9
	s_wait_alu 0xfffd
	s_delay_alu instid0(VALU_DEP_2)
	v_add_co_ci_u32_e64 v10, null, s31, v10, vcc_lo
	global_load_b64 v[9:10], v[9:10], off
.LBB235_44:
	s_or_b32 exec_lo, exec_lo, s1
	v_lshl_add_u32 v55, v66, 3, v64
	v_lshl_add_u32 v56, v27, 3, v64
	;; [unrolled: 1-line block ×5, first 2 shown]
	s_wait_loadcnt 0x0
	ds_store_b64 v55, v[11:12]
	ds_store_b64 v56, v[1:2] offset:4096
	ds_store_b64 v57, v[13:14] offset:8192
	;; [unrolled: 1-line block ×3, first 2 shown]
	v_lshlrev_b32_e32 v1, 3, v64
	v_lshl_add_u32 v60, v20, 3, v64
	v_lshl_add_u32 v61, v19, 3, v64
	;; [unrolled: 1-line block ×3, first 2 shown]
	ds_store_b64 v59, v[3:4] offset:16384
	ds_store_b64 v60, v[5:6] offset:20480
	;; [unrolled: 1-line block ×4, first 2 shown]
	v_lshl_add_u32 v63, v17, 3, v1
	s_wait_dscnt 0x0
	s_barrier_signal -1
	s_barrier_wait -1
	global_inv scope:SCOPE_SE
	ds_load_2addr_b64 v[13:16], v63 offset1:1
	ds_load_2addr_b64 v[9:12], v63 offset0:2 offset1:3
	ds_load_2addr_b64 v[5:8], v63 offset0:4 offset1:5
	;; [unrolled: 1-line block ×3, first 2 shown]
	v_bfe_u32 v69, v0, 10, 10
	v_bfe_u32 v70, v0, 20, 10
	v_mbcnt_lo_u32_b32 v67, -1, 0
	v_and_b32_e32 v68, 0x3e0, v41
	v_lshlrev_b32_e32 v65, 2, v64
	s_and_b32 vcc_lo, exec_lo, s0
	s_wait_loadcnt_dscnt 0x0
	s_barrier_signal -1
	s_barrier_wait -1
	global_inv scope:SCOPE_SE
	s_wait_alu 0xfffe
	s_cbranch_vccz .LBB235_96
; %bb.45:
	v_pk_ashrrev_i16 v0, 15, v44 op_sel_hi:[0,1]
	v_pk_ashrrev_i16 v17, 15, v45 op_sel_hi:[0,1]
	;; [unrolled: 1-line block ×4, first 2 shown]
	v_or_b32_e32 v21, v67, v68
	v_or_b32_e32 v0, 0x80008000, v0
	;; [unrolled: 1-line block ×5, first 2 shown]
	v_and_or_b32 v82, 0x1f00, v64, v67
	s_mov_b32 s12, 0
	v_xor_b32_e32 v17, v0, v44
	v_xor_b32_e32 v18, v20, v45
	v_xor_b32_e32 v19, v22, v42
	v_xor_b32_e32 v20, v24, v43
	s_mov_b32 s13, s12
	s_mov_b32 s14, s12
	;; [unrolled: 1-line block ×3, first 2 shown]
	v_lshlrev_b32_e32 v23, 4, v21
	v_lshlrev_b32_e32 v71, 1, v82
	s_getpc_b64 s[0:1]
	s_sext_i32_i16 s1, s1
	s_add_co_u32 s0, s0, _ZN7rocprim17ROCPRIM_400000_NS16block_radix_sortI6__halfLj512ELj8ElLj1ELj1ELj0ELNS0_26block_radix_rank_algorithmE1ELNS0_18block_padding_hintE2ELNS0_4arch9wavefront6targetE0EE19radix_bits_per_passE@rel32@lo+8
	s_add_co_ci_u32 s1, s1, _ZN7rocprim17ROCPRIM_400000_NS16block_radix_sortI6__halfLj512ELj8ElLj1ELj1ELj0ELNS0_26block_radix_rank_algorithmE1ELNS0_18block_padding_hintE2ELNS0_4arch9wavefront6targetE0EE19radix_bits_per_passE@rel32@hi+16
	s_load_b32 s17, s[0:1], 0x0
	ds_store_b128 v23, v[17:20]
	; wave barrier
	ds_load_u16 v72, v71
	v_mad_u32_u24 v0, v21, 48, v23
	ds_load_u16 v73, v71 offset:64
	ds_load_u16 v74, v71 offset:128
	;; [unrolled: 1-line block ×7, first 2 shown]
	s_wait_loadcnt_dscnt 0x0
	s_barrier_signal -1
	s_barrier_wait -1
	global_inv scope:SCOPE_SE
	ds_store_b128 v0, v[13:16]
	ds_store_b128 v0, v[9:12] offset:16
	ds_store_b128 v0, v[5:8] offset:32
	;; [unrolled: 1-line block ×3, first 2 shown]
	v_mad_u32_u24 v29, v82, 6, v71
	; wave barrier
	s_wait_kmcnt 0x0
	s_min_u32 s0, s17, 16
	s_delay_alu instid0(SALU_CYCLE_1) | instskip(SKIP_4) | instid1(VALU_DEP_1)
	s_lshl_b32 s0, -1, s0
	v_cmp_ne_u16_e32 vcc_lo, 0x7fff, v72
	s_not_b32 s1, s0
	s_wait_alu 0xfffd
	v_cndmask_b32_e32 v17, 0xffff8000, v72, vcc_lo
	v_and_b32_e32 v17, 0xffff, v17
	s_delay_alu instid0(VALU_DEP_1)
	v_and_b32_e32 v40, s1, v17
	ds_load_2addr_b64 v[17:20], v29 offset1:32
	ds_load_2addr_b64 v[25:28], v29 offset0:64 offset1:96
	ds_load_2addr_b64 v[21:24], v29 offset0:128 offset1:160
	;; [unrolled: 1-line block ×3, first 2 shown]
	s_wait_loadcnt_dscnt 0x0
	v_and_b32_e32 v0, 1, v40
	v_lshlrev_b32_e32 v33, 30, v40
	v_lshlrev_b32_e32 v36, 28, v40
	s_barrier_signal -1
	s_barrier_wait -1
	v_add_co_u32 v0, s0, v0, -1
	s_wait_alu 0xf1ff
	v_cndmask_b32_e64 v34, 0, 1, s0
	v_not_b32_e32 v35, v33
	v_cmp_gt_i32_e64 s0, 0, v33
	global_inv scope:SCOPE_SE
	v_cmp_ne_u32_e32 vcc_lo, 0, v34
	v_lshlrev_b32_e32 v34, 29, v40
	v_ashrrev_i32_e32 v33, 31, v35
	s_wait_alu 0xfffd
	v_xor_b32_e32 v0, vcc_lo, v0
	s_delay_alu instid0(VALU_DEP_3)
	v_not_b32_e32 v35, v34
	s_wait_alu 0xf1ff
	v_xor_b32_e32 v33, s0, v33
	v_cmp_gt_i32_e32 vcc_lo, 0, v34
	s_load_b32 s0, s[34:35], 0xc
	v_and_b32_e32 v0, exec_lo, v0
	v_ashrrev_i32_e32 v34, 31, v35
	v_not_b32_e32 v35, v36
	s_delay_alu instid0(VALU_DEP_3) | instskip(SKIP_1) | instid1(VALU_DEP_4)
	v_and_b32_e32 v0, v0, v33
	v_lshlrev_b32_e32 v33, 27, v40
	v_xor_b32_e32 v34, vcc_lo, v34
	v_cmp_gt_i32_e32 vcc_lo, 0, v36
	v_ashrrev_i32_e32 v35, 31, v35
	s_delay_alu instid0(VALU_DEP_4) | instskip(NEXT) | instid1(VALU_DEP_4)
	v_not_b32_e32 v36, v33
	v_and_b32_e32 v0, v0, v34
	v_lshlrev_b32_e32 v34, 26, v40
	s_wait_alu 0xfffd
	v_xor_b32_e32 v35, vcc_lo, v35
	v_cmp_gt_i32_e32 vcc_lo, 0, v33
	v_ashrrev_i32_e32 v33, 31, v36
	v_not_b32_e32 v36, v34
	s_delay_alu instid0(VALU_DEP_4)
	v_and_b32_e32 v0, v0, v35
	v_lshlrev_b32_e32 v35, 25, v40
	s_wait_alu 0xfffd
	v_xor_b32_e32 v33, vcc_lo, v33
	v_cmp_gt_i32_e32 vcc_lo, 0, v34
	v_ashrrev_i32_e32 v34, 31, v36
	s_wait_kmcnt 0x0
	s_lshr_b32 s10, s0, 16
	v_not_b32_e32 v36, v35
	v_and_b32_e32 v0, v0, v33
	v_lshlrev_b32_e32 v33, 24, v40
	s_wait_alu 0xfffd
	v_xor_b32_e32 v34, vcc_lo, v34
	v_cmp_gt_i32_e32 vcc_lo, 0, v35
	v_ashrrev_i32_e32 v35, 31, v36
	s_wait_alu 0xfffe
	v_mad_u32_u24 v37, v70, s10, v69
	v_not_b32_e32 v36, v33
	v_and_b32_e32 v0, v0, v34
	s_and_b32 s0, s0, 0xffff
	s_wait_alu 0xfffd
	v_xor_b32_e32 v34, vcc_lo, v35
	v_cmp_gt_i32_e32 vcc_lo, 0, v33
	v_ashrrev_i32_e32 v33, 31, v36
	s_wait_alu 0xfffe
	v_mad_co_u64_u32 v[38:39], null, v37, s0, v[41:42]
	v_dual_mov_b32 v37, s15 :: v_dual_and_b32 v0, v0, v34
	s_wait_alu 0xfffd
	v_xor_b32_e32 v33, vcc_lo, v33
	v_dual_mov_b32 v36, s14 :: v_dual_mov_b32 v35, s13
	v_mov_b32_e32 v34, s12
	ds_store_b128 v65, v[34:37] offset:64
	ds_store_b128 v65, v[34:37] offset:80
	v_and_b32_e32 v33, v0, v33
	v_lshrrev_b32_e32 v0, 5, v38
	v_lshlrev_b32_e32 v34, 6, v40
	s_wait_loadcnt_dscnt 0x0
	s_barrier_signal -1
	v_mbcnt_lo_u32_b32 v84, v33, 0
	v_lshlrev_b32_e32 v0, 2, v0
	v_cmp_ne_u32_e64 s0, 0, v33
	s_barrier_wait -1
	global_inv scope:SCOPE_SE
	v_cmp_eq_u32_e32 vcc_lo, 0, v84
	v_add_nc_u32_e32 v85, v0, v34
	; wave barrier
	s_and_b32 s10, s0, vcc_lo
	s_wait_alu 0xfffe
	s_and_saveexec_b32 s0, s10
; %bb.46:
	v_bcnt_u32_b32 v33, v33, 0
	ds_store_b32 v85, v33 offset:64
; %bb.47:
	s_wait_alu 0xfffe
	s_or_b32 exec_lo, exec_lo, s0
	v_cmp_ne_u16_e32 vcc_lo, 0x7fff, v73
	; wave barrier
	s_wait_alu 0xfffd
	v_cndmask_b32_e32 v33, 0xffff8000, v73, vcc_lo
	s_delay_alu instid0(VALU_DEP_1) | instskip(NEXT) | instid1(VALU_DEP_1)
	v_and_b32_e32 v33, 0xffff, v33
	v_and_b32_e32 v33, s1, v33
	s_delay_alu instid0(VALU_DEP_1)
	v_and_b32_e32 v34, 1, v33
	v_lshlrev_b32_e32 v35, 30, v33
	v_lshlrev_b32_e32 v36, 29, v33
	;; [unrolled: 1-line block ×4, first 2 shown]
	v_add_co_u32 v34, s0, v34, -1
	s_wait_alu 0xf1ff
	v_cndmask_b32_e64 v38, 0, 1, s0
	v_not_b32_e32 v81, v35
	v_cmp_gt_i32_e64 s0, 0, v35
	v_not_b32_e32 v35, v36
	v_lshlrev_b32_e32 v40, 26, v33
	v_cmp_ne_u32_e32 vcc_lo, 0, v38
	v_ashrrev_i32_e32 v81, 31, v81
	v_lshlrev_b32_e32 v80, 25, v33
	v_ashrrev_i32_e32 v35, 31, v35
	v_lshlrev_b32_e32 v38, 24, v33
	s_wait_alu 0xfffd
	v_xor_b32_e32 v34, vcc_lo, v34
	v_cmp_gt_i32_e32 vcc_lo, 0, v36
	v_not_b32_e32 v36, v37
	s_wait_alu 0xf1ff
	v_xor_b32_e32 v81, s0, v81
	v_cmp_gt_i32_e64 s0, 0, v37
	v_and_b32_e32 v34, exec_lo, v34
	v_not_b32_e32 v37, v39
	v_ashrrev_i32_e32 v36, 31, v36
	s_wait_alu 0xfffd
	v_xor_b32_e32 v35, vcc_lo, v35
	v_cmp_gt_i32_e32 vcc_lo, 0, v39
	v_and_b32_e32 v34, v34, v81
	v_not_b32_e32 v39, v40
	v_ashrrev_i32_e32 v37, 31, v37
	s_wait_alu 0xf1ff
	v_xor_b32_e32 v36, s0, v36
	v_cmp_gt_i32_e64 s0, 0, v40
	v_and_b32_e32 v34, v34, v35
	v_not_b32_e32 v35, v80
	v_ashrrev_i32_e32 v39, 31, v39
	s_wait_alu 0xfffd
	v_xor_b32_e32 v37, vcc_lo, v37
	v_cmp_gt_i32_e32 vcc_lo, 0, v80
	v_and_b32_e32 v34, v34, v36
	v_not_b32_e32 v36, v38
	v_ashrrev_i32_e32 v35, 31, v35
	s_wait_alu 0xf1ff
	v_xor_b32_e32 v39, s0, v39
	v_lshlrev_b32_e32 v33, 6, v33
	v_and_b32_e32 v34, v34, v37
	v_cmp_gt_i32_e64 s0, 0, v38
	v_ashrrev_i32_e32 v36, 31, v36
	s_wait_alu 0xfffd
	v_xor_b32_e32 v35, vcc_lo, v35
	v_add_nc_u32_e32 v88, v0, v33
	v_and_b32_e32 v34, v34, v39
	s_wait_alu 0xf1ff
	v_xor_b32_e32 v33, s0, v36
	ds_load_b32 v86, v88 offset:64
	v_and_b32_e32 v34, v34, v35
	; wave barrier
	s_delay_alu instid0(VALU_DEP_1) | instskip(NEXT) | instid1(VALU_DEP_1)
	v_and_b32_e32 v33, v34, v33
	v_mbcnt_lo_u32_b32 v87, v33, 0
	v_cmp_ne_u32_e64 s0, 0, v33
	s_delay_alu instid0(VALU_DEP_2)
	v_cmp_eq_u32_e32 vcc_lo, 0, v87
	s_and_b32 s10, s0, vcc_lo
	s_wait_alu 0xfffe
	s_and_saveexec_b32 s0, s10
	s_cbranch_execz .LBB235_49
; %bb.48:
	s_wait_dscnt 0x0
	v_bcnt_u32_b32 v33, v33, v86
	ds_store_b32 v88, v33 offset:64
.LBB235_49:
	s_wait_alu 0xfffe
	s_or_b32 exec_lo, exec_lo, s0
	v_cmp_ne_u16_e32 vcc_lo, 0x7fff, v74
	; wave barrier
	s_wait_alu 0xfffd
	v_cndmask_b32_e32 v33, 0xffff8000, v74, vcc_lo
	s_delay_alu instid0(VALU_DEP_1) | instskip(NEXT) | instid1(VALU_DEP_1)
	v_and_b32_e32 v33, 0xffff, v33
	v_and_b32_e32 v33, s1, v33
	s_delay_alu instid0(VALU_DEP_1)
	v_and_b32_e32 v34, 1, v33
	v_lshlrev_b32_e32 v35, 30, v33
	v_lshlrev_b32_e32 v36, 29, v33
	;; [unrolled: 1-line block ×4, first 2 shown]
	v_add_co_u32 v34, s0, v34, -1
	s_wait_alu 0xf1ff
	v_cndmask_b32_e64 v38, 0, 1, s0
	v_not_b32_e32 v81, v35
	v_cmp_gt_i32_e64 s0, 0, v35
	v_not_b32_e32 v35, v36
	v_lshlrev_b32_e32 v40, 26, v33
	v_cmp_ne_u32_e32 vcc_lo, 0, v38
	v_ashrrev_i32_e32 v81, 31, v81
	v_lshlrev_b32_e32 v80, 25, v33
	v_ashrrev_i32_e32 v35, 31, v35
	v_lshlrev_b32_e32 v38, 24, v33
	s_wait_alu 0xfffd
	v_xor_b32_e32 v34, vcc_lo, v34
	v_cmp_gt_i32_e32 vcc_lo, 0, v36
	v_not_b32_e32 v36, v37
	s_wait_alu 0xf1ff
	v_xor_b32_e32 v81, s0, v81
	v_cmp_gt_i32_e64 s0, 0, v37
	v_and_b32_e32 v34, exec_lo, v34
	v_not_b32_e32 v37, v39
	v_ashrrev_i32_e32 v36, 31, v36
	s_wait_alu 0xfffd
	v_xor_b32_e32 v35, vcc_lo, v35
	v_cmp_gt_i32_e32 vcc_lo, 0, v39
	v_and_b32_e32 v34, v34, v81
	v_not_b32_e32 v39, v40
	v_ashrrev_i32_e32 v37, 31, v37
	s_wait_alu 0xf1ff
	v_xor_b32_e32 v36, s0, v36
	v_cmp_gt_i32_e64 s0, 0, v40
	v_and_b32_e32 v34, v34, v35
	v_not_b32_e32 v35, v80
	v_ashrrev_i32_e32 v39, 31, v39
	s_wait_alu 0xfffd
	v_xor_b32_e32 v37, vcc_lo, v37
	v_cmp_gt_i32_e32 vcc_lo, 0, v80
	v_and_b32_e32 v34, v34, v36
	v_not_b32_e32 v36, v38
	v_ashrrev_i32_e32 v35, 31, v35
	s_wait_alu 0xf1ff
	v_xor_b32_e32 v39, s0, v39
	v_lshlrev_b32_e32 v33, 6, v33
	v_and_b32_e32 v34, v34, v37
	v_cmp_gt_i32_e64 s0, 0, v38
	v_ashrrev_i32_e32 v36, 31, v36
	s_wait_alu 0xfffd
	v_xor_b32_e32 v35, vcc_lo, v35
	v_add_nc_u32_e32 v91, v0, v33
	v_and_b32_e32 v34, v34, v39
	s_wait_alu 0xf1ff
	v_xor_b32_e32 v33, s0, v36
	ds_load_b32 v89, v91 offset:64
	v_and_b32_e32 v34, v34, v35
	; wave barrier
	s_delay_alu instid0(VALU_DEP_1) | instskip(NEXT) | instid1(VALU_DEP_1)
	v_and_b32_e32 v33, v34, v33
	v_mbcnt_lo_u32_b32 v90, v33, 0
	v_cmp_ne_u32_e64 s0, 0, v33
	s_delay_alu instid0(VALU_DEP_2)
	v_cmp_eq_u32_e32 vcc_lo, 0, v90
	s_and_b32 s10, s0, vcc_lo
	s_wait_alu 0xfffe
	s_and_saveexec_b32 s0, s10
	s_cbranch_execz .LBB235_51
; %bb.50:
	s_wait_dscnt 0x0
	v_bcnt_u32_b32 v33, v33, v89
	ds_store_b32 v91, v33 offset:64
.LBB235_51:
	s_wait_alu 0xfffe
	s_or_b32 exec_lo, exec_lo, s0
	v_cmp_ne_u16_e32 vcc_lo, 0x7fff, v75
	; wave barrier
	s_wait_alu 0xfffd
	v_cndmask_b32_e32 v33, 0xffff8000, v75, vcc_lo
	s_delay_alu instid0(VALU_DEP_1) | instskip(NEXT) | instid1(VALU_DEP_1)
	v_and_b32_e32 v33, 0xffff, v33
	v_and_b32_e32 v33, s1, v33
	s_delay_alu instid0(VALU_DEP_1)
	v_and_b32_e32 v34, 1, v33
	v_lshlrev_b32_e32 v35, 30, v33
	v_lshlrev_b32_e32 v36, 29, v33
	;; [unrolled: 1-line block ×4, first 2 shown]
	v_add_co_u32 v34, s0, v34, -1
	s_wait_alu 0xf1ff
	v_cndmask_b32_e64 v38, 0, 1, s0
	v_not_b32_e32 v81, v35
	v_cmp_gt_i32_e64 s0, 0, v35
	v_not_b32_e32 v35, v36
	v_lshlrev_b32_e32 v40, 26, v33
	v_cmp_ne_u32_e32 vcc_lo, 0, v38
	v_ashrrev_i32_e32 v81, 31, v81
	v_lshlrev_b32_e32 v80, 25, v33
	v_ashrrev_i32_e32 v35, 31, v35
	v_lshlrev_b32_e32 v38, 24, v33
	s_wait_alu 0xfffd
	v_xor_b32_e32 v34, vcc_lo, v34
	v_cmp_gt_i32_e32 vcc_lo, 0, v36
	v_not_b32_e32 v36, v37
	s_wait_alu 0xf1ff
	v_xor_b32_e32 v81, s0, v81
	v_cmp_gt_i32_e64 s0, 0, v37
	v_and_b32_e32 v34, exec_lo, v34
	v_not_b32_e32 v37, v39
	v_ashrrev_i32_e32 v36, 31, v36
	s_wait_alu 0xfffd
	v_xor_b32_e32 v35, vcc_lo, v35
	v_cmp_gt_i32_e32 vcc_lo, 0, v39
	v_and_b32_e32 v34, v34, v81
	v_not_b32_e32 v39, v40
	v_ashrrev_i32_e32 v37, 31, v37
	s_wait_alu 0xf1ff
	v_xor_b32_e32 v36, s0, v36
	v_cmp_gt_i32_e64 s0, 0, v40
	v_and_b32_e32 v34, v34, v35
	v_not_b32_e32 v35, v80
	v_ashrrev_i32_e32 v39, 31, v39
	s_wait_alu 0xfffd
	v_xor_b32_e32 v37, vcc_lo, v37
	v_cmp_gt_i32_e32 vcc_lo, 0, v80
	v_and_b32_e32 v34, v34, v36
	v_not_b32_e32 v36, v38
	v_ashrrev_i32_e32 v35, 31, v35
	s_wait_alu 0xf1ff
	v_xor_b32_e32 v39, s0, v39
	v_lshlrev_b32_e32 v33, 6, v33
	v_and_b32_e32 v34, v34, v37
	v_cmp_gt_i32_e64 s0, 0, v38
	v_ashrrev_i32_e32 v36, 31, v36
	s_wait_alu 0xfffd
	v_xor_b32_e32 v35, vcc_lo, v35
	v_add_nc_u32_e32 v94, v0, v33
	v_and_b32_e32 v34, v34, v39
	s_wait_alu 0xf1ff
	v_xor_b32_e32 v33, s0, v36
	ds_load_b32 v92, v94 offset:64
	v_and_b32_e32 v34, v34, v35
	; wave barrier
	s_delay_alu instid0(VALU_DEP_1) | instskip(NEXT) | instid1(VALU_DEP_1)
	v_and_b32_e32 v33, v34, v33
	v_mbcnt_lo_u32_b32 v93, v33, 0
	v_cmp_ne_u32_e64 s0, 0, v33
	s_delay_alu instid0(VALU_DEP_2)
	v_cmp_eq_u32_e32 vcc_lo, 0, v93
	s_and_b32 s10, s0, vcc_lo
	s_wait_alu 0xfffe
	s_and_saveexec_b32 s0, s10
	s_cbranch_execz .LBB235_53
; %bb.52:
	s_wait_dscnt 0x0
	v_bcnt_u32_b32 v33, v33, v92
	ds_store_b32 v94, v33 offset:64
.LBB235_53:
	s_wait_alu 0xfffe
	s_or_b32 exec_lo, exec_lo, s0
	v_cmp_ne_u16_e32 vcc_lo, 0x7fff, v76
	; wave barrier
	s_wait_alu 0xfffd
	v_cndmask_b32_e32 v33, 0xffff8000, v76, vcc_lo
	s_delay_alu instid0(VALU_DEP_1) | instskip(NEXT) | instid1(VALU_DEP_1)
	v_and_b32_e32 v33, 0xffff, v33
	v_and_b32_e32 v33, s1, v33
	s_delay_alu instid0(VALU_DEP_1)
	v_and_b32_e32 v34, 1, v33
	v_lshlrev_b32_e32 v35, 30, v33
	v_lshlrev_b32_e32 v36, 29, v33
	;; [unrolled: 1-line block ×4, first 2 shown]
	v_add_co_u32 v34, s0, v34, -1
	s_wait_alu 0xf1ff
	v_cndmask_b32_e64 v38, 0, 1, s0
	v_not_b32_e32 v81, v35
	v_cmp_gt_i32_e64 s0, 0, v35
	v_not_b32_e32 v35, v36
	v_lshlrev_b32_e32 v40, 26, v33
	v_cmp_ne_u32_e32 vcc_lo, 0, v38
	v_ashrrev_i32_e32 v81, 31, v81
	v_lshlrev_b32_e32 v80, 25, v33
	v_ashrrev_i32_e32 v35, 31, v35
	v_lshlrev_b32_e32 v38, 24, v33
	s_wait_alu 0xfffd
	v_xor_b32_e32 v34, vcc_lo, v34
	v_cmp_gt_i32_e32 vcc_lo, 0, v36
	v_not_b32_e32 v36, v37
	s_wait_alu 0xf1ff
	v_xor_b32_e32 v81, s0, v81
	v_cmp_gt_i32_e64 s0, 0, v37
	v_and_b32_e32 v34, exec_lo, v34
	v_not_b32_e32 v37, v39
	v_ashrrev_i32_e32 v36, 31, v36
	s_wait_alu 0xfffd
	v_xor_b32_e32 v35, vcc_lo, v35
	v_cmp_gt_i32_e32 vcc_lo, 0, v39
	v_and_b32_e32 v34, v34, v81
	v_not_b32_e32 v39, v40
	v_ashrrev_i32_e32 v37, 31, v37
	s_wait_alu 0xf1ff
	v_xor_b32_e32 v36, s0, v36
	v_cmp_gt_i32_e64 s0, 0, v40
	v_and_b32_e32 v34, v34, v35
	v_not_b32_e32 v35, v80
	v_ashrrev_i32_e32 v39, 31, v39
	s_wait_alu 0xfffd
	v_xor_b32_e32 v37, vcc_lo, v37
	v_cmp_gt_i32_e32 vcc_lo, 0, v80
	v_and_b32_e32 v34, v34, v36
	v_not_b32_e32 v36, v38
	v_ashrrev_i32_e32 v35, 31, v35
	s_wait_alu 0xf1ff
	v_xor_b32_e32 v39, s0, v39
	v_lshlrev_b32_e32 v33, 6, v33
	v_and_b32_e32 v34, v34, v37
	v_cmp_gt_i32_e64 s0, 0, v38
	v_ashrrev_i32_e32 v36, 31, v36
	s_wait_alu 0xfffd
	v_xor_b32_e32 v35, vcc_lo, v35
	v_add_nc_u32_e32 v97, v0, v33
	v_and_b32_e32 v34, v34, v39
	s_wait_alu 0xf1ff
	v_xor_b32_e32 v33, s0, v36
	ds_load_b32 v95, v97 offset:64
	v_and_b32_e32 v34, v34, v35
	; wave barrier
	s_delay_alu instid0(VALU_DEP_1) | instskip(NEXT) | instid1(VALU_DEP_1)
	v_and_b32_e32 v33, v34, v33
	v_mbcnt_lo_u32_b32 v96, v33, 0
	v_cmp_ne_u32_e64 s0, 0, v33
	s_delay_alu instid0(VALU_DEP_2)
	v_cmp_eq_u32_e32 vcc_lo, 0, v96
	s_and_b32 s10, s0, vcc_lo
	s_wait_alu 0xfffe
	s_and_saveexec_b32 s0, s10
	s_cbranch_execz .LBB235_55
; %bb.54:
	s_wait_dscnt 0x0
	v_bcnt_u32_b32 v33, v33, v95
	ds_store_b32 v97, v33 offset:64
.LBB235_55:
	s_wait_alu 0xfffe
	s_or_b32 exec_lo, exec_lo, s0
	v_cmp_ne_u16_e32 vcc_lo, 0x7fff, v77
	; wave barrier
	s_wait_alu 0xfffd
	v_cndmask_b32_e32 v33, 0xffff8000, v77, vcc_lo
	s_delay_alu instid0(VALU_DEP_1) | instskip(NEXT) | instid1(VALU_DEP_1)
	v_and_b32_e32 v33, 0xffff, v33
	v_and_b32_e32 v33, s1, v33
	s_delay_alu instid0(VALU_DEP_1)
	v_and_b32_e32 v34, 1, v33
	v_lshlrev_b32_e32 v35, 30, v33
	v_lshlrev_b32_e32 v36, 29, v33
	;; [unrolled: 1-line block ×4, first 2 shown]
	v_add_co_u32 v34, s0, v34, -1
	s_wait_alu 0xf1ff
	v_cndmask_b32_e64 v38, 0, 1, s0
	v_not_b32_e32 v81, v35
	v_cmp_gt_i32_e64 s0, 0, v35
	v_not_b32_e32 v35, v36
	v_lshlrev_b32_e32 v40, 26, v33
	v_cmp_ne_u32_e32 vcc_lo, 0, v38
	v_ashrrev_i32_e32 v81, 31, v81
	v_lshlrev_b32_e32 v80, 25, v33
	v_ashrrev_i32_e32 v35, 31, v35
	v_lshlrev_b32_e32 v38, 24, v33
	s_wait_alu 0xfffd
	v_xor_b32_e32 v34, vcc_lo, v34
	v_cmp_gt_i32_e32 vcc_lo, 0, v36
	v_not_b32_e32 v36, v37
	s_wait_alu 0xf1ff
	v_xor_b32_e32 v81, s0, v81
	v_cmp_gt_i32_e64 s0, 0, v37
	v_and_b32_e32 v34, exec_lo, v34
	v_not_b32_e32 v37, v39
	v_ashrrev_i32_e32 v36, 31, v36
	s_wait_alu 0xfffd
	v_xor_b32_e32 v35, vcc_lo, v35
	v_cmp_gt_i32_e32 vcc_lo, 0, v39
	v_and_b32_e32 v34, v34, v81
	v_not_b32_e32 v39, v40
	v_ashrrev_i32_e32 v37, 31, v37
	s_wait_alu 0xf1ff
	v_xor_b32_e32 v36, s0, v36
	v_cmp_gt_i32_e64 s0, 0, v40
	v_and_b32_e32 v34, v34, v35
	v_not_b32_e32 v35, v80
	v_ashrrev_i32_e32 v39, 31, v39
	s_wait_alu 0xfffd
	v_xor_b32_e32 v37, vcc_lo, v37
	v_cmp_gt_i32_e32 vcc_lo, 0, v80
	v_and_b32_e32 v34, v34, v36
	v_not_b32_e32 v36, v38
	v_ashrrev_i32_e32 v35, 31, v35
	s_wait_alu 0xf1ff
	v_xor_b32_e32 v39, s0, v39
	v_lshlrev_b32_e32 v33, 6, v33
	v_and_b32_e32 v34, v34, v37
	v_cmp_gt_i32_e64 s0, 0, v38
	v_ashrrev_i32_e32 v36, 31, v36
	s_wait_alu 0xfffd
	v_xor_b32_e32 v35, vcc_lo, v35
	v_add_nc_u32_e32 v100, v0, v33
	v_and_b32_e32 v34, v34, v39
	s_wait_alu 0xf1ff
	v_xor_b32_e32 v33, s0, v36
	ds_load_b32 v98, v100 offset:64
	v_and_b32_e32 v34, v34, v35
	; wave barrier
	s_delay_alu instid0(VALU_DEP_1) | instskip(NEXT) | instid1(VALU_DEP_1)
	v_and_b32_e32 v33, v34, v33
	v_mbcnt_lo_u32_b32 v99, v33, 0
	v_cmp_ne_u32_e64 s0, 0, v33
	s_delay_alu instid0(VALU_DEP_2)
	v_cmp_eq_u32_e32 vcc_lo, 0, v99
	s_and_b32 s10, s0, vcc_lo
	s_wait_alu 0xfffe
	s_and_saveexec_b32 s0, s10
	s_cbranch_execz .LBB235_57
; %bb.56:
	s_wait_dscnt 0x0
	v_bcnt_u32_b32 v33, v33, v98
	ds_store_b32 v100, v33 offset:64
.LBB235_57:
	s_wait_alu 0xfffe
	s_or_b32 exec_lo, exec_lo, s0
	v_cmp_ne_u16_e32 vcc_lo, 0x7fff, v78
	; wave barrier
	s_wait_alu 0xfffd
	v_cndmask_b32_e32 v33, 0xffff8000, v78, vcc_lo
	s_delay_alu instid0(VALU_DEP_1) | instskip(NEXT) | instid1(VALU_DEP_1)
	v_and_b32_e32 v33, 0xffff, v33
	v_and_b32_e32 v33, s1, v33
	s_delay_alu instid0(VALU_DEP_1)
	v_and_b32_e32 v34, 1, v33
	v_lshlrev_b32_e32 v35, 30, v33
	v_lshlrev_b32_e32 v36, 29, v33
	;; [unrolled: 1-line block ×4, first 2 shown]
	v_add_co_u32 v34, s0, v34, -1
	s_wait_alu 0xf1ff
	v_cndmask_b32_e64 v38, 0, 1, s0
	v_not_b32_e32 v81, v35
	v_cmp_gt_i32_e64 s0, 0, v35
	v_not_b32_e32 v35, v36
	v_lshlrev_b32_e32 v40, 26, v33
	v_cmp_ne_u32_e32 vcc_lo, 0, v38
	v_ashrrev_i32_e32 v81, 31, v81
	v_lshlrev_b32_e32 v80, 25, v33
	v_ashrrev_i32_e32 v35, 31, v35
	v_lshlrev_b32_e32 v38, 24, v33
	s_wait_alu 0xfffd
	v_xor_b32_e32 v34, vcc_lo, v34
	v_cmp_gt_i32_e32 vcc_lo, 0, v36
	v_not_b32_e32 v36, v37
	s_wait_alu 0xf1ff
	v_xor_b32_e32 v81, s0, v81
	v_cmp_gt_i32_e64 s0, 0, v37
	v_and_b32_e32 v34, exec_lo, v34
	v_not_b32_e32 v37, v39
	v_ashrrev_i32_e32 v36, 31, v36
	s_wait_alu 0xfffd
	v_xor_b32_e32 v35, vcc_lo, v35
	v_cmp_gt_i32_e32 vcc_lo, 0, v39
	v_and_b32_e32 v34, v34, v81
	v_not_b32_e32 v39, v40
	v_ashrrev_i32_e32 v37, 31, v37
	s_wait_alu 0xf1ff
	v_xor_b32_e32 v36, s0, v36
	v_cmp_gt_i32_e64 s0, 0, v40
	v_and_b32_e32 v34, v34, v35
	v_not_b32_e32 v35, v80
	v_ashrrev_i32_e32 v39, 31, v39
	s_wait_alu 0xfffd
	v_xor_b32_e32 v37, vcc_lo, v37
	v_cmp_gt_i32_e32 vcc_lo, 0, v80
	v_and_b32_e32 v34, v34, v36
	v_not_b32_e32 v36, v38
	v_ashrrev_i32_e32 v35, 31, v35
	s_wait_alu 0xf1ff
	v_xor_b32_e32 v39, s0, v39
	v_lshlrev_b32_e32 v33, 6, v33
	v_and_b32_e32 v34, v34, v37
	v_cmp_gt_i32_e64 s0, 0, v38
	v_ashrrev_i32_e32 v36, 31, v36
	s_wait_alu 0xfffd
	v_xor_b32_e32 v35, vcc_lo, v35
	v_add_nc_u32_e32 v103, v0, v33
	v_and_b32_e32 v34, v34, v39
	s_wait_alu 0xf1ff
	v_xor_b32_e32 v33, s0, v36
	ds_load_b32 v101, v103 offset:64
	v_and_b32_e32 v34, v34, v35
	; wave barrier
	s_delay_alu instid0(VALU_DEP_1) | instskip(NEXT) | instid1(VALU_DEP_1)
	v_and_b32_e32 v33, v34, v33
	v_mbcnt_lo_u32_b32 v102, v33, 0
	v_cmp_ne_u32_e64 s0, 0, v33
	s_delay_alu instid0(VALU_DEP_2)
	v_cmp_eq_u32_e32 vcc_lo, 0, v102
	s_and_b32 s10, s0, vcc_lo
	s_wait_alu 0xfffe
	s_and_saveexec_b32 s0, s10
	s_cbranch_execz .LBB235_59
; %bb.58:
	s_wait_dscnt 0x0
	v_bcnt_u32_b32 v33, v33, v101
	ds_store_b32 v103, v33 offset:64
.LBB235_59:
	s_wait_alu 0xfffe
	s_or_b32 exec_lo, exec_lo, s0
	v_cmp_ne_u16_e32 vcc_lo, 0x7fff, v79
	; wave barrier
	s_wait_alu 0xfffd
	v_cndmask_b32_e32 v33, 0xffff8000, v79, vcc_lo
	s_delay_alu instid0(VALU_DEP_1) | instskip(NEXT) | instid1(VALU_DEP_1)
	v_and_b32_e32 v33, 0xffff, v33
	v_and_b32_e32 v33, s1, v33
	s_delay_alu instid0(VALU_DEP_1)
	v_and_b32_e32 v34, 1, v33
	v_lshlrev_b32_e32 v35, 30, v33
	v_lshlrev_b32_e32 v36, 29, v33
	;; [unrolled: 1-line block ×4, first 2 shown]
	v_add_co_u32 v34, s0, v34, -1
	s_wait_alu 0xf1ff
	v_cndmask_b32_e64 v38, 0, 1, s0
	v_not_b32_e32 v81, v35
	v_cmp_gt_i32_e64 s0, 0, v35
	v_not_b32_e32 v35, v36
	v_lshlrev_b32_e32 v40, 26, v33
	v_cmp_ne_u32_e32 vcc_lo, 0, v38
	v_ashrrev_i32_e32 v81, 31, v81
	v_lshlrev_b32_e32 v80, 25, v33
	v_ashrrev_i32_e32 v35, 31, v35
	v_lshlrev_b32_e32 v38, 24, v33
	s_wait_alu 0xfffd
	v_xor_b32_e32 v34, vcc_lo, v34
	v_cmp_gt_i32_e32 vcc_lo, 0, v36
	v_not_b32_e32 v36, v37
	s_wait_alu 0xf1ff
	v_xor_b32_e32 v81, s0, v81
	v_cmp_gt_i32_e64 s0, 0, v37
	v_and_b32_e32 v34, exec_lo, v34
	v_not_b32_e32 v37, v39
	v_ashrrev_i32_e32 v36, 31, v36
	s_wait_alu 0xfffd
	v_xor_b32_e32 v35, vcc_lo, v35
	v_cmp_gt_i32_e32 vcc_lo, 0, v39
	v_and_b32_e32 v34, v34, v81
	v_not_b32_e32 v39, v40
	v_ashrrev_i32_e32 v37, 31, v37
	s_wait_alu 0xf1ff
	v_xor_b32_e32 v36, s0, v36
	v_cmp_gt_i32_e64 s0, 0, v40
	v_and_b32_e32 v34, v34, v35
	v_not_b32_e32 v35, v80
	v_ashrrev_i32_e32 v39, 31, v39
	s_wait_alu 0xfffd
	v_xor_b32_e32 v37, vcc_lo, v37
	v_cmp_gt_i32_e32 vcc_lo, 0, v80
	v_and_b32_e32 v34, v34, v36
	v_not_b32_e32 v36, v38
	v_ashrrev_i32_e32 v35, 31, v35
	s_wait_alu 0xf1ff
	v_xor_b32_e32 v39, s0, v39
	v_lshlrev_b32_e32 v33, 6, v33
	v_and_b32_e32 v34, v34, v37
	v_cmp_gt_i32_e64 s0, 0, v38
	v_ashrrev_i32_e32 v36, 31, v36
	s_wait_alu 0xfffd
	v_xor_b32_e32 v35, vcc_lo, v35
	v_add_nc_u32_e32 v106, v0, v33
	v_and_b32_e32 v34, v34, v39
	v_min_u32_e32 v80, 0x1e0, v68
	s_wait_alu 0xf1ff
	v_xor_b32_e32 v33, s0, v36
	ds_load_b32 v104, v106 offset:64
	v_and_b32_e32 v34, v34, v35
	; wave barrier
	s_delay_alu instid0(VALU_DEP_1) | instskip(NEXT) | instid1(VALU_DEP_1)
	v_and_b32_e32 v33, v34, v33
	v_mbcnt_lo_u32_b32 v105, v33, 0
	v_cmp_ne_u32_e64 s0, 0, v33
	s_delay_alu instid0(VALU_DEP_2)
	v_cmp_eq_u32_e32 vcc_lo, 0, v105
	s_and_b32 s1, s0, vcc_lo
	s_wait_alu 0xfffe
	s_and_saveexec_b32 s0, s1
	s_cbranch_execz .LBB235_61
; %bb.60:
	s_wait_dscnt 0x0
	v_bcnt_u32_b32 v33, v33, v104
	ds_store_b32 v106, v33 offset:64
.LBB235_61:
	s_wait_alu 0xfffe
	s_or_b32 exec_lo, exec_lo, s0
	; wave barrier
	s_wait_loadcnt_dscnt 0x0
	s_barrier_signal -1
	s_barrier_wait -1
	global_inv scope:SCOPE_SE
	ds_load_b128 v[37:40], v65 offset:64
	ds_load_b128 v[33:36], v65 offset:80
	v_and_b32_e32 v107, 16, v67
	v_or_b32_e32 v80, 31, v80
	s_delay_alu instid0(VALU_DEP_2) | instskip(NEXT) | instid1(VALU_DEP_2)
	v_cmp_eq_u32_e64 s15, 0, v107
	v_cmp_eq_u32_e64 s13, v41, v80
	s_wait_dscnt 0x1
	v_add_nc_u32_e32 v81, v38, v37
	s_delay_alu instid0(VALU_DEP_1) | instskip(SKIP_1) | instid1(VALU_DEP_1)
	v_add3_u32 v81, v81, v39, v40
	s_wait_dscnt 0x0
	v_add3_u32 v81, v81, v33, v34
	s_delay_alu instid0(VALU_DEP_1) | instskip(SKIP_1) | instid1(VALU_DEP_2)
	v_add3_u32 v36, v81, v35, v36
	v_and_b32_e32 v81, 15, v67
	v_mov_b32_dpp v83, v36 row_shr:1 row_mask:0xf bank_mask:0xf
	s_delay_alu instid0(VALU_DEP_2)
	v_cmp_eq_u32_e32 vcc_lo, 0, v81
	v_cmp_lt_u32_e64 s0, 1, v81
	v_cmp_lt_u32_e64 s1, 3, v81
	;; [unrolled: 1-line block ×3, first 2 shown]
	s_wait_alu 0xfffd
	v_cndmask_b32_e64 v83, v83, 0, vcc_lo
	s_delay_alu instid0(VALU_DEP_1) | instskip(NEXT) | instid1(VALU_DEP_1)
	v_add_nc_u32_e32 v36, v83, v36
	v_mov_b32_dpp v83, v36 row_shr:2 row_mask:0xf bank_mask:0xf
	s_wait_alu 0xf1ff
	s_delay_alu instid0(VALU_DEP_1) | instskip(NEXT) | instid1(VALU_DEP_1)
	v_cndmask_b32_e64 v83, 0, v83, s0
	v_add_nc_u32_e32 v36, v36, v83
	s_delay_alu instid0(VALU_DEP_1) | instskip(NEXT) | instid1(VALU_DEP_1)
	v_mov_b32_dpp v83, v36 row_shr:4 row_mask:0xf bank_mask:0xf
	v_cndmask_b32_e64 v83, 0, v83, s1
	s_delay_alu instid0(VALU_DEP_1) | instskip(NEXT) | instid1(VALU_DEP_1)
	v_add_nc_u32_e32 v36, v36, v83
	v_mov_b32_dpp v83, v36 row_shr:8 row_mask:0xf bank_mask:0xf
	s_delay_alu instid0(VALU_DEP_1) | instskip(NEXT) | instid1(VALU_DEP_1)
	v_cndmask_b32_e64 v81, 0, v83, s10
	v_add_nc_u32_e32 v83, v36, v81
	v_bfe_i32 v81, v67, 4, 1
	ds_swizzle_b32 v36, v83 offset:swizzle(BROADCAST,32,15)
	s_wait_dscnt 0x0
	v_and_b32_e32 v108, v81, v36
	v_mul_i32_i24_e32 v36, 0xffffffe4, v41
	v_lshlrev_b32_e32 v81, 2, v66
	s_delay_alu instid0(VALU_DEP_3)
	v_add_nc_u32_e32 v83, v83, v108
	s_and_saveexec_b32 s11, s13
; %bb.62:
	ds_store_b32 v81, v83
; %bb.63:
	s_wait_alu 0xfffe
	s_or_b32 exec_lo, exec_lo, s11
	v_cmp_gt_u32_e64 s12, 16, v41
	v_add_nc_u32_e32 v80, v65, v36
	s_wait_loadcnt_dscnt 0x0
	s_barrier_signal -1
	s_barrier_wait -1
	global_inv scope:SCOPE_SE
	s_and_saveexec_b32 s11, s12
	s_cbranch_execz .LBB235_65
; %bb.64:
	ds_load_b32 v36, v80
	s_wait_dscnt 0x0
	v_mov_b32_dpp v107, v36 row_shr:1 row_mask:0xf bank_mask:0xf
	s_delay_alu instid0(VALU_DEP_1) | instskip(NEXT) | instid1(VALU_DEP_1)
	v_cndmask_b32_e64 v107, v107, 0, vcc_lo
	v_add_nc_u32_e32 v36, v107, v36
	s_delay_alu instid0(VALU_DEP_1) | instskip(NEXT) | instid1(VALU_DEP_1)
	v_mov_b32_dpp v107, v36 row_shr:2 row_mask:0xf bank_mask:0xf
	v_cndmask_b32_e64 v107, 0, v107, s0
	s_delay_alu instid0(VALU_DEP_1) | instskip(NEXT) | instid1(VALU_DEP_1)
	v_add_nc_u32_e32 v36, v36, v107
	v_mov_b32_dpp v107, v36 row_shr:4 row_mask:0xf bank_mask:0xf
	s_delay_alu instid0(VALU_DEP_1) | instskip(NEXT) | instid1(VALU_DEP_1)
	v_cndmask_b32_e64 v107, 0, v107, s1
	v_add_nc_u32_e32 v36, v36, v107
	s_delay_alu instid0(VALU_DEP_1) | instskip(NEXT) | instid1(VALU_DEP_1)
	v_mov_b32_dpp v107, v36 row_shr:8 row_mask:0xf bank_mask:0xf
	v_cndmask_b32_e64 v107, 0, v107, s10
	s_delay_alu instid0(VALU_DEP_1)
	v_add_nc_u32_e32 v36, v36, v107
	ds_store_b32 v80, v36
.LBB235_65:
	s_wait_alu 0xfffe
	s_or_b32 exec_lo, exec_lo, s11
	v_mul_u32_u24_e32 v36, 6, v82
	v_sub_co_u32 v107, s11, v67, 1
	v_cmp_lt_u32_e64 s14, 31, v41
	v_add_nc_u32_e32 v82, -4, v81
	v_mov_b32_e32 v108, 0
	s_wait_loadcnt_dscnt 0x0
	s_barrier_signal -1
	s_barrier_wait -1
	global_inv scope:SCOPE_SE
	s_and_saveexec_b32 s16, s14
; %bb.66:
	ds_load_b32 v108, v82
; %bb.67:
	s_wait_alu 0xfffe
	s_or_b32 exec_lo, exec_lo, s16
	v_cmp_gt_i32_e64 s16, 0, v107
	s_mov_b32 s20, 0
	s_min_u32 s17, s17, 8
	s_wait_alu 0xfffe
	s_mov_b32 s21, s20
	s_mov_b32 s22, s20
	v_cndmask_b32_e64 v107, v107, v67, s16
	s_mov_b32 s23, s20
	s_wait_dscnt 0x0
	v_add_nc_u32_e32 v109, v108, v83
	v_cmp_eq_u32_e64 s16, 0, v41
	s_lshl_b32 s17, -1, s17
	v_lshlrev_b32_e32 v83, 2, v107
	s_wait_alu 0xfffe
	s_not_b32 s19, s17
	ds_bpermute_b32 v107, v83, v109
	s_wait_dscnt 0x0
	v_cndmask_b32_e64 v107, v107, v108, s11
	s_delay_alu instid0(VALU_DEP_1) | instskip(NEXT) | instid1(VALU_DEP_1)
	v_cndmask_b32_e64 v107, v107, 0, s16
	v_add_nc_u32_e32 v108, v107, v37
	s_delay_alu instid0(VALU_DEP_1) | instskip(NEXT) | instid1(VALU_DEP_1)
	v_add_nc_u32_e32 v109, v108, v38
	v_add_nc_u32_e32 v110, v109, v39
	s_delay_alu instid0(VALU_DEP_1) | instskip(NEXT) | instid1(VALU_DEP_1)
	v_add_nc_u32_e32 v37, v110, v40
	;; [unrolled: 3-line block ×3, first 2 shown]
	v_add_nc_u32_e32 v40, v39, v35
	ds_store_b128 v65, v[107:110] offset:64
	ds_store_b128 v65, v[37:40] offset:80
	s_wait_loadcnt_dscnt 0x0
	s_barrier_signal -1
	s_barrier_wait -1
	global_inv scope:SCOPE_SE
	ds_load_b32 v33, v85 offset:64
	ds_load_b32 v34, v88 offset:64
	ds_load_b32 v35, v91 offset:64
	ds_load_b32 v37, v94 offset:64
	ds_load_b32 v38, v97 offset:64
	ds_load_b32 v39, v100 offset:64
	ds_load_b32 v40, v103 offset:64
	ds_load_b32 v85, v106 offset:64
	v_add_nc_u32_e32 v88, v71, v36
	s_wait_loadcnt_dscnt 0x0
	s_barrier_signal -1
	s_barrier_wait -1
	global_inv scope:SCOPE_SE
	v_add_nc_u32_e32 v84, v33, v84
	v_add3_u32 v86, v87, v86, v34
	v_add3_u32 v87, v90, v89, v35
	;; [unrolled: 1-line block ×7, first 2 shown]
	v_lshlrev_b32_e32 v33, 1, v84
	v_lshlrev_b32_e32 v34, 1, v86
	;; [unrolled: 1-line block ×8, first 2 shown]
	ds_store_b16 v33, v72
	ds_store_b16 v34, v73
	;; [unrolled: 1-line block ×8, first 2 shown]
	s_wait_loadcnt_dscnt 0x0
	s_barrier_signal -1
	s_barrier_wait -1
	global_inv scope:SCOPE_SE
	ds_load_u16 v72, v71
	ds_load_u16 v73, v71 offset:64
	ds_load_u16 v74, v71 offset:128
	ds_load_u16 v75, v71 offset:192
	ds_load_u16 v76, v71 offset:256
	ds_load_u16 v77, v71 offset:320
	ds_load_u16 v78, v71 offset:384
	ds_load_u16 v71, v71 offset:448
	v_mad_co_u64_u32 v[84:85], null, v84, 6, v[33:34]
	v_mad_co_u64_u32 v[33:34], null, v86, 6, v[34:35]
	;; [unrolled: 1-line block ×3, first 2 shown]
	s_wait_loadcnt_dscnt 0x0
	s_barrier_signal -1
	s_barrier_wait -1
	global_inv scope:SCOPE_SE
	v_mad_co_u64_u32 v[35:36], null, v89, 6, v[36:37]
	v_lshrrev_b16 v79, 8, v72
	v_cmp_ne_u16_e64 s17, 0x7fff, v72
	ds_store_b64 v84, v[17:18]
	v_mad_co_u64_u32 v[36:37], null, v90, 6, v[37:38]
	v_mad_co_u64_u32 v[37:38], null, v91, 6, v[38:39]
	s_wait_alu 0xf1ff
	v_cndmask_b32_e64 v79, 0x80, v79, s17
	v_mad_co_u64_u32 v[38:39], null, v92, 6, v[39:40]
	v_mad_co_u64_u32 v[39:40], null, v93, 6, v[40:41]
	s_delay_alu instid0(VALU_DEP_3)
	v_and_b32_e32 v17, 0xffff, v79
	ds_store_b64 v33, v[19:20]
	ds_store_b64 v34, v[25:26]
	;; [unrolled: 1-line block ×7, first 2 shown]
	s_wait_alu 0xfffe
	v_and_b32_e32 v40, s19, v17
	s_wait_loadcnt_dscnt 0x0
	s_barrier_signal -1
	s_barrier_wait -1
	global_inv scope:SCOPE_SE
	v_and_b32_e32 v17, 1, v40
	v_lshlrev_b32_e32 v18, 30, v40
	v_lshlrev_b32_e32 v19, 29, v40
	v_lshlrev_b32_e32 v20, 28, v40
	v_lshlrev_b32_e32 v22, 27, v40
	v_add_co_u32 v17, s17, v17, -1
	s_wait_alu 0xf1ff
	v_cndmask_b32_e64 v21, 0, 1, s17
	v_not_b32_e32 v25, v18
	v_cmp_gt_i32_e64 s18, 0, v18
	v_not_b32_e32 v18, v19
	v_lshlrev_b32_e32 v23, 26, v40
	v_cmp_ne_u32_e64 s17, 0, v21
	v_ashrrev_i32_e32 v25, 31, v25
	v_lshlrev_b32_e32 v24, 25, v40
	v_ashrrev_i32_e32 v18, 31, v18
	v_lshlrev_b32_e32 v21, 24, v40
	s_wait_alu 0xf1ff
	v_xor_b32_e32 v17, s17, v17
	v_cmp_gt_i32_e64 s17, 0, v19
	v_not_b32_e32 v19, v20
	v_xor_b32_e32 v25, s18, v25
	v_cmp_gt_i32_e64 s18, 0, v20
	v_and_b32_e32 v17, exec_lo, v17
	v_not_b32_e32 v20, v22
	v_ashrrev_i32_e32 v19, 31, v19
	s_wait_alu 0xf1ff
	v_xor_b32_e32 v18, s17, v18
	v_cmp_gt_i32_e64 s17, 0, v22
	v_and_b32_e32 v17, v17, v25
	v_not_b32_e32 v22, v23
	v_ashrrev_i32_e32 v20, 31, v20
	v_xor_b32_e32 v19, s18, v19
	v_cmp_gt_i32_e64 s18, 0, v23
	v_and_b32_e32 v17, v17, v18
	v_not_b32_e32 v18, v24
	v_ashrrev_i32_e32 v22, 31, v22
	s_wait_alu 0xf1ff
	v_xor_b32_e32 v20, s17, v20
	v_cmp_gt_i32_e64 s17, 0, v24
	v_and_b32_e32 v17, v17, v19
	v_not_b32_e32 v19, v21
	v_ashrrev_i32_e32 v18, 31, v18
	v_xor_b32_e32 v22, s18, v22
	v_cmp_gt_i32_e64 s18, 0, v21
	v_and_b32_e32 v17, v17, v20
	v_ashrrev_i32_e32 v19, 31, v19
	s_wait_alu 0xf1ff
	v_xor_b32_e32 v18, s17, v18
	v_dual_mov_b32 v37, s23 :: v_dual_mov_b32 v36, s22
	v_and_b32_e32 v17, v17, v22
	v_xor_b32_e32 v33, s18, v19
	ds_load_2addr_b64 v[21:24], v88 offset1:32
	v_dual_mov_b32 v35, s21 :: v_dual_mov_b32 v34, s20
	v_and_b32_e32 v38, v17, v18
	ds_load_2addr_b64 v[29:32], v88 offset0:64 offset1:96
	ds_load_2addr_b64 v[25:28], v88 offset0:128 offset1:160
	;; [unrolled: 1-line block ×3, first 2 shown]
	v_lshl_add_u32 v84, v40, 6, v0
	s_wait_loadcnt_dscnt 0x0
	s_barrier_signal -1
	v_and_b32_e32 v33, v38, v33
	s_barrier_wait -1
	global_inv scope:SCOPE_SE
	ds_store_b128 v65, v[34:37] offset:64
	ds_store_b128 v65, v[34:37] offset:80
	s_wait_loadcnt_dscnt 0x0
	v_mbcnt_lo_u32_b32 v79, v33, 0
	v_cmp_ne_u32_e64 s18, 0, v33
	s_barrier_signal -1
	s_barrier_wait -1
	global_inv scope:SCOPE_SE
	v_cmp_eq_u32_e64 s17, 0, v79
	; wave barrier
	s_and_b32 s18, s18, s17
	s_wait_alu 0xfffe
	s_and_saveexec_b32 s17, s18
; %bb.68:
	v_bcnt_u32_b32 v33, v33, 0
	ds_store_b32 v84, v33 offset:64
; %bb.69:
	s_wait_alu 0xfffe
	s_or_b32 exec_lo, exec_lo, s17
	v_lshrrev_b16 v33, 8, v73
	v_cmp_ne_u16_e64 s17, 0x7fff, v73
	; wave barrier
	s_wait_alu 0xf1ff
	s_delay_alu instid0(VALU_DEP_1) | instskip(NEXT) | instid1(VALU_DEP_1)
	v_cndmask_b32_e64 v33, 0x80, v33, s17
	v_and_b32_e32 v33, s19, v33
	s_delay_alu instid0(VALU_DEP_1)
	v_and_b32_e32 v34, 1, v33
	v_lshlrev_b32_e32 v35, 30, v33
	v_lshlrev_b32_e32 v36, 29, v33
	;; [unrolled: 1-line block ×4, first 2 shown]
	v_add_co_u32 v34, s17, v34, -1
	s_wait_alu 0xf1ff
	v_cndmask_b32_e64 v38, 0, 1, s17
	v_not_b32_e32 v86, v35
	v_cmp_gt_i32_e64 s18, 0, v35
	v_not_b32_e32 v35, v36
	v_lshlrev_b32_e32 v40, 26, v33
	v_cmp_ne_u32_e64 s17, 0, v38
	v_ashrrev_i32_e32 v86, 31, v86
	v_lshlrev_b32_e32 v85, 25, v33
	v_ashrrev_i32_e32 v35, 31, v35
	v_lshlrev_b32_e32 v38, 24, v33
	s_wait_alu 0xf1ff
	v_xor_b32_e32 v34, s17, v34
	v_cmp_gt_i32_e64 s17, 0, v36
	v_not_b32_e32 v36, v37
	v_xor_b32_e32 v86, s18, v86
	v_cmp_gt_i32_e64 s18, 0, v37
	v_and_b32_e32 v34, exec_lo, v34
	v_not_b32_e32 v37, v39
	v_ashrrev_i32_e32 v36, 31, v36
	s_wait_alu 0xf1ff
	v_xor_b32_e32 v35, s17, v35
	v_cmp_gt_i32_e64 s17, 0, v39
	v_and_b32_e32 v34, v34, v86
	v_not_b32_e32 v39, v40
	v_ashrrev_i32_e32 v37, 31, v37
	v_xor_b32_e32 v36, s18, v36
	v_cmp_gt_i32_e64 s18, 0, v40
	v_and_b32_e32 v34, v34, v35
	v_not_b32_e32 v35, v85
	v_ashrrev_i32_e32 v39, 31, v39
	s_wait_alu 0xf1ff
	v_xor_b32_e32 v37, s17, v37
	v_cmp_gt_i32_e64 s17, 0, v85
	v_and_b32_e32 v34, v34, v36
	v_not_b32_e32 v36, v38
	v_ashrrev_i32_e32 v35, 31, v35
	v_xor_b32_e32 v39, s18, v39
	v_cmp_gt_i32_e64 s18, 0, v38
	v_and_b32_e32 v34, v34, v37
	v_ashrrev_i32_e32 v36, 31, v36
	s_wait_alu 0xf1ff
	v_xor_b32_e32 v35, s17, v35
	v_lshl_add_u32 v87, v33, 6, v0
	v_and_b32_e32 v34, v34, v39
	v_xor_b32_e32 v33, s18, v36
	ds_load_b32 v85, v87 offset:64
	v_and_b32_e32 v34, v34, v35
	; wave barrier
	s_delay_alu instid0(VALU_DEP_1) | instskip(NEXT) | instid1(VALU_DEP_1)
	v_and_b32_e32 v33, v34, v33
	v_mbcnt_lo_u32_b32 v86, v33, 0
	v_cmp_ne_u32_e64 s18, 0, v33
	s_delay_alu instid0(VALU_DEP_2)
	v_cmp_eq_u32_e64 s17, 0, v86
	s_and_b32 s18, s18, s17
	s_wait_alu 0xfffe
	s_and_saveexec_b32 s17, s18
	s_cbranch_execz .LBB235_71
; %bb.70:
	s_wait_dscnt 0x0
	v_bcnt_u32_b32 v33, v33, v85
	ds_store_b32 v87, v33 offset:64
.LBB235_71:
	s_wait_alu 0xfffe
	s_or_b32 exec_lo, exec_lo, s17
	v_lshrrev_b16 v33, 8, v74
	v_cmp_ne_u16_e64 s17, 0x7fff, v74
	; wave barrier
	s_wait_alu 0xf1ff
	s_delay_alu instid0(VALU_DEP_1) | instskip(NEXT) | instid1(VALU_DEP_1)
	v_cndmask_b32_e64 v33, 0x80, v33, s17
	v_and_b32_e32 v33, s19, v33
	s_delay_alu instid0(VALU_DEP_1)
	v_and_b32_e32 v34, 1, v33
	v_lshlrev_b32_e32 v35, 30, v33
	v_lshlrev_b32_e32 v36, 29, v33
	v_lshlrev_b32_e32 v37, 28, v33
	v_lshlrev_b32_e32 v39, 27, v33
	v_add_co_u32 v34, s17, v34, -1
	s_wait_alu 0xf1ff
	v_cndmask_b32_e64 v38, 0, 1, s17
	v_not_b32_e32 v89, v35
	v_cmp_gt_i32_e64 s18, 0, v35
	v_not_b32_e32 v35, v36
	v_lshlrev_b32_e32 v40, 26, v33
	v_cmp_ne_u32_e64 s17, 0, v38
	v_ashrrev_i32_e32 v89, 31, v89
	v_lshlrev_b32_e32 v88, 25, v33
	v_ashrrev_i32_e32 v35, 31, v35
	v_lshlrev_b32_e32 v38, 24, v33
	s_wait_alu 0xf1ff
	v_xor_b32_e32 v34, s17, v34
	v_cmp_gt_i32_e64 s17, 0, v36
	v_not_b32_e32 v36, v37
	v_xor_b32_e32 v89, s18, v89
	v_cmp_gt_i32_e64 s18, 0, v37
	v_and_b32_e32 v34, exec_lo, v34
	v_not_b32_e32 v37, v39
	v_ashrrev_i32_e32 v36, 31, v36
	s_wait_alu 0xf1ff
	v_xor_b32_e32 v35, s17, v35
	v_cmp_gt_i32_e64 s17, 0, v39
	v_and_b32_e32 v34, v34, v89
	v_not_b32_e32 v39, v40
	v_ashrrev_i32_e32 v37, 31, v37
	v_xor_b32_e32 v36, s18, v36
	v_cmp_gt_i32_e64 s18, 0, v40
	v_and_b32_e32 v34, v34, v35
	v_not_b32_e32 v35, v88
	v_ashrrev_i32_e32 v39, 31, v39
	s_wait_alu 0xf1ff
	v_xor_b32_e32 v37, s17, v37
	v_cmp_gt_i32_e64 s17, 0, v88
	v_and_b32_e32 v34, v34, v36
	v_not_b32_e32 v36, v38
	v_ashrrev_i32_e32 v35, 31, v35
	v_xor_b32_e32 v39, s18, v39
	v_cmp_gt_i32_e64 s18, 0, v38
	v_and_b32_e32 v34, v34, v37
	v_ashrrev_i32_e32 v36, 31, v36
	s_wait_alu 0xf1ff
	v_xor_b32_e32 v35, s17, v35
	v_lshl_add_u32 v90, v33, 6, v0
	v_and_b32_e32 v34, v34, v39
	v_xor_b32_e32 v33, s18, v36
	ds_load_b32 v88, v90 offset:64
	v_and_b32_e32 v34, v34, v35
	; wave barrier
	s_delay_alu instid0(VALU_DEP_1) | instskip(NEXT) | instid1(VALU_DEP_1)
	v_and_b32_e32 v33, v34, v33
	v_mbcnt_lo_u32_b32 v89, v33, 0
	v_cmp_ne_u32_e64 s18, 0, v33
	s_delay_alu instid0(VALU_DEP_2)
	v_cmp_eq_u32_e64 s17, 0, v89
	s_and_b32 s18, s18, s17
	s_wait_alu 0xfffe
	s_and_saveexec_b32 s17, s18
	s_cbranch_execz .LBB235_73
; %bb.72:
	s_wait_dscnt 0x0
	v_bcnt_u32_b32 v33, v33, v88
	ds_store_b32 v90, v33 offset:64
.LBB235_73:
	s_wait_alu 0xfffe
	s_or_b32 exec_lo, exec_lo, s17
	v_lshrrev_b16 v33, 8, v75
	v_cmp_ne_u16_e64 s17, 0x7fff, v75
	; wave barrier
	s_wait_alu 0xf1ff
	s_delay_alu instid0(VALU_DEP_1) | instskip(NEXT) | instid1(VALU_DEP_1)
	v_cndmask_b32_e64 v33, 0x80, v33, s17
	v_and_b32_e32 v33, s19, v33
	s_delay_alu instid0(VALU_DEP_1)
	v_and_b32_e32 v34, 1, v33
	v_lshlrev_b32_e32 v35, 30, v33
	v_lshlrev_b32_e32 v36, 29, v33
	;; [unrolled: 1-line block ×4, first 2 shown]
	v_add_co_u32 v34, s17, v34, -1
	s_wait_alu 0xf1ff
	v_cndmask_b32_e64 v38, 0, 1, s17
	v_not_b32_e32 v92, v35
	v_cmp_gt_i32_e64 s18, 0, v35
	v_not_b32_e32 v35, v36
	v_lshlrev_b32_e32 v40, 26, v33
	v_cmp_ne_u32_e64 s17, 0, v38
	v_ashrrev_i32_e32 v92, 31, v92
	v_lshlrev_b32_e32 v91, 25, v33
	v_ashrrev_i32_e32 v35, 31, v35
	v_lshlrev_b32_e32 v38, 24, v33
	s_wait_alu 0xf1ff
	v_xor_b32_e32 v34, s17, v34
	v_cmp_gt_i32_e64 s17, 0, v36
	v_not_b32_e32 v36, v37
	v_xor_b32_e32 v92, s18, v92
	v_cmp_gt_i32_e64 s18, 0, v37
	v_and_b32_e32 v34, exec_lo, v34
	v_not_b32_e32 v37, v39
	v_ashrrev_i32_e32 v36, 31, v36
	s_wait_alu 0xf1ff
	v_xor_b32_e32 v35, s17, v35
	v_cmp_gt_i32_e64 s17, 0, v39
	v_and_b32_e32 v34, v34, v92
	v_not_b32_e32 v39, v40
	v_ashrrev_i32_e32 v37, 31, v37
	v_xor_b32_e32 v36, s18, v36
	v_cmp_gt_i32_e64 s18, 0, v40
	v_and_b32_e32 v34, v34, v35
	v_not_b32_e32 v35, v91
	v_ashrrev_i32_e32 v39, 31, v39
	s_wait_alu 0xf1ff
	v_xor_b32_e32 v37, s17, v37
	v_cmp_gt_i32_e64 s17, 0, v91
	v_and_b32_e32 v34, v34, v36
	v_not_b32_e32 v36, v38
	v_ashrrev_i32_e32 v35, 31, v35
	v_xor_b32_e32 v39, s18, v39
	v_cmp_gt_i32_e64 s18, 0, v38
	v_and_b32_e32 v34, v34, v37
	v_ashrrev_i32_e32 v36, 31, v36
	s_wait_alu 0xf1ff
	v_xor_b32_e32 v35, s17, v35
	v_lshl_add_u32 v93, v33, 6, v0
	v_and_b32_e32 v34, v34, v39
	v_xor_b32_e32 v33, s18, v36
	ds_load_b32 v91, v93 offset:64
	v_and_b32_e32 v34, v34, v35
	; wave barrier
	s_delay_alu instid0(VALU_DEP_1) | instskip(NEXT) | instid1(VALU_DEP_1)
	v_and_b32_e32 v33, v34, v33
	v_mbcnt_lo_u32_b32 v92, v33, 0
	v_cmp_ne_u32_e64 s18, 0, v33
	s_delay_alu instid0(VALU_DEP_2)
	v_cmp_eq_u32_e64 s17, 0, v92
	s_and_b32 s18, s18, s17
	s_wait_alu 0xfffe
	s_and_saveexec_b32 s17, s18
	s_cbranch_execz .LBB235_75
; %bb.74:
	s_wait_dscnt 0x0
	v_bcnt_u32_b32 v33, v33, v91
	ds_store_b32 v93, v33 offset:64
.LBB235_75:
	s_wait_alu 0xfffe
	s_or_b32 exec_lo, exec_lo, s17
	v_lshrrev_b16 v33, 8, v76
	v_cmp_ne_u16_e64 s17, 0x7fff, v76
	; wave barrier
	s_wait_alu 0xf1ff
	s_delay_alu instid0(VALU_DEP_1) | instskip(NEXT) | instid1(VALU_DEP_1)
	v_cndmask_b32_e64 v33, 0x80, v33, s17
	v_and_b32_e32 v33, s19, v33
	s_delay_alu instid0(VALU_DEP_1)
	v_and_b32_e32 v34, 1, v33
	v_lshlrev_b32_e32 v35, 30, v33
	v_lshlrev_b32_e32 v36, 29, v33
	;; [unrolled: 1-line block ×4, first 2 shown]
	v_add_co_u32 v34, s17, v34, -1
	s_wait_alu 0xf1ff
	v_cndmask_b32_e64 v38, 0, 1, s17
	v_not_b32_e32 v95, v35
	v_cmp_gt_i32_e64 s18, 0, v35
	v_not_b32_e32 v35, v36
	v_lshlrev_b32_e32 v40, 26, v33
	v_cmp_ne_u32_e64 s17, 0, v38
	v_ashrrev_i32_e32 v95, 31, v95
	v_lshlrev_b32_e32 v94, 25, v33
	v_ashrrev_i32_e32 v35, 31, v35
	v_lshlrev_b32_e32 v38, 24, v33
	s_wait_alu 0xf1ff
	v_xor_b32_e32 v34, s17, v34
	v_cmp_gt_i32_e64 s17, 0, v36
	v_not_b32_e32 v36, v37
	v_xor_b32_e32 v95, s18, v95
	v_cmp_gt_i32_e64 s18, 0, v37
	v_and_b32_e32 v34, exec_lo, v34
	v_not_b32_e32 v37, v39
	v_ashrrev_i32_e32 v36, 31, v36
	s_wait_alu 0xf1ff
	v_xor_b32_e32 v35, s17, v35
	v_cmp_gt_i32_e64 s17, 0, v39
	v_and_b32_e32 v34, v34, v95
	v_not_b32_e32 v39, v40
	v_ashrrev_i32_e32 v37, 31, v37
	v_xor_b32_e32 v36, s18, v36
	v_cmp_gt_i32_e64 s18, 0, v40
	v_and_b32_e32 v34, v34, v35
	v_not_b32_e32 v35, v94
	v_ashrrev_i32_e32 v39, 31, v39
	s_wait_alu 0xf1ff
	v_xor_b32_e32 v37, s17, v37
	v_cmp_gt_i32_e64 s17, 0, v94
	v_and_b32_e32 v34, v34, v36
	v_not_b32_e32 v36, v38
	v_ashrrev_i32_e32 v35, 31, v35
	v_xor_b32_e32 v39, s18, v39
	v_cmp_gt_i32_e64 s18, 0, v38
	v_and_b32_e32 v34, v34, v37
	v_ashrrev_i32_e32 v36, 31, v36
	s_wait_alu 0xf1ff
	v_xor_b32_e32 v35, s17, v35
	v_lshl_add_u32 v96, v33, 6, v0
	v_and_b32_e32 v34, v34, v39
	v_xor_b32_e32 v33, s18, v36
	ds_load_b32 v94, v96 offset:64
	v_and_b32_e32 v34, v34, v35
	; wave barrier
	s_delay_alu instid0(VALU_DEP_1) | instskip(NEXT) | instid1(VALU_DEP_1)
	v_and_b32_e32 v33, v34, v33
	v_mbcnt_lo_u32_b32 v95, v33, 0
	v_cmp_ne_u32_e64 s18, 0, v33
	s_delay_alu instid0(VALU_DEP_2)
	v_cmp_eq_u32_e64 s17, 0, v95
	s_and_b32 s18, s18, s17
	s_wait_alu 0xfffe
	s_and_saveexec_b32 s17, s18
	s_cbranch_execz .LBB235_77
; %bb.76:
	s_wait_dscnt 0x0
	v_bcnt_u32_b32 v33, v33, v94
	ds_store_b32 v96, v33 offset:64
.LBB235_77:
	s_wait_alu 0xfffe
	s_or_b32 exec_lo, exec_lo, s17
	v_lshrrev_b16 v33, 8, v77
	v_cmp_ne_u16_e64 s17, 0x7fff, v77
	; wave barrier
	s_wait_alu 0xf1ff
	s_delay_alu instid0(VALU_DEP_1) | instskip(NEXT) | instid1(VALU_DEP_1)
	v_cndmask_b32_e64 v33, 0x80, v33, s17
	v_and_b32_e32 v33, s19, v33
	s_delay_alu instid0(VALU_DEP_1)
	v_and_b32_e32 v34, 1, v33
	v_lshlrev_b32_e32 v35, 30, v33
	v_lshlrev_b32_e32 v36, 29, v33
	;; [unrolled: 1-line block ×4, first 2 shown]
	v_add_co_u32 v34, s17, v34, -1
	s_wait_alu 0xf1ff
	v_cndmask_b32_e64 v38, 0, 1, s17
	v_not_b32_e32 v98, v35
	v_cmp_gt_i32_e64 s18, 0, v35
	v_not_b32_e32 v35, v36
	v_lshlrev_b32_e32 v40, 26, v33
	v_cmp_ne_u32_e64 s17, 0, v38
	v_ashrrev_i32_e32 v98, 31, v98
	v_lshlrev_b32_e32 v97, 25, v33
	v_ashrrev_i32_e32 v35, 31, v35
	v_lshlrev_b32_e32 v38, 24, v33
	s_wait_alu 0xf1ff
	v_xor_b32_e32 v34, s17, v34
	v_cmp_gt_i32_e64 s17, 0, v36
	v_not_b32_e32 v36, v37
	v_xor_b32_e32 v98, s18, v98
	v_cmp_gt_i32_e64 s18, 0, v37
	v_and_b32_e32 v34, exec_lo, v34
	v_not_b32_e32 v37, v39
	v_ashrrev_i32_e32 v36, 31, v36
	s_wait_alu 0xf1ff
	v_xor_b32_e32 v35, s17, v35
	v_cmp_gt_i32_e64 s17, 0, v39
	v_and_b32_e32 v34, v34, v98
	v_not_b32_e32 v39, v40
	v_ashrrev_i32_e32 v37, 31, v37
	v_xor_b32_e32 v36, s18, v36
	v_cmp_gt_i32_e64 s18, 0, v40
	v_and_b32_e32 v34, v34, v35
	v_not_b32_e32 v35, v97
	v_ashrrev_i32_e32 v39, 31, v39
	s_wait_alu 0xf1ff
	v_xor_b32_e32 v37, s17, v37
	v_cmp_gt_i32_e64 s17, 0, v97
	v_and_b32_e32 v34, v34, v36
	v_not_b32_e32 v36, v38
	v_ashrrev_i32_e32 v35, 31, v35
	v_xor_b32_e32 v39, s18, v39
	v_cmp_gt_i32_e64 s18, 0, v38
	v_and_b32_e32 v34, v34, v37
	v_ashrrev_i32_e32 v36, 31, v36
	s_wait_alu 0xf1ff
	v_xor_b32_e32 v35, s17, v35
	v_lshl_add_u32 v99, v33, 6, v0
	v_and_b32_e32 v34, v34, v39
	v_xor_b32_e32 v33, s18, v36
	ds_load_b32 v97, v99 offset:64
	v_and_b32_e32 v34, v34, v35
	; wave barrier
	s_delay_alu instid0(VALU_DEP_1) | instskip(NEXT) | instid1(VALU_DEP_1)
	v_and_b32_e32 v33, v34, v33
	v_mbcnt_lo_u32_b32 v98, v33, 0
	v_cmp_ne_u32_e64 s18, 0, v33
	s_delay_alu instid0(VALU_DEP_2)
	v_cmp_eq_u32_e64 s17, 0, v98
	s_and_b32 s18, s18, s17
	s_wait_alu 0xfffe
	s_and_saveexec_b32 s17, s18
	s_cbranch_execz .LBB235_79
; %bb.78:
	s_wait_dscnt 0x0
	v_bcnt_u32_b32 v33, v33, v97
	ds_store_b32 v99, v33 offset:64
.LBB235_79:
	s_wait_alu 0xfffe
	s_or_b32 exec_lo, exec_lo, s17
	v_lshrrev_b16 v33, 8, v78
	v_cmp_ne_u16_e64 s17, 0x7fff, v78
	; wave barrier
	s_wait_alu 0xf1ff
	s_delay_alu instid0(VALU_DEP_1) | instskip(NEXT) | instid1(VALU_DEP_1)
	v_cndmask_b32_e64 v33, 0x80, v33, s17
	v_and_b32_e32 v33, s19, v33
	s_delay_alu instid0(VALU_DEP_1)
	v_and_b32_e32 v34, 1, v33
	v_lshlrev_b32_e32 v35, 30, v33
	v_lshlrev_b32_e32 v36, 29, v33
	;; [unrolled: 1-line block ×4, first 2 shown]
	v_add_co_u32 v34, s17, v34, -1
	s_wait_alu 0xf1ff
	v_cndmask_b32_e64 v38, 0, 1, s17
	v_not_b32_e32 v101, v35
	v_cmp_gt_i32_e64 s18, 0, v35
	v_not_b32_e32 v35, v36
	v_lshlrev_b32_e32 v40, 26, v33
	v_cmp_ne_u32_e64 s17, 0, v38
	v_ashrrev_i32_e32 v101, 31, v101
	v_lshlrev_b32_e32 v100, 25, v33
	v_ashrrev_i32_e32 v35, 31, v35
	v_lshlrev_b32_e32 v38, 24, v33
	s_wait_alu 0xf1ff
	v_xor_b32_e32 v34, s17, v34
	v_cmp_gt_i32_e64 s17, 0, v36
	v_not_b32_e32 v36, v37
	v_xor_b32_e32 v101, s18, v101
	v_cmp_gt_i32_e64 s18, 0, v37
	v_and_b32_e32 v34, exec_lo, v34
	v_not_b32_e32 v37, v39
	v_ashrrev_i32_e32 v36, 31, v36
	s_wait_alu 0xf1ff
	v_xor_b32_e32 v35, s17, v35
	v_cmp_gt_i32_e64 s17, 0, v39
	v_and_b32_e32 v34, v34, v101
	v_not_b32_e32 v39, v40
	v_ashrrev_i32_e32 v37, 31, v37
	v_xor_b32_e32 v36, s18, v36
	v_cmp_gt_i32_e64 s18, 0, v40
	v_and_b32_e32 v34, v34, v35
	v_not_b32_e32 v35, v100
	v_ashrrev_i32_e32 v39, 31, v39
	s_wait_alu 0xf1ff
	v_xor_b32_e32 v37, s17, v37
	v_cmp_gt_i32_e64 s17, 0, v100
	v_and_b32_e32 v34, v34, v36
	v_not_b32_e32 v36, v38
	v_ashrrev_i32_e32 v35, 31, v35
	v_xor_b32_e32 v39, s18, v39
	v_cmp_gt_i32_e64 s18, 0, v38
	v_and_b32_e32 v34, v34, v37
	v_ashrrev_i32_e32 v36, 31, v36
	s_wait_alu 0xf1ff
	v_xor_b32_e32 v35, s17, v35
	v_lshl_add_u32 v102, v33, 6, v0
	v_and_b32_e32 v34, v34, v39
	v_xor_b32_e32 v33, s18, v36
	ds_load_b32 v100, v102 offset:64
	v_and_b32_e32 v34, v34, v35
	; wave barrier
	s_delay_alu instid0(VALU_DEP_1) | instskip(NEXT) | instid1(VALU_DEP_1)
	v_and_b32_e32 v33, v34, v33
	v_mbcnt_lo_u32_b32 v101, v33, 0
	v_cmp_ne_u32_e64 s18, 0, v33
	s_delay_alu instid0(VALU_DEP_2)
	v_cmp_eq_u32_e64 s17, 0, v101
	s_and_b32 s18, s18, s17
	s_wait_alu 0xfffe
	s_and_saveexec_b32 s17, s18
	s_cbranch_execz .LBB235_81
; %bb.80:
	s_wait_dscnt 0x0
	v_bcnt_u32_b32 v33, v33, v100
	ds_store_b32 v102, v33 offset:64
.LBB235_81:
	s_wait_alu 0xfffe
	s_or_b32 exec_lo, exec_lo, s17
	v_lshrrev_b16 v33, 8, v71
	v_cmp_ne_u16_e64 s17, 0x7fff, v71
	; wave barrier
	s_wait_alu 0xf1ff
	s_delay_alu instid0(VALU_DEP_1) | instskip(NEXT) | instid1(VALU_DEP_1)
	v_cndmask_b32_e64 v33, 0x80, v33, s17
	v_and_b32_e32 v33, s19, v33
	s_delay_alu instid0(VALU_DEP_1)
	v_and_b32_e32 v34, 1, v33
	v_lshlrev_b32_e32 v35, 30, v33
	v_lshlrev_b32_e32 v36, 29, v33
	v_lshlrev_b32_e32 v37, 28, v33
	v_lshlrev_b32_e32 v39, 27, v33
	v_add_co_u32 v34, s17, v34, -1
	s_wait_alu 0xf1ff
	v_cndmask_b32_e64 v38, 0, 1, s17
	v_not_b32_e32 v104, v35
	v_cmp_gt_i32_e64 s18, 0, v35
	v_not_b32_e32 v35, v36
	v_lshlrev_b32_e32 v40, 26, v33
	v_cmp_ne_u32_e64 s17, 0, v38
	v_ashrrev_i32_e32 v104, 31, v104
	v_lshlrev_b32_e32 v103, 25, v33
	v_ashrrev_i32_e32 v35, 31, v35
	v_lshlrev_b32_e32 v38, 24, v33
	s_wait_alu 0xf1ff
	v_xor_b32_e32 v34, s17, v34
	v_cmp_gt_i32_e64 s17, 0, v36
	v_not_b32_e32 v36, v37
	v_xor_b32_e32 v104, s18, v104
	v_cmp_gt_i32_e64 s18, 0, v37
	v_and_b32_e32 v34, exec_lo, v34
	v_not_b32_e32 v37, v39
	v_ashrrev_i32_e32 v36, 31, v36
	s_wait_alu 0xf1ff
	v_xor_b32_e32 v35, s17, v35
	v_cmp_gt_i32_e64 s17, 0, v39
	v_and_b32_e32 v34, v34, v104
	v_not_b32_e32 v39, v40
	v_ashrrev_i32_e32 v37, 31, v37
	v_xor_b32_e32 v36, s18, v36
	v_cmp_gt_i32_e64 s18, 0, v40
	v_and_b32_e32 v34, v34, v35
	v_not_b32_e32 v35, v103
	v_ashrrev_i32_e32 v39, 31, v39
	s_wait_alu 0xf1ff
	v_xor_b32_e32 v37, s17, v37
	v_cmp_gt_i32_e64 s17, 0, v103
	v_and_b32_e32 v34, v34, v36
	v_not_b32_e32 v36, v38
	v_ashrrev_i32_e32 v35, 31, v35
	v_xor_b32_e32 v39, s18, v39
	v_cmp_gt_i32_e64 s18, 0, v38
	v_and_b32_e32 v34, v34, v37
	v_ashrrev_i32_e32 v36, 31, v36
	s_wait_alu 0xf1ff
	v_xor_b32_e32 v35, s17, v35
	v_lshl_add_u32 v104, v33, 6, v0
	v_and_b32_e32 v34, v34, v39
	v_xor_b32_e32 v33, s18, v36
	ds_load_b32 v0, v104 offset:64
	v_and_b32_e32 v34, v34, v35
	; wave barrier
	s_delay_alu instid0(VALU_DEP_1) | instskip(NEXT) | instid1(VALU_DEP_1)
	v_and_b32_e32 v33, v34, v33
	v_mbcnt_lo_u32_b32 v103, v33, 0
	v_cmp_ne_u32_e64 s18, 0, v33
	s_delay_alu instid0(VALU_DEP_2)
	v_cmp_eq_u32_e64 s17, 0, v103
	s_and_b32 s18, s18, s17
	s_wait_alu 0xfffe
	s_and_saveexec_b32 s17, s18
	s_cbranch_execz .LBB235_83
; %bb.82:
	s_wait_dscnt 0x0
	v_bcnt_u32_b32 v33, v33, v0
	ds_store_b32 v104, v33 offset:64
.LBB235_83:
	s_wait_alu 0xfffe
	s_or_b32 exec_lo, exec_lo, s17
	; wave barrier
	s_wait_loadcnt_dscnt 0x0
	s_barrier_signal -1
	s_barrier_wait -1
	global_inv scope:SCOPE_SE
	ds_load_b128 v[37:40], v65 offset:64
	ds_load_b128 v[33:36], v65 offset:80
	s_wait_dscnt 0x1
	v_add_nc_u32_e32 v105, v38, v37
	s_delay_alu instid0(VALU_DEP_1) | instskip(SKIP_1) | instid1(VALU_DEP_1)
	v_add3_u32 v105, v105, v39, v40
	s_wait_dscnt 0x0
	v_add3_u32 v105, v105, v33, v34
	s_delay_alu instid0(VALU_DEP_1) | instskip(NEXT) | instid1(VALU_DEP_1)
	v_add3_u32 v36, v105, v35, v36
	v_mov_b32_dpp v105, v36 row_shr:1 row_mask:0xf bank_mask:0xf
	s_delay_alu instid0(VALU_DEP_1) | instskip(NEXT) | instid1(VALU_DEP_1)
	v_cndmask_b32_e64 v105, v105, 0, vcc_lo
	v_add_nc_u32_e32 v36, v105, v36
	s_delay_alu instid0(VALU_DEP_1) | instskip(NEXT) | instid1(VALU_DEP_1)
	v_mov_b32_dpp v105, v36 row_shr:2 row_mask:0xf bank_mask:0xf
	v_cndmask_b32_e64 v105, 0, v105, s0
	s_delay_alu instid0(VALU_DEP_1) | instskip(NEXT) | instid1(VALU_DEP_1)
	v_add_nc_u32_e32 v36, v36, v105
	v_mov_b32_dpp v105, v36 row_shr:4 row_mask:0xf bank_mask:0xf
	s_delay_alu instid0(VALU_DEP_1) | instskip(NEXT) | instid1(VALU_DEP_1)
	v_cndmask_b32_e64 v105, 0, v105, s1
	v_add_nc_u32_e32 v36, v36, v105
	s_delay_alu instid0(VALU_DEP_1) | instskip(NEXT) | instid1(VALU_DEP_1)
	v_mov_b32_dpp v105, v36 row_shr:8 row_mask:0xf bank_mask:0xf
	v_cndmask_b32_e64 v105, 0, v105, s10
	s_delay_alu instid0(VALU_DEP_1) | instskip(SKIP_3) | instid1(VALU_DEP_1)
	v_add_nc_u32_e32 v36, v36, v105
	ds_swizzle_b32 v105, v36 offset:swizzle(BROADCAST,32,15)
	s_wait_dscnt 0x0
	v_cndmask_b32_e64 v105, v105, 0, s15
	v_add_nc_u32_e32 v36, v36, v105
	s_and_saveexec_b32 s15, s13
; %bb.84:
	ds_store_b32 v81, v36
; %bb.85:
	s_wait_alu 0xfffe
	s_or_b32 exec_lo, exec_lo, s15
	s_wait_loadcnt_dscnt 0x0
	s_barrier_signal -1
	s_barrier_wait -1
	global_inv scope:SCOPE_SE
	s_and_saveexec_b32 s13, s12
	s_cbranch_execz .LBB235_87
; %bb.86:
	ds_load_b32 v81, v80
	s_wait_dscnt 0x0
	v_mov_b32_dpp v105, v81 row_shr:1 row_mask:0xf bank_mask:0xf
	s_delay_alu instid0(VALU_DEP_1) | instskip(NEXT) | instid1(VALU_DEP_1)
	v_cndmask_b32_e64 v105, v105, 0, vcc_lo
	v_add_nc_u32_e32 v81, v105, v81
	s_delay_alu instid0(VALU_DEP_1) | instskip(NEXT) | instid1(VALU_DEP_1)
	v_mov_b32_dpp v105, v81 row_shr:2 row_mask:0xf bank_mask:0xf
	v_cndmask_b32_e64 v105, 0, v105, s0
	s_delay_alu instid0(VALU_DEP_1) | instskip(NEXT) | instid1(VALU_DEP_1)
	v_add_nc_u32_e32 v81, v81, v105
	v_mov_b32_dpp v105, v81 row_shr:4 row_mask:0xf bank_mask:0xf
	s_delay_alu instid0(VALU_DEP_1) | instskip(NEXT) | instid1(VALU_DEP_1)
	v_cndmask_b32_e64 v105, 0, v105, s1
	v_add_nc_u32_e32 v81, v81, v105
	s_delay_alu instid0(VALU_DEP_1) | instskip(NEXT) | instid1(VALU_DEP_1)
	v_mov_b32_dpp v105, v81 row_shr:8 row_mask:0xf bank_mask:0xf
	v_cndmask_b32_e64 v105, 0, v105, s10
	s_delay_alu instid0(VALU_DEP_1)
	v_add_nc_u32_e32 v81, v81, v105
	ds_store_b32 v80, v81
.LBB235_87:
	s_wait_alu 0xfffe
	s_or_b32 exec_lo, exec_lo, s13
	v_mov_b32_e32 v80, 0
	s_wait_loadcnt_dscnt 0x0
	s_barrier_signal -1
	s_barrier_wait -1
	global_inv scope:SCOPE_SE
	s_and_saveexec_b32 s0, s14
; %bb.88:
	ds_load_b32 v80, v82
; %bb.89:
	s_wait_alu 0xfffe
	s_or_b32 exec_lo, exec_lo, s0
	s_wait_dscnt 0x0
	v_add_nc_u32_e32 v36, v80, v36
	ds_bpermute_b32 v36, v83, v36
	s_wait_dscnt 0x0
	v_cndmask_b32_e64 v36, v36, v80, s11
	s_delay_alu instid0(VALU_DEP_1) | instskip(NEXT) | instid1(VALU_DEP_1)
	v_cndmask_b32_e64 v36, v36, 0, s16
	v_add_nc_u32_e32 v37, v36, v37
	s_delay_alu instid0(VALU_DEP_1) | instskip(NEXT) | instid1(VALU_DEP_1)
	v_add_nc_u32_e32 v38, v37, v38
	v_add_nc_u32_e32 v39, v38, v39
	s_delay_alu instid0(VALU_DEP_1) | instskip(NEXT) | instid1(VALU_DEP_1)
	v_add_nc_u32_e32 v80, v39, v40
	;; [unrolled: 3-line block ×3, first 2 shown]
	v_add_nc_u32_e32 v83, v82, v35
	ds_store_b128 v65, v[36:39] offset:64
	ds_store_b128 v65, v[80:83] offset:80
	s_wait_loadcnt_dscnt 0x0
	s_barrier_signal -1
	s_barrier_wait -1
	global_inv scope:SCOPE_SE
	ds_load_b32 v33, v104 offset:64
	ds_load_b32 v34, v102 offset:64
	;; [unrolled: 1-line block ×8, first 2 shown]
	v_lshlrev_b32_e32 v80, 1, v64
	s_wait_loadcnt_dscnt 0x0
	s_barrier_signal -1
	s_barrier_wait -1
	global_inv scope:SCOPE_SE
	v_mad_u32_u24 v81, v41, 48, v80
	v_add3_u32 v82, v103, v0, v33
	v_add3_u32 v83, v101, v100, v34
	;; [unrolled: 1-line block ×3, first 2 shown]
	v_add_nc_u32_e32 v79, v36, v79
	v_add3_u32 v85, v86, v85, v37
	v_add3_u32 v86, v89, v88, v38
	;; [unrolled: 1-line block ×4, first 2 shown]
	v_lshlrev_b32_e32 v0, 1, v79
	v_lshlrev_b32_e32 v33, 1, v85
	;; [unrolled: 1-line block ×8, first 2 shown]
	ds_store_b16 v0, v72
	ds_store_b16 v33, v73
	;; [unrolled: 1-line block ×8, first 2 shown]
	v_mad_co_u64_u32 v[71:72], null, v79, 6, v[0:1]
	v_mad_co_u64_u32 v[72:73], null, v85, 6, v[33:34]
	;; [unrolled: 1-line block ×4, first 2 shown]
	s_wait_loadcnt_dscnt 0x0
	s_barrier_signal -1
	s_barrier_wait -1
	global_inv scope:SCOPE_SE
	v_mad_co_u64_u32 v[75:76], null, v40, 6, v[36:37]
	ds_load_b128 v[33:36], v80
	v_mad_co_u64_u32 v[76:77], null, v84, 6, v[37:38]
	v_mad_co_u64_u32 v[37:38], null, v83, 6, v[38:39]
	;; [unrolled: 1-line block ×3, first 2 shown]
	s_wait_loadcnt_dscnt 0x0
	s_barrier_signal -1
	s_barrier_wait -1
	global_inv scope:SCOPE_SE
	ds_store_b64 v71, v[21:22]
	ds_store_b64 v72, v[23:24]
	;; [unrolled: 1-line block ×8, first 2 shown]
	s_wait_loadcnt_dscnt 0x0
	s_barrier_signal -1
	s_barrier_wait -1
	global_inv scope:SCOPE_SE
	ds_load_b128 v[29:32], v81
	ds_load_b128 v[25:28], v81 offset:16
	ds_load_b128 v[21:24], v81 offset:32
	;; [unrolled: 1-line block ×3, first 2 shown]
	v_cmp_lt_i16_e32 vcc_lo, -1, v33
	v_lshrrev_b32_e32 v0, 16, v33
	v_lshrrev_b32_e32 v38, 16, v34
	;; [unrolled: 1-line block ×4, first 2 shown]
	s_wait_alu 0xfffd
	v_cndmask_b32_e64 v37, 0xffff8000, -1, vcc_lo
	v_cmp_lt_i16_e32 vcc_lo, -1, v34
	s_wait_alu 0xfffd
	v_cndmask_b32_e64 v39, 0xffff8000, -1, vcc_lo
	v_cmp_lt_i16_e32 vcc_lo, -1, v35
	;; [unrolled: 3-line block ×5, first 2 shown]
	s_delay_alu instid0(VALU_DEP_2) | instskip(SKIP_3) | instid1(VALU_DEP_3)
	v_perm_b32 v0, v0, v37, 0x5040100
	s_wait_alu 0xfffd
	v_cndmask_b32_e64 v38, 0xffff8000, -1, vcc_lo
	v_cmp_lt_i16_e32 vcc_lo, -1, v40
	v_xor_b32_e32 v0, v0, v33
	s_delay_alu instid0(VALU_DEP_3) | instskip(SKIP_3) | instid1(VALU_DEP_3)
	v_perm_b32 v37, v38, v39, 0x5040100
	s_wait_alu 0xfffd
	v_cndmask_b32_e64 v40, 0xffff8000, -1, vcc_lo
	v_cmp_lt_i16_e32 vcc_lo, -1, v72
	v_xor_b32_e32 v34, v37, v34
	s_delay_alu instid0(VALU_DEP_3) | instskip(SKIP_2) | instid1(VALU_DEP_2)
	v_perm_b32 v38, v40, v71, 0x5040100
	s_wait_alu 0xfffd
	v_cndmask_b32_e64 v72, 0xffff8000, -1, vcc_lo
	v_xor_b32_e32 v33, v38, v35
	s_delay_alu instid0(VALU_DEP_2) | instskip(NEXT) | instid1(VALU_DEP_1)
	v_perm_b32 v39, v72, v73, 0x5040100
	v_xor_b32_e32 v35, v39, v36
	s_branch .LBB235_142
.LBB235_90:
	v_mad_co_u64_u32 v[2:3], null, s26, v41, 0
	v_dual_mov_b32 v14, v1 :: v_dual_mov_b32 v15, v1
	v_mov_b32_e32 v16, v1
	v_dual_mov_b32 v6, v1 :: v_dual_mov_b32 v7, v1
	v_dual_mov_b32 v8, v1 :: v_dual_mov_b32 v9, v1
	v_mad_co_u64_u32 v[3:4], null, s27, v41, v[3:4]
	v_dual_mov_b32 v4, v1 :: v_dual_mov_b32 v5, v1
	v_dual_mov_b32 v10, v1 :: v_dual_mov_b32 v13, v1
	s_delay_alu instid0(VALU_DEP_3) | instskip(NEXT) | instid1(VALU_DEP_1)
	v_lshlrev_b64_e32 v[2:3], 3, v[2:3]
	v_add_co_u32 v2, vcc_lo, s30, v2
	s_wait_alu 0xfffd
	s_delay_alu instid0(VALU_DEP_2)
	v_add_co_ci_u32_e64 v3, null, s31, v3, vcc_lo
	global_load_b64 v[11:12], v[2:3], off
	v_dual_mov_b32 v2, v1 :: v_dual_mov_b32 v3, v1
	s_or_b32 exec_lo, exec_lo, s0
	s_and_saveexec_b32 s0, s3
	s_cbranch_execz .LBB235_36
.LBB235_91:
	v_mad_co_u64_u32 v[1:2], null, s26, v17, 0
	s_delay_alu instid0(VALU_DEP_1) | instskip(NEXT) | instid1(VALU_DEP_1)
	v_mad_co_u64_u32 v[24:25], null, s27, v17, v[2:3]
	v_mov_b32_e32 v2, v24
	s_delay_alu instid0(VALU_DEP_1) | instskip(NEXT) | instid1(VALU_DEP_1)
	v_lshlrev_b64_e32 v[1:2], 3, v[1:2]
	v_add_co_u32 v1, vcc_lo, s30, v1
	s_wait_alu 0xfffd
	s_delay_alu instid0(VALU_DEP_2)
	v_add_co_ci_u32_e64 v2, null, s31, v2, vcc_lo
	global_load_b64 v[1:2], v[1:2], off
	s_or_b32 exec_lo, exec_lo, s0
	s_and_saveexec_b32 s0, s4
	s_cbranch_execz .LBB235_37
.LBB235_92:
	v_mad_co_u64_u32 v[13:14], null, s26, v18, 0
	s_delay_alu instid0(VALU_DEP_1) | instskip(NEXT) | instid1(VALU_DEP_1)
	v_mad_co_u64_u32 v[24:25], null, s27, v18, v[14:15]
	v_mov_b32_e32 v14, v24
	s_delay_alu instid0(VALU_DEP_1) | instskip(NEXT) | instid1(VALU_DEP_1)
	v_lshlrev_b64_e32 v[13:14], 3, v[13:14]
	v_add_co_u32 v13, vcc_lo, s30, v13
	s_wait_alu 0xfffd
	s_delay_alu instid0(VALU_DEP_2)
	v_add_co_ci_u32_e64 v14, null, s31, v14, vcc_lo
	global_load_b64 v[13:14], v[13:14], off
	s_or_b32 exec_lo, exec_lo, s0
	s_and_saveexec_b32 s0, s5
	s_cbranch_execz .LBB235_38
.LBB235_93:
	v_mad_co_u64_u32 v[15:16], null, s26, v19, 0
	s_delay_alu instid0(VALU_DEP_1) | instskip(NEXT) | instid1(VALU_DEP_1)
	v_mad_co_u64_u32 v[24:25], null, s27, v19, v[16:17]
	v_mov_b32_e32 v16, v24
	s_delay_alu instid0(VALU_DEP_1) | instskip(NEXT) | instid1(VALU_DEP_1)
	v_lshlrev_b64_e32 v[15:16], 3, v[15:16]
	v_add_co_u32 v15, vcc_lo, s30, v15
	s_wait_alu 0xfffd
	s_delay_alu instid0(VALU_DEP_2)
	v_add_co_ci_u32_e64 v16, null, s31, v16, vcc_lo
	global_load_b64 v[15:16], v[15:16], off
	s_or_b32 exec_lo, exec_lo, s0
	s_and_saveexec_b32 s0, s6
	s_cbranch_execz .LBB235_39
.LBB235_94:
	v_mad_co_u64_u32 v[3:4], null, s26, v20, 0
	s_delay_alu instid0(VALU_DEP_1) | instskip(NEXT) | instid1(VALU_DEP_1)
	v_mad_co_u64_u32 v[24:25], null, s27, v20, v[4:5]
	v_mov_b32_e32 v4, v24
	s_delay_alu instid0(VALU_DEP_1) | instskip(NEXT) | instid1(VALU_DEP_1)
	v_lshlrev_b64_e32 v[3:4], 3, v[3:4]
	v_add_co_u32 v3, vcc_lo, s30, v3
	s_wait_alu 0xfffd
	s_delay_alu instid0(VALU_DEP_2)
	v_add_co_ci_u32_e64 v4, null, s31, v4, vcc_lo
	global_load_b64 v[3:4], v[3:4], off
	s_or_b32 exec_lo, exec_lo, s0
	s_and_saveexec_b32 s0, s7
	s_cbranch_execz .LBB235_40
.LBB235_95:
	v_mad_co_u64_u32 v[5:6], null, s26, v21, 0
	s_delay_alu instid0(VALU_DEP_1) | instskip(NEXT) | instid1(VALU_DEP_1)
	v_mad_co_u64_u32 v[24:25], null, s27, v21, v[6:7]
	v_mov_b32_e32 v6, v24
	s_delay_alu instid0(VALU_DEP_1) | instskip(NEXT) | instid1(VALU_DEP_1)
	v_lshlrev_b64_e32 v[5:6], 3, v[5:6]
	v_add_co_u32 v5, vcc_lo, s30, v5
	s_wait_alu 0xfffd
	s_delay_alu instid0(VALU_DEP_2)
	v_add_co_ci_u32_e64 v6, null, s31, v6, vcc_lo
	global_load_b64 v[5:6], v[5:6], off
	s_or_b32 exec_lo, exec_lo, s0
	s_and_saveexec_b32 s0, s8
	s_cbranch_execnz .LBB235_41
	s_branch .LBB235_42
.LBB235_96:
                                        ; implicit-def: $vgpr19_vgpr20
                                        ; implicit-def: $vgpr23_vgpr24
                                        ; implicit-def: $vgpr27_vgpr28
                                        ; implicit-def: $vgpr31_vgpr32
                                        ; implicit-def: $vgpr35
                                        ; implicit-def: $vgpr33
                                        ; implicit-def: $vgpr34
                                        ; implicit-def: $vgpr0
	s_cbranch_execz .LBB235_142
; %bb.97:
	v_lshrrev_b32_e32 v0, 16, v44
	v_cmp_gt_i16_e32 vcc_lo, 0, v44
	s_wait_dscnt 0x0
	v_lshrrev_b32_e32 v17, 16, v45
	v_lshrrev_b32_e32 v18, 16, v42
	;; [unrolled: 1-line block ×3, first 2 shown]
	v_or_b32_e32 v21, v67, v68
	s_wait_alu 0xfffd
	v_cndmask_b32_e64 v20, 0x7fff, 0, vcc_lo
	v_cmp_gt_i16_e32 vcc_lo, 0, v0
	v_and_or_b32 v36, 0x1f00, v64, v67
	s_mov_b32 s12, 0
	s_getpc_b64 s[0:1]
	s_sext_i32_i16 s1, s1
	s_add_co_u32 s0, s0, _ZN7rocprim17ROCPRIM_400000_NS16block_radix_sortI6__halfLj512ELj8ElLj1ELj1ELj0ELNS0_26block_radix_rank_algorithmE1ELNS0_18block_padding_hintE2ELNS0_4arch9wavefront6targetE0EE19radix_bits_per_passE@rel32@lo+8
	s_add_co_ci_u32 s1, s1, _ZN7rocprim17ROCPRIM_400000_NS16block_radix_sortI6__halfLj512ELj8ElLj1ELj1ELj0ELNS0_26block_radix_rank_algorithmE1ELNS0_18block_padding_hintE2ELNS0_4arch9wavefront6targetE0EE19radix_bits_per_passE@rel32@hi+16
	s_mov_b32 s13, s12
	s_wait_alu 0xfffd
	v_cndmask_b32_e64 v0, 0x7fff, 0, vcc_lo
	v_cmp_gt_i16_e32 vcc_lo, 0, v45
	s_mov_b32 s14, s12
	s_mov_b32 s15, s12
	v_lshlrev_b32_e32 v25, 1, v36
	v_perm_b32 v0, v0, v20, 0x5040100
	s_wait_alu 0xfffd
	v_cndmask_b32_e64 v22, 0x7fff, 0, vcc_lo
	v_cmp_gt_i16_e32 vcc_lo, 0, v17
	s_load_b32 s17, s[0:1], 0x0
	v_cndmask_b32_e64 v17, 0x7fff, 0, vcc_lo
	v_cmp_gt_i16_e32 vcc_lo, 0, v42
	s_delay_alu instid0(VALU_DEP_2)
	v_perm_b32 v20, v17, v22, 0x5040100
	s_wait_alu 0xfffd
	v_cndmask_b32_e64 v23, 0x7fff, 0, vcc_lo
	v_cmp_gt_i16_e32 vcc_lo, 0, v18
	v_xor_b32_e32 v17, v0, v44
	s_wait_alu 0xfffd
	v_cndmask_b32_e64 v18, 0x7fff, 0, vcc_lo
	v_cmp_gt_i16_e32 vcc_lo, 0, v43
	s_wait_kmcnt 0x0
	s_min_u32 s0, s17, 16
	s_delay_alu instid0(VALU_DEP_2)
	v_perm_b32 v22, v18, v23, 0x5040100
	s_wait_alu 0xfffd
	v_cndmask_b32_e64 v24, 0x7fff, 0, vcc_lo
	v_cmp_gt_i16_e32 vcc_lo, 0, v19
	v_lshlrev_b32_e32 v23, 4, v21
	v_xor_b32_e32 v18, v20, v45
	s_lshl_b32 s0, -1, s0
	s_wait_alu 0xfffd
	v_cndmask_b32_e64 v19, 0x7fff, 0, vcc_lo
	s_not_b32 s1, s0
	s_delay_alu instid0(VALU_DEP_1) | instskip(SKIP_1) | instid1(VALU_DEP_2)
	v_perm_b32 v24, v19, v24, 0x5040100
	v_xor_b32_e32 v19, v22, v42
	v_xor_b32_e32 v20, v24, v43
	ds_store_b128 v23, v[17:20]
	; wave barrier
	ds_load_u16 v26, v25
	ds_load_u16 v27, v25 offset:64
	ds_load_u16 v28, v25 offset:128
	;; [unrolled: 1-line block ×7, first 2 shown]
	s_wait_loadcnt_dscnt 0x0
	s_barrier_signal -1
	s_barrier_wait -1
	global_inv scope:SCOPE_SE
	v_cmp_ne_u16_e32 vcc_lo, 0x8000, v26
	s_wait_alu 0xfffd
	v_cndmask_b32_e32 v0, 0x7fff, v26, vcc_lo
	v_mad_u32_u24 v17, v21, 48, v23
	ds_store_b128 v17, v[13:16]
	ds_store_b128 v17, v[9:12] offset:16
	v_and_b32_e32 v0, 0xffff, v0
	ds_store_b128 v17, v[5:8] offset:32
	ds_store_b128 v17, v[1:4] offset:48
	v_mad_u32_u24 v12, v36, 6, v25
	; wave barrier
	v_and_b32_e32 v23, s1, v0
	ds_load_2addr_b64 v[8:11], v12 offset1:32
	ds_load_2addr_b64 v[0:3], v12 offset0:64 offset1:96
	v_and_b32_e32 v4, 1, v23
	v_lshlrev_b32_e32 v18, 30, v23
	v_lshlrev_b32_e32 v19, 29, v23
	;; [unrolled: 1-line block ×3, first 2 shown]
	s_delay_alu instid0(VALU_DEP_4)
	v_add_co_u32 v16, s0, v4, -1
	s_wait_alu 0xf1ff
	v_cndmask_b32_e64 v17, 0, 1, s0
	ds_load_2addr_b64 v[4:7], v12 offset0:128 offset1:160
	ds_load_2addr_b64 v[12:15], v12 offset0:192 offset1:224
	s_wait_loadcnt_dscnt 0x0
	s_barrier_signal -1
	v_cmp_ne_u32_e32 vcc_lo, 0, v17
	v_not_b32_e32 v17, v18
	s_barrier_wait -1
	global_inv scope:SCOPE_SE
	s_load_b32 s0, s[34:35], 0xc
	v_xor_b32_e32 v16, vcc_lo, v16
	v_cmp_gt_i32_e32 vcc_lo, 0, v18
	v_ashrrev_i32_e32 v17, 31, v17
	v_not_b32_e32 v18, v19
	s_delay_alu instid0(VALU_DEP_4) | instskip(SKIP_1) | instid1(VALU_DEP_3)
	v_and_b32_e32 v16, exec_lo, v16
	s_wait_alu 0xfffd
	v_xor_b32_e32 v17, vcc_lo, v17
	v_cmp_gt_i32_e32 vcc_lo, 0, v19
	v_ashrrev_i32_e32 v18, 31, v18
	v_not_b32_e32 v19, v20
	s_delay_alu instid0(VALU_DEP_4)
	v_and_b32_e32 v16, v16, v17
	v_lshlrev_b32_e32 v17, 27, v23
	s_wait_alu 0xfffd
	v_xor_b32_e32 v18, vcc_lo, v18
	v_cmp_gt_i32_e32 vcc_lo, 0, v20
	v_ashrrev_i32_e32 v19, 31, v19
	v_not_b32_e32 v20, v17
	s_delay_alu instid0(VALU_DEP_4)
	v_and_b32_e32 v16, v16, v18
	v_lshlrev_b32_e32 v18, 26, v23
	s_wait_alu 0xfffd
	v_xor_b32_e32 v19, vcc_lo, v19
	v_cmp_gt_i32_e32 vcc_lo, 0, v17
	v_ashrrev_i32_e32 v17, 31, v20
	s_wait_kmcnt 0x0
	s_lshr_b32 s10, s0, 16
	v_not_b32_e32 v20, v18
	v_and_b32_e32 v16, v16, v19
	v_lshlrev_b32_e32 v19, 25, v23
	s_wait_alu 0xfffd
	v_xor_b32_e32 v17, vcc_lo, v17
	v_cmp_gt_i32_e32 vcc_lo, 0, v18
	v_ashrrev_i32_e32 v18, 31, v20
	s_wait_alu 0xfffe
	v_mad_u32_u24 v21, v70, s10, v69
	v_not_b32_e32 v20, v19
	v_and_b32_e32 v16, v16, v17
	v_lshlrev_b32_e32 v17, 24, v23
	s_wait_alu 0xfffd
	v_xor_b32_e32 v18, vcc_lo, v18
	v_cmp_gt_i32_e32 vcc_lo, 0, v19
	v_ashrrev_i32_e32 v19, 31, v20
	s_and_b32 s0, s0, 0xffff
	v_not_b32_e32 v20, v17
	v_and_b32_e32 v16, v16, v18
	s_wait_alu 0xfffe
	v_mad_co_u64_u32 v[21:22], null, v21, s0, v[41:42]
	s_wait_alu 0xfffd
	v_xor_b32_e32 v18, vcc_lo, v19
	v_cmp_gt_i32_e32 vcc_lo, 0, v17
	v_ashrrev_i32_e32 v17, 31, v20
	s_delay_alu instid0(VALU_DEP_3) | instskip(SKIP_2) | instid1(VALU_DEP_3)
	v_and_b32_e32 v16, v16, v18
	v_lshrrev_b32_e32 v21, 5, v21
	s_wait_alu 0xfffd
	v_xor_b32_e32 v22, vcc_lo, v17
	v_dual_mov_b32 v20, s15 :: v_dual_mov_b32 v19, s14
	v_dual_mov_b32 v18, s13 :: v_dual_mov_b32 v17, s12
	s_delay_alu instid0(VALU_DEP_3)
	v_and_b32_e32 v16, v16, v22
	ds_store_b128 v65, v[17:20] offset:64
	ds_store_b128 v65, v[17:20] offset:80
	v_mbcnt_lo_u32_b32 v38, v16, 0
	v_lshlrev_b32_e32 v24, 2, v21
	v_lshlrev_b32_e32 v17, 6, v23
	v_cmp_ne_u32_e64 s0, 0, v16
	s_wait_loadcnt_dscnt 0x0
	v_cmp_eq_u32_e32 vcc_lo, 0, v38
	s_barrier_signal -1
	v_add_nc_u32_e32 v39, v24, v17
	s_barrier_wait -1
	global_inv scope:SCOPE_SE
	s_and_b32 s10, s0, vcc_lo
	; wave barrier
	s_wait_alu 0xfffe
	s_and_saveexec_b32 s0, s10
; %bb.98:
	v_bcnt_u32_b32 v16, v16, 0
	ds_store_b32 v39, v16 offset:64
; %bb.99:
	s_wait_alu 0xfffe
	s_or_b32 exec_lo, exec_lo, s0
	v_cmp_ne_u16_e32 vcc_lo, 0x8000, v27
	; wave barrier
	s_wait_alu 0xfffd
	v_cndmask_b32_e32 v16, 0x7fff, v27, vcc_lo
	s_delay_alu instid0(VALU_DEP_1) | instskip(NEXT) | instid1(VALU_DEP_1)
	v_and_b32_e32 v16, 0xffff, v16
	v_and_b32_e32 v16, s1, v16
	s_delay_alu instid0(VALU_DEP_1)
	v_and_b32_e32 v17, 1, v16
	v_lshlrev_b32_e32 v18, 30, v16
	v_lshlrev_b32_e32 v19, 29, v16
	;; [unrolled: 1-line block ×4, first 2 shown]
	v_add_co_u32 v17, s0, v17, -1
	s_wait_alu 0xf1ff
	v_cndmask_b32_e64 v21, 0, 1, s0
	v_not_b32_e32 v35, v18
	v_cmp_gt_i32_e64 s0, 0, v18
	v_not_b32_e32 v18, v19
	v_lshlrev_b32_e32 v23, 26, v16
	v_cmp_ne_u32_e32 vcc_lo, 0, v21
	v_ashrrev_i32_e32 v35, 31, v35
	v_lshlrev_b32_e32 v34, 25, v16
	v_ashrrev_i32_e32 v18, 31, v18
	v_lshlrev_b32_e32 v21, 24, v16
	s_wait_alu 0xfffd
	v_xor_b32_e32 v17, vcc_lo, v17
	v_cmp_gt_i32_e32 vcc_lo, 0, v19
	v_not_b32_e32 v19, v20
	s_wait_alu 0xf1ff
	v_xor_b32_e32 v35, s0, v35
	v_cmp_gt_i32_e64 s0, 0, v20
	v_and_b32_e32 v17, exec_lo, v17
	v_not_b32_e32 v20, v22
	v_ashrrev_i32_e32 v19, 31, v19
	s_wait_alu 0xfffd
	v_xor_b32_e32 v18, vcc_lo, v18
	v_cmp_gt_i32_e32 vcc_lo, 0, v22
	v_and_b32_e32 v17, v17, v35
	v_not_b32_e32 v22, v23
	v_ashrrev_i32_e32 v20, 31, v20
	s_wait_alu 0xf1ff
	v_xor_b32_e32 v19, s0, v19
	v_cmp_gt_i32_e64 s0, 0, v23
	v_and_b32_e32 v17, v17, v18
	v_not_b32_e32 v18, v34
	v_ashrrev_i32_e32 v22, 31, v22
	s_wait_alu 0xfffd
	v_xor_b32_e32 v20, vcc_lo, v20
	v_cmp_gt_i32_e32 vcc_lo, 0, v34
	v_and_b32_e32 v17, v17, v19
	v_not_b32_e32 v19, v21
	v_ashrrev_i32_e32 v18, 31, v18
	s_wait_alu 0xf1ff
	v_xor_b32_e32 v22, s0, v22
	v_lshlrev_b32_e32 v16, 6, v16
	v_and_b32_e32 v17, v17, v20
	v_cmp_gt_i32_e64 s0, 0, v21
	v_ashrrev_i32_e32 v19, 31, v19
	s_wait_alu 0xfffd
	v_xor_b32_e32 v18, vcc_lo, v18
	v_add_nc_u32_e32 v43, v24, v16
	v_and_b32_e32 v17, v17, v22
	s_wait_alu 0xf1ff
	v_xor_b32_e32 v16, s0, v19
	ds_load_b32 v40, v43 offset:64
	v_and_b32_e32 v17, v17, v18
	; wave barrier
	s_delay_alu instid0(VALU_DEP_1) | instskip(NEXT) | instid1(VALU_DEP_1)
	v_and_b32_e32 v16, v17, v16
	v_mbcnt_lo_u32_b32 v42, v16, 0
	v_cmp_ne_u32_e64 s0, 0, v16
	s_delay_alu instid0(VALU_DEP_2)
	v_cmp_eq_u32_e32 vcc_lo, 0, v42
	s_and_b32 s10, s0, vcc_lo
	s_wait_alu 0xfffe
	s_and_saveexec_b32 s0, s10
	s_cbranch_execz .LBB235_101
; %bb.100:
	s_wait_dscnt 0x0
	v_bcnt_u32_b32 v16, v16, v40
	ds_store_b32 v43, v16 offset:64
.LBB235_101:
	s_wait_alu 0xfffe
	s_or_b32 exec_lo, exec_lo, s0
	v_cmp_ne_u16_e32 vcc_lo, 0x8000, v28
	; wave barrier
	s_wait_alu 0xfffd
	v_cndmask_b32_e32 v16, 0x7fff, v28, vcc_lo
	s_delay_alu instid0(VALU_DEP_1) | instskip(NEXT) | instid1(VALU_DEP_1)
	v_and_b32_e32 v16, 0xffff, v16
	v_and_b32_e32 v16, s1, v16
	s_delay_alu instid0(VALU_DEP_1)
	v_and_b32_e32 v17, 1, v16
	v_lshlrev_b32_e32 v18, 30, v16
	v_lshlrev_b32_e32 v19, 29, v16
	;; [unrolled: 1-line block ×4, first 2 shown]
	v_add_co_u32 v17, s0, v17, -1
	s_wait_alu 0xf1ff
	v_cndmask_b32_e64 v21, 0, 1, s0
	v_not_b32_e32 v35, v18
	v_cmp_gt_i32_e64 s0, 0, v18
	v_not_b32_e32 v18, v19
	v_lshlrev_b32_e32 v23, 26, v16
	v_cmp_ne_u32_e32 vcc_lo, 0, v21
	v_ashrrev_i32_e32 v35, 31, v35
	v_lshlrev_b32_e32 v34, 25, v16
	v_ashrrev_i32_e32 v18, 31, v18
	v_lshlrev_b32_e32 v21, 24, v16
	s_wait_alu 0xfffd
	v_xor_b32_e32 v17, vcc_lo, v17
	v_cmp_gt_i32_e32 vcc_lo, 0, v19
	v_not_b32_e32 v19, v20
	s_wait_alu 0xf1ff
	v_xor_b32_e32 v35, s0, v35
	v_cmp_gt_i32_e64 s0, 0, v20
	v_and_b32_e32 v17, exec_lo, v17
	v_not_b32_e32 v20, v22
	v_ashrrev_i32_e32 v19, 31, v19
	s_wait_alu 0xfffd
	v_xor_b32_e32 v18, vcc_lo, v18
	v_cmp_gt_i32_e32 vcc_lo, 0, v22
	v_and_b32_e32 v17, v17, v35
	v_not_b32_e32 v22, v23
	v_ashrrev_i32_e32 v20, 31, v20
	s_wait_alu 0xf1ff
	v_xor_b32_e32 v19, s0, v19
	v_cmp_gt_i32_e64 s0, 0, v23
	v_and_b32_e32 v17, v17, v18
	v_not_b32_e32 v18, v34
	v_ashrrev_i32_e32 v22, 31, v22
	s_wait_alu 0xfffd
	v_xor_b32_e32 v20, vcc_lo, v20
	v_cmp_gt_i32_e32 vcc_lo, 0, v34
	v_and_b32_e32 v17, v17, v19
	v_not_b32_e32 v19, v21
	v_ashrrev_i32_e32 v18, 31, v18
	s_wait_alu 0xf1ff
	v_xor_b32_e32 v22, s0, v22
	v_lshlrev_b32_e32 v16, 6, v16
	v_and_b32_e32 v17, v17, v20
	v_cmp_gt_i32_e64 s0, 0, v21
	v_ashrrev_i32_e32 v19, 31, v19
	s_wait_alu 0xfffd
	v_xor_b32_e32 v18, vcc_lo, v18
	v_add_nc_u32_e32 v69, v24, v16
	v_and_b32_e32 v17, v17, v22
	s_wait_alu 0xf1ff
	v_xor_b32_e32 v16, s0, v19
	ds_load_b32 v44, v69 offset:64
	v_and_b32_e32 v17, v17, v18
	; wave barrier
	s_delay_alu instid0(VALU_DEP_1) | instskip(NEXT) | instid1(VALU_DEP_1)
	v_and_b32_e32 v16, v17, v16
	v_mbcnt_lo_u32_b32 v45, v16, 0
	v_cmp_ne_u32_e64 s0, 0, v16
	s_delay_alu instid0(VALU_DEP_2)
	v_cmp_eq_u32_e32 vcc_lo, 0, v45
	s_and_b32 s10, s0, vcc_lo
	s_wait_alu 0xfffe
	s_and_saveexec_b32 s0, s10
	s_cbranch_execz .LBB235_103
; %bb.102:
	s_wait_dscnt 0x0
	v_bcnt_u32_b32 v16, v16, v44
	ds_store_b32 v69, v16 offset:64
.LBB235_103:
	s_wait_alu 0xfffe
	s_or_b32 exec_lo, exec_lo, s0
	v_cmp_ne_u16_e32 vcc_lo, 0x8000, v29
	; wave barrier
	s_wait_alu 0xfffd
	v_cndmask_b32_e32 v16, 0x7fff, v29, vcc_lo
	s_delay_alu instid0(VALU_DEP_1) | instskip(NEXT) | instid1(VALU_DEP_1)
	v_and_b32_e32 v16, 0xffff, v16
	v_and_b32_e32 v16, s1, v16
	s_delay_alu instid0(VALU_DEP_1)
	v_and_b32_e32 v17, 1, v16
	v_lshlrev_b32_e32 v18, 30, v16
	v_lshlrev_b32_e32 v19, 29, v16
	;; [unrolled: 1-line block ×4, first 2 shown]
	v_add_co_u32 v17, s0, v17, -1
	s_wait_alu 0xf1ff
	v_cndmask_b32_e64 v21, 0, 1, s0
	v_not_b32_e32 v35, v18
	v_cmp_gt_i32_e64 s0, 0, v18
	v_not_b32_e32 v18, v19
	v_lshlrev_b32_e32 v23, 26, v16
	v_cmp_ne_u32_e32 vcc_lo, 0, v21
	v_ashrrev_i32_e32 v35, 31, v35
	v_lshlrev_b32_e32 v34, 25, v16
	v_ashrrev_i32_e32 v18, 31, v18
	v_lshlrev_b32_e32 v21, 24, v16
	s_wait_alu 0xfffd
	v_xor_b32_e32 v17, vcc_lo, v17
	v_cmp_gt_i32_e32 vcc_lo, 0, v19
	v_not_b32_e32 v19, v20
	s_wait_alu 0xf1ff
	v_xor_b32_e32 v35, s0, v35
	v_cmp_gt_i32_e64 s0, 0, v20
	v_and_b32_e32 v17, exec_lo, v17
	v_not_b32_e32 v20, v22
	v_ashrrev_i32_e32 v19, 31, v19
	s_wait_alu 0xfffd
	v_xor_b32_e32 v18, vcc_lo, v18
	v_cmp_gt_i32_e32 vcc_lo, 0, v22
	v_and_b32_e32 v17, v17, v35
	v_not_b32_e32 v22, v23
	v_ashrrev_i32_e32 v20, 31, v20
	s_wait_alu 0xf1ff
	v_xor_b32_e32 v19, s0, v19
	v_cmp_gt_i32_e64 s0, 0, v23
	v_and_b32_e32 v17, v17, v18
	v_not_b32_e32 v18, v34
	v_ashrrev_i32_e32 v22, 31, v22
	s_wait_alu 0xfffd
	v_xor_b32_e32 v20, vcc_lo, v20
	v_cmp_gt_i32_e32 vcc_lo, 0, v34
	v_and_b32_e32 v17, v17, v19
	v_not_b32_e32 v19, v21
	v_ashrrev_i32_e32 v18, 31, v18
	s_wait_alu 0xf1ff
	v_xor_b32_e32 v22, s0, v22
	v_lshlrev_b32_e32 v16, 6, v16
	v_and_b32_e32 v17, v17, v20
	v_cmp_gt_i32_e64 s0, 0, v21
	v_ashrrev_i32_e32 v19, 31, v19
	s_wait_alu 0xfffd
	v_xor_b32_e32 v18, vcc_lo, v18
	v_add_nc_u32_e32 v72, v24, v16
	v_and_b32_e32 v17, v17, v22
	s_wait_alu 0xf1ff
	v_xor_b32_e32 v16, s0, v19
	ds_load_b32 v70, v72 offset:64
	v_and_b32_e32 v17, v17, v18
	; wave barrier
	s_delay_alu instid0(VALU_DEP_1) | instskip(NEXT) | instid1(VALU_DEP_1)
	v_and_b32_e32 v16, v17, v16
	v_mbcnt_lo_u32_b32 v71, v16, 0
	v_cmp_ne_u32_e64 s0, 0, v16
	s_delay_alu instid0(VALU_DEP_2)
	v_cmp_eq_u32_e32 vcc_lo, 0, v71
	s_and_b32 s10, s0, vcc_lo
	s_wait_alu 0xfffe
	s_and_saveexec_b32 s0, s10
	s_cbranch_execz .LBB235_105
; %bb.104:
	s_wait_dscnt 0x0
	v_bcnt_u32_b32 v16, v16, v70
	ds_store_b32 v72, v16 offset:64
.LBB235_105:
	s_wait_alu 0xfffe
	s_or_b32 exec_lo, exec_lo, s0
	v_cmp_ne_u16_e32 vcc_lo, 0x8000, v30
	; wave barrier
	s_wait_alu 0xfffd
	v_cndmask_b32_e32 v16, 0x7fff, v30, vcc_lo
	s_delay_alu instid0(VALU_DEP_1) | instskip(NEXT) | instid1(VALU_DEP_1)
	v_and_b32_e32 v16, 0xffff, v16
	v_and_b32_e32 v16, s1, v16
	s_delay_alu instid0(VALU_DEP_1)
	v_and_b32_e32 v17, 1, v16
	v_lshlrev_b32_e32 v18, 30, v16
	v_lshlrev_b32_e32 v19, 29, v16
	;; [unrolled: 1-line block ×4, first 2 shown]
	v_add_co_u32 v17, s0, v17, -1
	s_wait_alu 0xf1ff
	v_cndmask_b32_e64 v21, 0, 1, s0
	v_not_b32_e32 v35, v18
	v_cmp_gt_i32_e64 s0, 0, v18
	v_not_b32_e32 v18, v19
	v_lshlrev_b32_e32 v23, 26, v16
	v_cmp_ne_u32_e32 vcc_lo, 0, v21
	v_ashrrev_i32_e32 v35, 31, v35
	v_lshlrev_b32_e32 v34, 25, v16
	v_ashrrev_i32_e32 v18, 31, v18
	v_lshlrev_b32_e32 v21, 24, v16
	s_wait_alu 0xfffd
	v_xor_b32_e32 v17, vcc_lo, v17
	v_cmp_gt_i32_e32 vcc_lo, 0, v19
	v_not_b32_e32 v19, v20
	s_wait_alu 0xf1ff
	v_xor_b32_e32 v35, s0, v35
	v_cmp_gt_i32_e64 s0, 0, v20
	v_and_b32_e32 v17, exec_lo, v17
	v_not_b32_e32 v20, v22
	v_ashrrev_i32_e32 v19, 31, v19
	s_wait_alu 0xfffd
	v_xor_b32_e32 v18, vcc_lo, v18
	v_cmp_gt_i32_e32 vcc_lo, 0, v22
	v_and_b32_e32 v17, v17, v35
	v_not_b32_e32 v22, v23
	v_ashrrev_i32_e32 v20, 31, v20
	s_wait_alu 0xf1ff
	v_xor_b32_e32 v19, s0, v19
	v_cmp_gt_i32_e64 s0, 0, v23
	v_and_b32_e32 v17, v17, v18
	v_not_b32_e32 v18, v34
	v_ashrrev_i32_e32 v22, 31, v22
	s_wait_alu 0xfffd
	v_xor_b32_e32 v20, vcc_lo, v20
	v_cmp_gt_i32_e32 vcc_lo, 0, v34
	v_and_b32_e32 v17, v17, v19
	v_not_b32_e32 v19, v21
	v_ashrrev_i32_e32 v18, 31, v18
	s_wait_alu 0xf1ff
	v_xor_b32_e32 v22, s0, v22
	v_lshlrev_b32_e32 v16, 6, v16
	v_and_b32_e32 v17, v17, v20
	v_cmp_gt_i32_e64 s0, 0, v21
	v_ashrrev_i32_e32 v19, 31, v19
	s_wait_alu 0xfffd
	v_xor_b32_e32 v18, vcc_lo, v18
	v_add_nc_u32_e32 v75, v24, v16
	v_and_b32_e32 v17, v17, v22
	s_wait_alu 0xf1ff
	v_xor_b32_e32 v16, s0, v19
	ds_load_b32 v73, v75 offset:64
	v_and_b32_e32 v17, v17, v18
	; wave barrier
	s_delay_alu instid0(VALU_DEP_1) | instskip(NEXT) | instid1(VALU_DEP_1)
	v_and_b32_e32 v16, v17, v16
	v_mbcnt_lo_u32_b32 v74, v16, 0
	v_cmp_ne_u32_e64 s0, 0, v16
	s_delay_alu instid0(VALU_DEP_2)
	v_cmp_eq_u32_e32 vcc_lo, 0, v74
	s_and_b32 s10, s0, vcc_lo
	s_wait_alu 0xfffe
	s_and_saveexec_b32 s0, s10
	s_cbranch_execz .LBB235_107
; %bb.106:
	s_wait_dscnt 0x0
	v_bcnt_u32_b32 v16, v16, v73
	ds_store_b32 v75, v16 offset:64
.LBB235_107:
	s_wait_alu 0xfffe
	s_or_b32 exec_lo, exec_lo, s0
	v_cmp_ne_u16_e32 vcc_lo, 0x8000, v31
	; wave barrier
	s_wait_alu 0xfffd
	v_cndmask_b32_e32 v16, 0x7fff, v31, vcc_lo
	s_delay_alu instid0(VALU_DEP_1) | instskip(NEXT) | instid1(VALU_DEP_1)
	v_and_b32_e32 v16, 0xffff, v16
	v_and_b32_e32 v16, s1, v16
	s_delay_alu instid0(VALU_DEP_1)
	v_and_b32_e32 v17, 1, v16
	v_lshlrev_b32_e32 v18, 30, v16
	v_lshlrev_b32_e32 v19, 29, v16
	;; [unrolled: 1-line block ×4, first 2 shown]
	v_add_co_u32 v17, s0, v17, -1
	s_wait_alu 0xf1ff
	v_cndmask_b32_e64 v21, 0, 1, s0
	v_not_b32_e32 v35, v18
	v_cmp_gt_i32_e64 s0, 0, v18
	v_not_b32_e32 v18, v19
	v_lshlrev_b32_e32 v23, 26, v16
	v_cmp_ne_u32_e32 vcc_lo, 0, v21
	v_ashrrev_i32_e32 v35, 31, v35
	v_lshlrev_b32_e32 v34, 25, v16
	v_ashrrev_i32_e32 v18, 31, v18
	v_lshlrev_b32_e32 v21, 24, v16
	s_wait_alu 0xfffd
	v_xor_b32_e32 v17, vcc_lo, v17
	v_cmp_gt_i32_e32 vcc_lo, 0, v19
	v_not_b32_e32 v19, v20
	s_wait_alu 0xf1ff
	v_xor_b32_e32 v35, s0, v35
	v_cmp_gt_i32_e64 s0, 0, v20
	v_and_b32_e32 v17, exec_lo, v17
	v_not_b32_e32 v20, v22
	v_ashrrev_i32_e32 v19, 31, v19
	s_wait_alu 0xfffd
	v_xor_b32_e32 v18, vcc_lo, v18
	v_cmp_gt_i32_e32 vcc_lo, 0, v22
	v_and_b32_e32 v17, v17, v35
	v_not_b32_e32 v22, v23
	v_ashrrev_i32_e32 v20, 31, v20
	s_wait_alu 0xf1ff
	v_xor_b32_e32 v19, s0, v19
	v_cmp_gt_i32_e64 s0, 0, v23
	v_and_b32_e32 v17, v17, v18
	v_not_b32_e32 v18, v34
	v_ashrrev_i32_e32 v22, 31, v22
	s_wait_alu 0xfffd
	v_xor_b32_e32 v20, vcc_lo, v20
	v_cmp_gt_i32_e32 vcc_lo, 0, v34
	v_and_b32_e32 v17, v17, v19
	v_not_b32_e32 v19, v21
	v_ashrrev_i32_e32 v18, 31, v18
	s_wait_alu 0xf1ff
	v_xor_b32_e32 v22, s0, v22
	v_lshlrev_b32_e32 v16, 6, v16
	v_and_b32_e32 v17, v17, v20
	v_cmp_gt_i32_e64 s0, 0, v21
	v_ashrrev_i32_e32 v19, 31, v19
	s_wait_alu 0xfffd
	v_xor_b32_e32 v18, vcc_lo, v18
	v_add_nc_u32_e32 v78, v24, v16
	v_and_b32_e32 v17, v17, v22
	s_wait_alu 0xf1ff
	v_xor_b32_e32 v16, s0, v19
	ds_load_b32 v76, v78 offset:64
	v_and_b32_e32 v17, v17, v18
	; wave barrier
	s_delay_alu instid0(VALU_DEP_1) | instskip(NEXT) | instid1(VALU_DEP_1)
	v_and_b32_e32 v16, v17, v16
	v_mbcnt_lo_u32_b32 v77, v16, 0
	v_cmp_ne_u32_e64 s0, 0, v16
	s_delay_alu instid0(VALU_DEP_2)
	v_cmp_eq_u32_e32 vcc_lo, 0, v77
	s_and_b32 s10, s0, vcc_lo
	s_wait_alu 0xfffe
	s_and_saveexec_b32 s0, s10
	s_cbranch_execz .LBB235_109
; %bb.108:
	s_wait_dscnt 0x0
	v_bcnt_u32_b32 v16, v16, v76
	ds_store_b32 v78, v16 offset:64
.LBB235_109:
	s_wait_alu 0xfffe
	s_or_b32 exec_lo, exec_lo, s0
	v_cmp_ne_u16_e32 vcc_lo, 0x8000, v32
	; wave barrier
	s_wait_alu 0xfffd
	v_cndmask_b32_e32 v16, 0x7fff, v32, vcc_lo
	s_delay_alu instid0(VALU_DEP_1) | instskip(NEXT) | instid1(VALU_DEP_1)
	v_and_b32_e32 v16, 0xffff, v16
	v_and_b32_e32 v16, s1, v16
	s_delay_alu instid0(VALU_DEP_1)
	v_and_b32_e32 v17, 1, v16
	v_lshlrev_b32_e32 v18, 30, v16
	v_lshlrev_b32_e32 v19, 29, v16
	;; [unrolled: 1-line block ×4, first 2 shown]
	v_add_co_u32 v17, s0, v17, -1
	s_wait_alu 0xf1ff
	v_cndmask_b32_e64 v21, 0, 1, s0
	v_not_b32_e32 v35, v18
	v_cmp_gt_i32_e64 s0, 0, v18
	v_not_b32_e32 v18, v19
	v_lshlrev_b32_e32 v23, 26, v16
	v_cmp_ne_u32_e32 vcc_lo, 0, v21
	v_ashrrev_i32_e32 v35, 31, v35
	v_lshlrev_b32_e32 v34, 25, v16
	v_ashrrev_i32_e32 v18, 31, v18
	v_lshlrev_b32_e32 v21, 24, v16
	s_wait_alu 0xfffd
	v_xor_b32_e32 v17, vcc_lo, v17
	v_cmp_gt_i32_e32 vcc_lo, 0, v19
	v_not_b32_e32 v19, v20
	s_wait_alu 0xf1ff
	v_xor_b32_e32 v35, s0, v35
	v_cmp_gt_i32_e64 s0, 0, v20
	v_and_b32_e32 v17, exec_lo, v17
	v_not_b32_e32 v20, v22
	v_ashrrev_i32_e32 v19, 31, v19
	s_wait_alu 0xfffd
	v_xor_b32_e32 v18, vcc_lo, v18
	v_cmp_gt_i32_e32 vcc_lo, 0, v22
	v_and_b32_e32 v17, v17, v35
	v_not_b32_e32 v22, v23
	v_ashrrev_i32_e32 v20, 31, v20
	s_wait_alu 0xf1ff
	v_xor_b32_e32 v19, s0, v19
	v_cmp_gt_i32_e64 s0, 0, v23
	v_and_b32_e32 v17, v17, v18
	v_not_b32_e32 v18, v34
	v_ashrrev_i32_e32 v22, 31, v22
	s_wait_alu 0xfffd
	v_xor_b32_e32 v20, vcc_lo, v20
	v_cmp_gt_i32_e32 vcc_lo, 0, v34
	v_and_b32_e32 v17, v17, v19
	v_not_b32_e32 v19, v21
	v_ashrrev_i32_e32 v18, 31, v18
	s_wait_alu 0xf1ff
	v_xor_b32_e32 v22, s0, v22
	v_lshlrev_b32_e32 v16, 6, v16
	v_and_b32_e32 v17, v17, v20
	v_cmp_gt_i32_e64 s0, 0, v21
	v_ashrrev_i32_e32 v19, 31, v19
	s_wait_alu 0xfffd
	v_xor_b32_e32 v18, vcc_lo, v18
	v_add_nc_u32_e32 v81, v24, v16
	v_and_b32_e32 v17, v17, v22
	s_wait_alu 0xf1ff
	v_xor_b32_e32 v16, s0, v19
	ds_load_b32 v79, v81 offset:64
	v_and_b32_e32 v17, v17, v18
	; wave barrier
	s_delay_alu instid0(VALU_DEP_1) | instskip(NEXT) | instid1(VALU_DEP_1)
	v_and_b32_e32 v16, v17, v16
	v_mbcnt_lo_u32_b32 v80, v16, 0
	v_cmp_ne_u32_e64 s0, 0, v16
	s_delay_alu instid0(VALU_DEP_2)
	v_cmp_eq_u32_e32 vcc_lo, 0, v80
	s_and_b32 s10, s0, vcc_lo
	s_wait_alu 0xfffe
	s_and_saveexec_b32 s0, s10
	s_cbranch_execz .LBB235_111
; %bb.110:
	s_wait_dscnt 0x0
	v_bcnt_u32_b32 v16, v16, v79
	ds_store_b32 v81, v16 offset:64
.LBB235_111:
	s_wait_alu 0xfffe
	s_or_b32 exec_lo, exec_lo, s0
	v_cmp_ne_u16_e32 vcc_lo, 0x8000, v33
	; wave barrier
	s_wait_alu 0xfffd
	v_cndmask_b32_e32 v16, 0x7fff, v33, vcc_lo
	s_delay_alu instid0(VALU_DEP_1) | instskip(NEXT) | instid1(VALU_DEP_1)
	v_and_b32_e32 v16, 0xffff, v16
	v_and_b32_e32 v16, s1, v16
	s_delay_alu instid0(VALU_DEP_1)
	v_and_b32_e32 v17, 1, v16
	v_lshlrev_b32_e32 v18, 30, v16
	v_lshlrev_b32_e32 v19, 29, v16
	;; [unrolled: 1-line block ×4, first 2 shown]
	v_add_co_u32 v17, s0, v17, -1
	s_wait_alu 0xf1ff
	v_cndmask_b32_e64 v21, 0, 1, s0
	v_not_b32_e32 v35, v18
	v_cmp_gt_i32_e64 s0, 0, v18
	v_not_b32_e32 v18, v19
	v_lshlrev_b32_e32 v23, 26, v16
	v_cmp_ne_u32_e32 vcc_lo, 0, v21
	v_ashrrev_i32_e32 v35, 31, v35
	v_lshlrev_b32_e32 v34, 25, v16
	v_ashrrev_i32_e32 v18, 31, v18
	v_lshlrev_b32_e32 v21, 24, v16
	s_wait_alu 0xfffd
	v_xor_b32_e32 v17, vcc_lo, v17
	v_cmp_gt_i32_e32 vcc_lo, 0, v19
	v_not_b32_e32 v19, v20
	s_wait_alu 0xf1ff
	v_xor_b32_e32 v35, s0, v35
	v_cmp_gt_i32_e64 s0, 0, v20
	v_and_b32_e32 v17, exec_lo, v17
	v_not_b32_e32 v20, v22
	v_ashrrev_i32_e32 v19, 31, v19
	s_wait_alu 0xfffd
	v_xor_b32_e32 v18, vcc_lo, v18
	v_cmp_gt_i32_e32 vcc_lo, 0, v22
	v_and_b32_e32 v17, v17, v35
	v_not_b32_e32 v22, v23
	v_ashrrev_i32_e32 v20, 31, v20
	s_wait_alu 0xf1ff
	v_xor_b32_e32 v19, s0, v19
	v_cmp_gt_i32_e64 s0, 0, v23
	v_and_b32_e32 v17, v17, v18
	v_not_b32_e32 v18, v34
	v_ashrrev_i32_e32 v22, 31, v22
	s_wait_alu 0xfffd
	v_xor_b32_e32 v20, vcc_lo, v20
	v_cmp_gt_i32_e32 vcc_lo, 0, v34
	v_and_b32_e32 v17, v17, v19
	v_not_b32_e32 v19, v21
	v_ashrrev_i32_e32 v18, 31, v18
	s_wait_alu 0xf1ff
	v_xor_b32_e32 v22, s0, v22
	v_lshlrev_b32_e32 v16, 6, v16
	v_and_b32_e32 v17, v17, v20
	v_cmp_gt_i32_e64 s0, 0, v21
	v_ashrrev_i32_e32 v19, 31, v19
	s_wait_alu 0xfffd
	v_xor_b32_e32 v18, vcc_lo, v18
	v_add_nc_u32_e32 v84, v24, v16
	v_and_b32_e32 v17, v17, v22
	v_min_u32_e32 v34, 0x1e0, v68
	s_wait_alu 0xf1ff
	v_xor_b32_e32 v16, s0, v19
	ds_load_b32 v82, v84 offset:64
	v_and_b32_e32 v17, v17, v18
	; wave barrier
	s_delay_alu instid0(VALU_DEP_1) | instskip(NEXT) | instid1(VALU_DEP_1)
	v_and_b32_e32 v16, v17, v16
	v_mbcnt_lo_u32_b32 v83, v16, 0
	v_cmp_ne_u32_e64 s0, 0, v16
	s_delay_alu instid0(VALU_DEP_2)
	v_cmp_eq_u32_e32 vcc_lo, 0, v83
	s_and_b32 s1, s0, vcc_lo
	s_wait_alu 0xfffe
	s_and_saveexec_b32 s0, s1
	s_cbranch_execz .LBB235_113
; %bb.112:
	s_wait_dscnt 0x0
	v_bcnt_u32_b32 v16, v16, v82
	ds_store_b32 v84, v16 offset:64
.LBB235_113:
	s_wait_alu 0xfffe
	s_or_b32 exec_lo, exec_lo, s0
	; wave barrier
	s_wait_loadcnt_dscnt 0x0
	s_barrier_signal -1
	s_barrier_wait -1
	global_inv scope:SCOPE_SE
	ds_load_b128 v[20:23], v65 offset:64
	ds_load_b128 v[16:19], v65 offset:80
	v_and_b32_e32 v68, 16, v67
	v_or_b32_e32 v34, 31, v34
	s_delay_alu instid0(VALU_DEP_2) | instskip(NEXT) | instid1(VALU_DEP_2)
	v_cmp_eq_u32_e64 s15, 0, v68
	v_cmp_eq_u32_e64 s13, v41, v34
	s_wait_dscnt 0x1
	v_add_nc_u32_e32 v35, v21, v20
	s_delay_alu instid0(VALU_DEP_1) | instskip(SKIP_1) | instid1(VALU_DEP_1)
	v_add3_u32 v35, v35, v22, v23
	s_wait_dscnt 0x0
	v_add3_u32 v35, v35, v16, v17
	s_delay_alu instid0(VALU_DEP_1) | instskip(SKIP_1) | instid1(VALU_DEP_2)
	v_add3_u32 v19, v35, v18, v19
	v_and_b32_e32 v35, 15, v67
	v_mov_b32_dpp v37, v19 row_shr:1 row_mask:0xf bank_mask:0xf
	s_delay_alu instid0(VALU_DEP_2)
	v_cmp_eq_u32_e32 vcc_lo, 0, v35
	v_cmp_lt_u32_e64 s0, 1, v35
	v_cmp_lt_u32_e64 s1, 3, v35
	;; [unrolled: 1-line block ×3, first 2 shown]
	s_wait_alu 0xfffd
	v_cndmask_b32_e64 v37, v37, 0, vcc_lo
	s_delay_alu instid0(VALU_DEP_1) | instskip(NEXT) | instid1(VALU_DEP_1)
	v_add_nc_u32_e32 v19, v37, v19
	v_mov_b32_dpp v37, v19 row_shr:2 row_mask:0xf bank_mask:0xf
	s_wait_alu 0xf1ff
	s_delay_alu instid0(VALU_DEP_1) | instskip(NEXT) | instid1(VALU_DEP_1)
	v_cndmask_b32_e64 v37, 0, v37, s0
	v_add_nc_u32_e32 v19, v19, v37
	s_delay_alu instid0(VALU_DEP_1) | instskip(NEXT) | instid1(VALU_DEP_1)
	v_mov_b32_dpp v37, v19 row_shr:4 row_mask:0xf bank_mask:0xf
	v_cndmask_b32_e64 v37, 0, v37, s1
	s_delay_alu instid0(VALU_DEP_1) | instskip(NEXT) | instid1(VALU_DEP_1)
	v_add_nc_u32_e32 v19, v19, v37
	v_mov_b32_dpp v37, v19 row_shr:8 row_mask:0xf bank_mask:0xf
	s_delay_alu instid0(VALU_DEP_1) | instskip(NEXT) | instid1(VALU_DEP_1)
	v_cndmask_b32_e64 v35, 0, v37, s10
	v_add_nc_u32_e32 v37, v19, v35
	v_bfe_i32 v35, v67, 4, 1
	ds_swizzle_b32 v19, v37 offset:swizzle(BROADCAST,32,15)
	s_wait_dscnt 0x0
	v_and_b32_e32 v85, v35, v19
	v_mul_i32_i24_e32 v19, 0xffffffe4, v41
	v_lshlrev_b32_e32 v35, 2, v66
	s_delay_alu instid0(VALU_DEP_3)
	v_add_nc_u32_e32 v37, v37, v85
	s_and_saveexec_b32 s11, s13
; %bb.114:
	ds_store_b32 v35, v37
; %bb.115:
	s_wait_alu 0xfffe
	s_or_b32 exec_lo, exec_lo, s11
	v_cmp_gt_u32_e64 s12, 16, v41
	v_add_nc_u32_e32 v34, v65, v19
	s_wait_loadcnt_dscnt 0x0
	s_barrier_signal -1
	s_barrier_wait -1
	global_inv scope:SCOPE_SE
	s_and_saveexec_b32 s11, s12
	s_cbranch_execz .LBB235_117
; %bb.116:
	ds_load_b32 v19, v34
	s_wait_dscnt 0x0
	v_mov_b32_dpp v66, v19 row_shr:1 row_mask:0xf bank_mask:0xf
	s_delay_alu instid0(VALU_DEP_1) | instskip(NEXT) | instid1(VALU_DEP_1)
	v_cndmask_b32_e64 v66, v66, 0, vcc_lo
	v_add_nc_u32_e32 v19, v66, v19
	s_delay_alu instid0(VALU_DEP_1) | instskip(NEXT) | instid1(VALU_DEP_1)
	v_mov_b32_dpp v66, v19 row_shr:2 row_mask:0xf bank_mask:0xf
	v_cndmask_b32_e64 v66, 0, v66, s0
	s_delay_alu instid0(VALU_DEP_1) | instskip(NEXT) | instid1(VALU_DEP_1)
	v_add_nc_u32_e32 v19, v19, v66
	v_mov_b32_dpp v66, v19 row_shr:4 row_mask:0xf bank_mask:0xf
	s_delay_alu instid0(VALU_DEP_1) | instskip(NEXT) | instid1(VALU_DEP_1)
	v_cndmask_b32_e64 v66, 0, v66, s1
	v_add_nc_u32_e32 v19, v19, v66
	s_delay_alu instid0(VALU_DEP_1) | instskip(NEXT) | instid1(VALU_DEP_1)
	v_mov_b32_dpp v66, v19 row_shr:8 row_mask:0xf bank_mask:0xf
	v_cndmask_b32_e64 v66, 0, v66, s10
	s_delay_alu instid0(VALU_DEP_1)
	v_add_nc_u32_e32 v19, v19, v66
	ds_store_b32 v34, v19
.LBB235_117:
	s_wait_alu 0xfffe
	s_or_b32 exec_lo, exec_lo, s11
	v_mul_u32_u24_e32 v19, 6, v36
	v_sub_co_u32 v66, s11, v67, 1
	v_cmp_lt_u32_e64 s14, 31, v41
	v_add_nc_u32_e32 v36, -4, v35
	v_mov_b32_e32 v68, 0
	s_wait_loadcnt_dscnt 0x0
	s_barrier_signal -1
	s_barrier_wait -1
	global_inv scope:SCOPE_SE
	s_and_saveexec_b32 s16, s14
; %bb.118:
	ds_load_b32 v68, v36
; %bb.119:
	s_wait_alu 0xfffe
	s_or_b32 exec_lo, exec_lo, s16
	v_cmp_gt_i32_e64 s16, 0, v66
	s_mov_b32 s20, 0
	s_min_u32 s17, s17, 8
	s_wait_alu 0xfffe
	s_mov_b32 s21, s20
	s_mov_b32 s22, s20
	v_cndmask_b32_e64 v66, v66, v67, s16
	s_mov_b32 s23, s20
	s_wait_dscnt 0x0
	v_add_nc_u32_e32 v67, v68, v37
	v_cmp_eq_u32_e64 s16, 0, v41
	s_lshl_b32 s17, -1, s17
	v_lshlrev_b32_e32 v37, 2, v66
	s_wait_alu 0xfffe
	s_not_b32 s19, s17
	ds_bpermute_b32 v66, v37, v67
	s_wait_dscnt 0x0
	v_cndmask_b32_e64 v66, v66, v68, s11
	s_delay_alu instid0(VALU_DEP_1) | instskip(NEXT) | instid1(VALU_DEP_1)
	v_cndmask_b32_e64 v85, v66, 0, s16
	v_add_nc_u32_e32 v86, v85, v20
	s_delay_alu instid0(VALU_DEP_1) | instskip(NEXT) | instid1(VALU_DEP_1)
	v_add_nc_u32_e32 v87, v86, v21
	v_add_nc_u32_e32 v88, v87, v22
	s_delay_alu instid0(VALU_DEP_1) | instskip(NEXT) | instid1(VALU_DEP_1)
	v_add_nc_u32_e32 v20, v88, v23
	;; [unrolled: 3-line block ×3, first 2 shown]
	v_add_nc_u32_e32 v23, v22, v18
	ds_store_b128 v65, v[85:88] offset:64
	ds_store_b128 v65, v[20:23] offset:80
	s_wait_loadcnt_dscnt 0x0
	s_barrier_signal -1
	s_barrier_wait -1
	global_inv scope:SCOPE_SE
	ds_load_b32 v16, v39 offset:64
	ds_load_b32 v17, v43 offset:64
	ds_load_b32 v18, v69 offset:64
	ds_load_b32 v20, v72 offset:64
	ds_load_b32 v21, v75 offset:64
	ds_load_b32 v22, v78 offset:64
	ds_load_b32 v23, v81 offset:64
	ds_load_b32 v39, v84 offset:64
	v_add_nc_u32_e32 v43, v25, v19
	s_wait_loadcnt_dscnt 0x0
	s_barrier_signal -1
	s_barrier_wait -1
	global_inv scope:SCOPE_SE
	v_add_nc_u32_e32 v38, v16, v38
	v_add3_u32 v40, v42, v40, v17
	v_add3_u32 v42, v45, v44, v18
	;; [unrolled: 1-line block ×7, first 2 shown]
	v_lshlrev_b32_e32 v16, 1, v38
	v_lshlrev_b32_e32 v17, 1, v40
	;; [unrolled: 1-line block ×8, first 2 shown]
	ds_store_b16 v16, v26
	ds_store_b16 v17, v27
	;; [unrolled: 1-line block ×8, first 2 shown]
	s_wait_loadcnt_dscnt 0x0
	s_barrier_signal -1
	s_barrier_wait -1
	global_inv scope:SCOPE_SE
	ds_load_u16 v26, v25
	ds_load_u16 v27, v25 offset:64
	ds_load_u16 v28, v25 offset:128
	;; [unrolled: 1-line block ×7, first 2 shown]
	v_mad_co_u64_u32 v[38:39], null, v38, 6, v[16:17]
	v_mad_co_u64_u32 v[16:17], null, v40, 6, v[17:18]
	;; [unrolled: 1-line block ×3, first 2 shown]
	s_wait_loadcnt_dscnt 0x0
	s_barrier_signal -1
	s_barrier_wait -1
	global_inv scope:SCOPE_SE
	v_mad_co_u64_u32 v[18:19], null, v44, 6, v[19:20]
	v_lshrrev_b16 v33, 8, v26
	v_cmp_ne_u16_e64 s17, 0x8000, v26
	ds_store_b64 v38, v[8:9]
	v_mad_co_u64_u32 v[19:20], null, v45, 6, v[20:21]
	v_mad_co_u64_u32 v[20:21], null, v66, 6, v[21:22]
	s_wait_alu 0xf1ff
	v_cndmask_b32_e64 v33, 0x7f, v33, s17
	v_mad_co_u64_u32 v[21:22], null, v67, 6, v[22:23]
	v_mad_co_u64_u32 v[22:23], null, v68, 6, v[23:24]
	s_delay_alu instid0(VALU_DEP_3)
	v_and_b32_e32 v8, 0xffff, v33
	ds_store_b64 v16, v[10:11]
	ds_store_b64 v17, v[0:1]
	;; [unrolled: 1-line block ×7, first 2 shown]
	s_wait_alu 0xfffe
	v_and_b32_e32 v23, s19, v8
	s_wait_loadcnt_dscnt 0x0
	s_barrier_signal -1
	s_barrier_wait -1
	global_inv scope:SCOPE_SE
	v_and_b32_e32 v0, 1, v23
	v_lshlrev_b32_e32 v1, 30, v23
	v_lshlrev_b32_e32 v2, 29, v23
	;; [unrolled: 1-line block ×4, first 2 shown]
	v_add_co_u32 v0, s17, v0, -1
	s_wait_alu 0xf1ff
	v_cndmask_b32_e64 v4, 0, 1, s17
	v_not_b32_e32 v8, v1
	v_cmp_gt_i32_e64 s18, 0, v1
	v_not_b32_e32 v1, v2
	v_lshlrev_b32_e32 v6, 26, v23
	v_cmp_ne_u32_e64 s17, 0, v4
	v_ashrrev_i32_e32 v8, 31, v8
	v_lshlrev_b32_e32 v7, 25, v23
	v_ashrrev_i32_e32 v1, 31, v1
	v_lshlrev_b32_e32 v4, 24, v23
	s_wait_alu 0xf1ff
	v_xor_b32_e32 v0, s17, v0
	v_cmp_gt_i32_e64 s17, 0, v2
	v_not_b32_e32 v2, v3
	v_xor_b32_e32 v8, s18, v8
	v_cmp_gt_i32_e64 s18, 0, v3
	v_and_b32_e32 v0, exec_lo, v0
	v_not_b32_e32 v3, v5
	v_ashrrev_i32_e32 v2, 31, v2
	s_wait_alu 0xf1ff
	v_xor_b32_e32 v1, s17, v1
	v_cmp_gt_i32_e64 s17, 0, v5
	v_and_b32_e32 v0, v0, v8
	v_not_b32_e32 v5, v6
	v_ashrrev_i32_e32 v3, 31, v3
	v_xor_b32_e32 v2, s18, v2
	v_cmp_gt_i32_e64 s18, 0, v6
	v_and_b32_e32 v0, v0, v1
	v_not_b32_e32 v1, v7
	v_ashrrev_i32_e32 v5, 31, v5
	s_wait_alu 0xf1ff
	v_xor_b32_e32 v3, s17, v3
	v_cmp_gt_i32_e64 s17, 0, v7
	v_and_b32_e32 v0, v0, v2
	v_not_b32_e32 v2, v4
	v_ashrrev_i32_e32 v1, 31, v1
	v_xor_b32_e32 v5, s18, v5
	v_cmp_gt_i32_e64 s18, 0, v4
	v_and_b32_e32 v0, v0, v3
	v_ashrrev_i32_e32 v2, 31, v2
	s_wait_alu 0xf1ff
	v_xor_b32_e32 v1, s17, v1
	v_dual_mov_b32 v17, s20 :: v_dual_mov_b32 v18, s21
	v_and_b32_e32 v0, v0, v5
	v_xor_b32_e32 v16, s18, v2
	ds_load_2addr_b64 v[4:7], v43 offset1:32
	v_dual_mov_b32 v19, s22 :: v_dual_mov_b32 v20, s23
	v_and_b32_e32 v21, v0, v1
	ds_load_2addr_b64 v[12:15], v43 offset0:64 offset1:96
	ds_load_2addr_b64 v[8:11], v43 offset0:128 offset1:160
	;; [unrolled: 1-line block ×3, first 2 shown]
	v_lshl_add_u32 v38, v23, 6, v24
	s_wait_loadcnt_dscnt 0x0
	s_barrier_signal -1
	v_and_b32_e32 v16, v21, v16
	s_barrier_wait -1
	global_inv scope:SCOPE_SE
	ds_store_b128 v65, v[17:20] offset:64
	ds_store_b128 v65, v[17:20] offset:80
	s_wait_loadcnt_dscnt 0x0
	v_mbcnt_lo_u32_b32 v33, v16, 0
	v_cmp_ne_u32_e64 s18, 0, v16
	s_barrier_signal -1
	s_barrier_wait -1
	global_inv scope:SCOPE_SE
	v_cmp_eq_u32_e64 s17, 0, v33
	; wave barrier
	s_and_b32 s18, s18, s17
	s_wait_alu 0xfffe
	s_and_saveexec_b32 s17, s18
; %bb.120:
	v_bcnt_u32_b32 v16, v16, 0
	ds_store_b32 v38, v16 offset:64
; %bb.121:
	s_wait_alu 0xfffe
	s_or_b32 exec_lo, exec_lo, s17
	v_lshrrev_b16 v16, 8, v27
	v_cmp_ne_u16_e64 s17, 0x8000, v27
	; wave barrier
	s_wait_alu 0xf1ff
	s_delay_alu instid0(VALU_DEP_1) | instskip(NEXT) | instid1(VALU_DEP_1)
	v_cndmask_b32_e64 v16, 0x7f, v16, s17
	v_and_b32_e32 v16, s19, v16
	s_delay_alu instid0(VALU_DEP_1)
	v_and_b32_e32 v17, 1, v16
	v_lshlrev_b32_e32 v18, 30, v16
	v_lshlrev_b32_e32 v19, 29, v16
	;; [unrolled: 1-line block ×4, first 2 shown]
	v_add_co_u32 v17, s17, v17, -1
	s_wait_alu 0xf1ff
	v_cndmask_b32_e64 v21, 0, 1, s17
	v_not_b32_e32 v40, v18
	v_cmp_gt_i32_e64 s18, 0, v18
	v_not_b32_e32 v18, v19
	v_lshlrev_b32_e32 v23, 26, v16
	v_cmp_ne_u32_e64 s17, 0, v21
	v_ashrrev_i32_e32 v40, 31, v40
	v_lshlrev_b32_e32 v39, 25, v16
	v_ashrrev_i32_e32 v18, 31, v18
	v_lshlrev_b32_e32 v21, 24, v16
	s_wait_alu 0xf1ff
	v_xor_b32_e32 v17, s17, v17
	v_cmp_gt_i32_e64 s17, 0, v19
	v_not_b32_e32 v19, v20
	v_xor_b32_e32 v40, s18, v40
	v_cmp_gt_i32_e64 s18, 0, v20
	v_and_b32_e32 v17, exec_lo, v17
	v_not_b32_e32 v20, v22
	v_ashrrev_i32_e32 v19, 31, v19
	s_wait_alu 0xf1ff
	v_xor_b32_e32 v18, s17, v18
	v_cmp_gt_i32_e64 s17, 0, v22
	v_and_b32_e32 v17, v17, v40
	v_not_b32_e32 v22, v23
	v_ashrrev_i32_e32 v20, 31, v20
	v_xor_b32_e32 v19, s18, v19
	v_cmp_gt_i32_e64 s18, 0, v23
	v_and_b32_e32 v17, v17, v18
	v_not_b32_e32 v18, v39
	v_ashrrev_i32_e32 v22, 31, v22
	s_wait_alu 0xf1ff
	v_xor_b32_e32 v20, s17, v20
	v_cmp_gt_i32_e64 s17, 0, v39
	v_and_b32_e32 v17, v17, v19
	v_not_b32_e32 v19, v21
	v_ashrrev_i32_e32 v18, 31, v18
	v_xor_b32_e32 v22, s18, v22
	v_cmp_gt_i32_e64 s18, 0, v21
	v_and_b32_e32 v17, v17, v20
	v_ashrrev_i32_e32 v19, 31, v19
	s_wait_alu 0xf1ff
	v_xor_b32_e32 v18, s17, v18
	v_lshl_add_u32 v42, v16, 6, v24
	v_and_b32_e32 v17, v17, v22
	v_xor_b32_e32 v16, s18, v19
	ds_load_b32 v39, v42 offset:64
	v_and_b32_e32 v17, v17, v18
	; wave barrier
	s_delay_alu instid0(VALU_DEP_1) | instskip(NEXT) | instid1(VALU_DEP_1)
	v_and_b32_e32 v16, v17, v16
	v_mbcnt_lo_u32_b32 v40, v16, 0
	v_cmp_ne_u32_e64 s18, 0, v16
	s_delay_alu instid0(VALU_DEP_2)
	v_cmp_eq_u32_e64 s17, 0, v40
	s_and_b32 s18, s18, s17
	s_wait_alu 0xfffe
	s_and_saveexec_b32 s17, s18
	s_cbranch_execz .LBB235_123
; %bb.122:
	s_wait_dscnt 0x0
	v_bcnt_u32_b32 v16, v16, v39
	ds_store_b32 v42, v16 offset:64
.LBB235_123:
	s_wait_alu 0xfffe
	s_or_b32 exec_lo, exec_lo, s17
	v_lshrrev_b16 v16, 8, v28
	v_cmp_ne_u16_e64 s17, 0x8000, v28
	; wave barrier
	s_wait_alu 0xf1ff
	s_delay_alu instid0(VALU_DEP_1) | instskip(NEXT) | instid1(VALU_DEP_1)
	v_cndmask_b32_e64 v16, 0x7f, v16, s17
	v_and_b32_e32 v16, s19, v16
	s_delay_alu instid0(VALU_DEP_1)
	v_and_b32_e32 v17, 1, v16
	v_lshlrev_b32_e32 v18, 30, v16
	v_lshlrev_b32_e32 v19, 29, v16
	;; [unrolled: 1-line block ×4, first 2 shown]
	v_add_co_u32 v17, s17, v17, -1
	s_wait_alu 0xf1ff
	v_cndmask_b32_e64 v21, 0, 1, s17
	v_not_b32_e32 v44, v18
	v_cmp_gt_i32_e64 s18, 0, v18
	v_not_b32_e32 v18, v19
	v_lshlrev_b32_e32 v23, 26, v16
	v_cmp_ne_u32_e64 s17, 0, v21
	v_ashrrev_i32_e32 v44, 31, v44
	v_lshlrev_b32_e32 v43, 25, v16
	v_ashrrev_i32_e32 v18, 31, v18
	v_lshlrev_b32_e32 v21, 24, v16
	s_wait_alu 0xf1ff
	v_xor_b32_e32 v17, s17, v17
	v_cmp_gt_i32_e64 s17, 0, v19
	v_not_b32_e32 v19, v20
	v_xor_b32_e32 v44, s18, v44
	v_cmp_gt_i32_e64 s18, 0, v20
	v_and_b32_e32 v17, exec_lo, v17
	v_not_b32_e32 v20, v22
	v_ashrrev_i32_e32 v19, 31, v19
	s_wait_alu 0xf1ff
	v_xor_b32_e32 v18, s17, v18
	v_cmp_gt_i32_e64 s17, 0, v22
	v_and_b32_e32 v17, v17, v44
	v_not_b32_e32 v22, v23
	v_ashrrev_i32_e32 v20, 31, v20
	v_xor_b32_e32 v19, s18, v19
	v_cmp_gt_i32_e64 s18, 0, v23
	v_and_b32_e32 v17, v17, v18
	v_not_b32_e32 v18, v43
	v_ashrrev_i32_e32 v22, 31, v22
	s_wait_alu 0xf1ff
	v_xor_b32_e32 v20, s17, v20
	v_cmp_gt_i32_e64 s17, 0, v43
	v_and_b32_e32 v17, v17, v19
	v_not_b32_e32 v19, v21
	v_ashrrev_i32_e32 v18, 31, v18
	v_xor_b32_e32 v22, s18, v22
	v_cmp_gt_i32_e64 s18, 0, v21
	v_and_b32_e32 v17, v17, v20
	v_ashrrev_i32_e32 v19, 31, v19
	s_wait_alu 0xf1ff
	v_xor_b32_e32 v18, s17, v18
	v_lshl_add_u32 v45, v16, 6, v24
	v_and_b32_e32 v17, v17, v22
	v_xor_b32_e32 v16, s18, v19
	ds_load_b32 v43, v45 offset:64
	v_and_b32_e32 v17, v17, v18
	; wave barrier
	s_delay_alu instid0(VALU_DEP_1) | instskip(NEXT) | instid1(VALU_DEP_1)
	v_and_b32_e32 v16, v17, v16
	v_mbcnt_lo_u32_b32 v44, v16, 0
	v_cmp_ne_u32_e64 s18, 0, v16
	s_delay_alu instid0(VALU_DEP_2)
	v_cmp_eq_u32_e64 s17, 0, v44
	s_and_b32 s18, s18, s17
	s_wait_alu 0xfffe
	s_and_saveexec_b32 s17, s18
	s_cbranch_execz .LBB235_125
; %bb.124:
	s_wait_dscnt 0x0
	v_bcnt_u32_b32 v16, v16, v43
	ds_store_b32 v45, v16 offset:64
.LBB235_125:
	s_wait_alu 0xfffe
	s_or_b32 exec_lo, exec_lo, s17
	v_lshrrev_b16 v16, 8, v29
	v_cmp_ne_u16_e64 s17, 0x8000, v29
	; wave barrier
	s_wait_alu 0xf1ff
	s_delay_alu instid0(VALU_DEP_1) | instskip(NEXT) | instid1(VALU_DEP_1)
	v_cndmask_b32_e64 v16, 0x7f, v16, s17
	v_and_b32_e32 v16, s19, v16
	s_delay_alu instid0(VALU_DEP_1)
	v_and_b32_e32 v17, 1, v16
	v_lshlrev_b32_e32 v18, 30, v16
	v_lshlrev_b32_e32 v19, 29, v16
	;; [unrolled: 1-line block ×4, first 2 shown]
	v_add_co_u32 v17, s17, v17, -1
	s_wait_alu 0xf1ff
	v_cndmask_b32_e64 v21, 0, 1, s17
	v_not_b32_e32 v67, v18
	v_cmp_gt_i32_e64 s18, 0, v18
	v_not_b32_e32 v18, v19
	v_lshlrev_b32_e32 v23, 26, v16
	v_cmp_ne_u32_e64 s17, 0, v21
	v_ashrrev_i32_e32 v67, 31, v67
	v_lshlrev_b32_e32 v66, 25, v16
	v_ashrrev_i32_e32 v18, 31, v18
	v_lshlrev_b32_e32 v21, 24, v16
	s_wait_alu 0xf1ff
	v_xor_b32_e32 v17, s17, v17
	v_cmp_gt_i32_e64 s17, 0, v19
	v_not_b32_e32 v19, v20
	v_xor_b32_e32 v67, s18, v67
	v_cmp_gt_i32_e64 s18, 0, v20
	v_and_b32_e32 v17, exec_lo, v17
	v_not_b32_e32 v20, v22
	v_ashrrev_i32_e32 v19, 31, v19
	s_wait_alu 0xf1ff
	v_xor_b32_e32 v18, s17, v18
	v_cmp_gt_i32_e64 s17, 0, v22
	v_and_b32_e32 v17, v17, v67
	v_not_b32_e32 v22, v23
	v_ashrrev_i32_e32 v20, 31, v20
	v_xor_b32_e32 v19, s18, v19
	v_cmp_gt_i32_e64 s18, 0, v23
	v_and_b32_e32 v17, v17, v18
	v_not_b32_e32 v18, v66
	v_ashrrev_i32_e32 v22, 31, v22
	s_wait_alu 0xf1ff
	v_xor_b32_e32 v20, s17, v20
	v_cmp_gt_i32_e64 s17, 0, v66
	v_and_b32_e32 v17, v17, v19
	v_not_b32_e32 v19, v21
	v_ashrrev_i32_e32 v18, 31, v18
	v_xor_b32_e32 v22, s18, v22
	v_cmp_gt_i32_e64 s18, 0, v21
	v_and_b32_e32 v17, v17, v20
	v_ashrrev_i32_e32 v19, 31, v19
	s_wait_alu 0xf1ff
	v_xor_b32_e32 v18, s17, v18
	v_lshl_add_u32 v68, v16, 6, v24
	v_and_b32_e32 v17, v17, v22
	v_xor_b32_e32 v16, s18, v19
	ds_load_b32 v66, v68 offset:64
	v_and_b32_e32 v17, v17, v18
	; wave barrier
	s_delay_alu instid0(VALU_DEP_1) | instskip(NEXT) | instid1(VALU_DEP_1)
	v_and_b32_e32 v16, v17, v16
	v_mbcnt_lo_u32_b32 v67, v16, 0
	v_cmp_ne_u32_e64 s18, 0, v16
	s_delay_alu instid0(VALU_DEP_2)
	v_cmp_eq_u32_e64 s17, 0, v67
	s_and_b32 s18, s18, s17
	s_wait_alu 0xfffe
	s_and_saveexec_b32 s17, s18
	s_cbranch_execz .LBB235_127
; %bb.126:
	s_wait_dscnt 0x0
	v_bcnt_u32_b32 v16, v16, v66
	ds_store_b32 v68, v16 offset:64
.LBB235_127:
	s_wait_alu 0xfffe
	s_or_b32 exec_lo, exec_lo, s17
	v_lshrrev_b16 v16, 8, v30
	v_cmp_ne_u16_e64 s17, 0x8000, v30
	; wave barrier
	s_wait_alu 0xf1ff
	s_delay_alu instid0(VALU_DEP_1) | instskip(NEXT) | instid1(VALU_DEP_1)
	v_cndmask_b32_e64 v16, 0x7f, v16, s17
	v_and_b32_e32 v16, s19, v16
	s_delay_alu instid0(VALU_DEP_1)
	v_and_b32_e32 v17, 1, v16
	v_lshlrev_b32_e32 v18, 30, v16
	v_lshlrev_b32_e32 v19, 29, v16
	;; [unrolled: 1-line block ×4, first 2 shown]
	v_add_co_u32 v17, s17, v17, -1
	s_wait_alu 0xf1ff
	v_cndmask_b32_e64 v21, 0, 1, s17
	v_not_b32_e32 v70, v18
	v_cmp_gt_i32_e64 s18, 0, v18
	v_not_b32_e32 v18, v19
	v_lshlrev_b32_e32 v23, 26, v16
	v_cmp_ne_u32_e64 s17, 0, v21
	v_ashrrev_i32_e32 v70, 31, v70
	v_lshlrev_b32_e32 v69, 25, v16
	v_ashrrev_i32_e32 v18, 31, v18
	v_lshlrev_b32_e32 v21, 24, v16
	s_wait_alu 0xf1ff
	v_xor_b32_e32 v17, s17, v17
	v_cmp_gt_i32_e64 s17, 0, v19
	v_not_b32_e32 v19, v20
	v_xor_b32_e32 v70, s18, v70
	v_cmp_gt_i32_e64 s18, 0, v20
	v_and_b32_e32 v17, exec_lo, v17
	v_not_b32_e32 v20, v22
	v_ashrrev_i32_e32 v19, 31, v19
	s_wait_alu 0xf1ff
	v_xor_b32_e32 v18, s17, v18
	v_cmp_gt_i32_e64 s17, 0, v22
	v_and_b32_e32 v17, v17, v70
	v_not_b32_e32 v22, v23
	v_ashrrev_i32_e32 v20, 31, v20
	v_xor_b32_e32 v19, s18, v19
	v_cmp_gt_i32_e64 s18, 0, v23
	v_and_b32_e32 v17, v17, v18
	v_not_b32_e32 v18, v69
	v_ashrrev_i32_e32 v22, 31, v22
	s_wait_alu 0xf1ff
	v_xor_b32_e32 v20, s17, v20
	v_cmp_gt_i32_e64 s17, 0, v69
	v_and_b32_e32 v17, v17, v19
	v_not_b32_e32 v19, v21
	v_ashrrev_i32_e32 v18, 31, v18
	v_xor_b32_e32 v22, s18, v22
	v_cmp_gt_i32_e64 s18, 0, v21
	v_and_b32_e32 v17, v17, v20
	v_ashrrev_i32_e32 v19, 31, v19
	s_wait_alu 0xf1ff
	v_xor_b32_e32 v18, s17, v18
	v_lshl_add_u32 v71, v16, 6, v24
	v_and_b32_e32 v17, v17, v22
	v_xor_b32_e32 v16, s18, v19
	ds_load_b32 v69, v71 offset:64
	v_and_b32_e32 v17, v17, v18
	; wave barrier
	s_delay_alu instid0(VALU_DEP_1) | instskip(NEXT) | instid1(VALU_DEP_1)
	v_and_b32_e32 v16, v17, v16
	v_mbcnt_lo_u32_b32 v70, v16, 0
	v_cmp_ne_u32_e64 s18, 0, v16
	s_delay_alu instid0(VALU_DEP_2)
	v_cmp_eq_u32_e64 s17, 0, v70
	s_and_b32 s18, s18, s17
	s_wait_alu 0xfffe
	s_and_saveexec_b32 s17, s18
	s_cbranch_execz .LBB235_129
; %bb.128:
	s_wait_dscnt 0x0
	v_bcnt_u32_b32 v16, v16, v69
	ds_store_b32 v71, v16 offset:64
.LBB235_129:
	s_wait_alu 0xfffe
	s_or_b32 exec_lo, exec_lo, s17
	v_lshrrev_b16 v16, 8, v31
	v_cmp_ne_u16_e64 s17, 0x8000, v31
	; wave barrier
	s_wait_alu 0xf1ff
	s_delay_alu instid0(VALU_DEP_1) | instskip(NEXT) | instid1(VALU_DEP_1)
	v_cndmask_b32_e64 v16, 0x7f, v16, s17
	v_and_b32_e32 v16, s19, v16
	s_delay_alu instid0(VALU_DEP_1)
	v_and_b32_e32 v17, 1, v16
	v_lshlrev_b32_e32 v18, 30, v16
	v_lshlrev_b32_e32 v19, 29, v16
	;; [unrolled: 1-line block ×4, first 2 shown]
	v_add_co_u32 v17, s17, v17, -1
	s_wait_alu 0xf1ff
	v_cndmask_b32_e64 v21, 0, 1, s17
	v_not_b32_e32 v73, v18
	v_cmp_gt_i32_e64 s18, 0, v18
	v_not_b32_e32 v18, v19
	v_lshlrev_b32_e32 v23, 26, v16
	v_cmp_ne_u32_e64 s17, 0, v21
	v_ashrrev_i32_e32 v73, 31, v73
	v_lshlrev_b32_e32 v72, 25, v16
	v_ashrrev_i32_e32 v18, 31, v18
	v_lshlrev_b32_e32 v21, 24, v16
	s_wait_alu 0xf1ff
	v_xor_b32_e32 v17, s17, v17
	v_cmp_gt_i32_e64 s17, 0, v19
	v_not_b32_e32 v19, v20
	v_xor_b32_e32 v73, s18, v73
	v_cmp_gt_i32_e64 s18, 0, v20
	v_and_b32_e32 v17, exec_lo, v17
	v_not_b32_e32 v20, v22
	v_ashrrev_i32_e32 v19, 31, v19
	s_wait_alu 0xf1ff
	v_xor_b32_e32 v18, s17, v18
	v_cmp_gt_i32_e64 s17, 0, v22
	v_and_b32_e32 v17, v17, v73
	v_not_b32_e32 v22, v23
	v_ashrrev_i32_e32 v20, 31, v20
	v_xor_b32_e32 v19, s18, v19
	v_cmp_gt_i32_e64 s18, 0, v23
	v_and_b32_e32 v17, v17, v18
	v_not_b32_e32 v18, v72
	v_ashrrev_i32_e32 v22, 31, v22
	s_wait_alu 0xf1ff
	v_xor_b32_e32 v20, s17, v20
	v_cmp_gt_i32_e64 s17, 0, v72
	v_and_b32_e32 v17, v17, v19
	v_not_b32_e32 v19, v21
	v_ashrrev_i32_e32 v18, 31, v18
	v_xor_b32_e32 v22, s18, v22
	v_cmp_gt_i32_e64 s18, 0, v21
	v_and_b32_e32 v17, v17, v20
	v_ashrrev_i32_e32 v19, 31, v19
	s_wait_alu 0xf1ff
	v_xor_b32_e32 v18, s17, v18
	v_lshl_add_u32 v74, v16, 6, v24
	v_and_b32_e32 v17, v17, v22
	v_xor_b32_e32 v16, s18, v19
	ds_load_b32 v72, v74 offset:64
	v_and_b32_e32 v17, v17, v18
	; wave barrier
	s_delay_alu instid0(VALU_DEP_1) | instskip(NEXT) | instid1(VALU_DEP_1)
	v_and_b32_e32 v16, v17, v16
	v_mbcnt_lo_u32_b32 v73, v16, 0
	v_cmp_ne_u32_e64 s18, 0, v16
	s_delay_alu instid0(VALU_DEP_2)
	v_cmp_eq_u32_e64 s17, 0, v73
	s_and_b32 s18, s18, s17
	s_wait_alu 0xfffe
	s_and_saveexec_b32 s17, s18
	s_cbranch_execz .LBB235_131
; %bb.130:
	s_wait_dscnt 0x0
	v_bcnt_u32_b32 v16, v16, v72
	ds_store_b32 v74, v16 offset:64
.LBB235_131:
	s_wait_alu 0xfffe
	s_or_b32 exec_lo, exec_lo, s17
	v_lshrrev_b16 v16, 8, v32
	v_cmp_ne_u16_e64 s17, 0x8000, v32
	; wave barrier
	s_wait_alu 0xf1ff
	s_delay_alu instid0(VALU_DEP_1) | instskip(NEXT) | instid1(VALU_DEP_1)
	v_cndmask_b32_e64 v16, 0x7f, v16, s17
	v_and_b32_e32 v16, s19, v16
	s_delay_alu instid0(VALU_DEP_1)
	v_and_b32_e32 v17, 1, v16
	v_lshlrev_b32_e32 v18, 30, v16
	v_lshlrev_b32_e32 v19, 29, v16
	;; [unrolled: 1-line block ×4, first 2 shown]
	v_add_co_u32 v17, s17, v17, -1
	s_wait_alu 0xf1ff
	v_cndmask_b32_e64 v21, 0, 1, s17
	v_not_b32_e32 v76, v18
	v_cmp_gt_i32_e64 s18, 0, v18
	v_not_b32_e32 v18, v19
	v_lshlrev_b32_e32 v23, 26, v16
	v_cmp_ne_u32_e64 s17, 0, v21
	v_ashrrev_i32_e32 v76, 31, v76
	v_lshlrev_b32_e32 v75, 25, v16
	v_ashrrev_i32_e32 v18, 31, v18
	v_lshlrev_b32_e32 v21, 24, v16
	s_wait_alu 0xf1ff
	v_xor_b32_e32 v17, s17, v17
	v_cmp_gt_i32_e64 s17, 0, v19
	v_not_b32_e32 v19, v20
	v_xor_b32_e32 v76, s18, v76
	v_cmp_gt_i32_e64 s18, 0, v20
	v_and_b32_e32 v17, exec_lo, v17
	v_not_b32_e32 v20, v22
	v_ashrrev_i32_e32 v19, 31, v19
	s_wait_alu 0xf1ff
	v_xor_b32_e32 v18, s17, v18
	v_cmp_gt_i32_e64 s17, 0, v22
	v_and_b32_e32 v17, v17, v76
	v_not_b32_e32 v22, v23
	v_ashrrev_i32_e32 v20, 31, v20
	v_xor_b32_e32 v19, s18, v19
	v_cmp_gt_i32_e64 s18, 0, v23
	v_and_b32_e32 v17, v17, v18
	v_not_b32_e32 v18, v75
	v_ashrrev_i32_e32 v22, 31, v22
	s_wait_alu 0xf1ff
	v_xor_b32_e32 v20, s17, v20
	v_cmp_gt_i32_e64 s17, 0, v75
	v_and_b32_e32 v17, v17, v19
	v_not_b32_e32 v19, v21
	v_ashrrev_i32_e32 v18, 31, v18
	v_xor_b32_e32 v22, s18, v22
	v_cmp_gt_i32_e64 s18, 0, v21
	v_and_b32_e32 v17, v17, v20
	v_ashrrev_i32_e32 v19, 31, v19
	s_wait_alu 0xf1ff
	v_xor_b32_e32 v18, s17, v18
	v_lshl_add_u32 v77, v16, 6, v24
	v_and_b32_e32 v17, v17, v22
	v_xor_b32_e32 v16, s18, v19
	ds_load_b32 v75, v77 offset:64
	v_and_b32_e32 v17, v17, v18
	; wave barrier
	s_delay_alu instid0(VALU_DEP_1) | instskip(NEXT) | instid1(VALU_DEP_1)
	v_and_b32_e32 v16, v17, v16
	v_mbcnt_lo_u32_b32 v76, v16, 0
	v_cmp_ne_u32_e64 s18, 0, v16
	s_delay_alu instid0(VALU_DEP_2)
	v_cmp_eq_u32_e64 s17, 0, v76
	s_and_b32 s18, s18, s17
	s_wait_alu 0xfffe
	s_and_saveexec_b32 s17, s18
	s_cbranch_execz .LBB235_133
; %bb.132:
	s_wait_dscnt 0x0
	v_bcnt_u32_b32 v16, v16, v75
	ds_store_b32 v77, v16 offset:64
.LBB235_133:
	s_wait_alu 0xfffe
	s_or_b32 exec_lo, exec_lo, s17
	v_lshrrev_b16 v16, 8, v25
	v_cmp_ne_u16_e64 s17, 0x8000, v25
	; wave barrier
	s_wait_alu 0xf1ff
	s_delay_alu instid0(VALU_DEP_1) | instskip(NEXT) | instid1(VALU_DEP_1)
	v_cndmask_b32_e64 v16, 0x7f, v16, s17
	v_and_b32_e32 v16, s19, v16
	s_delay_alu instid0(VALU_DEP_1)
	v_and_b32_e32 v17, 1, v16
	v_lshlrev_b32_e32 v18, 30, v16
	v_lshlrev_b32_e32 v19, 29, v16
	;; [unrolled: 1-line block ×4, first 2 shown]
	v_add_co_u32 v17, s17, v17, -1
	s_wait_alu 0xf1ff
	v_cndmask_b32_e64 v21, 0, 1, s17
	v_not_b32_e32 v79, v18
	v_cmp_gt_i32_e64 s18, 0, v18
	v_not_b32_e32 v18, v19
	v_lshlrev_b32_e32 v23, 26, v16
	v_cmp_ne_u32_e64 s17, 0, v21
	v_ashrrev_i32_e32 v79, 31, v79
	v_lshlrev_b32_e32 v78, 25, v16
	v_ashrrev_i32_e32 v18, 31, v18
	v_lshlrev_b32_e32 v21, 24, v16
	s_wait_alu 0xf1ff
	v_xor_b32_e32 v17, s17, v17
	v_cmp_gt_i32_e64 s17, 0, v19
	v_not_b32_e32 v19, v20
	v_xor_b32_e32 v79, s18, v79
	v_cmp_gt_i32_e64 s18, 0, v20
	v_and_b32_e32 v17, exec_lo, v17
	v_not_b32_e32 v20, v22
	v_ashrrev_i32_e32 v19, 31, v19
	s_wait_alu 0xf1ff
	v_xor_b32_e32 v18, s17, v18
	v_cmp_gt_i32_e64 s17, 0, v22
	v_and_b32_e32 v17, v17, v79
	v_not_b32_e32 v22, v23
	v_ashrrev_i32_e32 v20, 31, v20
	v_xor_b32_e32 v19, s18, v19
	v_cmp_gt_i32_e64 s18, 0, v23
	v_and_b32_e32 v17, v17, v18
	v_not_b32_e32 v18, v78
	v_ashrrev_i32_e32 v22, 31, v22
	s_wait_alu 0xf1ff
	v_xor_b32_e32 v20, s17, v20
	v_cmp_gt_i32_e64 s17, 0, v78
	v_and_b32_e32 v17, v17, v19
	v_not_b32_e32 v19, v21
	v_ashrrev_i32_e32 v18, 31, v18
	v_xor_b32_e32 v22, s18, v22
	v_cmp_gt_i32_e64 s18, 0, v21
	v_and_b32_e32 v17, v17, v20
	v_ashrrev_i32_e32 v19, 31, v19
	s_wait_alu 0xf1ff
	v_xor_b32_e32 v18, s17, v18
	v_lshl_add_u32 v79, v16, 6, v24
	v_and_b32_e32 v17, v17, v22
	v_xor_b32_e32 v16, s18, v19
	ds_load_b32 v24, v79 offset:64
	v_and_b32_e32 v17, v17, v18
	; wave barrier
	s_delay_alu instid0(VALU_DEP_1) | instskip(NEXT) | instid1(VALU_DEP_1)
	v_and_b32_e32 v16, v17, v16
	v_mbcnt_lo_u32_b32 v78, v16, 0
	v_cmp_ne_u32_e64 s18, 0, v16
	s_delay_alu instid0(VALU_DEP_2)
	v_cmp_eq_u32_e64 s17, 0, v78
	s_and_b32 s18, s18, s17
	s_wait_alu 0xfffe
	s_and_saveexec_b32 s17, s18
	s_cbranch_execz .LBB235_135
; %bb.134:
	s_wait_dscnt 0x0
	v_bcnt_u32_b32 v16, v16, v24
	ds_store_b32 v79, v16 offset:64
.LBB235_135:
	s_wait_alu 0xfffe
	s_or_b32 exec_lo, exec_lo, s17
	; wave barrier
	s_wait_loadcnt_dscnt 0x0
	s_barrier_signal -1
	s_barrier_wait -1
	global_inv scope:SCOPE_SE
	ds_load_b128 v[20:23], v65 offset:64
	ds_load_b128 v[16:19], v65 offset:80
	s_wait_dscnt 0x1
	v_add_nc_u32_e32 v80, v21, v20
	s_delay_alu instid0(VALU_DEP_1) | instskip(SKIP_1) | instid1(VALU_DEP_1)
	v_add3_u32 v80, v80, v22, v23
	s_wait_dscnt 0x0
	v_add3_u32 v80, v80, v16, v17
	s_delay_alu instid0(VALU_DEP_1) | instskip(NEXT) | instid1(VALU_DEP_1)
	v_add3_u32 v19, v80, v18, v19
	v_mov_b32_dpp v80, v19 row_shr:1 row_mask:0xf bank_mask:0xf
	s_delay_alu instid0(VALU_DEP_1) | instskip(NEXT) | instid1(VALU_DEP_1)
	v_cndmask_b32_e64 v80, v80, 0, vcc_lo
	v_add_nc_u32_e32 v19, v80, v19
	s_delay_alu instid0(VALU_DEP_1) | instskip(NEXT) | instid1(VALU_DEP_1)
	v_mov_b32_dpp v80, v19 row_shr:2 row_mask:0xf bank_mask:0xf
	v_cndmask_b32_e64 v80, 0, v80, s0
	s_delay_alu instid0(VALU_DEP_1) | instskip(NEXT) | instid1(VALU_DEP_1)
	v_add_nc_u32_e32 v19, v19, v80
	v_mov_b32_dpp v80, v19 row_shr:4 row_mask:0xf bank_mask:0xf
	s_delay_alu instid0(VALU_DEP_1) | instskip(NEXT) | instid1(VALU_DEP_1)
	v_cndmask_b32_e64 v80, 0, v80, s1
	v_add_nc_u32_e32 v19, v19, v80
	s_delay_alu instid0(VALU_DEP_1) | instskip(NEXT) | instid1(VALU_DEP_1)
	v_mov_b32_dpp v80, v19 row_shr:8 row_mask:0xf bank_mask:0xf
	v_cndmask_b32_e64 v80, 0, v80, s10
	s_delay_alu instid0(VALU_DEP_1) | instskip(SKIP_3) | instid1(VALU_DEP_1)
	v_add_nc_u32_e32 v19, v19, v80
	ds_swizzle_b32 v80, v19 offset:swizzle(BROADCAST,32,15)
	s_wait_dscnt 0x0
	v_cndmask_b32_e64 v80, v80, 0, s15
	v_add_nc_u32_e32 v19, v19, v80
	s_and_saveexec_b32 s15, s13
; %bb.136:
	ds_store_b32 v35, v19
; %bb.137:
	s_wait_alu 0xfffe
	s_or_b32 exec_lo, exec_lo, s15
	s_wait_loadcnt_dscnt 0x0
	s_barrier_signal -1
	s_barrier_wait -1
	global_inv scope:SCOPE_SE
	s_and_saveexec_b32 s13, s12
	s_cbranch_execz .LBB235_139
; %bb.138:
	ds_load_b32 v35, v34
	s_wait_dscnt 0x0
	v_mov_b32_dpp v80, v35 row_shr:1 row_mask:0xf bank_mask:0xf
	s_delay_alu instid0(VALU_DEP_1) | instskip(NEXT) | instid1(VALU_DEP_1)
	v_cndmask_b32_e64 v80, v80, 0, vcc_lo
	v_add_nc_u32_e32 v35, v80, v35
	s_delay_alu instid0(VALU_DEP_1) | instskip(NEXT) | instid1(VALU_DEP_1)
	v_mov_b32_dpp v80, v35 row_shr:2 row_mask:0xf bank_mask:0xf
	v_cndmask_b32_e64 v80, 0, v80, s0
	s_delay_alu instid0(VALU_DEP_1) | instskip(NEXT) | instid1(VALU_DEP_1)
	v_add_nc_u32_e32 v35, v35, v80
	v_mov_b32_dpp v80, v35 row_shr:4 row_mask:0xf bank_mask:0xf
	s_delay_alu instid0(VALU_DEP_1) | instskip(NEXT) | instid1(VALU_DEP_1)
	v_cndmask_b32_e64 v80, 0, v80, s1
	v_add_nc_u32_e32 v35, v35, v80
	s_delay_alu instid0(VALU_DEP_1) | instskip(NEXT) | instid1(VALU_DEP_1)
	v_mov_b32_dpp v80, v35 row_shr:8 row_mask:0xf bank_mask:0xf
	v_cndmask_b32_e64 v80, 0, v80, s10
	s_delay_alu instid0(VALU_DEP_1)
	v_add_nc_u32_e32 v35, v35, v80
	ds_store_b32 v34, v35
.LBB235_139:
	s_wait_alu 0xfffe
	s_or_b32 exec_lo, exec_lo, s13
	v_mov_b32_e32 v34, 0
	s_wait_loadcnt_dscnt 0x0
	s_barrier_signal -1
	s_barrier_wait -1
	global_inv scope:SCOPE_SE
	s_and_saveexec_b32 s0, s14
; %bb.140:
	ds_load_b32 v34, v36
; %bb.141:
	s_wait_alu 0xfffe
	s_or_b32 exec_lo, exec_lo, s0
	s_wait_dscnt 0x0
	v_add_nc_u32_e32 v19, v34, v19
	ds_bpermute_b32 v19, v37, v19
	s_wait_dscnt 0x0
	v_cndmask_b32_e64 v19, v19, v34, s11
	s_delay_alu instid0(VALU_DEP_1) | instskip(NEXT) | instid1(VALU_DEP_1)
	v_cndmask_b32_e64 v19, v19, 0, s16
	v_add_nc_u32_e32 v20, v19, v20
	s_delay_alu instid0(VALU_DEP_1) | instskip(NEXT) | instid1(VALU_DEP_1)
	v_add_nc_u32_e32 v21, v20, v21
	v_add_nc_u32_e32 v22, v21, v22
	s_delay_alu instid0(VALU_DEP_1) | instskip(NEXT) | instid1(VALU_DEP_1)
	v_add_nc_u32_e32 v34, v22, v23
	;; [unrolled: 3-line block ×3, first 2 shown]
	v_add_nc_u32_e32 v37, v36, v18
	ds_store_b128 v65, v[19:22] offset:64
	ds_store_b128 v65, v[34:37] offset:80
	s_wait_loadcnt_dscnt 0x0
	s_barrier_signal -1
	s_barrier_wait -1
	global_inv scope:SCOPE_SE
	ds_load_b32 v16, v79 offset:64
	ds_load_b32 v17, v77 offset:64
	;; [unrolled: 1-line block ×8, first 2 shown]
	s_wait_loadcnt_dscnt 0x0
	s_barrier_signal -1
	s_barrier_wait -1
	global_inv scope:SCOPE_SE
	v_lshlrev_b32_e32 v34, 1, v64
	s_delay_alu instid0(VALU_DEP_1)
	v_mad_u32_u24 v37, v41, 48, v34
	v_add3_u32 v35, v78, v24, v16
	v_add3_u32 v36, v76, v75, v17
	;; [unrolled: 1-line block ×3, first 2 shown]
	v_add_nc_u32_e32 v24, v19, v33
	v_add3_u32 v33, v40, v39, v20
	v_add3_u32 v39, v44, v43, v21
	;; [unrolled: 1-line block ×4, first 2 shown]
	v_lshlrev_b32_e32 v16, 1, v24
	v_lshlrev_b32_e32 v17, 1, v33
	;; [unrolled: 1-line block ×8, first 2 shown]
	ds_store_b16 v16, v26
	ds_store_b16 v17, v27
	;; [unrolled: 1-line block ×8, first 2 shown]
	v_mad_co_u64_u32 v[24:25], null, v24, 6, v[16:17]
	v_mad_co_u64_u32 v[16:17], null, v33, 6, v[17:18]
	;; [unrolled: 1-line block ×7, first 2 shown]
	s_wait_loadcnt_dscnt 0x0
	s_barrier_signal -1
	s_barrier_wait -1
	global_inv scope:SCOPE_SE
	v_mad_co_u64_u32 v[22:23], null, v35, 6, v[23:24]
	ds_load_b128 v[33:36], v34
	s_wait_loadcnt_dscnt 0x0
	s_barrier_signal -1
	s_barrier_wait -1
	global_inv scope:SCOPE_SE
	ds_store_b64 v24, v[4:5]
	ds_store_b64 v16, v[6:7]
	;; [unrolled: 1-line block ×8, first 2 shown]
	s_wait_loadcnt_dscnt 0x0
	s_barrier_signal -1
	s_barrier_wait -1
	global_inv scope:SCOPE_SE
	ds_load_b128 v[29:32], v37
	ds_load_b128 v[25:28], v37 offset:16
	ds_load_b128 v[21:24], v37 offset:32
	ds_load_b128 v[17:20], v37 offset:48
	v_cmp_gt_i16_e32 vcc_lo, 0, v33
	v_lshrrev_b32_e32 v0, 16, v33
	v_lshrrev_b32_e32 v2, 16, v34
	;; [unrolled: 1-line block ×4, first 2 shown]
	s_wait_alu 0xfffd
	v_cndmask_b32_e64 v1, 0x7fff, 0, vcc_lo
	v_cmp_gt_i16_e32 vcc_lo, 0, v34
	s_wait_alu 0xfffd
	v_cndmask_b32_e64 v3, 0x7fff, 0, vcc_lo
	v_cmp_gt_i16_e32 vcc_lo, 0, v35
	;; [unrolled: 3-line block ×5, first 2 shown]
	s_delay_alu instid0(VALU_DEP_2) | instskip(SKIP_3) | instid1(VALU_DEP_3)
	v_perm_b32 v0, v0, v1, 0x5040100
	s_wait_alu 0xfffd
	v_cndmask_b32_e64 v2, 0x7fff, 0, vcc_lo
	v_cmp_gt_i16_e32 vcc_lo, 0, v4
	v_xor_b32_e32 v0, v0, v33
	s_delay_alu instid0(VALU_DEP_3) | instskip(SKIP_3) | instid1(VALU_DEP_3)
	v_perm_b32 v1, v2, v3, 0x5040100
	s_wait_alu 0xfffd
	v_cndmask_b32_e64 v4, 0x7fff, 0, vcc_lo
	v_cmp_gt_i16_e32 vcc_lo, 0, v6
	v_xor_b32_e32 v34, v1, v34
	s_delay_alu instid0(VALU_DEP_3) | instskip(SKIP_2) | instid1(VALU_DEP_2)
	v_perm_b32 v2, v4, v5, 0x5040100
	s_wait_alu 0xfffd
	v_cndmask_b32_e64 v6, 0x7fff, 0, vcc_lo
	v_xor_b32_e32 v33, v2, v35
	s_delay_alu instid0(VALU_DEP_2) | instskip(NEXT) | instid1(VALU_DEP_1)
	v_perm_b32 v3, v6, v7, 0x5040100
	v_xor_b32_e32 v35, v3, v36
.LBB235_142:
	v_mad_co_u64_u32 v[9:10], null, s24, v41, 0
	s_wait_loadcnt_dscnt 0x0
	s_barrier_signal -1
	s_barrier_wait -1
	global_inv scope:SCOPE_SE
	ds_store_2addr_b32 v54, v0, v34 offset1:1
	ds_store_2addr_b32 v54, v33, v35 offset0:2 offset1:3
	s_wait_loadcnt_dscnt 0x0
	v_mov_b32_e32 v0, v10
	s_barrier_signal -1
	s_barrier_wait -1
	global_inv scope:SCOPE_SE
	ds_load_u16 v8, v47 offset:1024
	ds_load_u16 v7, v48 offset:2048
	;; [unrolled: 1-line block ×7, first 2 shown]
	v_mad_co_u64_u32 v[0:1], null, s25, v41, v[0:1]
	s_delay_alu instid0(VALU_DEP_1) | instskip(NEXT) | instid1(VALU_DEP_1)
	v_mov_b32_e32 v10, v0
	v_lshlrev_b64_e32 v[0:1], 1, v[9:10]
	s_delay_alu instid0(VALU_DEP_1) | instskip(SKIP_1) | instid1(VALU_DEP_2)
	v_add_co_u32 v0, vcc_lo, s28, v0
	s_wait_alu 0xfffd
	v_add_co_ci_u32_e64 v1, null, s29, v1, vcc_lo
	s_and_saveexec_b32 s0, s2
	s_cbranch_execnz .LBB235_161
; %bb.143:
	s_wait_alu 0xfffe
	s_or_b32 exec_lo, exec_lo, s0
	s_and_saveexec_b32 s0, s3
	s_cbranch_execnz .LBB235_162
.LBB235_144:
	s_wait_alu 0xfffe
	s_or_b32 exec_lo, exec_lo, s0
	s_and_saveexec_b32 s0, s4
	s_cbranch_execnz .LBB235_163
.LBB235_145:
	s_wait_alu 0xfffe
	s_or_b32 exec_lo, exec_lo, s0
	s_and_saveexec_b32 s0, s5
	s_cbranch_execnz .LBB235_164
.LBB235_146:
	s_wait_alu 0xfffe
	s_or_b32 exec_lo, exec_lo, s0
	s_and_saveexec_b32 s0, s6
	s_cbranch_execnz .LBB235_165
.LBB235_147:
	s_wait_alu 0xfffe
	s_or_b32 exec_lo, exec_lo, s0
	s_and_saveexec_b32 s0, s7
	s_cbranch_execnz .LBB235_166
.LBB235_148:
	s_wait_alu 0xfffe
	s_or_b32 exec_lo, exec_lo, s0
	s_and_saveexec_b32 s0, s8
	s_cbranch_execnz .LBB235_167
.LBB235_149:
	s_wait_alu 0xfffe
	s_or_b32 exec_lo, exec_lo, s0
	s_and_saveexec_b32 s0, s9
	s_cbranch_execz .LBB235_151
.LBB235_150:
	v_mad_co_u64_u32 v[0:1], null, 0x1c00, s24, v[0:1]
	s_wait_dscnt 0x0
	s_delay_alu instid0(VALU_DEP_1) | instskip(NEXT) | instid1(VALU_DEP_1)
	v_mad_co_u64_u32 v[3:4], null, 0x1c00, s25, v[1:2]
	v_mov_b32_e32 v1, v3
	global_store_b16 v[0:1], v2, off
.LBB235_151:
	s_wait_alu 0xfffe
	s_or_b32 exec_lo, exec_lo, s0
	s_wait_dscnt 0x0
	v_mad_co_u64_u32 v[2:3], null, s26, v41, 0
	s_wait_loadcnt 0x0
	s_wait_storecnt 0x0
	s_barrier_signal -1
	s_barrier_wait -1
	global_inv scope:SCOPE_SE
	ds_store_2addr_b64 v63, v[29:30], v[31:32] offset1:1
	ds_store_2addr_b64 v63, v[25:26], v[27:28] offset0:2 offset1:3
	ds_store_2addr_b64 v63, v[21:22], v[23:24] offset0:4 offset1:5
	;; [unrolled: 1-line block ×3, first 2 shown]
	s_wait_loadcnt_dscnt 0x0
	v_mov_b32_e32 v0, v3
	s_barrier_signal -1
	s_barrier_wait -1
	global_inv scope:SCOPE_SE
	v_mad_co_u64_u32 v[3:4], null, s27, v41, v[0:1]
	ds_load_b64 v[14:15], v56 offset:4096
	ds_load_b64 v[12:13], v57 offset:8192
	;; [unrolled: 1-line block ×7, first 2 shown]
	v_lshlrev_b64_e32 v[2:3], 3, v[2:3]
	s_delay_alu instid0(VALU_DEP_1) | instskip(SKIP_1) | instid1(VALU_DEP_2)
	v_add_co_u32 v2, vcc_lo, s30, v2
	s_wait_alu 0xfffd
	v_add_co_ci_u32_e64 v3, null, s31, v3, vcc_lo
	s_and_saveexec_b32 s0, s2
	s_cbranch_execnz .LBB235_168
; %bb.152:
	s_wait_alu 0xfffe
	s_or_b32 exec_lo, exec_lo, s0
	s_and_saveexec_b32 s0, s3
	s_cbranch_execnz .LBB235_169
.LBB235_153:
	s_wait_alu 0xfffe
	s_or_b32 exec_lo, exec_lo, s0
	s_and_saveexec_b32 s0, s4
	s_cbranch_execnz .LBB235_170
.LBB235_154:
	s_wait_alu 0xfffe
	s_or_b32 exec_lo, exec_lo, s0
	s_and_saveexec_b32 s0, s5
	s_cbranch_execnz .LBB235_171
.LBB235_155:
	s_wait_alu 0xfffe
	s_or_b32 exec_lo, exec_lo, s0
	s_and_saveexec_b32 s0, s6
	s_cbranch_execnz .LBB235_172
.LBB235_156:
	s_wait_alu 0xfffe
	s_or_b32 exec_lo, exec_lo, s0
	s_and_saveexec_b32 s0, s7
	s_cbranch_execnz .LBB235_173
.LBB235_157:
	s_wait_alu 0xfffe
	s_or_b32 exec_lo, exec_lo, s0
	s_and_saveexec_b32 s0, s8
	s_cbranch_execnz .LBB235_174
.LBB235_158:
	s_wait_alu 0xfffe
	s_or_b32 exec_lo, exec_lo, s0
	s_and_saveexec_b32 s0, s9
	s_cbranch_execz .LBB235_160
.LBB235_159:
	v_mad_co_u64_u32 v[2:3], null, 0x7000, s26, v[2:3]
	s_wait_dscnt 0x1
	s_delay_alu instid0(VALU_DEP_1)
	v_mad_co_u64_u32 v[3:4], null, 0x7000, s27, v[3:4]
	s_wait_dscnt 0x0
	global_store_b64 v[2:3], v[0:1], off
.LBB235_160:
	s_nop 0
	s_sendmsg sendmsg(MSG_DEALLOC_VGPRS)
	s_endpgm
.LBB235_161:
	ds_load_u16 v9, v46
	s_wait_dscnt 0x0
	global_store_b16 v[0:1], v9, off
	s_wait_alu 0xfffe
	s_or_b32 exec_lo, exec_lo, s0
	s_and_saveexec_b32 s0, s3
	s_cbranch_execz .LBB235_144
.LBB235_162:
	s_lshl_b64 s[10:11], s[24:25], 10
	s_wait_alu 0xfffe
	v_add_co_u32 v9, vcc_lo, v0, s10
	s_wait_alu 0xfffd
	v_add_co_ci_u32_e64 v10, null, s11, v1, vcc_lo
	s_wait_dscnt 0x6
	global_store_b16 v[9:10], v8, off
	s_or_b32 exec_lo, exec_lo, s0
	s_and_saveexec_b32 s0, s4
	s_cbranch_execz .LBB235_145
.LBB235_163:
	s_lshl_b64 s[10:11], s[24:25], 11
	s_wait_dscnt 0x6
	s_wait_alu 0xfffe
	v_add_co_u32 v8, vcc_lo, v0, s10
	s_wait_alu 0xfffd
	v_add_co_ci_u32_e64 v9, null, s11, v1, vcc_lo
	s_wait_dscnt 0x5
	global_store_b16 v[8:9], v7, off
	s_or_b32 exec_lo, exec_lo, s0
	s_and_saveexec_b32 s0, s5
	s_cbranch_execz .LBB235_146
.LBB235_164:
	s_wait_dscnt 0x5
	v_mad_co_u64_u32 v[7:8], null, 0xc00, s24, v[0:1]
	s_delay_alu instid0(VALU_DEP_1)
	v_mad_co_u64_u32 v[8:9], null, 0xc00, s25, v[8:9]
	s_wait_dscnt 0x4
	global_store_b16 v[7:8], v6, off
	s_wait_alu 0xfffe
	s_or_b32 exec_lo, exec_lo, s0
	s_and_saveexec_b32 s0, s6
	s_cbranch_execz .LBB235_147
.LBB235_165:
	s_lshl_b64 s[10:11], s[24:25], 12
	s_wait_dscnt 0x4
	s_wait_alu 0xfffe
	v_add_co_u32 v6, vcc_lo, v0, s10
	s_wait_alu 0xfffd
	v_add_co_ci_u32_e64 v7, null, s11, v1, vcc_lo
	s_wait_dscnt 0x3
	global_store_b16 v[6:7], v5, off
	s_or_b32 exec_lo, exec_lo, s0
	s_and_saveexec_b32 s0, s7
	s_cbranch_execz .LBB235_148
.LBB235_166:
	s_wait_dscnt 0x3
	v_mad_co_u64_u32 v[5:6], null, 0x1400, s24, v[0:1]
	s_delay_alu instid0(VALU_DEP_1)
	v_mad_co_u64_u32 v[6:7], null, 0x1400, s25, v[6:7]
	s_wait_dscnt 0x2
	global_store_b16 v[5:6], v4, off
	s_wait_alu 0xfffe
	s_or_b32 exec_lo, exec_lo, s0
	s_and_saveexec_b32 s0, s8
	s_cbranch_execz .LBB235_149
.LBB235_167:
	s_wait_dscnt 0x2
	v_mad_co_u64_u32 v[4:5], null, 0x1800, s24, v[0:1]
	s_delay_alu instid0(VALU_DEP_1)
	v_mad_co_u64_u32 v[5:6], null, 0x1800, s25, v[5:6]
	s_wait_dscnt 0x1
	global_store_b16 v[4:5], v3, off
	s_wait_alu 0xfffe
	s_or_b32 exec_lo, exec_lo, s0
	s_and_saveexec_b32 s0, s9
	s_cbranch_execnz .LBB235_150
	s_branch .LBB235_151
.LBB235_168:
	ds_load_b64 v[16:17], v55
	s_wait_dscnt 0x0
	global_store_b64 v[2:3], v[16:17], off
	s_wait_alu 0xfffe
	s_or_b32 exec_lo, exec_lo, s0
	s_and_saveexec_b32 s0, s3
	s_cbranch_execz .LBB235_153
.LBB235_169:
	s_lshl_b64 s[2:3], s[26:27], 12
	s_wait_alu 0xfffe
	v_add_co_u32 v16, vcc_lo, v2, s2
	s_wait_alu 0xfffd
	v_add_co_ci_u32_e64 v17, null, s3, v3, vcc_lo
	s_wait_dscnt 0x6
	global_store_b64 v[16:17], v[14:15], off
	s_or_b32 exec_lo, exec_lo, s0
	s_and_saveexec_b32 s0, s4
	s_cbranch_execz .LBB235_154
.LBB235_170:
	s_lshl_b64 s[2:3], s[26:27], 13
	s_wait_dscnt 0x6
	s_wait_alu 0xfffe
	v_add_co_u32 v14, vcc_lo, v2, s2
	s_wait_alu 0xfffd
	v_add_co_ci_u32_e64 v15, null, s3, v3, vcc_lo
	s_wait_dscnt 0x5
	global_store_b64 v[14:15], v[12:13], off
	s_or_b32 exec_lo, exec_lo, s0
	s_and_saveexec_b32 s0, s5
	s_cbranch_execz .LBB235_155
.LBB235_171:
	s_wait_dscnt 0x5
	v_mad_co_u64_u32 v[12:13], null, 0x3000, s26, v[2:3]
	s_delay_alu instid0(VALU_DEP_1)
	v_mad_co_u64_u32 v[13:14], null, 0x3000, s27, v[13:14]
	s_wait_dscnt 0x4
	global_store_b64 v[12:13], v[10:11], off
	s_wait_alu 0xfffe
	s_or_b32 exec_lo, exec_lo, s0
	s_and_saveexec_b32 s0, s6
	s_cbranch_execz .LBB235_156
.LBB235_172:
	s_lshl_b64 s[2:3], s[26:27], 14
	s_wait_dscnt 0x4
	s_wait_alu 0xfffe
	v_add_co_u32 v10, vcc_lo, v2, s2
	s_wait_alu 0xfffd
	v_add_co_ci_u32_e64 v11, null, s3, v3, vcc_lo
	s_wait_dscnt 0x3
	global_store_b64 v[10:11], v[8:9], off
	s_or_b32 exec_lo, exec_lo, s0
	s_and_saveexec_b32 s0, s7
	s_cbranch_execz .LBB235_157
.LBB235_173:
	s_wait_dscnt 0x3
	v_mad_co_u64_u32 v[8:9], null, 0x5000, s26, v[2:3]
	s_delay_alu instid0(VALU_DEP_1)
	v_mad_co_u64_u32 v[9:10], null, 0x5000, s27, v[9:10]
	s_wait_dscnt 0x2
	global_store_b64 v[8:9], v[6:7], off
	s_wait_alu 0xfffe
	s_or_b32 exec_lo, exec_lo, s0
	s_and_saveexec_b32 s0, s8
	s_cbranch_execz .LBB235_158
.LBB235_174:
	s_wait_dscnt 0x2
	v_mad_co_u64_u32 v[6:7], null, 0x6000, s26, v[2:3]
	s_delay_alu instid0(VALU_DEP_1)
	v_mad_co_u64_u32 v[7:8], null, 0x6000, s27, v[7:8]
	s_wait_dscnt 0x1
	global_store_b64 v[6:7], v[4:5], off
	s_wait_alu 0xfffe
	s_or_b32 exec_lo, exec_lo, s0
	s_and_saveexec_b32 s0, s9
	s_cbranch_execnz .LBB235_159
	s_branch .LBB235_160
	.section	.rodata,"a",@progbits
	.p2align	6, 0x0
	.amdhsa_kernel _ZN2at6native18radixSortKVInPlaceILin1ELin1ELi512ELi8EN3c104HalfElmEEvNS_4cuda6detail10TensorInfoIT3_T5_EES8_S8_S8_NS6_IT4_S8_EES8_b
		.amdhsa_group_segment_fixed_size 33792
		.amdhsa_private_segment_fixed_size 0
		.amdhsa_kernarg_size 1128
		.amdhsa_user_sgpr_count 2
		.amdhsa_user_sgpr_dispatch_ptr 0
		.amdhsa_user_sgpr_queue_ptr 0
		.amdhsa_user_sgpr_kernarg_segment_ptr 1
		.amdhsa_user_sgpr_dispatch_id 0
		.amdhsa_user_sgpr_private_segment_size 0
		.amdhsa_wavefront_size32 1
		.amdhsa_uses_dynamic_stack 0
		.amdhsa_enable_private_segment 0
		.amdhsa_system_sgpr_workgroup_id_x 1
		.amdhsa_system_sgpr_workgroup_id_y 1
		.amdhsa_system_sgpr_workgroup_id_z 1
		.amdhsa_system_sgpr_workgroup_info 0
		.amdhsa_system_vgpr_workitem_id 2
		.amdhsa_next_free_vgpr 111
		.amdhsa_next_free_sgpr 36
		.amdhsa_reserve_vcc 1
		.amdhsa_float_round_mode_32 0
		.amdhsa_float_round_mode_16_64 0
		.amdhsa_float_denorm_mode_32 3
		.amdhsa_float_denorm_mode_16_64 3
		.amdhsa_fp16_overflow 0
		.amdhsa_workgroup_processor_mode 1
		.amdhsa_memory_ordered 1
		.amdhsa_forward_progress 1
		.amdhsa_inst_pref_size 191
		.amdhsa_round_robin_scheduling 0
		.amdhsa_exception_fp_ieee_invalid_op 0
		.amdhsa_exception_fp_denorm_src 0
		.amdhsa_exception_fp_ieee_div_zero 0
		.amdhsa_exception_fp_ieee_overflow 0
		.amdhsa_exception_fp_ieee_underflow 0
		.amdhsa_exception_fp_ieee_inexact 0
		.amdhsa_exception_int_div_zero 0
	.end_amdhsa_kernel
	.section	.text._ZN2at6native18radixSortKVInPlaceILin1ELin1ELi512ELi8EN3c104HalfElmEEvNS_4cuda6detail10TensorInfoIT3_T5_EES8_S8_S8_NS6_IT4_S8_EES8_b,"axG",@progbits,_ZN2at6native18radixSortKVInPlaceILin1ELin1ELi512ELi8EN3c104HalfElmEEvNS_4cuda6detail10TensorInfoIT3_T5_EES8_S8_S8_NS6_IT4_S8_EES8_b,comdat
.Lfunc_end235:
	.size	_ZN2at6native18radixSortKVInPlaceILin1ELin1ELi512ELi8EN3c104HalfElmEEvNS_4cuda6detail10TensorInfoIT3_T5_EES8_S8_S8_NS6_IT4_S8_EES8_b, .Lfunc_end235-_ZN2at6native18radixSortKVInPlaceILin1ELin1ELi512ELi8EN3c104HalfElmEEvNS_4cuda6detail10TensorInfoIT3_T5_EES8_S8_S8_NS6_IT4_S8_EES8_b
                                        ; -- End function
	.set _ZN2at6native18radixSortKVInPlaceILin1ELin1ELi512ELi8EN3c104HalfElmEEvNS_4cuda6detail10TensorInfoIT3_T5_EES8_S8_S8_NS6_IT4_S8_EES8_b.num_vgpr, 111
	.set _ZN2at6native18radixSortKVInPlaceILin1ELin1ELi512ELi8EN3c104HalfElmEEvNS_4cuda6detail10TensorInfoIT3_T5_EES8_S8_S8_NS6_IT4_S8_EES8_b.num_agpr, 0
	.set _ZN2at6native18radixSortKVInPlaceILin1ELin1ELi512ELi8EN3c104HalfElmEEvNS_4cuda6detail10TensorInfoIT3_T5_EES8_S8_S8_NS6_IT4_S8_EES8_b.numbered_sgpr, 36
	.set _ZN2at6native18radixSortKVInPlaceILin1ELin1ELi512ELi8EN3c104HalfElmEEvNS_4cuda6detail10TensorInfoIT3_T5_EES8_S8_S8_NS6_IT4_S8_EES8_b.num_named_barrier, 0
	.set _ZN2at6native18radixSortKVInPlaceILin1ELin1ELi512ELi8EN3c104HalfElmEEvNS_4cuda6detail10TensorInfoIT3_T5_EES8_S8_S8_NS6_IT4_S8_EES8_b.private_seg_size, 0
	.set _ZN2at6native18radixSortKVInPlaceILin1ELin1ELi512ELi8EN3c104HalfElmEEvNS_4cuda6detail10TensorInfoIT3_T5_EES8_S8_S8_NS6_IT4_S8_EES8_b.uses_vcc, 1
	.set _ZN2at6native18radixSortKVInPlaceILin1ELin1ELi512ELi8EN3c104HalfElmEEvNS_4cuda6detail10TensorInfoIT3_T5_EES8_S8_S8_NS6_IT4_S8_EES8_b.uses_flat_scratch, 0
	.set _ZN2at6native18radixSortKVInPlaceILin1ELin1ELi512ELi8EN3c104HalfElmEEvNS_4cuda6detail10TensorInfoIT3_T5_EES8_S8_S8_NS6_IT4_S8_EES8_b.has_dyn_sized_stack, 0
	.set _ZN2at6native18radixSortKVInPlaceILin1ELin1ELi512ELi8EN3c104HalfElmEEvNS_4cuda6detail10TensorInfoIT3_T5_EES8_S8_S8_NS6_IT4_S8_EES8_b.has_recursion, 0
	.set _ZN2at6native18radixSortKVInPlaceILin1ELin1ELi512ELi8EN3c104HalfElmEEvNS_4cuda6detail10TensorInfoIT3_T5_EES8_S8_S8_NS6_IT4_S8_EES8_b.has_indirect_call, 0
	.section	.AMDGPU.csdata,"",@progbits
; Kernel info:
; codeLenInByte = 24436
; TotalNumSgprs: 38
; NumVgprs: 111
; ScratchSize: 0
; MemoryBound: 0
; FloatMode: 240
; IeeeMode: 1
; LDSByteSize: 33792 bytes/workgroup (compile time only)
; SGPRBlocks: 0
; VGPRBlocks: 13
; NumSGPRsForWavesPerEU: 38
; NumVGPRsForWavesPerEU: 111
; Occupancy: 12
; WaveLimiterHint : 1
; COMPUTE_PGM_RSRC2:SCRATCH_EN: 0
; COMPUTE_PGM_RSRC2:USER_SGPR: 2
; COMPUTE_PGM_RSRC2:TRAP_HANDLER: 0
; COMPUTE_PGM_RSRC2:TGID_X_EN: 1
; COMPUTE_PGM_RSRC2:TGID_Y_EN: 1
; COMPUTE_PGM_RSRC2:TGID_Z_EN: 1
; COMPUTE_PGM_RSRC2:TIDIG_COMP_CNT: 2
	.section	.text._ZN2at6native18radixSortKVInPlaceILin1ELin1ELi256ELi8EN3c104HalfElmEEvNS_4cuda6detail10TensorInfoIT3_T5_EES8_S8_S8_NS6_IT4_S8_EES8_b,"axG",@progbits,_ZN2at6native18radixSortKVInPlaceILin1ELin1ELi256ELi8EN3c104HalfElmEEvNS_4cuda6detail10TensorInfoIT3_T5_EES8_S8_S8_NS6_IT4_S8_EES8_b,comdat
	.protected	_ZN2at6native18radixSortKVInPlaceILin1ELin1ELi256ELi8EN3c104HalfElmEEvNS_4cuda6detail10TensorInfoIT3_T5_EES8_S8_S8_NS6_IT4_S8_EES8_b ; -- Begin function _ZN2at6native18radixSortKVInPlaceILin1ELin1ELi256ELi8EN3c104HalfElmEEvNS_4cuda6detail10TensorInfoIT3_T5_EES8_S8_S8_NS6_IT4_S8_EES8_b
	.globl	_ZN2at6native18radixSortKVInPlaceILin1ELin1ELi256ELi8EN3c104HalfElmEEvNS_4cuda6detail10TensorInfoIT3_T5_EES8_S8_S8_NS6_IT4_S8_EES8_b
	.p2align	8
	.type	_ZN2at6native18radixSortKVInPlaceILin1ELin1ELi256ELi8EN3c104HalfElmEEvNS_4cuda6detail10TensorInfoIT3_T5_EES8_S8_S8_NS6_IT4_S8_EES8_b,@function
_ZN2at6native18radixSortKVInPlaceILin1ELin1ELi256ELi8EN3c104HalfElmEEvNS_4cuda6detail10TensorInfoIT3_T5_EES8_S8_S8_NS6_IT4_S8_EES8_b: ; @_ZN2at6native18radixSortKVInPlaceILin1ELin1ELi256ELi8EN3c104HalfElmEEvNS_4cuda6detail10TensorInfoIT3_T5_EES8_S8_S8_NS6_IT4_S8_EES8_b
; %bb.0:
	s_clause 0x1
	s_load_b64 s[2:3], s[0:1], 0x368
	s_load_b128 s[8:11], s[0:1], 0x1a0
	s_lshr_b32 s4, ttmp7, 16
	s_and_b32 s5, ttmp7, 0xffff
	s_wait_kmcnt 0x0
	s_mul_i32 s3, s3, s4
	s_delay_alu instid0(SALU_CYCLE_1) | instskip(NEXT) | instid1(SALU_CYCLE_1)
	s_add_co_i32 s3, s3, s5
	s_mul_i32 s2, s3, s2
	s_mov_b32 s3, 0
	s_add_co_i32 s2, s2, ttmp9
	s_delay_alu instid0(SALU_CYCLE_1)
	v_cmp_le_u64_e64 s4, s[8:9], s[2:3]
	s_and_b32 vcc_lo, exec_lo, s4
	s_cbranch_vccnz .LBB236_160
; %bb.1:
	s_clause 0x1
	s_load_b32 s9, s[0:1], 0x198
	s_load_b64 s[22:23], s[0:1], 0x1b0
	s_mov_b64 s[4:5], 0
	s_mov_b64 s[6:7], s[2:3]
	s_wait_kmcnt 0x0
	s_cmp_lt_i32 s9, 2
	s_cbranch_scc1 .LBB236_9
; %bb.2:
	s_mov_b32 s8, 0
	s_add_co_i32 s4, s9, -1
	s_wait_alu 0xfffe
	s_mov_b32 s5, s8
	s_add_co_i32 s11, s9, 1
	s_lshl_b64 s[4:5], s[4:5], 3
	s_mov_b64 s[14:15], s[2:3]
	s_add_nc_u64 s[6:7], s[0:1], s[4:5]
	s_mov_b64 s[4:5], 0
	s_add_nc_u64 s[12:13], s[6:7], 8
.LBB236_3:                              ; =>This Inner Loop Header: Depth=1
	s_load_b64 s[16:17], s[12:13], 0x0
	s_wait_kmcnt 0x0
	s_or_b64 s[6:7], s[14:15], s[16:17]
	s_wait_alu 0xfffe
	s_mov_b32 s9, s7
                                        ; implicit-def: $sgpr6_sgpr7
	s_wait_alu 0xfffe
	s_cmp_lg_u64 s[8:9], 0
	s_mov_b32 s9, -1
	s_cbranch_scc0 .LBB236_5
; %bb.4:                                ;   in Loop: Header=BB236_3 Depth=1
	s_cvt_f32_u32 s6, s16
	s_cvt_f32_u32 s7, s17
	s_sub_nc_u64 s[18:19], 0, s[16:17]
	s_mov_b32 s21, s8
	s_mov_b32 s27, s8
	s_wait_alu 0xfffe
	s_fmamk_f32 s6, s7, 0x4f800000, s6
	s_wait_alu 0xfffe
	s_delay_alu instid0(SALU_CYCLE_2) | instskip(NEXT) | instid1(TRANS32_DEP_1)
	v_s_rcp_f32 s6, s6
	s_mul_f32 s6, s6, 0x5f7ffffc
	s_wait_alu 0xfffe
	s_delay_alu instid0(SALU_CYCLE_2) | instskip(SKIP_1) | instid1(SALU_CYCLE_2)
	s_mul_f32 s7, s6, 0x2f800000
	s_wait_alu 0xfffe
	s_trunc_f32 s7, s7
	s_wait_alu 0xfffe
	s_delay_alu instid0(SALU_CYCLE_2) | instskip(SKIP_2) | instid1(SALU_CYCLE_1)
	s_fmamk_f32 s6, s7, 0xcf800000, s6
	s_cvt_u32_f32 s7, s7
	s_wait_alu 0xfffe
	s_cvt_u32_f32 s6, s6
	s_wait_alu 0xfffe
	s_delay_alu instid0(SALU_CYCLE_2) | instskip(NEXT) | instid1(SALU_CYCLE_1)
	s_mul_u64 s[24:25], s[18:19], s[6:7]
	s_mul_hi_u32 s29, s6, s25
	s_mul_i32 s28, s6, s25
	s_mul_hi_u32 s20, s6, s24
	s_mul_i32 s26, s7, s24
	s_add_nc_u64 s[20:21], s[20:21], s[28:29]
	s_mul_hi_u32 s9, s7, s24
	s_mul_hi_u32 s30, s7, s25
	s_add_co_u32 s20, s20, s26
	s_wait_alu 0xfffe
	s_add_co_ci_u32 s26, s21, s9
	s_mul_i32 s24, s7, s25
	s_add_co_ci_u32 s25, s30, 0
	s_delay_alu instid0(SALU_CYCLE_1)
	s_add_nc_u64 s[20:21], s[26:27], s[24:25]
	s_mov_b32 s25, s8
	s_add_co_u32 s6, s6, s20
	s_cselect_b32 s9, -1, 0
	s_wait_alu 0xfffe
	s_cmp_lg_u32 s9, 0
	s_add_co_ci_u32 s7, s7, s21
	s_mov_b32 s21, s8
	s_wait_alu 0xfffe
	s_mul_u64 s[18:19], s[18:19], s[6:7]
	s_delay_alu instid0(SALU_CYCLE_1)
	s_mul_hi_u32 s27, s6, s19
	s_mul_i32 s26, s6, s19
	s_mul_hi_u32 s20, s6, s18
	s_mul_i32 s24, s7, s18
	s_add_nc_u64 s[20:21], s[20:21], s[26:27]
	s_mul_hi_u32 s9, s7, s18
	s_mul_hi_u32 s28, s7, s19
	s_mul_i32 s18, s7, s19
	s_add_co_u32 s19, s20, s24
	s_wait_alu 0xfffe
	s_add_co_ci_u32 s24, s21, s9
	s_add_co_ci_u32 s19, s28, 0
	s_mov_b32 s21, s8
	s_add_nc_u64 s[18:19], s[24:25], s[18:19]
	s_delay_alu instid0(SALU_CYCLE_1)
	s_add_co_u32 s6, s6, s18
	s_cselect_b32 s9, -1, 0
	s_wait_alu 0xfffe
	s_mul_hi_u32 s20, s14, s6
	s_cmp_lg_u32 s9, 0
	s_mul_hi_u32 s9, s15, s6
	s_add_co_ci_u32 s18, s7, s19
	s_mul_i32 s19, s15, s6
	s_mul_hi_u32 s7, s14, s18
	s_mul_i32 s6, s14, s18
	s_mul_hi_u32 s26, s15, s18
	s_wait_alu 0xfffe
	s_add_nc_u64 s[6:7], s[20:21], s[6:7]
	s_mul_i32 s18, s15, s18
	s_wait_alu 0xfffe
	s_add_co_u32 s6, s6, s19
	s_add_co_ci_u32 s24, s7, s9
	s_add_co_ci_u32 s19, s26, 0
	s_delay_alu instid0(SALU_CYCLE_1) | instskip(SKIP_2) | instid1(SALU_CYCLE_1)
	s_add_nc_u64 s[6:7], s[24:25], s[18:19]
	s_wait_alu 0xfffe
	s_mul_u64 s[18:19], s[16:17], s[6:7]
	s_sub_co_u32 s9, s14, s18
	s_cselect_b32 s18, -1, 0
	s_sub_co_i32 s20, s15, s19
	s_cmp_lg_u32 s18, 0
	s_sub_co_ci_u32 s20, s20, s17
	s_wait_alu 0xfffe
	s_sub_co_u32 s21, s9, s16
	s_cselect_b32 s24, -1, 0
	s_delay_alu instid0(SALU_CYCLE_1) | instskip(SKIP_1) | instid1(SALU_CYCLE_1)
	s_cmp_lg_u32 s24, 0
	s_sub_co_ci_u32 s20, s20, 0
	s_cmp_ge_u32 s20, s17
	s_cselect_b32 s24, -1, 0
	s_cmp_ge_u32 s21, s16
	s_cselect_b32 s25, -1, 0
	s_cmp_eq_u32 s20, s17
	s_add_nc_u64 s[20:21], s[6:7], 1
	s_cselect_b32 s26, s25, s24
	s_add_nc_u64 s[24:25], s[6:7], 2
	s_cmp_lg_u32 s26, 0
	s_cselect_b32 s20, s24, s20
	s_cselect_b32 s21, s25, s21
	s_cmp_lg_u32 s18, 0
	s_sub_co_ci_u32 s18, s15, s19
	s_delay_alu instid0(SALU_CYCLE_1)
	s_cmp_ge_u32 s18, s17
	s_cselect_b32 s19, -1, 0
	s_cmp_ge_u32 s9, s16
	s_cselect_b32 s9, -1, 0
	s_cmp_eq_u32 s18, s17
	s_wait_alu 0xfffe
	s_cselect_b32 s9, s9, s19
	s_wait_alu 0xfffe
	s_cmp_lg_u32 s9, 0
	s_mov_b32 s9, 0
	s_cselect_b32 s7, s21, s7
	s_cselect_b32 s6, s20, s6
.LBB236_5:                              ;   in Loop: Header=BB236_3 Depth=1
	s_wait_alu 0xfffe
	s_and_not1_b32 vcc_lo, exec_lo, s9
	s_cbranch_vccnz .LBB236_7
; %bb.6:                                ;   in Loop: Header=BB236_3 Depth=1
	v_cvt_f32_u32_e32 v1, s16
	s_sub_co_i32 s7, 0, s16
	s_delay_alu instid0(VALU_DEP_1) | instskip(NEXT) | instid1(TRANS32_DEP_1)
	v_rcp_iflag_f32_e32 v1, v1
	v_mul_f32_e32 v1, 0x4f7ffffe, v1
	s_delay_alu instid0(VALU_DEP_1) | instskip(NEXT) | instid1(VALU_DEP_1)
	v_cvt_u32_f32_e32 v1, v1
	v_readfirstlane_b32 s6, v1
	s_wait_alu 0xfffe
	s_mul_i32 s7, s7, s6
	s_wait_alu 0xfffe
	s_mul_hi_u32 s7, s6, s7
	s_wait_alu 0xfffe
	s_add_co_i32 s6, s6, s7
	s_wait_alu 0xfffe
	s_mul_hi_u32 s6, s14, s6
	s_wait_alu 0xfffe
	s_mul_i32 s7, s6, s16
	s_add_co_i32 s9, s6, 1
	s_wait_alu 0xfffe
	s_sub_co_i32 s7, s14, s7
	s_wait_alu 0xfffe
	s_sub_co_i32 s18, s7, s16
	s_cmp_ge_u32 s7, s16
	s_cselect_b32 s6, s9, s6
	s_cselect_b32 s7, s18, s7
	s_wait_alu 0xfffe
	s_add_co_i32 s9, s6, 1
	s_cmp_ge_u32 s7, s16
	s_mov_b32 s7, s8
	s_wait_alu 0xfffe
	s_cselect_b32 s6, s9, s6
.LBB236_7:                              ;   in Loop: Header=BB236_3 Depth=1
	s_load_b64 s[18:19], s[12:13], 0xc8
	s_mul_u64 s[16:17], s[6:7], s[16:17]
	s_add_co_i32 s11, s11, -1
	s_wait_alu 0xfffe
	s_sub_nc_u64 s[14:15], s[14:15], s[16:17]
	s_cmp_gt_u32 s11, 2
	s_add_nc_u64 s[12:13], s[12:13], -8
	s_wait_kmcnt 0x0
	s_mul_u64 s[14:15], s[18:19], s[14:15]
	s_delay_alu instid0(SALU_CYCLE_1)
	s_add_nc_u64 s[4:5], s[14:15], s[4:5]
	s_cbranch_scc0 .LBB236_9
; %bb.8:                                ;   in Loop: Header=BB236_3 Depth=1
	s_mov_b64 s[14:15], s[6:7]
	s_branch .LBB236_3
.LBB236_9:
	s_load_b32 s9, s[0:1], 0x350
	s_add_nc_u64 s[36:37], s[0:1], 0x368
	s_mov_b64 s[12:13], 0
	s_wait_kmcnt 0x0
	s_cmp_lt_i32 s9, 2
	s_cbranch_scc1 .LBB236_17
; %bb.10:
	s_mov_b32 s8, 0
	s_add_co_i32 s12, s9, -1
	s_wait_alu 0xfffe
	s_mov_b32 s13, s8
	s_add_co_i32 s11, s9, 1
	s_lshl_b64 s[12:13], s[12:13], 3
	s_delay_alu instid0(SALU_CYCLE_1) | instskip(NEXT) | instid1(SALU_CYCLE_1)
	s_add_nc_u64 s[12:13], s[0:1], s[12:13]
	s_add_nc_u64 s[16:17], s[12:13], 0x1c0
	s_mov_b64 s[12:13], 0
.LBB236_11:                             ; =>This Inner Loop Header: Depth=1
	s_load_b64 s[18:19], s[16:17], 0x0
	s_wait_kmcnt 0x0
	s_or_b64 s[14:15], s[2:3], s[18:19]
	s_delay_alu instid0(SALU_CYCLE_1)
	s_mov_b32 s9, s15
                                        ; implicit-def: $sgpr14_sgpr15
	s_wait_alu 0xfffe
	s_cmp_lg_u64 s[8:9], 0
	s_mov_b32 s9, -1
	s_cbranch_scc0 .LBB236_13
; %bb.12:                               ;   in Loop: Header=BB236_11 Depth=1
	s_cvt_f32_u32 s9, s18
	s_cvt_f32_u32 s14, s19
	s_sub_nc_u64 s[20:21], 0, s[18:19]
	s_mov_b32 s25, s8
	s_mov_b32 s29, s8
	s_wait_alu 0xfffe
	s_fmamk_f32 s9, s14, 0x4f800000, s9
	s_wait_alu 0xfffe
	s_delay_alu instid0(SALU_CYCLE_2) | instskip(NEXT) | instid1(TRANS32_DEP_1)
	v_s_rcp_f32 s9, s9
	s_mul_f32 s9, s9, 0x5f7ffffc
	s_wait_alu 0xfffe
	s_delay_alu instid0(SALU_CYCLE_2) | instskip(NEXT) | instid1(SALU_CYCLE_3)
	s_mul_f32 s14, s9, 0x2f800000
	s_trunc_f32 s14, s14
	s_delay_alu instid0(SALU_CYCLE_3) | instskip(SKIP_2) | instid1(SALU_CYCLE_1)
	s_fmamk_f32 s9, s14, 0xcf800000, s9
	s_cvt_u32_f32 s15, s14
	s_wait_alu 0xfffe
	s_cvt_u32_f32 s14, s9
	s_delay_alu instid0(SALU_CYCLE_3) | instskip(NEXT) | instid1(SALU_CYCLE_1)
	s_mul_u64 s[26:27], s[20:21], s[14:15]
	s_mul_hi_u32 s31, s14, s27
	s_mul_i32 s30, s14, s27
	s_mul_hi_u32 s24, s14, s26
	s_mul_i32 s28, s15, s26
	s_add_nc_u64 s[24:25], s[24:25], s[30:31]
	s_mul_hi_u32 s9, s15, s26
	s_mul_hi_u32 s33, s15, s27
	s_add_co_u32 s24, s24, s28
	s_wait_alu 0xfffe
	s_add_co_ci_u32 s28, s25, s9
	s_mul_i32 s26, s15, s27
	s_add_co_ci_u32 s27, s33, 0
	s_delay_alu instid0(SALU_CYCLE_1)
	s_add_nc_u64 s[24:25], s[28:29], s[26:27]
	s_mov_b32 s27, s8
	s_add_co_u32 s14, s14, s24
	s_cselect_b32 s9, -1, 0
	s_wait_alu 0xfffe
	s_cmp_lg_u32 s9, 0
	s_add_co_ci_u32 s15, s15, s25
	s_mov_b32 s25, s8
	s_mul_u64 s[20:21], s[20:21], s[14:15]
	s_delay_alu instid0(SALU_CYCLE_1)
	s_mul_hi_u32 s29, s14, s21
	s_mul_i32 s28, s14, s21
	s_mul_hi_u32 s24, s14, s20
	s_mul_i32 s26, s15, s20
	s_add_nc_u64 s[24:25], s[24:25], s[28:29]
	s_mul_hi_u32 s9, s15, s20
	s_mul_hi_u32 s30, s15, s21
	s_mul_i32 s20, s15, s21
	s_add_co_u32 s21, s24, s26
	s_wait_alu 0xfffe
	s_add_co_ci_u32 s26, s25, s9
	s_add_co_ci_u32 s21, s30, 0
	s_mov_b32 s25, s8
	s_add_nc_u64 s[20:21], s[26:27], s[20:21]
	s_delay_alu instid0(SALU_CYCLE_1)
	s_add_co_u32 s9, s14, s20
	s_cselect_b32 s14, -1, 0
	s_wait_alu 0xfffe
	s_mul_hi_u32 s24, s2, s9
	s_cmp_lg_u32 s14, 0
	s_mul_hi_u32 s26, s3, s9
	s_add_co_ci_u32 s20, s15, s21
	s_mul_i32 s9, s3, s9
	s_mul_hi_u32 s15, s2, s20
	s_mul_i32 s14, s2, s20
	s_mul_hi_u32 s21, s3, s20
	s_add_nc_u64 s[14:15], s[24:25], s[14:15]
	s_mul_i32 s20, s3, s20
	s_wait_alu 0xfffe
	s_add_co_u32 s9, s14, s9
	s_add_co_ci_u32 s26, s15, s26
	s_add_co_ci_u32 s21, s21, 0
	s_delay_alu instid0(SALU_CYCLE_1) | instskip(NEXT) | instid1(SALU_CYCLE_1)
	s_add_nc_u64 s[14:15], s[26:27], s[20:21]
	s_mul_u64 s[20:21], s[18:19], s[14:15]
	s_delay_alu instid0(SALU_CYCLE_1)
	s_sub_co_u32 s9, s2, s20
	s_cselect_b32 s20, -1, 0
	s_sub_co_i32 s24, s3, s21
	s_cmp_lg_u32 s20, 0
	s_sub_co_ci_u32 s24, s24, s19
	s_wait_alu 0xfffe
	s_sub_co_u32 s25, s9, s18
	s_cselect_b32 s26, -1, 0
	s_delay_alu instid0(SALU_CYCLE_1) | instskip(SKIP_1) | instid1(SALU_CYCLE_1)
	s_cmp_lg_u32 s26, 0
	s_sub_co_ci_u32 s24, s24, 0
	s_cmp_ge_u32 s24, s19
	s_cselect_b32 s26, -1, 0
	s_cmp_ge_u32 s25, s18
	s_cselect_b32 s27, -1, 0
	s_cmp_eq_u32 s24, s19
	s_add_nc_u64 s[24:25], s[14:15], 1
	s_cselect_b32 s28, s27, s26
	s_add_nc_u64 s[26:27], s[14:15], 2
	s_cmp_lg_u32 s28, 0
	s_cselect_b32 s24, s26, s24
	s_cselect_b32 s25, s27, s25
	s_cmp_lg_u32 s20, 0
	s_sub_co_ci_u32 s20, s3, s21
	s_delay_alu instid0(SALU_CYCLE_1)
	s_cmp_ge_u32 s20, s19
	s_cselect_b32 s21, -1, 0
	s_cmp_ge_u32 s9, s18
	s_cselect_b32 s9, -1, 0
	s_cmp_eq_u32 s20, s19
	s_wait_alu 0xfffe
	s_cselect_b32 s9, s9, s21
	s_wait_alu 0xfffe
	s_cmp_lg_u32 s9, 0
	s_mov_b32 s9, 0
	s_cselect_b32 s15, s25, s15
	s_cselect_b32 s14, s24, s14
.LBB236_13:                             ;   in Loop: Header=BB236_11 Depth=1
	s_wait_alu 0xfffe
	s_and_not1_b32 vcc_lo, exec_lo, s9
	s_cbranch_vccnz .LBB236_15
; %bb.14:                               ;   in Loop: Header=BB236_11 Depth=1
	v_cvt_f32_u32_e32 v1, s18
	s_sub_co_i32 s14, 0, s18
	s_delay_alu instid0(VALU_DEP_1) | instskip(NEXT) | instid1(TRANS32_DEP_1)
	v_rcp_iflag_f32_e32 v1, v1
	v_mul_f32_e32 v1, 0x4f7ffffe, v1
	s_delay_alu instid0(VALU_DEP_1) | instskip(NEXT) | instid1(VALU_DEP_1)
	v_cvt_u32_f32_e32 v1, v1
	v_readfirstlane_b32 s9, v1
	s_mul_i32 s14, s14, s9
	s_delay_alu instid0(SALU_CYCLE_1) | instskip(NEXT) | instid1(SALU_CYCLE_1)
	s_mul_hi_u32 s14, s9, s14
	s_add_co_i32 s9, s9, s14
	s_wait_alu 0xfffe
	s_mul_hi_u32 s9, s2, s9
	s_wait_alu 0xfffe
	s_mul_i32 s14, s9, s18
	s_add_co_i32 s15, s9, 1
	s_sub_co_i32 s14, s2, s14
	s_delay_alu instid0(SALU_CYCLE_1)
	s_sub_co_i32 s20, s14, s18
	s_cmp_ge_u32 s14, s18
	s_cselect_b32 s9, s15, s9
	s_cselect_b32 s14, s20, s14
	s_wait_alu 0xfffe
	s_add_co_i32 s15, s9, 1
	s_cmp_ge_u32 s14, s18
	s_cselect_b32 s14, s15, s9
	s_mov_b32 s15, s8
.LBB236_15:                             ;   in Loop: Header=BB236_11 Depth=1
	s_load_b64 s[20:21], s[16:17], 0xc8
	s_mul_u64 s[18:19], s[14:15], s[18:19]
	s_add_co_i32 s11, s11, -1
	s_wait_alu 0xfffe
	s_sub_nc_u64 s[2:3], s[2:3], s[18:19]
	s_cmp_gt_u32 s11, 2
	s_add_nc_u64 s[16:17], s[16:17], -8
	s_wait_kmcnt 0x0
	s_wait_alu 0xfffe
	s_mul_u64 s[2:3], s[20:21], s[2:3]
	s_wait_alu 0xfffe
	s_add_nc_u64 s[12:13], s[2:3], s[12:13]
	s_cbranch_scc0 .LBB236_18
; %bb.16:                               ;   in Loop: Header=BB236_11 Depth=1
	s_mov_b64 s[2:3], s[14:15]
	s_branch .LBB236_11
.LBB236_17:
	s_mov_b64 s[14:15], s[2:3]
.LBB236_18:
	s_clause 0x2
	s_load_b64 s[2:3], s[0:1], 0xd0
	s_load_b32 s11, s[0:1], 0x360
	s_load_b64 s[8:9], s[0:1], 0x0
	v_and_b32_e32 v41, 0x3ff, v0
	s_wait_kmcnt 0x0
	s_mul_u64 s[2:3], s[2:3], s[6:7]
	s_bitcmp1_b32 s11, 0
	s_mov_b32 s6, 0xffff
	s_cselect_b32 s11, -1, 0
	s_delay_alu instid0(SALU_CYCLE_1)
	s_and_b32 s7, s11, exec_lo
	s_wait_alu 0xfffe
	s_cselect_b32 s20, s6, 0x7fff
	s_lshl_b64 s[6:7], s[2:3], 1
	v_cmp_gt_u32_e64 s2, s10, v41
	v_mov_b32_e32 v1, s20
	s_wait_alu 0xfffe
	s_add_nc_u64 s[6:7], s[8:9], s[6:7]
	s_lshl_b64 s[4:5], s[4:5], 1
	s_wait_alu 0xfffe
	s_add_nc_u64 s[30:31], s[6:7], s[4:5]
	s_and_saveexec_b32 s3, s2
	s_cbranch_execz .LBB236_20
; %bb.19:
	v_mad_co_u64_u32 v[1:2], null, s22, v41, 0
	s_delay_alu instid0(VALU_DEP_1) | instskip(NEXT) | instid1(VALU_DEP_1)
	v_mad_co_u64_u32 v[2:3], null, s23, v41, v[2:3]
	v_lshlrev_b64_e32 v[1:2], 1, v[1:2]
	s_delay_alu instid0(VALU_DEP_1) | instskip(NEXT) | instid1(VALU_DEP_1)
	v_add_co_u32 v1, vcc_lo, s30, v1
	v_add_co_ci_u32_e64 v2, null, s31, v2, vcc_lo
	global_load_u16 v1, v[1:2], off
.LBB236_20:
	s_wait_alu 0xfffe
	s_or_b32 exec_lo, exec_lo, s3
	v_dual_mov_b32 v2, s20 :: v_dual_add_nc_u32 v17, 0x100, v41
	s_delay_alu instid0(VALU_DEP_1)
	v_cmp_gt_u32_e64 s3, s10, v17
	s_and_saveexec_b32 s4, s3
	s_cbranch_execz .LBB236_22
; %bb.21:
	v_mad_co_u64_u32 v[2:3], null, s22, v17, 0
	s_delay_alu instid0(VALU_DEP_1) | instskip(NEXT) | instid1(VALU_DEP_1)
	v_mad_co_u64_u32 v[3:4], null, s23, v17, v[3:4]
	v_lshlrev_b64_e32 v[2:3], 1, v[2:3]
	s_delay_alu instid0(VALU_DEP_1) | instskip(SKIP_1) | instid1(VALU_DEP_2)
	v_add_co_u32 v2, vcc_lo, s30, v2
	s_wait_alu 0xfffd
	v_add_co_ci_u32_e64 v3, null, s31, v3, vcc_lo
	global_load_u16 v2, v[2:3], off
.LBB236_22:
	s_or_b32 exec_lo, exec_lo, s4
	v_dual_mov_b32 v3, s20 :: v_dual_add_nc_u32 v18, 0x200, v41
	s_delay_alu instid0(VALU_DEP_1)
	v_cmp_gt_u32_e64 s4, s10, v18
	s_and_saveexec_b32 s5, s4
	s_cbranch_execz .LBB236_24
; %bb.23:
	v_mad_co_u64_u32 v[3:4], null, s22, v18, 0
	s_delay_alu instid0(VALU_DEP_1) | instskip(NEXT) | instid1(VALU_DEP_1)
	v_mad_co_u64_u32 v[4:5], null, s23, v18, v[4:5]
	v_lshlrev_b64_e32 v[3:4], 1, v[3:4]
	s_delay_alu instid0(VALU_DEP_1) | instskip(SKIP_1) | instid1(VALU_DEP_2)
	v_add_co_u32 v3, vcc_lo, s30, v3
	s_wait_alu 0xfffd
	v_add_co_ci_u32_e64 v4, null, s31, v4, vcc_lo
	global_load_u16 v3, v[3:4], off
.LBB236_24:
	s_or_b32 exec_lo, exec_lo, s5
	v_dual_mov_b32 v4, s20 :: v_dual_add_nc_u32 v19, 0x300, v41
	s_delay_alu instid0(VALU_DEP_1)
	v_cmp_gt_u32_e64 s5, s10, v19
	s_and_saveexec_b32 s6, s5
	s_cbranch_execz .LBB236_26
; %bb.25:
	v_mad_co_u64_u32 v[4:5], null, s22, v19, 0
	s_delay_alu instid0(VALU_DEP_1) | instskip(NEXT) | instid1(VALU_DEP_1)
	v_mad_co_u64_u32 v[5:6], null, s23, v19, v[5:6]
	v_lshlrev_b64_e32 v[4:5], 1, v[4:5]
	s_delay_alu instid0(VALU_DEP_1) | instskip(SKIP_1) | instid1(VALU_DEP_2)
	v_add_co_u32 v4, vcc_lo, s30, v4
	s_wait_alu 0xfffd
	v_add_co_ci_u32_e64 v5, null, s31, v5, vcc_lo
	global_load_u16 v4, v[4:5], off
.LBB236_26:
	s_wait_alu 0xfffe
	s_or_b32 exec_lo, exec_lo, s6
	v_or_b32_e32 v20, 0x400, v41
	v_mov_b32_e32 v5, s20
	s_delay_alu instid0(VALU_DEP_2)
	v_cmp_gt_u32_e64 s6, s10, v20
	s_and_saveexec_b32 s7, s6
	s_cbranch_execz .LBB236_28
; %bb.27:
	v_mad_co_u64_u32 v[5:6], null, s22, v20, 0
	s_delay_alu instid0(VALU_DEP_1) | instskip(NEXT) | instid1(VALU_DEP_1)
	v_mad_co_u64_u32 v[6:7], null, s23, v20, v[6:7]
	v_lshlrev_b64_e32 v[5:6], 1, v[5:6]
	s_delay_alu instid0(VALU_DEP_1) | instskip(SKIP_1) | instid1(VALU_DEP_2)
	v_add_co_u32 v5, vcc_lo, s30, v5
	s_wait_alu 0xfffd
	v_add_co_ci_u32_e64 v6, null, s31, v6, vcc_lo
	global_load_u16 v5, v[5:6], off
.LBB236_28:
	s_wait_alu 0xfffe
	s_or_b32 exec_lo, exec_lo, s7
	v_dual_mov_b32 v6, s20 :: v_dual_add_nc_u32 v21, 0x500, v41
	s_delay_alu instid0(VALU_DEP_1)
	v_cmp_gt_u32_e64 s7, s10, v21
	s_and_saveexec_b32 s8, s7
	s_cbranch_execz .LBB236_30
; %bb.29:
	v_mad_co_u64_u32 v[6:7], null, s22, v21, 0
	s_delay_alu instid0(VALU_DEP_1) | instskip(NEXT) | instid1(VALU_DEP_1)
	v_mad_co_u64_u32 v[7:8], null, s23, v21, v[7:8]
	v_lshlrev_b64_e32 v[6:7], 1, v[6:7]
	s_delay_alu instid0(VALU_DEP_1) | instskip(SKIP_1) | instid1(VALU_DEP_2)
	v_add_co_u32 v6, vcc_lo, s30, v6
	s_wait_alu 0xfffd
	v_add_co_ci_u32_e64 v7, null, s31, v7, vcc_lo
	global_load_u16 v6, v[6:7], off
.LBB236_30:
	s_wait_alu 0xfffe
	s_or_b32 exec_lo, exec_lo, s8
	v_dual_mov_b32 v7, s20 :: v_dual_add_nc_u32 v22, 0x600, v41
	s_delay_alu instid0(VALU_DEP_1)
	v_cmp_gt_u32_e64 s8, s10, v22
	s_and_saveexec_b32 s9, s8
	s_cbranch_execz .LBB236_32
; %bb.31:
	v_mad_co_u64_u32 v[7:8], null, s22, v22, 0
	s_delay_alu instid0(VALU_DEP_1) | instskip(NEXT) | instid1(VALU_DEP_1)
	v_mad_co_u64_u32 v[8:9], null, s23, v22, v[8:9]
	v_lshlrev_b64_e32 v[7:8], 1, v[7:8]
	s_delay_alu instid0(VALU_DEP_1) | instskip(SKIP_1) | instid1(VALU_DEP_2)
	v_add_co_u32 v7, vcc_lo, s30, v7
	s_wait_alu 0xfffd
	v_add_co_ci_u32_e64 v8, null, s31, v8, vcc_lo
	global_load_u16 v7, v[7:8], off
.LBB236_32:
	s_wait_alu 0xfffe
	s_or_b32 exec_lo, exec_lo, s9
	s_clause 0x1
	s_load_b64 s[18:19], s[0:1], 0x288
	s_load_b64 s[16:17], s[0:1], 0x1b8
	v_dual_mov_b32 v8, s20 :: v_dual_add_nc_u32 v23, 0x700, v41
	s_delay_alu instid0(VALU_DEP_1)
	v_cmp_gt_u32_e64 s9, s10, v23
	s_and_saveexec_b32 s10, s9
	s_cbranch_execz .LBB236_34
; %bb.33:
	v_mad_co_u64_u32 v[8:9], null, s22, v23, 0
	s_delay_alu instid0(VALU_DEP_1) | instskip(NEXT) | instid1(VALU_DEP_1)
	v_mad_co_u64_u32 v[9:10], null, s23, v23, v[9:10]
	v_lshlrev_b64_e32 v[8:9], 1, v[8:9]
	s_delay_alu instid0(VALU_DEP_1) | instskip(SKIP_1) | instid1(VALU_DEP_2)
	v_add_co_u32 v8, vcc_lo, s30, v8
	s_wait_alu 0xfffd
	v_add_co_ci_u32_e64 v9, null, s31, v9, vcc_lo
	global_load_u16 v8, v[8:9], off
.LBB236_34:
	s_wait_alu 0xfffe
	s_or_b32 exec_lo, exec_lo, s10
	v_lshrrev_b32_e32 v9, 4, v41
	v_lshrrev_b32_e32 v10, 4, v17
	;; [unrolled: 1-line block ×3, first 2 shown]
	v_lshlrev_b32_e32 v12, 1, v41
	v_lshrrev_b32_e32 v13, 4, v19
	v_and_b32_e32 v9, 60, v9
	v_and_b32_e32 v10, 0x7c, v10
	;; [unrolled: 1-line block ×3, first 2 shown]
	v_lshrrev_b32_e32 v14, 4, v23
	s_load_b64 s[28:29], s[0:1], 0x358
	v_add_nc_u32_e32 v46, v9, v12
	v_add_nc_u32_e32 v47, v10, v12
	;; [unrolled: 1-line block ×3, first 2 shown]
	v_and_b32_e32 v9, 0x7c, v13
	v_lshrrev_b32_e32 v10, 4, v20
	v_lshrrev_b32_e32 v11, 4, v21
	;; [unrolled: 1-line block ×3, first 2 shown]
	s_wait_kmcnt 0x0
	s_mul_u64 s[14:15], s[18:19], s[14:15]
	v_add_nc_u32_e32 v49, v9, v12
	v_and_b32_e32 v9, 0x7c, v10
	v_and_b32_e32 v10, 0xfc, v11
	;; [unrolled: 1-line block ×4, first 2 shown]
	v_lshrrev_b32_e32 v14, 1, v41
	v_add_nc_u32_e32 v50, v9, v12
	v_add_nc_u32_e32 v51, v10, v12
	;; [unrolled: 1-line block ×4, first 2 shown]
	v_and_b32_e32 v9, 0x1fc, v14
	v_mov_b32_e32 v11, 0
	v_mov_b32_e32 v12, 0
	s_wait_loadcnt 0x0
	ds_store_b16 v46, v1
	ds_store_b16 v47, v2 offset:512
	ds_store_b16 v48, v3 offset:1024
	ds_store_b16 v49, v4 offset:1536
	ds_store_b16 v50, v5 offset:2048
	ds_store_b16 v51, v6 offset:2560
	ds_store_b16 v52, v7 offset:3072
	ds_store_b16 v53, v8 offset:3584
	s_wait_dscnt 0x0
	v_lshl_add_u32 v54, v41, 4, v9
	s_barrier_signal -1
	s_barrier_wait -1
	global_inv scope:SCOPE_SE
	ds_load_2addr_b32 v[44:45], v54 offset1:1
	ds_load_2addr_b32 v[42:43], v54 offset0:2 offset1:3
	v_mov_b32_e32 v1, 0
	s_lshl_b64 s[14:15], s[14:15], 3
	s_lshl_b64 s[12:13], s[12:13], 3
	s_add_nc_u64 s[14:15], s[16:17], s[14:15]
	s_wait_loadcnt_dscnt 0x0
	v_dual_mov_b32 v2, v1 :: v_dual_mov_b32 v13, v1
	v_dual_mov_b32 v14, v1 :: v_dual_mov_b32 v15, v1
	;; [unrolled: 1-line block ×6, first 2 shown]
	v_mov_b32_e32 v10, v1
	s_add_nc_u64 s[34:35], s[14:15], s[12:13]
	s_barrier_signal -1
	s_barrier_wait -1
	global_inv scope:SCOPE_SE
	s_and_saveexec_b32 s0, s2
	s_cbranch_execnz .LBB236_90
; %bb.35:
	s_or_b32 exec_lo, exec_lo, s0
	s_and_saveexec_b32 s0, s3
	s_cbranch_execnz .LBB236_91
.LBB236_36:
	s_or_b32 exec_lo, exec_lo, s0
	s_and_saveexec_b32 s0, s4
	s_cbranch_execnz .LBB236_92
.LBB236_37:
	s_or_b32 exec_lo, exec_lo, s0
	s_and_saveexec_b32 s0, s5
	s_cbranch_execnz .LBB236_93
.LBB236_38:
	s_or_b32 exec_lo, exec_lo, s0
	s_and_saveexec_b32 s0, s6
	s_cbranch_execnz .LBB236_94
.LBB236_39:
	s_or_b32 exec_lo, exec_lo, s0
	s_and_saveexec_b32 s0, s7
	s_cbranch_execnz .LBB236_95
.LBB236_40:
	s_or_b32 exec_lo, exec_lo, s0
	s_and_saveexec_b32 s0, s8
	s_cbranch_execz .LBB236_42
.LBB236_41:
	v_mad_co_u64_u32 v[7:8], null, s28, v22, 0
	s_delay_alu instid0(VALU_DEP_1) | instskip(NEXT) | instid1(VALU_DEP_1)
	v_mad_co_u64_u32 v[24:25], null, s29, v22, v[8:9]
	v_mov_b32_e32 v8, v24
	s_delay_alu instid0(VALU_DEP_1) | instskip(NEXT) | instid1(VALU_DEP_1)
	v_lshlrev_b64_e32 v[7:8], 3, v[7:8]
	v_add_co_u32 v7, vcc_lo, s34, v7
	s_wait_alu 0xfffd
	s_delay_alu instid0(VALU_DEP_2)
	v_add_co_ci_u32_e64 v8, null, s35, v8, vcc_lo
	global_load_b64 v[7:8], v[7:8], off
.LBB236_42:
	s_or_b32 exec_lo, exec_lo, s0
	v_lshrrev_b32_e32 v66, 5, v41
	v_lshrrev_b32_e32 v27, 5, v17
	;; [unrolled: 1-line block ×8, first 2 shown]
	v_lshlrev_b32_e32 v64, 3, v41
	v_lshrrev_b32_e32 v17, 2, v41
	s_xor_b32 s0, s11, -1
	s_and_saveexec_b32 s1, s9
	s_cbranch_execz .LBB236_44
; %bb.43:
	v_mad_co_u64_u32 v[9:10], null, s28, v23, 0
	s_wait_loadcnt 0x0
	s_delay_alu instid0(VALU_DEP_1) | instskip(NEXT) | instid1(VALU_DEP_1)
	v_mad_co_u64_u32 v[21:22], null, s29, v23, v[10:11]
	v_mov_b32_e32 v10, v21
	s_delay_alu instid0(VALU_DEP_1) | instskip(NEXT) | instid1(VALU_DEP_1)
	v_lshlrev_b64_e32 v[9:10], 3, v[9:10]
	v_add_co_u32 v9, vcc_lo, s34, v9
	s_wait_alu 0xfffd
	s_delay_alu instid0(VALU_DEP_2)
	v_add_co_ci_u32_e64 v10, null, s35, v10, vcc_lo
	global_load_b64 v[9:10], v[9:10], off
.LBB236_44:
	s_or_b32 exec_lo, exec_lo, s1
	v_lshl_add_u32 v55, v66, 3, v64
	v_lshl_add_u32 v56, v27, 3, v64
	;; [unrolled: 1-line block ×5, first 2 shown]
	s_wait_loadcnt 0x0
	ds_store_b64 v55, v[11:12]
	ds_store_b64 v56, v[1:2] offset:2048
	ds_store_b64 v57, v[13:14] offset:4096
	;; [unrolled: 1-line block ×3, first 2 shown]
	v_lshlrev_b32_e32 v1, 3, v64
	v_lshl_add_u32 v60, v20, 3, v64
	v_lshl_add_u32 v61, v19, 3, v64
	;; [unrolled: 1-line block ×3, first 2 shown]
	ds_store_b64 v59, v[3:4] offset:8192
	ds_store_b64 v60, v[5:6] offset:10240
	;; [unrolled: 1-line block ×4, first 2 shown]
	v_lshl_add_u32 v63, v17, 3, v1
	s_wait_dscnt 0x0
	s_barrier_signal -1
	s_barrier_wait -1
	global_inv scope:SCOPE_SE
	ds_load_2addr_b64 v[13:16], v63 offset1:1
	ds_load_2addr_b64 v[9:12], v63 offset0:2 offset1:3
	ds_load_2addr_b64 v[5:8], v63 offset0:4 offset1:5
	;; [unrolled: 1-line block ×3, first 2 shown]
	v_bfe_u32 v69, v0, 10, 10
	v_bfe_u32 v70, v0, 20, 10
	v_mbcnt_lo_u32_b32 v67, -1, 0
	v_and_b32_e32 v68, 0x3e0, v41
	v_lshlrev_b32_e32 v65, 2, v64
	s_and_b32 vcc_lo, exec_lo, s0
	s_wait_loadcnt_dscnt 0x0
	s_barrier_signal -1
	s_barrier_wait -1
	global_inv scope:SCOPE_SE
	s_wait_alu 0xfffe
	s_cbranch_vccz .LBB236_96
; %bb.45:
	v_pk_ashrrev_i16 v0, 15, v44 op_sel_hi:[0,1]
	v_pk_ashrrev_i16 v17, 15, v45 op_sel_hi:[0,1]
	;; [unrolled: 1-line block ×4, first 2 shown]
	v_or_b32_e32 v21, v67, v68
	v_or_b32_e32 v0, 0x80008000, v0
	;; [unrolled: 1-line block ×5, first 2 shown]
	v_and_or_b32 v82, 0x1f00, v64, v67
	s_mov_b32 s12, 0
	v_xor_b32_e32 v17, v0, v44
	v_xor_b32_e32 v18, v20, v45
	;; [unrolled: 1-line block ×4, first 2 shown]
	s_mov_b32 s13, s12
	s_mov_b32 s14, s12
	;; [unrolled: 1-line block ×3, first 2 shown]
	v_lshlrev_b32_e32 v23, 4, v21
	v_lshlrev_b32_e32 v71, 1, v82
	s_getpc_b64 s[0:1]
	s_sext_i32_i16 s1, s1
	s_add_co_u32 s0, s0, _ZN7rocprim17ROCPRIM_400000_NS16block_radix_sortI6__halfLj256ELj8ElLj1ELj1ELj0ELNS0_26block_radix_rank_algorithmE1ELNS0_18block_padding_hintE2ELNS0_4arch9wavefront6targetE0EE19radix_bits_per_passE@rel32@lo+8
	s_add_co_ci_u32 s1, s1, _ZN7rocprim17ROCPRIM_400000_NS16block_radix_sortI6__halfLj256ELj8ElLj1ELj1ELj0ELNS0_26block_radix_rank_algorithmE1ELNS0_18block_padding_hintE2ELNS0_4arch9wavefront6targetE0EE19radix_bits_per_passE@rel32@hi+16
	s_load_b32 s20, s[0:1], 0x0
	ds_store_b128 v23, v[17:20]
	; wave barrier
	ds_load_u16 v72, v71
	v_mad_u32_u24 v0, v21, 48, v23
	ds_load_u16 v73, v71 offset:64
	ds_load_u16 v74, v71 offset:128
	;; [unrolled: 1-line block ×7, first 2 shown]
	s_wait_loadcnt_dscnt 0x0
	s_barrier_signal -1
	s_barrier_wait -1
	global_inv scope:SCOPE_SE
	ds_store_b128 v0, v[13:16]
	ds_store_b128 v0, v[9:12] offset:16
	ds_store_b128 v0, v[5:8] offset:32
	;; [unrolled: 1-line block ×3, first 2 shown]
	v_mad_u32_u24 v29, v82, 6, v71
	; wave barrier
	s_wait_kmcnt 0x0
	s_min_u32 s0, s20, 16
	s_delay_alu instid0(SALU_CYCLE_1) | instskip(SKIP_4) | instid1(VALU_DEP_1)
	s_lshl_b32 s0, -1, s0
	v_cmp_ne_u16_e32 vcc_lo, 0x7fff, v72
	s_not_b32 s1, s0
	s_wait_alu 0xfffd
	v_cndmask_b32_e32 v17, 0xffff8000, v72, vcc_lo
	v_and_b32_e32 v17, 0xffff, v17
	s_delay_alu instid0(VALU_DEP_1)
	v_and_b32_e32 v40, s1, v17
	ds_load_2addr_b64 v[17:20], v29 offset1:32
	ds_load_2addr_b64 v[25:28], v29 offset0:64 offset1:96
	ds_load_2addr_b64 v[21:24], v29 offset0:128 offset1:160
	;; [unrolled: 1-line block ×3, first 2 shown]
	s_wait_loadcnt_dscnt 0x0
	v_and_b32_e32 v0, 1, v40
	v_lshlrev_b32_e32 v33, 30, v40
	v_lshlrev_b32_e32 v36, 28, v40
	s_barrier_signal -1
	s_barrier_wait -1
	v_add_co_u32 v0, s0, v0, -1
	s_wait_alu 0xf1ff
	v_cndmask_b32_e64 v34, 0, 1, s0
	v_not_b32_e32 v35, v33
	v_cmp_gt_i32_e64 s0, 0, v33
	global_inv scope:SCOPE_SE
	v_cmp_ne_u32_e32 vcc_lo, 0, v34
	v_lshlrev_b32_e32 v34, 29, v40
	v_ashrrev_i32_e32 v33, 31, v35
	s_wait_alu 0xfffd
	v_xor_b32_e32 v0, vcc_lo, v0
	s_delay_alu instid0(VALU_DEP_3)
	v_not_b32_e32 v35, v34
	s_wait_alu 0xf1ff
	v_xor_b32_e32 v33, s0, v33
	v_cmp_gt_i32_e32 vcc_lo, 0, v34
	s_load_b32 s0, s[36:37], 0xc
	v_and_b32_e32 v0, exec_lo, v0
	v_ashrrev_i32_e32 v34, 31, v35
	v_not_b32_e32 v35, v36
	s_delay_alu instid0(VALU_DEP_3) | instskip(SKIP_1) | instid1(VALU_DEP_4)
	v_and_b32_e32 v0, v0, v33
	v_lshlrev_b32_e32 v33, 27, v40
	v_xor_b32_e32 v34, vcc_lo, v34
	v_cmp_gt_i32_e32 vcc_lo, 0, v36
	v_ashrrev_i32_e32 v35, 31, v35
	s_delay_alu instid0(VALU_DEP_4) | instskip(NEXT) | instid1(VALU_DEP_4)
	v_not_b32_e32 v36, v33
	v_and_b32_e32 v0, v0, v34
	v_lshlrev_b32_e32 v34, 26, v40
	s_wait_alu 0xfffd
	v_xor_b32_e32 v35, vcc_lo, v35
	v_cmp_gt_i32_e32 vcc_lo, 0, v33
	v_ashrrev_i32_e32 v33, 31, v36
	v_not_b32_e32 v36, v34
	s_delay_alu instid0(VALU_DEP_4)
	v_and_b32_e32 v0, v0, v35
	v_lshlrev_b32_e32 v35, 25, v40
	s_wait_alu 0xfffd
	v_xor_b32_e32 v33, vcc_lo, v33
	v_cmp_gt_i32_e32 vcc_lo, 0, v34
	v_ashrrev_i32_e32 v34, 31, v36
	s_wait_kmcnt 0x0
	s_lshr_b32 s10, s0, 16
	v_not_b32_e32 v36, v35
	v_and_b32_e32 v0, v0, v33
	v_lshlrev_b32_e32 v33, 24, v40
	s_wait_alu 0xfffd
	v_xor_b32_e32 v34, vcc_lo, v34
	v_cmp_gt_i32_e32 vcc_lo, 0, v35
	v_ashrrev_i32_e32 v35, 31, v36
	s_wait_alu 0xfffe
	v_mad_u32_u24 v37, v70, s10, v69
	v_not_b32_e32 v36, v33
	v_and_b32_e32 v0, v0, v34
	s_and_b32 s0, s0, 0xffff
	s_wait_alu 0xfffd
	v_xor_b32_e32 v34, vcc_lo, v35
	v_cmp_gt_i32_e32 vcc_lo, 0, v33
	v_ashrrev_i32_e32 v33, 31, v36
	s_wait_alu 0xfffe
	v_mad_co_u64_u32 v[38:39], null, v37, s0, v[41:42]
	v_dual_mov_b32 v37, s15 :: v_dual_and_b32 v0, v0, v34
	s_wait_alu 0xfffd
	v_xor_b32_e32 v33, vcc_lo, v33
	v_dual_mov_b32 v36, s14 :: v_dual_mov_b32 v35, s13
	v_mov_b32_e32 v34, s12
	ds_store_b128 v65, v[34:37] offset:32
	ds_store_b128 v65, v[34:37] offset:48
	v_and_b32_e32 v33, v0, v33
	v_lshrrev_b32_e32 v0, 5, v38
	v_lshlrev_b32_e32 v34, 5, v40
	s_wait_loadcnt_dscnt 0x0
	s_barrier_signal -1
	v_mbcnt_lo_u32_b32 v84, v33, 0
	v_lshlrev_b32_e32 v0, 2, v0
	v_cmp_ne_u32_e64 s0, 0, v33
	s_barrier_wait -1
	global_inv scope:SCOPE_SE
	v_cmp_eq_u32_e32 vcc_lo, 0, v84
	v_add_nc_u32_e32 v85, v0, v34
	; wave barrier
	s_and_b32 s10, s0, vcc_lo
	s_wait_alu 0xfffe
	s_and_saveexec_b32 s0, s10
; %bb.46:
	v_bcnt_u32_b32 v33, v33, 0
	ds_store_b32 v85, v33 offset:32
; %bb.47:
	s_wait_alu 0xfffe
	s_or_b32 exec_lo, exec_lo, s0
	v_cmp_ne_u16_e32 vcc_lo, 0x7fff, v73
	; wave barrier
	s_wait_alu 0xfffd
	v_cndmask_b32_e32 v33, 0xffff8000, v73, vcc_lo
	s_delay_alu instid0(VALU_DEP_1) | instskip(NEXT) | instid1(VALU_DEP_1)
	v_and_b32_e32 v33, 0xffff, v33
	v_and_b32_e32 v33, s1, v33
	s_delay_alu instid0(VALU_DEP_1)
	v_and_b32_e32 v34, 1, v33
	v_lshlrev_b32_e32 v35, 30, v33
	v_lshlrev_b32_e32 v36, 29, v33
	;; [unrolled: 1-line block ×4, first 2 shown]
	v_add_co_u32 v34, s0, v34, -1
	s_wait_alu 0xf1ff
	v_cndmask_b32_e64 v38, 0, 1, s0
	v_not_b32_e32 v81, v35
	v_cmp_gt_i32_e64 s0, 0, v35
	v_not_b32_e32 v35, v36
	v_lshlrev_b32_e32 v40, 26, v33
	v_cmp_ne_u32_e32 vcc_lo, 0, v38
	v_ashrrev_i32_e32 v81, 31, v81
	v_lshlrev_b32_e32 v80, 25, v33
	v_ashrrev_i32_e32 v35, 31, v35
	v_lshlrev_b32_e32 v38, 24, v33
	s_wait_alu 0xfffd
	v_xor_b32_e32 v34, vcc_lo, v34
	v_cmp_gt_i32_e32 vcc_lo, 0, v36
	v_not_b32_e32 v36, v37
	s_wait_alu 0xf1ff
	v_xor_b32_e32 v81, s0, v81
	v_cmp_gt_i32_e64 s0, 0, v37
	v_and_b32_e32 v34, exec_lo, v34
	v_not_b32_e32 v37, v39
	v_ashrrev_i32_e32 v36, 31, v36
	s_wait_alu 0xfffd
	v_xor_b32_e32 v35, vcc_lo, v35
	v_cmp_gt_i32_e32 vcc_lo, 0, v39
	v_and_b32_e32 v34, v34, v81
	v_not_b32_e32 v39, v40
	v_ashrrev_i32_e32 v37, 31, v37
	s_wait_alu 0xf1ff
	v_xor_b32_e32 v36, s0, v36
	v_cmp_gt_i32_e64 s0, 0, v40
	v_and_b32_e32 v34, v34, v35
	v_not_b32_e32 v35, v80
	v_ashrrev_i32_e32 v39, 31, v39
	s_wait_alu 0xfffd
	v_xor_b32_e32 v37, vcc_lo, v37
	v_cmp_gt_i32_e32 vcc_lo, 0, v80
	v_and_b32_e32 v34, v34, v36
	v_not_b32_e32 v36, v38
	v_ashrrev_i32_e32 v35, 31, v35
	s_wait_alu 0xf1ff
	v_xor_b32_e32 v39, s0, v39
	v_lshlrev_b32_e32 v33, 5, v33
	v_and_b32_e32 v34, v34, v37
	v_cmp_gt_i32_e64 s0, 0, v38
	v_ashrrev_i32_e32 v36, 31, v36
	s_wait_alu 0xfffd
	v_xor_b32_e32 v35, vcc_lo, v35
	v_add_nc_u32_e32 v88, v0, v33
	v_and_b32_e32 v34, v34, v39
	s_wait_alu 0xf1ff
	v_xor_b32_e32 v33, s0, v36
	ds_load_b32 v86, v88 offset:32
	v_and_b32_e32 v34, v34, v35
	; wave barrier
	s_delay_alu instid0(VALU_DEP_1) | instskip(NEXT) | instid1(VALU_DEP_1)
	v_and_b32_e32 v33, v34, v33
	v_mbcnt_lo_u32_b32 v87, v33, 0
	v_cmp_ne_u32_e64 s0, 0, v33
	s_delay_alu instid0(VALU_DEP_2)
	v_cmp_eq_u32_e32 vcc_lo, 0, v87
	s_and_b32 s10, s0, vcc_lo
	s_wait_alu 0xfffe
	s_and_saveexec_b32 s0, s10
	s_cbranch_execz .LBB236_49
; %bb.48:
	s_wait_dscnt 0x0
	v_bcnt_u32_b32 v33, v33, v86
	ds_store_b32 v88, v33 offset:32
.LBB236_49:
	s_wait_alu 0xfffe
	s_or_b32 exec_lo, exec_lo, s0
	v_cmp_ne_u16_e32 vcc_lo, 0x7fff, v74
	; wave barrier
	s_wait_alu 0xfffd
	v_cndmask_b32_e32 v33, 0xffff8000, v74, vcc_lo
	s_delay_alu instid0(VALU_DEP_1) | instskip(NEXT) | instid1(VALU_DEP_1)
	v_and_b32_e32 v33, 0xffff, v33
	v_and_b32_e32 v33, s1, v33
	s_delay_alu instid0(VALU_DEP_1)
	v_and_b32_e32 v34, 1, v33
	v_lshlrev_b32_e32 v35, 30, v33
	v_lshlrev_b32_e32 v36, 29, v33
	;; [unrolled: 1-line block ×4, first 2 shown]
	v_add_co_u32 v34, s0, v34, -1
	s_wait_alu 0xf1ff
	v_cndmask_b32_e64 v38, 0, 1, s0
	v_not_b32_e32 v81, v35
	v_cmp_gt_i32_e64 s0, 0, v35
	v_not_b32_e32 v35, v36
	v_lshlrev_b32_e32 v40, 26, v33
	v_cmp_ne_u32_e32 vcc_lo, 0, v38
	v_ashrrev_i32_e32 v81, 31, v81
	v_lshlrev_b32_e32 v80, 25, v33
	v_ashrrev_i32_e32 v35, 31, v35
	v_lshlrev_b32_e32 v38, 24, v33
	s_wait_alu 0xfffd
	v_xor_b32_e32 v34, vcc_lo, v34
	v_cmp_gt_i32_e32 vcc_lo, 0, v36
	v_not_b32_e32 v36, v37
	s_wait_alu 0xf1ff
	v_xor_b32_e32 v81, s0, v81
	v_cmp_gt_i32_e64 s0, 0, v37
	v_and_b32_e32 v34, exec_lo, v34
	v_not_b32_e32 v37, v39
	v_ashrrev_i32_e32 v36, 31, v36
	s_wait_alu 0xfffd
	v_xor_b32_e32 v35, vcc_lo, v35
	v_cmp_gt_i32_e32 vcc_lo, 0, v39
	v_and_b32_e32 v34, v34, v81
	v_not_b32_e32 v39, v40
	v_ashrrev_i32_e32 v37, 31, v37
	s_wait_alu 0xf1ff
	v_xor_b32_e32 v36, s0, v36
	v_cmp_gt_i32_e64 s0, 0, v40
	v_and_b32_e32 v34, v34, v35
	v_not_b32_e32 v35, v80
	v_ashrrev_i32_e32 v39, 31, v39
	s_wait_alu 0xfffd
	v_xor_b32_e32 v37, vcc_lo, v37
	v_cmp_gt_i32_e32 vcc_lo, 0, v80
	v_and_b32_e32 v34, v34, v36
	v_not_b32_e32 v36, v38
	v_ashrrev_i32_e32 v35, 31, v35
	s_wait_alu 0xf1ff
	v_xor_b32_e32 v39, s0, v39
	v_lshlrev_b32_e32 v33, 5, v33
	v_and_b32_e32 v34, v34, v37
	v_cmp_gt_i32_e64 s0, 0, v38
	v_ashrrev_i32_e32 v36, 31, v36
	s_wait_alu 0xfffd
	v_xor_b32_e32 v35, vcc_lo, v35
	v_add_nc_u32_e32 v91, v0, v33
	v_and_b32_e32 v34, v34, v39
	s_wait_alu 0xf1ff
	v_xor_b32_e32 v33, s0, v36
	ds_load_b32 v89, v91 offset:32
	v_and_b32_e32 v34, v34, v35
	; wave barrier
	s_delay_alu instid0(VALU_DEP_1) | instskip(NEXT) | instid1(VALU_DEP_1)
	v_and_b32_e32 v33, v34, v33
	v_mbcnt_lo_u32_b32 v90, v33, 0
	v_cmp_ne_u32_e64 s0, 0, v33
	s_delay_alu instid0(VALU_DEP_2)
	v_cmp_eq_u32_e32 vcc_lo, 0, v90
	s_and_b32 s10, s0, vcc_lo
	s_wait_alu 0xfffe
	s_and_saveexec_b32 s0, s10
	s_cbranch_execz .LBB236_51
; %bb.50:
	s_wait_dscnt 0x0
	v_bcnt_u32_b32 v33, v33, v89
	ds_store_b32 v91, v33 offset:32
.LBB236_51:
	s_wait_alu 0xfffe
	s_or_b32 exec_lo, exec_lo, s0
	v_cmp_ne_u16_e32 vcc_lo, 0x7fff, v75
	; wave barrier
	s_wait_alu 0xfffd
	v_cndmask_b32_e32 v33, 0xffff8000, v75, vcc_lo
	s_delay_alu instid0(VALU_DEP_1) | instskip(NEXT) | instid1(VALU_DEP_1)
	v_and_b32_e32 v33, 0xffff, v33
	v_and_b32_e32 v33, s1, v33
	s_delay_alu instid0(VALU_DEP_1)
	v_and_b32_e32 v34, 1, v33
	v_lshlrev_b32_e32 v35, 30, v33
	v_lshlrev_b32_e32 v36, 29, v33
	;; [unrolled: 1-line block ×4, first 2 shown]
	v_add_co_u32 v34, s0, v34, -1
	s_wait_alu 0xf1ff
	v_cndmask_b32_e64 v38, 0, 1, s0
	v_not_b32_e32 v81, v35
	v_cmp_gt_i32_e64 s0, 0, v35
	v_not_b32_e32 v35, v36
	v_lshlrev_b32_e32 v40, 26, v33
	v_cmp_ne_u32_e32 vcc_lo, 0, v38
	v_ashrrev_i32_e32 v81, 31, v81
	v_lshlrev_b32_e32 v80, 25, v33
	v_ashrrev_i32_e32 v35, 31, v35
	v_lshlrev_b32_e32 v38, 24, v33
	s_wait_alu 0xfffd
	v_xor_b32_e32 v34, vcc_lo, v34
	v_cmp_gt_i32_e32 vcc_lo, 0, v36
	v_not_b32_e32 v36, v37
	s_wait_alu 0xf1ff
	v_xor_b32_e32 v81, s0, v81
	v_cmp_gt_i32_e64 s0, 0, v37
	v_and_b32_e32 v34, exec_lo, v34
	v_not_b32_e32 v37, v39
	v_ashrrev_i32_e32 v36, 31, v36
	s_wait_alu 0xfffd
	v_xor_b32_e32 v35, vcc_lo, v35
	v_cmp_gt_i32_e32 vcc_lo, 0, v39
	v_and_b32_e32 v34, v34, v81
	v_not_b32_e32 v39, v40
	v_ashrrev_i32_e32 v37, 31, v37
	s_wait_alu 0xf1ff
	v_xor_b32_e32 v36, s0, v36
	v_cmp_gt_i32_e64 s0, 0, v40
	v_and_b32_e32 v34, v34, v35
	v_not_b32_e32 v35, v80
	v_ashrrev_i32_e32 v39, 31, v39
	s_wait_alu 0xfffd
	v_xor_b32_e32 v37, vcc_lo, v37
	v_cmp_gt_i32_e32 vcc_lo, 0, v80
	v_and_b32_e32 v34, v34, v36
	v_not_b32_e32 v36, v38
	v_ashrrev_i32_e32 v35, 31, v35
	s_wait_alu 0xf1ff
	v_xor_b32_e32 v39, s0, v39
	v_lshlrev_b32_e32 v33, 5, v33
	v_and_b32_e32 v34, v34, v37
	v_cmp_gt_i32_e64 s0, 0, v38
	v_ashrrev_i32_e32 v36, 31, v36
	s_wait_alu 0xfffd
	v_xor_b32_e32 v35, vcc_lo, v35
	v_add_nc_u32_e32 v94, v0, v33
	v_and_b32_e32 v34, v34, v39
	s_wait_alu 0xf1ff
	v_xor_b32_e32 v33, s0, v36
	ds_load_b32 v92, v94 offset:32
	v_and_b32_e32 v34, v34, v35
	; wave barrier
	s_delay_alu instid0(VALU_DEP_1) | instskip(NEXT) | instid1(VALU_DEP_1)
	v_and_b32_e32 v33, v34, v33
	v_mbcnt_lo_u32_b32 v93, v33, 0
	v_cmp_ne_u32_e64 s0, 0, v33
	s_delay_alu instid0(VALU_DEP_2)
	v_cmp_eq_u32_e32 vcc_lo, 0, v93
	s_and_b32 s10, s0, vcc_lo
	s_wait_alu 0xfffe
	s_and_saveexec_b32 s0, s10
	s_cbranch_execz .LBB236_53
; %bb.52:
	s_wait_dscnt 0x0
	v_bcnt_u32_b32 v33, v33, v92
	ds_store_b32 v94, v33 offset:32
.LBB236_53:
	s_wait_alu 0xfffe
	s_or_b32 exec_lo, exec_lo, s0
	v_cmp_ne_u16_e32 vcc_lo, 0x7fff, v76
	; wave barrier
	s_wait_alu 0xfffd
	v_cndmask_b32_e32 v33, 0xffff8000, v76, vcc_lo
	s_delay_alu instid0(VALU_DEP_1) | instskip(NEXT) | instid1(VALU_DEP_1)
	v_and_b32_e32 v33, 0xffff, v33
	v_and_b32_e32 v33, s1, v33
	s_delay_alu instid0(VALU_DEP_1)
	v_and_b32_e32 v34, 1, v33
	v_lshlrev_b32_e32 v35, 30, v33
	v_lshlrev_b32_e32 v36, 29, v33
	;; [unrolled: 1-line block ×4, first 2 shown]
	v_add_co_u32 v34, s0, v34, -1
	s_wait_alu 0xf1ff
	v_cndmask_b32_e64 v38, 0, 1, s0
	v_not_b32_e32 v81, v35
	v_cmp_gt_i32_e64 s0, 0, v35
	v_not_b32_e32 v35, v36
	v_lshlrev_b32_e32 v40, 26, v33
	v_cmp_ne_u32_e32 vcc_lo, 0, v38
	v_ashrrev_i32_e32 v81, 31, v81
	v_lshlrev_b32_e32 v80, 25, v33
	v_ashrrev_i32_e32 v35, 31, v35
	v_lshlrev_b32_e32 v38, 24, v33
	s_wait_alu 0xfffd
	v_xor_b32_e32 v34, vcc_lo, v34
	v_cmp_gt_i32_e32 vcc_lo, 0, v36
	v_not_b32_e32 v36, v37
	s_wait_alu 0xf1ff
	v_xor_b32_e32 v81, s0, v81
	v_cmp_gt_i32_e64 s0, 0, v37
	v_and_b32_e32 v34, exec_lo, v34
	v_not_b32_e32 v37, v39
	v_ashrrev_i32_e32 v36, 31, v36
	s_wait_alu 0xfffd
	v_xor_b32_e32 v35, vcc_lo, v35
	v_cmp_gt_i32_e32 vcc_lo, 0, v39
	v_and_b32_e32 v34, v34, v81
	v_not_b32_e32 v39, v40
	v_ashrrev_i32_e32 v37, 31, v37
	s_wait_alu 0xf1ff
	v_xor_b32_e32 v36, s0, v36
	v_cmp_gt_i32_e64 s0, 0, v40
	v_and_b32_e32 v34, v34, v35
	v_not_b32_e32 v35, v80
	v_ashrrev_i32_e32 v39, 31, v39
	s_wait_alu 0xfffd
	v_xor_b32_e32 v37, vcc_lo, v37
	v_cmp_gt_i32_e32 vcc_lo, 0, v80
	v_and_b32_e32 v34, v34, v36
	v_not_b32_e32 v36, v38
	v_ashrrev_i32_e32 v35, 31, v35
	s_wait_alu 0xf1ff
	v_xor_b32_e32 v39, s0, v39
	v_lshlrev_b32_e32 v33, 5, v33
	v_and_b32_e32 v34, v34, v37
	v_cmp_gt_i32_e64 s0, 0, v38
	v_ashrrev_i32_e32 v36, 31, v36
	s_wait_alu 0xfffd
	v_xor_b32_e32 v35, vcc_lo, v35
	v_add_nc_u32_e32 v97, v0, v33
	v_and_b32_e32 v34, v34, v39
	s_wait_alu 0xf1ff
	v_xor_b32_e32 v33, s0, v36
	ds_load_b32 v95, v97 offset:32
	v_and_b32_e32 v34, v34, v35
	; wave barrier
	s_delay_alu instid0(VALU_DEP_1) | instskip(NEXT) | instid1(VALU_DEP_1)
	v_and_b32_e32 v33, v34, v33
	v_mbcnt_lo_u32_b32 v96, v33, 0
	v_cmp_ne_u32_e64 s0, 0, v33
	s_delay_alu instid0(VALU_DEP_2)
	v_cmp_eq_u32_e32 vcc_lo, 0, v96
	s_and_b32 s10, s0, vcc_lo
	s_wait_alu 0xfffe
	s_and_saveexec_b32 s0, s10
	s_cbranch_execz .LBB236_55
; %bb.54:
	s_wait_dscnt 0x0
	v_bcnt_u32_b32 v33, v33, v95
	ds_store_b32 v97, v33 offset:32
.LBB236_55:
	s_wait_alu 0xfffe
	s_or_b32 exec_lo, exec_lo, s0
	v_cmp_ne_u16_e32 vcc_lo, 0x7fff, v77
	; wave barrier
	s_wait_alu 0xfffd
	v_cndmask_b32_e32 v33, 0xffff8000, v77, vcc_lo
	s_delay_alu instid0(VALU_DEP_1) | instskip(NEXT) | instid1(VALU_DEP_1)
	v_and_b32_e32 v33, 0xffff, v33
	v_and_b32_e32 v33, s1, v33
	s_delay_alu instid0(VALU_DEP_1)
	v_and_b32_e32 v34, 1, v33
	v_lshlrev_b32_e32 v35, 30, v33
	v_lshlrev_b32_e32 v36, 29, v33
	;; [unrolled: 1-line block ×4, first 2 shown]
	v_add_co_u32 v34, s0, v34, -1
	s_wait_alu 0xf1ff
	v_cndmask_b32_e64 v38, 0, 1, s0
	v_not_b32_e32 v81, v35
	v_cmp_gt_i32_e64 s0, 0, v35
	v_not_b32_e32 v35, v36
	v_lshlrev_b32_e32 v40, 26, v33
	v_cmp_ne_u32_e32 vcc_lo, 0, v38
	v_ashrrev_i32_e32 v81, 31, v81
	v_lshlrev_b32_e32 v80, 25, v33
	v_ashrrev_i32_e32 v35, 31, v35
	v_lshlrev_b32_e32 v38, 24, v33
	s_wait_alu 0xfffd
	v_xor_b32_e32 v34, vcc_lo, v34
	v_cmp_gt_i32_e32 vcc_lo, 0, v36
	v_not_b32_e32 v36, v37
	s_wait_alu 0xf1ff
	v_xor_b32_e32 v81, s0, v81
	v_cmp_gt_i32_e64 s0, 0, v37
	v_and_b32_e32 v34, exec_lo, v34
	v_not_b32_e32 v37, v39
	v_ashrrev_i32_e32 v36, 31, v36
	s_wait_alu 0xfffd
	v_xor_b32_e32 v35, vcc_lo, v35
	v_cmp_gt_i32_e32 vcc_lo, 0, v39
	v_and_b32_e32 v34, v34, v81
	v_not_b32_e32 v39, v40
	v_ashrrev_i32_e32 v37, 31, v37
	s_wait_alu 0xf1ff
	v_xor_b32_e32 v36, s0, v36
	v_cmp_gt_i32_e64 s0, 0, v40
	v_and_b32_e32 v34, v34, v35
	v_not_b32_e32 v35, v80
	v_ashrrev_i32_e32 v39, 31, v39
	s_wait_alu 0xfffd
	v_xor_b32_e32 v37, vcc_lo, v37
	v_cmp_gt_i32_e32 vcc_lo, 0, v80
	v_and_b32_e32 v34, v34, v36
	v_not_b32_e32 v36, v38
	v_ashrrev_i32_e32 v35, 31, v35
	s_wait_alu 0xf1ff
	v_xor_b32_e32 v39, s0, v39
	v_lshlrev_b32_e32 v33, 5, v33
	v_and_b32_e32 v34, v34, v37
	v_cmp_gt_i32_e64 s0, 0, v38
	v_ashrrev_i32_e32 v36, 31, v36
	s_wait_alu 0xfffd
	v_xor_b32_e32 v35, vcc_lo, v35
	v_add_nc_u32_e32 v100, v0, v33
	v_and_b32_e32 v34, v34, v39
	s_wait_alu 0xf1ff
	v_xor_b32_e32 v33, s0, v36
	ds_load_b32 v98, v100 offset:32
	v_and_b32_e32 v34, v34, v35
	; wave barrier
	s_delay_alu instid0(VALU_DEP_1) | instskip(NEXT) | instid1(VALU_DEP_1)
	v_and_b32_e32 v33, v34, v33
	v_mbcnt_lo_u32_b32 v99, v33, 0
	v_cmp_ne_u32_e64 s0, 0, v33
	s_delay_alu instid0(VALU_DEP_2)
	v_cmp_eq_u32_e32 vcc_lo, 0, v99
	s_and_b32 s10, s0, vcc_lo
	s_wait_alu 0xfffe
	s_and_saveexec_b32 s0, s10
	s_cbranch_execz .LBB236_57
; %bb.56:
	s_wait_dscnt 0x0
	v_bcnt_u32_b32 v33, v33, v98
	ds_store_b32 v100, v33 offset:32
.LBB236_57:
	s_wait_alu 0xfffe
	s_or_b32 exec_lo, exec_lo, s0
	v_cmp_ne_u16_e32 vcc_lo, 0x7fff, v78
	; wave barrier
	s_wait_alu 0xfffd
	v_cndmask_b32_e32 v33, 0xffff8000, v78, vcc_lo
	s_delay_alu instid0(VALU_DEP_1) | instskip(NEXT) | instid1(VALU_DEP_1)
	v_and_b32_e32 v33, 0xffff, v33
	v_and_b32_e32 v33, s1, v33
	s_delay_alu instid0(VALU_DEP_1)
	v_and_b32_e32 v34, 1, v33
	v_lshlrev_b32_e32 v35, 30, v33
	v_lshlrev_b32_e32 v36, 29, v33
	;; [unrolled: 1-line block ×4, first 2 shown]
	v_add_co_u32 v34, s0, v34, -1
	s_wait_alu 0xf1ff
	v_cndmask_b32_e64 v38, 0, 1, s0
	v_not_b32_e32 v81, v35
	v_cmp_gt_i32_e64 s0, 0, v35
	v_not_b32_e32 v35, v36
	v_lshlrev_b32_e32 v40, 26, v33
	v_cmp_ne_u32_e32 vcc_lo, 0, v38
	v_ashrrev_i32_e32 v81, 31, v81
	v_lshlrev_b32_e32 v80, 25, v33
	v_ashrrev_i32_e32 v35, 31, v35
	v_lshlrev_b32_e32 v38, 24, v33
	s_wait_alu 0xfffd
	v_xor_b32_e32 v34, vcc_lo, v34
	v_cmp_gt_i32_e32 vcc_lo, 0, v36
	v_not_b32_e32 v36, v37
	s_wait_alu 0xf1ff
	v_xor_b32_e32 v81, s0, v81
	v_cmp_gt_i32_e64 s0, 0, v37
	v_and_b32_e32 v34, exec_lo, v34
	v_not_b32_e32 v37, v39
	v_ashrrev_i32_e32 v36, 31, v36
	s_wait_alu 0xfffd
	v_xor_b32_e32 v35, vcc_lo, v35
	v_cmp_gt_i32_e32 vcc_lo, 0, v39
	v_and_b32_e32 v34, v34, v81
	v_not_b32_e32 v39, v40
	v_ashrrev_i32_e32 v37, 31, v37
	s_wait_alu 0xf1ff
	v_xor_b32_e32 v36, s0, v36
	v_cmp_gt_i32_e64 s0, 0, v40
	v_and_b32_e32 v34, v34, v35
	v_not_b32_e32 v35, v80
	v_ashrrev_i32_e32 v39, 31, v39
	s_wait_alu 0xfffd
	v_xor_b32_e32 v37, vcc_lo, v37
	v_cmp_gt_i32_e32 vcc_lo, 0, v80
	v_and_b32_e32 v34, v34, v36
	v_not_b32_e32 v36, v38
	v_ashrrev_i32_e32 v35, 31, v35
	s_wait_alu 0xf1ff
	v_xor_b32_e32 v39, s0, v39
	v_lshlrev_b32_e32 v33, 5, v33
	v_and_b32_e32 v34, v34, v37
	v_cmp_gt_i32_e64 s0, 0, v38
	v_ashrrev_i32_e32 v36, 31, v36
	s_wait_alu 0xfffd
	v_xor_b32_e32 v35, vcc_lo, v35
	v_add_nc_u32_e32 v103, v0, v33
	v_and_b32_e32 v34, v34, v39
	s_wait_alu 0xf1ff
	v_xor_b32_e32 v33, s0, v36
	ds_load_b32 v101, v103 offset:32
	v_and_b32_e32 v34, v34, v35
	; wave barrier
	s_delay_alu instid0(VALU_DEP_1) | instskip(NEXT) | instid1(VALU_DEP_1)
	v_and_b32_e32 v33, v34, v33
	v_mbcnt_lo_u32_b32 v102, v33, 0
	v_cmp_ne_u32_e64 s0, 0, v33
	s_delay_alu instid0(VALU_DEP_2)
	v_cmp_eq_u32_e32 vcc_lo, 0, v102
	s_and_b32 s10, s0, vcc_lo
	s_wait_alu 0xfffe
	s_and_saveexec_b32 s0, s10
	s_cbranch_execz .LBB236_59
; %bb.58:
	s_wait_dscnt 0x0
	v_bcnt_u32_b32 v33, v33, v101
	ds_store_b32 v103, v33 offset:32
.LBB236_59:
	s_wait_alu 0xfffe
	s_or_b32 exec_lo, exec_lo, s0
	v_cmp_ne_u16_e32 vcc_lo, 0x7fff, v79
	; wave barrier
	s_wait_alu 0xfffd
	v_cndmask_b32_e32 v33, 0xffff8000, v79, vcc_lo
	s_delay_alu instid0(VALU_DEP_1) | instskip(NEXT) | instid1(VALU_DEP_1)
	v_and_b32_e32 v33, 0xffff, v33
	v_and_b32_e32 v33, s1, v33
	s_delay_alu instid0(VALU_DEP_1)
	v_and_b32_e32 v34, 1, v33
	v_lshlrev_b32_e32 v35, 30, v33
	v_lshlrev_b32_e32 v36, 29, v33
	;; [unrolled: 1-line block ×4, first 2 shown]
	v_add_co_u32 v34, s0, v34, -1
	s_wait_alu 0xf1ff
	v_cndmask_b32_e64 v38, 0, 1, s0
	v_not_b32_e32 v81, v35
	v_cmp_gt_i32_e64 s0, 0, v35
	v_not_b32_e32 v35, v36
	v_lshlrev_b32_e32 v40, 26, v33
	v_cmp_ne_u32_e32 vcc_lo, 0, v38
	v_ashrrev_i32_e32 v81, 31, v81
	v_lshlrev_b32_e32 v80, 25, v33
	v_ashrrev_i32_e32 v35, 31, v35
	v_lshlrev_b32_e32 v38, 24, v33
	s_wait_alu 0xfffd
	v_xor_b32_e32 v34, vcc_lo, v34
	v_cmp_gt_i32_e32 vcc_lo, 0, v36
	v_not_b32_e32 v36, v37
	s_wait_alu 0xf1ff
	v_xor_b32_e32 v81, s0, v81
	v_cmp_gt_i32_e64 s0, 0, v37
	v_and_b32_e32 v34, exec_lo, v34
	v_not_b32_e32 v37, v39
	v_ashrrev_i32_e32 v36, 31, v36
	s_wait_alu 0xfffd
	v_xor_b32_e32 v35, vcc_lo, v35
	v_cmp_gt_i32_e32 vcc_lo, 0, v39
	v_and_b32_e32 v34, v34, v81
	v_not_b32_e32 v39, v40
	v_ashrrev_i32_e32 v37, 31, v37
	s_wait_alu 0xf1ff
	v_xor_b32_e32 v36, s0, v36
	v_cmp_gt_i32_e64 s0, 0, v40
	v_and_b32_e32 v34, v34, v35
	v_not_b32_e32 v35, v80
	v_ashrrev_i32_e32 v39, 31, v39
	s_wait_alu 0xfffd
	v_xor_b32_e32 v37, vcc_lo, v37
	v_cmp_gt_i32_e32 vcc_lo, 0, v80
	v_and_b32_e32 v34, v34, v36
	v_not_b32_e32 v36, v38
	v_ashrrev_i32_e32 v35, 31, v35
	s_wait_alu 0xf1ff
	v_xor_b32_e32 v39, s0, v39
	v_lshlrev_b32_e32 v33, 5, v33
	v_and_b32_e32 v34, v34, v37
	v_cmp_gt_i32_e64 s0, 0, v38
	v_ashrrev_i32_e32 v36, 31, v36
	s_wait_alu 0xfffd
	v_xor_b32_e32 v35, vcc_lo, v35
	v_add_nc_u32_e32 v106, v0, v33
	v_and_b32_e32 v34, v34, v39
	v_min_u32_e32 v80, 0xe0, v68
	s_wait_alu 0xf1ff
	v_xor_b32_e32 v33, s0, v36
	ds_load_b32 v104, v106 offset:32
	v_and_b32_e32 v34, v34, v35
	; wave barrier
	s_delay_alu instid0(VALU_DEP_1) | instskip(NEXT) | instid1(VALU_DEP_1)
	v_and_b32_e32 v33, v34, v33
	v_mbcnt_lo_u32_b32 v105, v33, 0
	v_cmp_ne_u32_e64 s0, 0, v33
	s_delay_alu instid0(VALU_DEP_2)
	v_cmp_eq_u32_e32 vcc_lo, 0, v105
	s_and_b32 s1, s0, vcc_lo
	s_wait_alu 0xfffe
	s_and_saveexec_b32 s0, s1
	s_cbranch_execz .LBB236_61
; %bb.60:
	s_wait_dscnt 0x0
	v_bcnt_u32_b32 v33, v33, v104
	ds_store_b32 v106, v33 offset:32
.LBB236_61:
	s_wait_alu 0xfffe
	s_or_b32 exec_lo, exec_lo, s0
	; wave barrier
	s_wait_loadcnt_dscnt 0x0
	s_barrier_signal -1
	s_barrier_wait -1
	global_inv scope:SCOPE_SE
	ds_load_b128 v[37:40], v65 offset:32
	ds_load_b128 v[33:36], v65 offset:48
	v_and_b32_e32 v107, 16, v67
	v_or_b32_e32 v80, 31, v80
	s_delay_alu instid0(VALU_DEP_2) | instskip(NEXT) | instid1(VALU_DEP_2)
	v_cmp_eq_u32_e64 s17, 0, v107
	v_cmp_eq_u32_e64 s15, v41, v80
	s_wait_dscnt 0x1
	v_add_nc_u32_e32 v81, v38, v37
	s_delay_alu instid0(VALU_DEP_1) | instskip(SKIP_1) | instid1(VALU_DEP_1)
	v_add3_u32 v81, v81, v39, v40
	s_wait_dscnt 0x0
	v_add3_u32 v81, v81, v33, v34
	s_delay_alu instid0(VALU_DEP_1) | instskip(SKIP_1) | instid1(VALU_DEP_2)
	v_add3_u32 v36, v81, v35, v36
	v_and_b32_e32 v81, 15, v67
	v_mov_b32_dpp v83, v36 row_shr:1 row_mask:0xf bank_mask:0xf
	s_delay_alu instid0(VALU_DEP_2)
	v_cmp_eq_u32_e64 s1, 0, v81
	v_cmp_lt_u32_e64 s11, 1, v81
	v_cmp_lt_u32_e64 s12, 3, v81
	;; [unrolled: 1-line block ×3, first 2 shown]
	s_wait_alu 0xf1ff
	v_cndmask_b32_e64 v83, v83, 0, s1
	s_delay_alu instid0(VALU_DEP_1) | instskip(NEXT) | instid1(VALU_DEP_1)
	v_add_nc_u32_e32 v36, v83, v36
	v_mov_b32_dpp v83, v36 row_shr:2 row_mask:0xf bank_mask:0xf
	s_delay_alu instid0(VALU_DEP_1) | instskip(NEXT) | instid1(VALU_DEP_1)
	v_cndmask_b32_e64 v83, 0, v83, s11
	v_add_nc_u32_e32 v36, v36, v83
	s_delay_alu instid0(VALU_DEP_1) | instskip(NEXT) | instid1(VALU_DEP_1)
	v_mov_b32_dpp v83, v36 row_shr:4 row_mask:0xf bank_mask:0xf
	v_cndmask_b32_e64 v83, 0, v83, s12
	s_delay_alu instid0(VALU_DEP_1) | instskip(NEXT) | instid1(VALU_DEP_1)
	v_add_nc_u32_e32 v36, v36, v83
	v_mov_b32_dpp v83, v36 row_shr:8 row_mask:0xf bank_mask:0xf
	s_delay_alu instid0(VALU_DEP_1) | instskip(NEXT) | instid1(VALU_DEP_1)
	v_cndmask_b32_e64 v81, 0, v83, s14
	v_add_nc_u32_e32 v83, v36, v81
	v_bfe_i32 v81, v67, 4, 1
	ds_swizzle_b32 v36, v83 offset:swizzle(BROADCAST,32,15)
	s_wait_dscnt 0x0
	v_and_b32_e32 v108, v81, v36
	v_mul_i32_i24_e32 v36, 0xffffffe4, v41
	v_lshlrev_b32_e32 v81, 2, v66
	s_delay_alu instid0(VALU_DEP_3)
	v_add_nc_u32_e32 v83, v83, v108
	s_and_saveexec_b32 s0, s15
; %bb.62:
	ds_store_b32 v81, v83
; %bb.63:
	s_wait_alu 0xfffe
	s_or_b32 exec_lo, exec_lo, s0
	v_and_b32_e32 v80, 7, v67
	v_cmp_gt_u32_e64 s16, 8, v41
	s_wait_loadcnt_dscnt 0x0
	s_barrier_signal -1
	s_barrier_wait -1
	v_cmp_eq_u32_e64 s13, 0, v80
	v_cmp_lt_u32_e64 s10, 1, v80
	v_cmp_lt_u32_e32 vcc_lo, 3, v80
	v_add_nc_u32_e32 v80, v65, v36
	global_inv scope:SCOPE_SE
	s_and_saveexec_b32 s0, s16
	s_cbranch_execz .LBB236_65
; %bb.64:
	ds_load_b32 v36, v80
	s_wait_dscnt 0x0
	v_mov_b32_dpp v107, v36 row_shr:1 row_mask:0xf bank_mask:0xf
	s_delay_alu instid0(VALU_DEP_1) | instskip(NEXT) | instid1(VALU_DEP_1)
	v_cndmask_b32_e64 v107, v107, 0, s13
	v_add_nc_u32_e32 v36, v107, v36
	s_delay_alu instid0(VALU_DEP_1) | instskip(NEXT) | instid1(VALU_DEP_1)
	v_mov_b32_dpp v107, v36 row_shr:2 row_mask:0xf bank_mask:0xf
	v_cndmask_b32_e64 v107, 0, v107, s10
	s_delay_alu instid0(VALU_DEP_1) | instskip(NEXT) | instid1(VALU_DEP_1)
	v_add_nc_u32_e32 v36, v36, v107
	v_mov_b32_dpp v107, v36 row_shr:4 row_mask:0xf bank_mask:0xf
	s_wait_alu 0xfffd
	s_delay_alu instid0(VALU_DEP_1) | instskip(NEXT) | instid1(VALU_DEP_1)
	v_cndmask_b32_e32 v107, 0, v107, vcc_lo
	v_add_nc_u32_e32 v36, v36, v107
	ds_store_b32 v80, v36
.LBB236_65:
	s_wait_alu 0xfffe
	s_or_b32 exec_lo, exec_lo, s0
	v_mul_u32_u24_e32 v36, 6, v82
	v_sub_co_u32 v107, s0, v67, 1
	v_cmp_lt_u32_e64 s18, 31, v41
	v_add_nc_u32_e32 v82, -4, v81
	v_mov_b32_e32 v108, 0
	s_wait_loadcnt_dscnt 0x0
	s_barrier_signal -1
	s_barrier_wait -1
	global_inv scope:SCOPE_SE
	s_and_saveexec_b32 s19, s18
; %bb.66:
	ds_load_b32 v108, v82
; %bb.67:
	s_wait_alu 0xfffe
	s_or_b32 exec_lo, exec_lo, s19
	v_cmp_gt_i32_e64 s19, 0, v107
	s_mov_b32 s24, 0
	s_min_u32 s20, s20, 8
	s_mov_b32 s25, s24
	s_mov_b32 s26, s24
	v_cndmask_b32_e64 v107, v107, v67, s19
	s_mov_b32 s27, s24
	s_wait_dscnt 0x0
	v_add_nc_u32_e32 v109, v108, v83
	v_cmp_eq_u32_e64 s19, 0, v41
	s_wait_alu 0xfffe
	s_lshl_b32 s20, -1, s20
	v_lshlrev_b32_e32 v83, 2, v107
	s_wait_alu 0xfffe
	s_not_b32 s33, s20
	ds_bpermute_b32 v107, v83, v109
	s_wait_dscnt 0x0
	v_cndmask_b32_e64 v107, v107, v108, s0
	s_delay_alu instid0(VALU_DEP_1) | instskip(NEXT) | instid1(VALU_DEP_1)
	v_cndmask_b32_e64 v107, v107, 0, s19
	v_add_nc_u32_e32 v108, v107, v37
	s_delay_alu instid0(VALU_DEP_1) | instskip(NEXT) | instid1(VALU_DEP_1)
	v_add_nc_u32_e32 v109, v108, v38
	v_add_nc_u32_e32 v110, v109, v39
	s_delay_alu instid0(VALU_DEP_1) | instskip(NEXT) | instid1(VALU_DEP_1)
	v_add_nc_u32_e32 v37, v110, v40
	;; [unrolled: 3-line block ×3, first 2 shown]
	v_add_nc_u32_e32 v40, v39, v35
	ds_store_b128 v65, v[107:110] offset:32
	ds_store_b128 v65, v[37:40] offset:48
	s_wait_loadcnt_dscnt 0x0
	s_barrier_signal -1
	s_barrier_wait -1
	global_inv scope:SCOPE_SE
	ds_load_b32 v33, v85 offset:32
	ds_load_b32 v34, v88 offset:32
	;; [unrolled: 1-line block ×8, first 2 shown]
	v_add_nc_u32_e32 v88, v71, v36
	s_wait_loadcnt_dscnt 0x0
	s_barrier_signal -1
	s_barrier_wait -1
	global_inv scope:SCOPE_SE
	v_add_nc_u32_e32 v84, v33, v84
	v_add3_u32 v86, v87, v86, v34
	v_add3_u32 v87, v90, v89, v35
	;; [unrolled: 1-line block ×7, first 2 shown]
	v_lshlrev_b32_e32 v33, 1, v84
	v_lshlrev_b32_e32 v34, 1, v86
	;; [unrolled: 1-line block ×8, first 2 shown]
	ds_store_b16 v33, v72
	ds_store_b16 v34, v73
	;; [unrolled: 1-line block ×8, first 2 shown]
	s_wait_loadcnt_dscnt 0x0
	s_barrier_signal -1
	s_barrier_wait -1
	global_inv scope:SCOPE_SE
	ds_load_u16 v72, v71
	ds_load_u16 v73, v71 offset:64
	ds_load_u16 v74, v71 offset:128
	;; [unrolled: 1-line block ×7, first 2 shown]
	v_mad_co_u64_u32 v[84:85], null, v84, 6, v[33:34]
	v_mad_co_u64_u32 v[33:34], null, v86, 6, v[34:35]
	;; [unrolled: 1-line block ×3, first 2 shown]
	s_wait_loadcnt_dscnt 0x0
	s_barrier_signal -1
	s_barrier_wait -1
	global_inv scope:SCOPE_SE
	v_mad_co_u64_u32 v[35:36], null, v89, 6, v[36:37]
	v_lshrrev_b16 v79, 8, v72
	v_cmp_ne_u16_e64 s20, 0x7fff, v72
	ds_store_b64 v84, v[17:18]
	v_mad_co_u64_u32 v[36:37], null, v90, 6, v[37:38]
	v_mad_co_u64_u32 v[37:38], null, v91, 6, v[38:39]
	s_wait_alu 0xf1ff
	v_cndmask_b32_e64 v79, 0x80, v79, s20
	v_mad_co_u64_u32 v[38:39], null, v92, 6, v[39:40]
	v_mad_co_u64_u32 v[39:40], null, v93, 6, v[40:41]
	s_delay_alu instid0(VALU_DEP_3)
	v_and_b32_e32 v17, 0xffff, v79
	ds_store_b64 v33, v[19:20]
	ds_store_b64 v34, v[25:26]
	;; [unrolled: 1-line block ×7, first 2 shown]
	v_and_b32_e32 v40, s33, v17
	s_wait_loadcnt_dscnt 0x0
	s_barrier_signal -1
	s_barrier_wait -1
	global_inv scope:SCOPE_SE
	v_and_b32_e32 v17, 1, v40
	v_lshlrev_b32_e32 v18, 30, v40
	v_lshlrev_b32_e32 v19, 29, v40
	;; [unrolled: 1-line block ×4, first 2 shown]
	v_add_co_u32 v17, s20, v17, -1
	s_wait_alu 0xf1ff
	v_cndmask_b32_e64 v21, 0, 1, s20
	v_not_b32_e32 v25, v18
	v_cmp_gt_i32_e64 s21, 0, v18
	v_not_b32_e32 v18, v19
	v_lshlrev_b32_e32 v23, 26, v40
	v_cmp_ne_u32_e64 s20, 0, v21
	v_ashrrev_i32_e32 v25, 31, v25
	v_lshlrev_b32_e32 v24, 25, v40
	v_ashrrev_i32_e32 v18, 31, v18
	v_lshlrev_b32_e32 v21, 24, v40
	s_wait_alu 0xf1ff
	v_xor_b32_e32 v17, s20, v17
	v_cmp_gt_i32_e64 s20, 0, v19
	v_not_b32_e32 v19, v20
	v_xor_b32_e32 v25, s21, v25
	v_cmp_gt_i32_e64 s21, 0, v20
	v_and_b32_e32 v17, exec_lo, v17
	v_not_b32_e32 v20, v22
	v_ashrrev_i32_e32 v19, 31, v19
	s_wait_alu 0xf1ff
	v_xor_b32_e32 v18, s20, v18
	v_cmp_gt_i32_e64 s20, 0, v22
	v_and_b32_e32 v17, v17, v25
	v_not_b32_e32 v22, v23
	v_ashrrev_i32_e32 v20, 31, v20
	v_xor_b32_e32 v19, s21, v19
	v_cmp_gt_i32_e64 s21, 0, v23
	v_and_b32_e32 v17, v17, v18
	v_not_b32_e32 v18, v24
	v_ashrrev_i32_e32 v22, 31, v22
	s_wait_alu 0xf1ff
	v_xor_b32_e32 v20, s20, v20
	v_cmp_gt_i32_e64 s20, 0, v24
	v_and_b32_e32 v17, v17, v19
	v_not_b32_e32 v19, v21
	v_ashrrev_i32_e32 v18, 31, v18
	v_xor_b32_e32 v22, s21, v22
	v_cmp_gt_i32_e64 s21, 0, v21
	v_and_b32_e32 v17, v17, v20
	v_ashrrev_i32_e32 v19, 31, v19
	s_wait_alu 0xf1ff
	v_xor_b32_e32 v18, s20, v18
	v_dual_mov_b32 v37, s27 :: v_dual_mov_b32 v36, s26
	v_and_b32_e32 v17, v17, v22
	v_xor_b32_e32 v33, s21, v19
	ds_load_2addr_b64 v[21:24], v88 offset1:32
	v_dual_mov_b32 v35, s25 :: v_dual_mov_b32 v34, s24
	v_and_b32_e32 v38, v17, v18
	ds_load_2addr_b64 v[29:32], v88 offset0:64 offset1:96
	ds_load_2addr_b64 v[25:28], v88 offset0:128 offset1:160
	;; [unrolled: 1-line block ×3, first 2 shown]
	v_lshl_add_u32 v84, v40, 5, v0
	s_wait_loadcnt_dscnt 0x0
	s_barrier_signal -1
	v_and_b32_e32 v33, v38, v33
	s_barrier_wait -1
	global_inv scope:SCOPE_SE
	ds_store_b128 v65, v[34:37] offset:32
	ds_store_b128 v65, v[34:37] offset:48
	s_wait_loadcnt_dscnt 0x0
	v_mbcnt_lo_u32_b32 v79, v33, 0
	v_cmp_ne_u32_e64 s21, 0, v33
	s_barrier_signal -1
	s_barrier_wait -1
	global_inv scope:SCOPE_SE
	v_cmp_eq_u32_e64 s20, 0, v79
	; wave barrier
	s_and_b32 s21, s21, s20
	s_wait_alu 0xfffe
	s_and_saveexec_b32 s20, s21
; %bb.68:
	v_bcnt_u32_b32 v33, v33, 0
	ds_store_b32 v84, v33 offset:32
; %bb.69:
	s_wait_alu 0xfffe
	s_or_b32 exec_lo, exec_lo, s20
	v_lshrrev_b16 v33, 8, v73
	v_cmp_ne_u16_e64 s20, 0x7fff, v73
	; wave barrier
	s_wait_alu 0xf1ff
	s_delay_alu instid0(VALU_DEP_1) | instskip(NEXT) | instid1(VALU_DEP_1)
	v_cndmask_b32_e64 v33, 0x80, v33, s20
	v_and_b32_e32 v33, s33, v33
	s_delay_alu instid0(VALU_DEP_1)
	v_and_b32_e32 v34, 1, v33
	v_lshlrev_b32_e32 v35, 30, v33
	v_lshlrev_b32_e32 v36, 29, v33
	;; [unrolled: 1-line block ×4, first 2 shown]
	v_add_co_u32 v34, s20, v34, -1
	s_wait_alu 0xf1ff
	v_cndmask_b32_e64 v38, 0, 1, s20
	v_not_b32_e32 v86, v35
	v_cmp_gt_i32_e64 s21, 0, v35
	v_not_b32_e32 v35, v36
	v_lshlrev_b32_e32 v40, 26, v33
	v_cmp_ne_u32_e64 s20, 0, v38
	v_ashrrev_i32_e32 v86, 31, v86
	v_lshlrev_b32_e32 v85, 25, v33
	v_ashrrev_i32_e32 v35, 31, v35
	v_lshlrev_b32_e32 v38, 24, v33
	s_wait_alu 0xf1ff
	v_xor_b32_e32 v34, s20, v34
	v_cmp_gt_i32_e64 s20, 0, v36
	v_not_b32_e32 v36, v37
	v_xor_b32_e32 v86, s21, v86
	v_cmp_gt_i32_e64 s21, 0, v37
	v_and_b32_e32 v34, exec_lo, v34
	v_not_b32_e32 v37, v39
	v_ashrrev_i32_e32 v36, 31, v36
	s_wait_alu 0xf1ff
	v_xor_b32_e32 v35, s20, v35
	v_cmp_gt_i32_e64 s20, 0, v39
	v_and_b32_e32 v34, v34, v86
	v_not_b32_e32 v39, v40
	v_ashrrev_i32_e32 v37, 31, v37
	v_xor_b32_e32 v36, s21, v36
	v_cmp_gt_i32_e64 s21, 0, v40
	v_and_b32_e32 v34, v34, v35
	v_not_b32_e32 v35, v85
	v_ashrrev_i32_e32 v39, 31, v39
	s_wait_alu 0xf1ff
	v_xor_b32_e32 v37, s20, v37
	v_cmp_gt_i32_e64 s20, 0, v85
	v_and_b32_e32 v34, v34, v36
	v_not_b32_e32 v36, v38
	v_ashrrev_i32_e32 v35, 31, v35
	v_xor_b32_e32 v39, s21, v39
	v_cmp_gt_i32_e64 s21, 0, v38
	v_and_b32_e32 v34, v34, v37
	v_ashrrev_i32_e32 v36, 31, v36
	s_wait_alu 0xf1ff
	v_xor_b32_e32 v35, s20, v35
	v_lshl_add_u32 v87, v33, 5, v0
	v_and_b32_e32 v34, v34, v39
	v_xor_b32_e32 v33, s21, v36
	ds_load_b32 v85, v87 offset:32
	v_and_b32_e32 v34, v34, v35
	; wave barrier
	s_delay_alu instid0(VALU_DEP_1) | instskip(NEXT) | instid1(VALU_DEP_1)
	v_and_b32_e32 v33, v34, v33
	v_mbcnt_lo_u32_b32 v86, v33, 0
	v_cmp_ne_u32_e64 s21, 0, v33
	s_delay_alu instid0(VALU_DEP_2)
	v_cmp_eq_u32_e64 s20, 0, v86
	s_and_b32 s21, s21, s20
	s_wait_alu 0xfffe
	s_and_saveexec_b32 s20, s21
	s_cbranch_execz .LBB236_71
; %bb.70:
	s_wait_dscnt 0x0
	v_bcnt_u32_b32 v33, v33, v85
	ds_store_b32 v87, v33 offset:32
.LBB236_71:
	s_wait_alu 0xfffe
	s_or_b32 exec_lo, exec_lo, s20
	v_lshrrev_b16 v33, 8, v74
	v_cmp_ne_u16_e64 s20, 0x7fff, v74
	; wave barrier
	s_wait_alu 0xf1ff
	s_delay_alu instid0(VALU_DEP_1) | instskip(NEXT) | instid1(VALU_DEP_1)
	v_cndmask_b32_e64 v33, 0x80, v33, s20
	v_and_b32_e32 v33, s33, v33
	s_delay_alu instid0(VALU_DEP_1)
	v_and_b32_e32 v34, 1, v33
	v_lshlrev_b32_e32 v35, 30, v33
	v_lshlrev_b32_e32 v36, 29, v33
	;; [unrolled: 1-line block ×4, first 2 shown]
	v_add_co_u32 v34, s20, v34, -1
	s_wait_alu 0xf1ff
	v_cndmask_b32_e64 v38, 0, 1, s20
	v_not_b32_e32 v89, v35
	v_cmp_gt_i32_e64 s21, 0, v35
	v_not_b32_e32 v35, v36
	v_lshlrev_b32_e32 v40, 26, v33
	v_cmp_ne_u32_e64 s20, 0, v38
	v_ashrrev_i32_e32 v89, 31, v89
	v_lshlrev_b32_e32 v88, 25, v33
	v_ashrrev_i32_e32 v35, 31, v35
	v_lshlrev_b32_e32 v38, 24, v33
	s_wait_alu 0xf1ff
	v_xor_b32_e32 v34, s20, v34
	v_cmp_gt_i32_e64 s20, 0, v36
	v_not_b32_e32 v36, v37
	v_xor_b32_e32 v89, s21, v89
	v_cmp_gt_i32_e64 s21, 0, v37
	v_and_b32_e32 v34, exec_lo, v34
	v_not_b32_e32 v37, v39
	v_ashrrev_i32_e32 v36, 31, v36
	s_wait_alu 0xf1ff
	v_xor_b32_e32 v35, s20, v35
	v_cmp_gt_i32_e64 s20, 0, v39
	v_and_b32_e32 v34, v34, v89
	v_not_b32_e32 v39, v40
	v_ashrrev_i32_e32 v37, 31, v37
	v_xor_b32_e32 v36, s21, v36
	v_cmp_gt_i32_e64 s21, 0, v40
	v_and_b32_e32 v34, v34, v35
	v_not_b32_e32 v35, v88
	v_ashrrev_i32_e32 v39, 31, v39
	s_wait_alu 0xf1ff
	v_xor_b32_e32 v37, s20, v37
	v_cmp_gt_i32_e64 s20, 0, v88
	v_and_b32_e32 v34, v34, v36
	v_not_b32_e32 v36, v38
	v_ashrrev_i32_e32 v35, 31, v35
	v_xor_b32_e32 v39, s21, v39
	v_cmp_gt_i32_e64 s21, 0, v38
	v_and_b32_e32 v34, v34, v37
	v_ashrrev_i32_e32 v36, 31, v36
	s_wait_alu 0xf1ff
	v_xor_b32_e32 v35, s20, v35
	v_lshl_add_u32 v90, v33, 5, v0
	v_and_b32_e32 v34, v34, v39
	v_xor_b32_e32 v33, s21, v36
	ds_load_b32 v88, v90 offset:32
	v_and_b32_e32 v34, v34, v35
	; wave barrier
	s_delay_alu instid0(VALU_DEP_1) | instskip(NEXT) | instid1(VALU_DEP_1)
	v_and_b32_e32 v33, v34, v33
	v_mbcnt_lo_u32_b32 v89, v33, 0
	v_cmp_ne_u32_e64 s21, 0, v33
	s_delay_alu instid0(VALU_DEP_2)
	v_cmp_eq_u32_e64 s20, 0, v89
	s_and_b32 s21, s21, s20
	s_wait_alu 0xfffe
	s_and_saveexec_b32 s20, s21
	s_cbranch_execz .LBB236_73
; %bb.72:
	s_wait_dscnt 0x0
	v_bcnt_u32_b32 v33, v33, v88
	ds_store_b32 v90, v33 offset:32
.LBB236_73:
	s_wait_alu 0xfffe
	s_or_b32 exec_lo, exec_lo, s20
	v_lshrrev_b16 v33, 8, v75
	v_cmp_ne_u16_e64 s20, 0x7fff, v75
	; wave barrier
	s_wait_alu 0xf1ff
	s_delay_alu instid0(VALU_DEP_1) | instskip(NEXT) | instid1(VALU_DEP_1)
	v_cndmask_b32_e64 v33, 0x80, v33, s20
	v_and_b32_e32 v33, s33, v33
	s_delay_alu instid0(VALU_DEP_1)
	v_and_b32_e32 v34, 1, v33
	v_lshlrev_b32_e32 v35, 30, v33
	v_lshlrev_b32_e32 v36, 29, v33
	;; [unrolled: 1-line block ×4, first 2 shown]
	v_add_co_u32 v34, s20, v34, -1
	s_wait_alu 0xf1ff
	v_cndmask_b32_e64 v38, 0, 1, s20
	v_not_b32_e32 v92, v35
	v_cmp_gt_i32_e64 s21, 0, v35
	v_not_b32_e32 v35, v36
	v_lshlrev_b32_e32 v40, 26, v33
	v_cmp_ne_u32_e64 s20, 0, v38
	v_ashrrev_i32_e32 v92, 31, v92
	v_lshlrev_b32_e32 v91, 25, v33
	v_ashrrev_i32_e32 v35, 31, v35
	v_lshlrev_b32_e32 v38, 24, v33
	s_wait_alu 0xf1ff
	v_xor_b32_e32 v34, s20, v34
	v_cmp_gt_i32_e64 s20, 0, v36
	v_not_b32_e32 v36, v37
	v_xor_b32_e32 v92, s21, v92
	v_cmp_gt_i32_e64 s21, 0, v37
	v_and_b32_e32 v34, exec_lo, v34
	v_not_b32_e32 v37, v39
	v_ashrrev_i32_e32 v36, 31, v36
	s_wait_alu 0xf1ff
	v_xor_b32_e32 v35, s20, v35
	v_cmp_gt_i32_e64 s20, 0, v39
	v_and_b32_e32 v34, v34, v92
	v_not_b32_e32 v39, v40
	v_ashrrev_i32_e32 v37, 31, v37
	v_xor_b32_e32 v36, s21, v36
	v_cmp_gt_i32_e64 s21, 0, v40
	v_and_b32_e32 v34, v34, v35
	v_not_b32_e32 v35, v91
	v_ashrrev_i32_e32 v39, 31, v39
	s_wait_alu 0xf1ff
	v_xor_b32_e32 v37, s20, v37
	v_cmp_gt_i32_e64 s20, 0, v91
	v_and_b32_e32 v34, v34, v36
	v_not_b32_e32 v36, v38
	v_ashrrev_i32_e32 v35, 31, v35
	v_xor_b32_e32 v39, s21, v39
	v_cmp_gt_i32_e64 s21, 0, v38
	v_and_b32_e32 v34, v34, v37
	v_ashrrev_i32_e32 v36, 31, v36
	s_wait_alu 0xf1ff
	v_xor_b32_e32 v35, s20, v35
	v_lshl_add_u32 v93, v33, 5, v0
	v_and_b32_e32 v34, v34, v39
	v_xor_b32_e32 v33, s21, v36
	ds_load_b32 v91, v93 offset:32
	v_and_b32_e32 v34, v34, v35
	; wave barrier
	s_delay_alu instid0(VALU_DEP_1) | instskip(NEXT) | instid1(VALU_DEP_1)
	v_and_b32_e32 v33, v34, v33
	v_mbcnt_lo_u32_b32 v92, v33, 0
	v_cmp_ne_u32_e64 s21, 0, v33
	s_delay_alu instid0(VALU_DEP_2)
	v_cmp_eq_u32_e64 s20, 0, v92
	s_and_b32 s21, s21, s20
	s_wait_alu 0xfffe
	s_and_saveexec_b32 s20, s21
	s_cbranch_execz .LBB236_75
; %bb.74:
	s_wait_dscnt 0x0
	v_bcnt_u32_b32 v33, v33, v91
	ds_store_b32 v93, v33 offset:32
.LBB236_75:
	s_wait_alu 0xfffe
	s_or_b32 exec_lo, exec_lo, s20
	v_lshrrev_b16 v33, 8, v76
	v_cmp_ne_u16_e64 s20, 0x7fff, v76
	; wave barrier
	s_wait_alu 0xf1ff
	s_delay_alu instid0(VALU_DEP_1) | instskip(NEXT) | instid1(VALU_DEP_1)
	v_cndmask_b32_e64 v33, 0x80, v33, s20
	v_and_b32_e32 v33, s33, v33
	s_delay_alu instid0(VALU_DEP_1)
	v_and_b32_e32 v34, 1, v33
	v_lshlrev_b32_e32 v35, 30, v33
	v_lshlrev_b32_e32 v36, 29, v33
	;; [unrolled: 1-line block ×4, first 2 shown]
	v_add_co_u32 v34, s20, v34, -1
	s_wait_alu 0xf1ff
	v_cndmask_b32_e64 v38, 0, 1, s20
	v_not_b32_e32 v95, v35
	v_cmp_gt_i32_e64 s21, 0, v35
	v_not_b32_e32 v35, v36
	v_lshlrev_b32_e32 v40, 26, v33
	v_cmp_ne_u32_e64 s20, 0, v38
	v_ashrrev_i32_e32 v95, 31, v95
	v_lshlrev_b32_e32 v94, 25, v33
	v_ashrrev_i32_e32 v35, 31, v35
	v_lshlrev_b32_e32 v38, 24, v33
	s_wait_alu 0xf1ff
	v_xor_b32_e32 v34, s20, v34
	v_cmp_gt_i32_e64 s20, 0, v36
	v_not_b32_e32 v36, v37
	v_xor_b32_e32 v95, s21, v95
	v_cmp_gt_i32_e64 s21, 0, v37
	v_and_b32_e32 v34, exec_lo, v34
	v_not_b32_e32 v37, v39
	v_ashrrev_i32_e32 v36, 31, v36
	s_wait_alu 0xf1ff
	v_xor_b32_e32 v35, s20, v35
	v_cmp_gt_i32_e64 s20, 0, v39
	v_and_b32_e32 v34, v34, v95
	v_not_b32_e32 v39, v40
	v_ashrrev_i32_e32 v37, 31, v37
	v_xor_b32_e32 v36, s21, v36
	v_cmp_gt_i32_e64 s21, 0, v40
	v_and_b32_e32 v34, v34, v35
	v_not_b32_e32 v35, v94
	v_ashrrev_i32_e32 v39, 31, v39
	s_wait_alu 0xf1ff
	v_xor_b32_e32 v37, s20, v37
	v_cmp_gt_i32_e64 s20, 0, v94
	v_and_b32_e32 v34, v34, v36
	v_not_b32_e32 v36, v38
	v_ashrrev_i32_e32 v35, 31, v35
	v_xor_b32_e32 v39, s21, v39
	v_cmp_gt_i32_e64 s21, 0, v38
	v_and_b32_e32 v34, v34, v37
	v_ashrrev_i32_e32 v36, 31, v36
	s_wait_alu 0xf1ff
	v_xor_b32_e32 v35, s20, v35
	v_lshl_add_u32 v96, v33, 5, v0
	v_and_b32_e32 v34, v34, v39
	v_xor_b32_e32 v33, s21, v36
	ds_load_b32 v94, v96 offset:32
	v_and_b32_e32 v34, v34, v35
	; wave barrier
	s_delay_alu instid0(VALU_DEP_1) | instskip(NEXT) | instid1(VALU_DEP_1)
	v_and_b32_e32 v33, v34, v33
	v_mbcnt_lo_u32_b32 v95, v33, 0
	v_cmp_ne_u32_e64 s21, 0, v33
	s_delay_alu instid0(VALU_DEP_2)
	v_cmp_eq_u32_e64 s20, 0, v95
	s_and_b32 s21, s21, s20
	s_wait_alu 0xfffe
	s_and_saveexec_b32 s20, s21
	s_cbranch_execz .LBB236_77
; %bb.76:
	s_wait_dscnt 0x0
	v_bcnt_u32_b32 v33, v33, v94
	ds_store_b32 v96, v33 offset:32
.LBB236_77:
	s_wait_alu 0xfffe
	s_or_b32 exec_lo, exec_lo, s20
	v_lshrrev_b16 v33, 8, v77
	v_cmp_ne_u16_e64 s20, 0x7fff, v77
	; wave barrier
	s_wait_alu 0xf1ff
	s_delay_alu instid0(VALU_DEP_1) | instskip(NEXT) | instid1(VALU_DEP_1)
	v_cndmask_b32_e64 v33, 0x80, v33, s20
	v_and_b32_e32 v33, s33, v33
	s_delay_alu instid0(VALU_DEP_1)
	v_and_b32_e32 v34, 1, v33
	v_lshlrev_b32_e32 v35, 30, v33
	v_lshlrev_b32_e32 v36, 29, v33
	;; [unrolled: 1-line block ×4, first 2 shown]
	v_add_co_u32 v34, s20, v34, -1
	s_wait_alu 0xf1ff
	v_cndmask_b32_e64 v38, 0, 1, s20
	v_not_b32_e32 v98, v35
	v_cmp_gt_i32_e64 s21, 0, v35
	v_not_b32_e32 v35, v36
	v_lshlrev_b32_e32 v40, 26, v33
	v_cmp_ne_u32_e64 s20, 0, v38
	v_ashrrev_i32_e32 v98, 31, v98
	v_lshlrev_b32_e32 v97, 25, v33
	v_ashrrev_i32_e32 v35, 31, v35
	v_lshlrev_b32_e32 v38, 24, v33
	s_wait_alu 0xf1ff
	v_xor_b32_e32 v34, s20, v34
	v_cmp_gt_i32_e64 s20, 0, v36
	v_not_b32_e32 v36, v37
	v_xor_b32_e32 v98, s21, v98
	v_cmp_gt_i32_e64 s21, 0, v37
	v_and_b32_e32 v34, exec_lo, v34
	v_not_b32_e32 v37, v39
	v_ashrrev_i32_e32 v36, 31, v36
	s_wait_alu 0xf1ff
	v_xor_b32_e32 v35, s20, v35
	v_cmp_gt_i32_e64 s20, 0, v39
	v_and_b32_e32 v34, v34, v98
	v_not_b32_e32 v39, v40
	v_ashrrev_i32_e32 v37, 31, v37
	v_xor_b32_e32 v36, s21, v36
	v_cmp_gt_i32_e64 s21, 0, v40
	v_and_b32_e32 v34, v34, v35
	v_not_b32_e32 v35, v97
	v_ashrrev_i32_e32 v39, 31, v39
	s_wait_alu 0xf1ff
	v_xor_b32_e32 v37, s20, v37
	v_cmp_gt_i32_e64 s20, 0, v97
	v_and_b32_e32 v34, v34, v36
	v_not_b32_e32 v36, v38
	v_ashrrev_i32_e32 v35, 31, v35
	v_xor_b32_e32 v39, s21, v39
	v_cmp_gt_i32_e64 s21, 0, v38
	v_and_b32_e32 v34, v34, v37
	v_ashrrev_i32_e32 v36, 31, v36
	s_wait_alu 0xf1ff
	v_xor_b32_e32 v35, s20, v35
	v_lshl_add_u32 v99, v33, 5, v0
	v_and_b32_e32 v34, v34, v39
	v_xor_b32_e32 v33, s21, v36
	ds_load_b32 v97, v99 offset:32
	v_and_b32_e32 v34, v34, v35
	; wave barrier
	s_delay_alu instid0(VALU_DEP_1) | instskip(NEXT) | instid1(VALU_DEP_1)
	v_and_b32_e32 v33, v34, v33
	v_mbcnt_lo_u32_b32 v98, v33, 0
	v_cmp_ne_u32_e64 s21, 0, v33
	s_delay_alu instid0(VALU_DEP_2)
	v_cmp_eq_u32_e64 s20, 0, v98
	s_and_b32 s21, s21, s20
	s_wait_alu 0xfffe
	s_and_saveexec_b32 s20, s21
	s_cbranch_execz .LBB236_79
; %bb.78:
	s_wait_dscnt 0x0
	v_bcnt_u32_b32 v33, v33, v97
	ds_store_b32 v99, v33 offset:32
.LBB236_79:
	s_wait_alu 0xfffe
	s_or_b32 exec_lo, exec_lo, s20
	v_lshrrev_b16 v33, 8, v78
	v_cmp_ne_u16_e64 s20, 0x7fff, v78
	; wave barrier
	s_wait_alu 0xf1ff
	s_delay_alu instid0(VALU_DEP_1) | instskip(NEXT) | instid1(VALU_DEP_1)
	v_cndmask_b32_e64 v33, 0x80, v33, s20
	v_and_b32_e32 v33, s33, v33
	s_delay_alu instid0(VALU_DEP_1)
	v_and_b32_e32 v34, 1, v33
	v_lshlrev_b32_e32 v35, 30, v33
	v_lshlrev_b32_e32 v36, 29, v33
	;; [unrolled: 1-line block ×4, first 2 shown]
	v_add_co_u32 v34, s20, v34, -1
	s_wait_alu 0xf1ff
	v_cndmask_b32_e64 v38, 0, 1, s20
	v_not_b32_e32 v101, v35
	v_cmp_gt_i32_e64 s21, 0, v35
	v_not_b32_e32 v35, v36
	v_lshlrev_b32_e32 v40, 26, v33
	v_cmp_ne_u32_e64 s20, 0, v38
	v_ashrrev_i32_e32 v101, 31, v101
	v_lshlrev_b32_e32 v100, 25, v33
	v_ashrrev_i32_e32 v35, 31, v35
	v_lshlrev_b32_e32 v38, 24, v33
	s_wait_alu 0xf1ff
	v_xor_b32_e32 v34, s20, v34
	v_cmp_gt_i32_e64 s20, 0, v36
	v_not_b32_e32 v36, v37
	v_xor_b32_e32 v101, s21, v101
	v_cmp_gt_i32_e64 s21, 0, v37
	v_and_b32_e32 v34, exec_lo, v34
	v_not_b32_e32 v37, v39
	v_ashrrev_i32_e32 v36, 31, v36
	s_wait_alu 0xf1ff
	v_xor_b32_e32 v35, s20, v35
	v_cmp_gt_i32_e64 s20, 0, v39
	v_and_b32_e32 v34, v34, v101
	v_not_b32_e32 v39, v40
	v_ashrrev_i32_e32 v37, 31, v37
	v_xor_b32_e32 v36, s21, v36
	v_cmp_gt_i32_e64 s21, 0, v40
	v_and_b32_e32 v34, v34, v35
	v_not_b32_e32 v35, v100
	v_ashrrev_i32_e32 v39, 31, v39
	s_wait_alu 0xf1ff
	v_xor_b32_e32 v37, s20, v37
	v_cmp_gt_i32_e64 s20, 0, v100
	v_and_b32_e32 v34, v34, v36
	v_not_b32_e32 v36, v38
	v_ashrrev_i32_e32 v35, 31, v35
	v_xor_b32_e32 v39, s21, v39
	v_cmp_gt_i32_e64 s21, 0, v38
	v_and_b32_e32 v34, v34, v37
	v_ashrrev_i32_e32 v36, 31, v36
	s_wait_alu 0xf1ff
	v_xor_b32_e32 v35, s20, v35
	v_lshl_add_u32 v102, v33, 5, v0
	v_and_b32_e32 v34, v34, v39
	v_xor_b32_e32 v33, s21, v36
	ds_load_b32 v100, v102 offset:32
	v_and_b32_e32 v34, v34, v35
	; wave barrier
	s_delay_alu instid0(VALU_DEP_1) | instskip(NEXT) | instid1(VALU_DEP_1)
	v_and_b32_e32 v33, v34, v33
	v_mbcnt_lo_u32_b32 v101, v33, 0
	v_cmp_ne_u32_e64 s21, 0, v33
	s_delay_alu instid0(VALU_DEP_2)
	v_cmp_eq_u32_e64 s20, 0, v101
	s_and_b32 s21, s21, s20
	s_wait_alu 0xfffe
	s_and_saveexec_b32 s20, s21
	s_cbranch_execz .LBB236_81
; %bb.80:
	s_wait_dscnt 0x0
	v_bcnt_u32_b32 v33, v33, v100
	ds_store_b32 v102, v33 offset:32
.LBB236_81:
	s_wait_alu 0xfffe
	s_or_b32 exec_lo, exec_lo, s20
	v_lshrrev_b16 v33, 8, v71
	v_cmp_ne_u16_e64 s20, 0x7fff, v71
	; wave barrier
	s_wait_alu 0xf1ff
	s_delay_alu instid0(VALU_DEP_1) | instskip(NEXT) | instid1(VALU_DEP_1)
	v_cndmask_b32_e64 v33, 0x80, v33, s20
	v_and_b32_e32 v33, s33, v33
	s_delay_alu instid0(VALU_DEP_1)
	v_and_b32_e32 v34, 1, v33
	v_lshlrev_b32_e32 v35, 30, v33
	v_lshlrev_b32_e32 v36, 29, v33
	;; [unrolled: 1-line block ×4, first 2 shown]
	v_add_co_u32 v34, s20, v34, -1
	s_wait_alu 0xf1ff
	v_cndmask_b32_e64 v38, 0, 1, s20
	v_not_b32_e32 v104, v35
	v_cmp_gt_i32_e64 s21, 0, v35
	v_not_b32_e32 v35, v36
	v_lshlrev_b32_e32 v40, 26, v33
	v_cmp_ne_u32_e64 s20, 0, v38
	v_ashrrev_i32_e32 v104, 31, v104
	v_lshlrev_b32_e32 v103, 25, v33
	v_ashrrev_i32_e32 v35, 31, v35
	v_lshlrev_b32_e32 v38, 24, v33
	s_wait_alu 0xf1ff
	v_xor_b32_e32 v34, s20, v34
	v_cmp_gt_i32_e64 s20, 0, v36
	v_not_b32_e32 v36, v37
	v_xor_b32_e32 v104, s21, v104
	v_cmp_gt_i32_e64 s21, 0, v37
	v_and_b32_e32 v34, exec_lo, v34
	v_not_b32_e32 v37, v39
	v_ashrrev_i32_e32 v36, 31, v36
	s_wait_alu 0xf1ff
	v_xor_b32_e32 v35, s20, v35
	v_cmp_gt_i32_e64 s20, 0, v39
	v_and_b32_e32 v34, v34, v104
	v_not_b32_e32 v39, v40
	v_ashrrev_i32_e32 v37, 31, v37
	v_xor_b32_e32 v36, s21, v36
	v_cmp_gt_i32_e64 s21, 0, v40
	v_and_b32_e32 v34, v34, v35
	v_not_b32_e32 v35, v103
	v_ashrrev_i32_e32 v39, 31, v39
	s_wait_alu 0xf1ff
	v_xor_b32_e32 v37, s20, v37
	v_cmp_gt_i32_e64 s20, 0, v103
	v_and_b32_e32 v34, v34, v36
	v_not_b32_e32 v36, v38
	v_ashrrev_i32_e32 v35, 31, v35
	v_xor_b32_e32 v39, s21, v39
	v_cmp_gt_i32_e64 s21, 0, v38
	v_and_b32_e32 v34, v34, v37
	v_ashrrev_i32_e32 v36, 31, v36
	s_wait_alu 0xf1ff
	v_xor_b32_e32 v35, s20, v35
	v_lshl_add_u32 v104, v33, 5, v0
	v_and_b32_e32 v34, v34, v39
	v_xor_b32_e32 v33, s21, v36
	ds_load_b32 v0, v104 offset:32
	v_and_b32_e32 v34, v34, v35
	; wave barrier
	s_delay_alu instid0(VALU_DEP_1) | instskip(NEXT) | instid1(VALU_DEP_1)
	v_and_b32_e32 v33, v34, v33
	v_mbcnt_lo_u32_b32 v103, v33, 0
	v_cmp_ne_u32_e64 s21, 0, v33
	s_delay_alu instid0(VALU_DEP_2)
	v_cmp_eq_u32_e64 s20, 0, v103
	s_and_b32 s21, s21, s20
	s_wait_alu 0xfffe
	s_and_saveexec_b32 s20, s21
	s_cbranch_execz .LBB236_83
; %bb.82:
	s_wait_dscnt 0x0
	v_bcnt_u32_b32 v33, v33, v0
	ds_store_b32 v104, v33 offset:32
.LBB236_83:
	s_wait_alu 0xfffe
	s_or_b32 exec_lo, exec_lo, s20
	; wave barrier
	s_wait_loadcnt_dscnt 0x0
	s_barrier_signal -1
	s_barrier_wait -1
	global_inv scope:SCOPE_SE
	ds_load_b128 v[37:40], v65 offset:32
	ds_load_b128 v[33:36], v65 offset:48
	s_wait_dscnt 0x1
	v_add_nc_u32_e32 v105, v38, v37
	s_delay_alu instid0(VALU_DEP_1) | instskip(SKIP_1) | instid1(VALU_DEP_1)
	v_add3_u32 v105, v105, v39, v40
	s_wait_dscnt 0x0
	v_add3_u32 v105, v105, v33, v34
	s_delay_alu instid0(VALU_DEP_1) | instskip(NEXT) | instid1(VALU_DEP_1)
	v_add3_u32 v36, v105, v35, v36
	v_mov_b32_dpp v105, v36 row_shr:1 row_mask:0xf bank_mask:0xf
	s_delay_alu instid0(VALU_DEP_1) | instskip(NEXT) | instid1(VALU_DEP_1)
	v_cndmask_b32_e64 v105, v105, 0, s1
	v_add_nc_u32_e32 v36, v105, v36
	s_delay_alu instid0(VALU_DEP_1) | instskip(NEXT) | instid1(VALU_DEP_1)
	v_mov_b32_dpp v105, v36 row_shr:2 row_mask:0xf bank_mask:0xf
	v_cndmask_b32_e64 v105, 0, v105, s11
	s_delay_alu instid0(VALU_DEP_1) | instskip(NEXT) | instid1(VALU_DEP_1)
	v_add_nc_u32_e32 v36, v36, v105
	v_mov_b32_dpp v105, v36 row_shr:4 row_mask:0xf bank_mask:0xf
	s_delay_alu instid0(VALU_DEP_1) | instskip(NEXT) | instid1(VALU_DEP_1)
	v_cndmask_b32_e64 v105, 0, v105, s12
	v_add_nc_u32_e32 v36, v36, v105
	s_delay_alu instid0(VALU_DEP_1) | instskip(NEXT) | instid1(VALU_DEP_1)
	v_mov_b32_dpp v105, v36 row_shr:8 row_mask:0xf bank_mask:0xf
	v_cndmask_b32_e64 v105, 0, v105, s14
	s_delay_alu instid0(VALU_DEP_1) | instskip(SKIP_3) | instid1(VALU_DEP_1)
	v_add_nc_u32_e32 v36, v36, v105
	ds_swizzle_b32 v105, v36 offset:swizzle(BROADCAST,32,15)
	s_wait_dscnt 0x0
	v_cndmask_b32_e64 v105, v105, 0, s17
	v_add_nc_u32_e32 v36, v36, v105
	s_and_saveexec_b32 s1, s15
; %bb.84:
	ds_store_b32 v81, v36
; %bb.85:
	s_wait_alu 0xfffe
	s_or_b32 exec_lo, exec_lo, s1
	s_wait_loadcnt_dscnt 0x0
	s_barrier_signal -1
	s_barrier_wait -1
	global_inv scope:SCOPE_SE
	s_and_saveexec_b32 s1, s16
	s_cbranch_execz .LBB236_87
; %bb.86:
	ds_load_b32 v81, v80
	s_wait_dscnt 0x0
	v_mov_b32_dpp v105, v81 row_shr:1 row_mask:0xf bank_mask:0xf
	s_delay_alu instid0(VALU_DEP_1) | instskip(NEXT) | instid1(VALU_DEP_1)
	v_cndmask_b32_e64 v105, v105, 0, s13
	v_add_nc_u32_e32 v81, v105, v81
	s_delay_alu instid0(VALU_DEP_1) | instskip(NEXT) | instid1(VALU_DEP_1)
	v_mov_b32_dpp v105, v81 row_shr:2 row_mask:0xf bank_mask:0xf
	v_cndmask_b32_e64 v105, 0, v105, s10
	s_delay_alu instid0(VALU_DEP_1) | instskip(NEXT) | instid1(VALU_DEP_1)
	v_add_nc_u32_e32 v81, v81, v105
	v_mov_b32_dpp v105, v81 row_shr:4 row_mask:0xf bank_mask:0xf
	s_wait_alu 0xfffd
	s_delay_alu instid0(VALU_DEP_1) | instskip(NEXT) | instid1(VALU_DEP_1)
	v_cndmask_b32_e32 v105, 0, v105, vcc_lo
	v_add_nc_u32_e32 v81, v81, v105
	ds_store_b32 v80, v81
.LBB236_87:
	s_wait_alu 0xfffe
	s_or_b32 exec_lo, exec_lo, s1
	v_mov_b32_e32 v80, 0
	s_wait_loadcnt_dscnt 0x0
	s_barrier_signal -1
	s_barrier_wait -1
	global_inv scope:SCOPE_SE
	s_and_saveexec_b32 s1, s18
; %bb.88:
	ds_load_b32 v80, v82
; %bb.89:
	s_wait_alu 0xfffe
	s_or_b32 exec_lo, exec_lo, s1
	s_wait_dscnt 0x0
	v_add_nc_u32_e32 v36, v80, v36
	ds_bpermute_b32 v36, v83, v36
	s_wait_dscnt 0x0
	v_cndmask_b32_e64 v36, v36, v80, s0
	s_delay_alu instid0(VALU_DEP_1) | instskip(NEXT) | instid1(VALU_DEP_1)
	v_cndmask_b32_e64 v36, v36, 0, s19
	v_add_nc_u32_e32 v37, v36, v37
	s_delay_alu instid0(VALU_DEP_1) | instskip(NEXT) | instid1(VALU_DEP_1)
	v_add_nc_u32_e32 v38, v37, v38
	v_add_nc_u32_e32 v39, v38, v39
	s_delay_alu instid0(VALU_DEP_1) | instskip(NEXT) | instid1(VALU_DEP_1)
	v_add_nc_u32_e32 v80, v39, v40
	;; [unrolled: 3-line block ×3, first 2 shown]
	v_add_nc_u32_e32 v83, v82, v35
	ds_store_b128 v65, v[36:39] offset:32
	ds_store_b128 v65, v[80:83] offset:48
	s_wait_loadcnt_dscnt 0x0
	s_barrier_signal -1
	s_barrier_wait -1
	global_inv scope:SCOPE_SE
	ds_load_b32 v33, v104 offset:32
	ds_load_b32 v34, v102 offset:32
	;; [unrolled: 1-line block ×8, first 2 shown]
	v_lshlrev_b32_e32 v80, 1, v64
	s_wait_loadcnt_dscnt 0x0
	s_barrier_signal -1
	s_barrier_wait -1
	global_inv scope:SCOPE_SE
	v_mad_u32_u24 v81, v41, 48, v80
	v_add3_u32 v82, v103, v0, v33
	v_add3_u32 v83, v101, v100, v34
	;; [unrolled: 1-line block ×3, first 2 shown]
	v_add_nc_u32_e32 v79, v36, v79
	v_add3_u32 v85, v86, v85, v37
	v_add3_u32 v86, v89, v88, v38
	;; [unrolled: 1-line block ×4, first 2 shown]
	v_lshlrev_b32_e32 v0, 1, v79
	v_lshlrev_b32_e32 v33, 1, v85
	;; [unrolled: 1-line block ×8, first 2 shown]
	ds_store_b16 v0, v72
	ds_store_b16 v33, v73
	;; [unrolled: 1-line block ×8, first 2 shown]
	v_mad_co_u64_u32 v[71:72], null, v79, 6, v[0:1]
	v_mad_co_u64_u32 v[72:73], null, v85, 6, v[33:34]
	;; [unrolled: 1-line block ×4, first 2 shown]
	s_wait_loadcnt_dscnt 0x0
	s_barrier_signal -1
	s_barrier_wait -1
	global_inv scope:SCOPE_SE
	v_mad_co_u64_u32 v[75:76], null, v40, 6, v[36:37]
	ds_load_b128 v[33:36], v80
	v_mad_co_u64_u32 v[76:77], null, v84, 6, v[37:38]
	v_mad_co_u64_u32 v[37:38], null, v83, 6, v[38:39]
	;; [unrolled: 1-line block ×3, first 2 shown]
	s_wait_loadcnt_dscnt 0x0
	s_barrier_signal -1
	s_barrier_wait -1
	global_inv scope:SCOPE_SE
	ds_store_b64 v71, v[21:22]
	ds_store_b64 v72, v[23:24]
	;; [unrolled: 1-line block ×8, first 2 shown]
	s_wait_loadcnt_dscnt 0x0
	s_barrier_signal -1
	s_barrier_wait -1
	global_inv scope:SCOPE_SE
	ds_load_b128 v[29:32], v81
	ds_load_b128 v[25:28], v81 offset:16
	ds_load_b128 v[21:24], v81 offset:32
	;; [unrolled: 1-line block ×3, first 2 shown]
	v_cmp_lt_i16_e32 vcc_lo, -1, v33
	v_lshrrev_b32_e32 v0, 16, v33
	v_lshrrev_b32_e32 v38, 16, v34
	;; [unrolled: 1-line block ×4, first 2 shown]
	s_wait_alu 0xfffd
	v_cndmask_b32_e64 v37, 0xffff8000, -1, vcc_lo
	v_cmp_lt_i16_e32 vcc_lo, -1, v34
	s_wait_alu 0xfffd
	v_cndmask_b32_e64 v39, 0xffff8000, -1, vcc_lo
	v_cmp_lt_i16_e32 vcc_lo, -1, v35
	;; [unrolled: 3-line block ×5, first 2 shown]
	s_delay_alu instid0(VALU_DEP_2) | instskip(SKIP_3) | instid1(VALU_DEP_3)
	v_perm_b32 v0, v0, v37, 0x5040100
	s_wait_alu 0xfffd
	v_cndmask_b32_e64 v38, 0xffff8000, -1, vcc_lo
	v_cmp_lt_i16_e32 vcc_lo, -1, v40
	v_xor_b32_e32 v0, v0, v33
	s_delay_alu instid0(VALU_DEP_3) | instskip(SKIP_3) | instid1(VALU_DEP_3)
	v_perm_b32 v37, v38, v39, 0x5040100
	s_wait_alu 0xfffd
	v_cndmask_b32_e64 v40, 0xffff8000, -1, vcc_lo
	v_cmp_lt_i16_e32 vcc_lo, -1, v72
	v_xor_b32_e32 v34, v37, v34
	s_delay_alu instid0(VALU_DEP_3) | instskip(SKIP_2) | instid1(VALU_DEP_2)
	v_perm_b32 v38, v40, v71, 0x5040100
	s_wait_alu 0xfffd
	v_cndmask_b32_e64 v72, 0xffff8000, -1, vcc_lo
	v_xor_b32_e32 v33, v38, v35
	s_delay_alu instid0(VALU_DEP_2) | instskip(NEXT) | instid1(VALU_DEP_1)
	v_perm_b32 v39, v72, v73, 0x5040100
	v_xor_b32_e32 v35, v39, v36
	s_branch .LBB236_142
.LBB236_90:
	v_mad_co_u64_u32 v[2:3], null, s28, v41, 0
	v_dual_mov_b32 v14, v1 :: v_dual_mov_b32 v15, v1
	v_mov_b32_e32 v16, v1
	v_dual_mov_b32 v6, v1 :: v_dual_mov_b32 v7, v1
	v_dual_mov_b32 v8, v1 :: v_dual_mov_b32 v9, v1
	v_mad_co_u64_u32 v[3:4], null, s29, v41, v[3:4]
	v_dual_mov_b32 v4, v1 :: v_dual_mov_b32 v5, v1
	v_dual_mov_b32 v10, v1 :: v_dual_mov_b32 v13, v1
	s_delay_alu instid0(VALU_DEP_3) | instskip(NEXT) | instid1(VALU_DEP_1)
	v_lshlrev_b64_e32 v[2:3], 3, v[2:3]
	v_add_co_u32 v2, vcc_lo, s34, v2
	s_wait_alu 0xfffd
	s_delay_alu instid0(VALU_DEP_2)
	v_add_co_ci_u32_e64 v3, null, s35, v3, vcc_lo
	global_load_b64 v[11:12], v[2:3], off
	v_dual_mov_b32 v2, v1 :: v_dual_mov_b32 v3, v1
	s_or_b32 exec_lo, exec_lo, s0
	s_and_saveexec_b32 s0, s3
	s_cbranch_execz .LBB236_36
.LBB236_91:
	v_mad_co_u64_u32 v[1:2], null, s28, v17, 0
	s_delay_alu instid0(VALU_DEP_1) | instskip(NEXT) | instid1(VALU_DEP_1)
	v_mad_co_u64_u32 v[24:25], null, s29, v17, v[2:3]
	v_mov_b32_e32 v2, v24
	s_delay_alu instid0(VALU_DEP_1) | instskip(NEXT) | instid1(VALU_DEP_1)
	v_lshlrev_b64_e32 v[1:2], 3, v[1:2]
	v_add_co_u32 v1, vcc_lo, s34, v1
	s_wait_alu 0xfffd
	s_delay_alu instid0(VALU_DEP_2)
	v_add_co_ci_u32_e64 v2, null, s35, v2, vcc_lo
	global_load_b64 v[1:2], v[1:2], off
	s_or_b32 exec_lo, exec_lo, s0
	s_and_saveexec_b32 s0, s4
	s_cbranch_execz .LBB236_37
.LBB236_92:
	v_mad_co_u64_u32 v[13:14], null, s28, v18, 0
	s_delay_alu instid0(VALU_DEP_1) | instskip(NEXT) | instid1(VALU_DEP_1)
	v_mad_co_u64_u32 v[24:25], null, s29, v18, v[14:15]
	v_mov_b32_e32 v14, v24
	s_delay_alu instid0(VALU_DEP_1) | instskip(NEXT) | instid1(VALU_DEP_1)
	v_lshlrev_b64_e32 v[13:14], 3, v[13:14]
	v_add_co_u32 v13, vcc_lo, s34, v13
	s_wait_alu 0xfffd
	s_delay_alu instid0(VALU_DEP_2)
	v_add_co_ci_u32_e64 v14, null, s35, v14, vcc_lo
	global_load_b64 v[13:14], v[13:14], off
	s_or_b32 exec_lo, exec_lo, s0
	s_and_saveexec_b32 s0, s5
	s_cbranch_execz .LBB236_38
.LBB236_93:
	v_mad_co_u64_u32 v[15:16], null, s28, v19, 0
	s_delay_alu instid0(VALU_DEP_1) | instskip(NEXT) | instid1(VALU_DEP_1)
	v_mad_co_u64_u32 v[24:25], null, s29, v19, v[16:17]
	v_mov_b32_e32 v16, v24
	s_delay_alu instid0(VALU_DEP_1) | instskip(NEXT) | instid1(VALU_DEP_1)
	v_lshlrev_b64_e32 v[15:16], 3, v[15:16]
	v_add_co_u32 v15, vcc_lo, s34, v15
	s_wait_alu 0xfffd
	s_delay_alu instid0(VALU_DEP_2)
	v_add_co_ci_u32_e64 v16, null, s35, v16, vcc_lo
	global_load_b64 v[15:16], v[15:16], off
	s_or_b32 exec_lo, exec_lo, s0
	s_and_saveexec_b32 s0, s6
	s_cbranch_execz .LBB236_39
.LBB236_94:
	v_mad_co_u64_u32 v[3:4], null, s28, v20, 0
	s_delay_alu instid0(VALU_DEP_1) | instskip(NEXT) | instid1(VALU_DEP_1)
	v_mad_co_u64_u32 v[24:25], null, s29, v20, v[4:5]
	v_mov_b32_e32 v4, v24
	s_delay_alu instid0(VALU_DEP_1) | instskip(NEXT) | instid1(VALU_DEP_1)
	v_lshlrev_b64_e32 v[3:4], 3, v[3:4]
	v_add_co_u32 v3, vcc_lo, s34, v3
	s_wait_alu 0xfffd
	s_delay_alu instid0(VALU_DEP_2)
	v_add_co_ci_u32_e64 v4, null, s35, v4, vcc_lo
	global_load_b64 v[3:4], v[3:4], off
	s_or_b32 exec_lo, exec_lo, s0
	s_and_saveexec_b32 s0, s7
	s_cbranch_execz .LBB236_40
.LBB236_95:
	v_mad_co_u64_u32 v[5:6], null, s28, v21, 0
	s_delay_alu instid0(VALU_DEP_1) | instskip(NEXT) | instid1(VALU_DEP_1)
	v_mad_co_u64_u32 v[24:25], null, s29, v21, v[6:7]
	v_mov_b32_e32 v6, v24
	s_delay_alu instid0(VALU_DEP_1) | instskip(NEXT) | instid1(VALU_DEP_1)
	v_lshlrev_b64_e32 v[5:6], 3, v[5:6]
	v_add_co_u32 v5, vcc_lo, s34, v5
	s_wait_alu 0xfffd
	s_delay_alu instid0(VALU_DEP_2)
	v_add_co_ci_u32_e64 v6, null, s35, v6, vcc_lo
	global_load_b64 v[5:6], v[5:6], off
	s_or_b32 exec_lo, exec_lo, s0
	s_and_saveexec_b32 s0, s8
	s_cbranch_execnz .LBB236_41
	s_branch .LBB236_42
.LBB236_96:
                                        ; implicit-def: $vgpr19_vgpr20
                                        ; implicit-def: $vgpr23_vgpr24
                                        ; implicit-def: $vgpr27_vgpr28
                                        ; implicit-def: $vgpr31_vgpr32
                                        ; implicit-def: $vgpr35
                                        ; implicit-def: $vgpr33
                                        ; implicit-def: $vgpr34
                                        ; implicit-def: $vgpr0
	s_cbranch_execz .LBB236_142
; %bb.97:
	v_lshrrev_b32_e32 v0, 16, v44
	v_cmp_gt_i16_e32 vcc_lo, 0, v44
	s_wait_dscnt 0x0
	v_lshrrev_b32_e32 v17, 16, v45
	v_lshrrev_b32_e32 v18, 16, v42
	;; [unrolled: 1-line block ×3, first 2 shown]
	v_or_b32_e32 v21, v67, v68
	s_wait_alu 0xfffd
	v_cndmask_b32_e64 v20, 0x7fff, 0, vcc_lo
	v_cmp_gt_i16_e32 vcc_lo, 0, v0
	v_and_or_b32 v36, 0x1f00, v64, v67
	s_mov_b32 s12, 0
	s_getpc_b64 s[0:1]
	s_sext_i32_i16 s1, s1
	s_add_co_u32 s0, s0, _ZN7rocprim17ROCPRIM_400000_NS16block_radix_sortI6__halfLj256ELj8ElLj1ELj1ELj0ELNS0_26block_radix_rank_algorithmE1ELNS0_18block_padding_hintE2ELNS0_4arch9wavefront6targetE0EE19radix_bits_per_passE@rel32@lo+8
	s_add_co_ci_u32 s1, s1, _ZN7rocprim17ROCPRIM_400000_NS16block_radix_sortI6__halfLj256ELj8ElLj1ELj1ELj0ELNS0_26block_radix_rank_algorithmE1ELNS0_18block_padding_hintE2ELNS0_4arch9wavefront6targetE0EE19radix_bits_per_passE@rel32@hi+16
	s_mov_b32 s13, s12
	s_wait_alu 0xfffd
	v_cndmask_b32_e64 v0, 0x7fff, 0, vcc_lo
	v_cmp_gt_i16_e32 vcc_lo, 0, v45
	s_mov_b32 s14, s12
	s_mov_b32 s15, s12
	v_lshlrev_b32_e32 v25, 1, v36
	v_perm_b32 v0, v0, v20, 0x5040100
	s_wait_alu 0xfffd
	v_cndmask_b32_e64 v22, 0x7fff, 0, vcc_lo
	v_cmp_gt_i16_e32 vcc_lo, 0, v17
	s_load_b32 s20, s[0:1], 0x0
	v_cndmask_b32_e64 v17, 0x7fff, 0, vcc_lo
	v_cmp_gt_i16_e32 vcc_lo, 0, v42
	s_delay_alu instid0(VALU_DEP_2)
	v_perm_b32 v20, v17, v22, 0x5040100
	s_wait_alu 0xfffd
	v_cndmask_b32_e64 v23, 0x7fff, 0, vcc_lo
	v_cmp_gt_i16_e32 vcc_lo, 0, v18
	v_xor_b32_e32 v17, v0, v44
	s_wait_alu 0xfffd
	v_cndmask_b32_e64 v18, 0x7fff, 0, vcc_lo
	v_cmp_gt_i16_e32 vcc_lo, 0, v43
	s_wait_kmcnt 0x0
	s_min_u32 s0, s20, 16
	s_delay_alu instid0(VALU_DEP_2)
	v_perm_b32 v22, v18, v23, 0x5040100
	s_wait_alu 0xfffd
	v_cndmask_b32_e64 v24, 0x7fff, 0, vcc_lo
	v_cmp_gt_i16_e32 vcc_lo, 0, v19
	v_lshlrev_b32_e32 v23, 4, v21
	v_xor_b32_e32 v18, v20, v45
	s_lshl_b32 s0, -1, s0
	s_wait_alu 0xfffd
	v_cndmask_b32_e64 v19, 0x7fff, 0, vcc_lo
	s_not_b32 s1, s0
	s_delay_alu instid0(VALU_DEP_1) | instskip(SKIP_1) | instid1(VALU_DEP_2)
	v_perm_b32 v24, v19, v24, 0x5040100
	v_xor_b32_e32 v19, v22, v42
	v_xor_b32_e32 v20, v24, v43
	ds_store_b128 v23, v[17:20]
	; wave barrier
	ds_load_u16 v26, v25
	ds_load_u16 v27, v25 offset:64
	ds_load_u16 v28, v25 offset:128
	;; [unrolled: 1-line block ×7, first 2 shown]
	s_wait_loadcnt_dscnt 0x0
	s_barrier_signal -1
	s_barrier_wait -1
	global_inv scope:SCOPE_SE
	v_cmp_ne_u16_e32 vcc_lo, 0x8000, v26
	s_wait_alu 0xfffd
	v_cndmask_b32_e32 v0, 0x7fff, v26, vcc_lo
	v_mad_u32_u24 v17, v21, 48, v23
	ds_store_b128 v17, v[13:16]
	ds_store_b128 v17, v[9:12] offset:16
	v_and_b32_e32 v0, 0xffff, v0
	ds_store_b128 v17, v[5:8] offset:32
	ds_store_b128 v17, v[1:4] offset:48
	v_mad_u32_u24 v12, v36, 6, v25
	; wave barrier
	v_and_b32_e32 v23, s1, v0
	ds_load_2addr_b64 v[8:11], v12 offset1:32
	ds_load_2addr_b64 v[0:3], v12 offset0:64 offset1:96
	v_and_b32_e32 v4, 1, v23
	v_lshlrev_b32_e32 v18, 30, v23
	v_lshlrev_b32_e32 v19, 29, v23
	;; [unrolled: 1-line block ×3, first 2 shown]
	s_delay_alu instid0(VALU_DEP_4)
	v_add_co_u32 v16, s0, v4, -1
	s_wait_alu 0xf1ff
	v_cndmask_b32_e64 v17, 0, 1, s0
	ds_load_2addr_b64 v[4:7], v12 offset0:128 offset1:160
	ds_load_2addr_b64 v[12:15], v12 offset0:192 offset1:224
	s_wait_loadcnt_dscnt 0x0
	s_barrier_signal -1
	v_cmp_ne_u32_e32 vcc_lo, 0, v17
	v_not_b32_e32 v17, v18
	s_barrier_wait -1
	global_inv scope:SCOPE_SE
	s_load_b32 s0, s[36:37], 0xc
	v_xor_b32_e32 v16, vcc_lo, v16
	v_cmp_gt_i32_e32 vcc_lo, 0, v18
	v_ashrrev_i32_e32 v17, 31, v17
	v_not_b32_e32 v18, v19
	s_delay_alu instid0(VALU_DEP_4) | instskip(SKIP_1) | instid1(VALU_DEP_3)
	v_and_b32_e32 v16, exec_lo, v16
	s_wait_alu 0xfffd
	v_xor_b32_e32 v17, vcc_lo, v17
	v_cmp_gt_i32_e32 vcc_lo, 0, v19
	v_ashrrev_i32_e32 v18, 31, v18
	v_not_b32_e32 v19, v20
	s_delay_alu instid0(VALU_DEP_4)
	v_and_b32_e32 v16, v16, v17
	v_lshlrev_b32_e32 v17, 27, v23
	s_wait_alu 0xfffd
	v_xor_b32_e32 v18, vcc_lo, v18
	v_cmp_gt_i32_e32 vcc_lo, 0, v20
	v_ashrrev_i32_e32 v19, 31, v19
	v_not_b32_e32 v20, v17
	s_delay_alu instid0(VALU_DEP_4)
	v_and_b32_e32 v16, v16, v18
	v_lshlrev_b32_e32 v18, 26, v23
	s_wait_alu 0xfffd
	v_xor_b32_e32 v19, vcc_lo, v19
	v_cmp_gt_i32_e32 vcc_lo, 0, v17
	v_ashrrev_i32_e32 v17, 31, v20
	s_wait_kmcnt 0x0
	s_lshr_b32 s10, s0, 16
	v_not_b32_e32 v20, v18
	v_and_b32_e32 v16, v16, v19
	v_lshlrev_b32_e32 v19, 25, v23
	s_wait_alu 0xfffd
	v_xor_b32_e32 v17, vcc_lo, v17
	v_cmp_gt_i32_e32 vcc_lo, 0, v18
	v_ashrrev_i32_e32 v18, 31, v20
	s_wait_alu 0xfffe
	v_mad_u32_u24 v21, v70, s10, v69
	v_not_b32_e32 v20, v19
	v_and_b32_e32 v16, v16, v17
	v_lshlrev_b32_e32 v17, 24, v23
	s_wait_alu 0xfffd
	v_xor_b32_e32 v18, vcc_lo, v18
	v_cmp_gt_i32_e32 vcc_lo, 0, v19
	v_ashrrev_i32_e32 v19, 31, v20
	s_and_b32 s0, s0, 0xffff
	v_not_b32_e32 v20, v17
	v_and_b32_e32 v16, v16, v18
	s_wait_alu 0xfffe
	v_mad_co_u64_u32 v[21:22], null, v21, s0, v[41:42]
	s_wait_alu 0xfffd
	v_xor_b32_e32 v18, vcc_lo, v19
	v_cmp_gt_i32_e32 vcc_lo, 0, v17
	v_ashrrev_i32_e32 v17, 31, v20
	s_delay_alu instid0(VALU_DEP_3) | instskip(SKIP_2) | instid1(VALU_DEP_3)
	v_and_b32_e32 v16, v16, v18
	v_lshrrev_b32_e32 v21, 5, v21
	s_wait_alu 0xfffd
	v_xor_b32_e32 v22, vcc_lo, v17
	v_dual_mov_b32 v20, s15 :: v_dual_mov_b32 v19, s14
	v_dual_mov_b32 v18, s13 :: v_dual_mov_b32 v17, s12
	s_delay_alu instid0(VALU_DEP_3)
	v_and_b32_e32 v16, v16, v22
	ds_store_b128 v65, v[17:20] offset:32
	ds_store_b128 v65, v[17:20] offset:48
	v_mbcnt_lo_u32_b32 v38, v16, 0
	v_lshlrev_b32_e32 v24, 2, v21
	v_lshlrev_b32_e32 v17, 5, v23
	v_cmp_ne_u32_e64 s0, 0, v16
	s_wait_loadcnt_dscnt 0x0
	v_cmp_eq_u32_e32 vcc_lo, 0, v38
	s_barrier_signal -1
	v_add_nc_u32_e32 v39, v24, v17
	s_barrier_wait -1
	global_inv scope:SCOPE_SE
	s_and_b32 s10, s0, vcc_lo
	; wave barrier
	s_wait_alu 0xfffe
	s_and_saveexec_b32 s0, s10
; %bb.98:
	v_bcnt_u32_b32 v16, v16, 0
	ds_store_b32 v39, v16 offset:32
; %bb.99:
	s_wait_alu 0xfffe
	s_or_b32 exec_lo, exec_lo, s0
	v_cmp_ne_u16_e32 vcc_lo, 0x8000, v27
	; wave barrier
	s_wait_alu 0xfffd
	v_cndmask_b32_e32 v16, 0x7fff, v27, vcc_lo
	s_delay_alu instid0(VALU_DEP_1) | instskip(NEXT) | instid1(VALU_DEP_1)
	v_and_b32_e32 v16, 0xffff, v16
	v_and_b32_e32 v16, s1, v16
	s_delay_alu instid0(VALU_DEP_1)
	v_and_b32_e32 v17, 1, v16
	v_lshlrev_b32_e32 v18, 30, v16
	v_lshlrev_b32_e32 v19, 29, v16
	;; [unrolled: 1-line block ×4, first 2 shown]
	v_add_co_u32 v17, s0, v17, -1
	s_wait_alu 0xf1ff
	v_cndmask_b32_e64 v21, 0, 1, s0
	v_not_b32_e32 v35, v18
	v_cmp_gt_i32_e64 s0, 0, v18
	v_not_b32_e32 v18, v19
	v_lshlrev_b32_e32 v23, 26, v16
	v_cmp_ne_u32_e32 vcc_lo, 0, v21
	v_ashrrev_i32_e32 v35, 31, v35
	v_lshlrev_b32_e32 v34, 25, v16
	v_ashrrev_i32_e32 v18, 31, v18
	v_lshlrev_b32_e32 v21, 24, v16
	s_wait_alu 0xfffd
	v_xor_b32_e32 v17, vcc_lo, v17
	v_cmp_gt_i32_e32 vcc_lo, 0, v19
	v_not_b32_e32 v19, v20
	s_wait_alu 0xf1ff
	v_xor_b32_e32 v35, s0, v35
	v_cmp_gt_i32_e64 s0, 0, v20
	v_and_b32_e32 v17, exec_lo, v17
	v_not_b32_e32 v20, v22
	v_ashrrev_i32_e32 v19, 31, v19
	s_wait_alu 0xfffd
	v_xor_b32_e32 v18, vcc_lo, v18
	v_cmp_gt_i32_e32 vcc_lo, 0, v22
	v_and_b32_e32 v17, v17, v35
	v_not_b32_e32 v22, v23
	v_ashrrev_i32_e32 v20, 31, v20
	s_wait_alu 0xf1ff
	v_xor_b32_e32 v19, s0, v19
	v_cmp_gt_i32_e64 s0, 0, v23
	v_and_b32_e32 v17, v17, v18
	v_not_b32_e32 v18, v34
	v_ashrrev_i32_e32 v22, 31, v22
	s_wait_alu 0xfffd
	v_xor_b32_e32 v20, vcc_lo, v20
	v_cmp_gt_i32_e32 vcc_lo, 0, v34
	v_and_b32_e32 v17, v17, v19
	v_not_b32_e32 v19, v21
	v_ashrrev_i32_e32 v18, 31, v18
	s_wait_alu 0xf1ff
	v_xor_b32_e32 v22, s0, v22
	v_lshlrev_b32_e32 v16, 5, v16
	v_and_b32_e32 v17, v17, v20
	v_cmp_gt_i32_e64 s0, 0, v21
	v_ashrrev_i32_e32 v19, 31, v19
	s_wait_alu 0xfffd
	v_xor_b32_e32 v18, vcc_lo, v18
	v_add_nc_u32_e32 v43, v24, v16
	v_and_b32_e32 v17, v17, v22
	s_wait_alu 0xf1ff
	v_xor_b32_e32 v16, s0, v19
	ds_load_b32 v40, v43 offset:32
	v_and_b32_e32 v17, v17, v18
	; wave barrier
	s_delay_alu instid0(VALU_DEP_1) | instskip(NEXT) | instid1(VALU_DEP_1)
	v_and_b32_e32 v16, v17, v16
	v_mbcnt_lo_u32_b32 v42, v16, 0
	v_cmp_ne_u32_e64 s0, 0, v16
	s_delay_alu instid0(VALU_DEP_2)
	v_cmp_eq_u32_e32 vcc_lo, 0, v42
	s_and_b32 s10, s0, vcc_lo
	s_wait_alu 0xfffe
	s_and_saveexec_b32 s0, s10
	s_cbranch_execz .LBB236_101
; %bb.100:
	s_wait_dscnt 0x0
	v_bcnt_u32_b32 v16, v16, v40
	ds_store_b32 v43, v16 offset:32
.LBB236_101:
	s_wait_alu 0xfffe
	s_or_b32 exec_lo, exec_lo, s0
	v_cmp_ne_u16_e32 vcc_lo, 0x8000, v28
	; wave barrier
	s_wait_alu 0xfffd
	v_cndmask_b32_e32 v16, 0x7fff, v28, vcc_lo
	s_delay_alu instid0(VALU_DEP_1) | instskip(NEXT) | instid1(VALU_DEP_1)
	v_and_b32_e32 v16, 0xffff, v16
	v_and_b32_e32 v16, s1, v16
	s_delay_alu instid0(VALU_DEP_1)
	v_and_b32_e32 v17, 1, v16
	v_lshlrev_b32_e32 v18, 30, v16
	v_lshlrev_b32_e32 v19, 29, v16
	;; [unrolled: 1-line block ×4, first 2 shown]
	v_add_co_u32 v17, s0, v17, -1
	s_wait_alu 0xf1ff
	v_cndmask_b32_e64 v21, 0, 1, s0
	v_not_b32_e32 v35, v18
	v_cmp_gt_i32_e64 s0, 0, v18
	v_not_b32_e32 v18, v19
	v_lshlrev_b32_e32 v23, 26, v16
	v_cmp_ne_u32_e32 vcc_lo, 0, v21
	v_ashrrev_i32_e32 v35, 31, v35
	v_lshlrev_b32_e32 v34, 25, v16
	v_ashrrev_i32_e32 v18, 31, v18
	v_lshlrev_b32_e32 v21, 24, v16
	s_wait_alu 0xfffd
	v_xor_b32_e32 v17, vcc_lo, v17
	v_cmp_gt_i32_e32 vcc_lo, 0, v19
	v_not_b32_e32 v19, v20
	s_wait_alu 0xf1ff
	v_xor_b32_e32 v35, s0, v35
	v_cmp_gt_i32_e64 s0, 0, v20
	v_and_b32_e32 v17, exec_lo, v17
	v_not_b32_e32 v20, v22
	v_ashrrev_i32_e32 v19, 31, v19
	s_wait_alu 0xfffd
	v_xor_b32_e32 v18, vcc_lo, v18
	v_cmp_gt_i32_e32 vcc_lo, 0, v22
	v_and_b32_e32 v17, v17, v35
	v_not_b32_e32 v22, v23
	v_ashrrev_i32_e32 v20, 31, v20
	s_wait_alu 0xf1ff
	v_xor_b32_e32 v19, s0, v19
	v_cmp_gt_i32_e64 s0, 0, v23
	v_and_b32_e32 v17, v17, v18
	v_not_b32_e32 v18, v34
	v_ashrrev_i32_e32 v22, 31, v22
	s_wait_alu 0xfffd
	v_xor_b32_e32 v20, vcc_lo, v20
	v_cmp_gt_i32_e32 vcc_lo, 0, v34
	v_and_b32_e32 v17, v17, v19
	v_not_b32_e32 v19, v21
	v_ashrrev_i32_e32 v18, 31, v18
	s_wait_alu 0xf1ff
	v_xor_b32_e32 v22, s0, v22
	v_lshlrev_b32_e32 v16, 5, v16
	v_and_b32_e32 v17, v17, v20
	v_cmp_gt_i32_e64 s0, 0, v21
	v_ashrrev_i32_e32 v19, 31, v19
	s_wait_alu 0xfffd
	v_xor_b32_e32 v18, vcc_lo, v18
	v_add_nc_u32_e32 v69, v24, v16
	v_and_b32_e32 v17, v17, v22
	s_wait_alu 0xf1ff
	v_xor_b32_e32 v16, s0, v19
	ds_load_b32 v44, v69 offset:32
	v_and_b32_e32 v17, v17, v18
	; wave barrier
	s_delay_alu instid0(VALU_DEP_1) | instskip(NEXT) | instid1(VALU_DEP_1)
	v_and_b32_e32 v16, v17, v16
	v_mbcnt_lo_u32_b32 v45, v16, 0
	v_cmp_ne_u32_e64 s0, 0, v16
	s_delay_alu instid0(VALU_DEP_2)
	v_cmp_eq_u32_e32 vcc_lo, 0, v45
	s_and_b32 s10, s0, vcc_lo
	s_wait_alu 0xfffe
	s_and_saveexec_b32 s0, s10
	s_cbranch_execz .LBB236_103
; %bb.102:
	s_wait_dscnt 0x0
	v_bcnt_u32_b32 v16, v16, v44
	ds_store_b32 v69, v16 offset:32
.LBB236_103:
	s_wait_alu 0xfffe
	s_or_b32 exec_lo, exec_lo, s0
	v_cmp_ne_u16_e32 vcc_lo, 0x8000, v29
	; wave barrier
	s_wait_alu 0xfffd
	v_cndmask_b32_e32 v16, 0x7fff, v29, vcc_lo
	s_delay_alu instid0(VALU_DEP_1) | instskip(NEXT) | instid1(VALU_DEP_1)
	v_and_b32_e32 v16, 0xffff, v16
	v_and_b32_e32 v16, s1, v16
	s_delay_alu instid0(VALU_DEP_1)
	v_and_b32_e32 v17, 1, v16
	v_lshlrev_b32_e32 v18, 30, v16
	v_lshlrev_b32_e32 v19, 29, v16
	;; [unrolled: 1-line block ×4, first 2 shown]
	v_add_co_u32 v17, s0, v17, -1
	s_wait_alu 0xf1ff
	v_cndmask_b32_e64 v21, 0, 1, s0
	v_not_b32_e32 v35, v18
	v_cmp_gt_i32_e64 s0, 0, v18
	v_not_b32_e32 v18, v19
	v_lshlrev_b32_e32 v23, 26, v16
	v_cmp_ne_u32_e32 vcc_lo, 0, v21
	v_ashrrev_i32_e32 v35, 31, v35
	v_lshlrev_b32_e32 v34, 25, v16
	v_ashrrev_i32_e32 v18, 31, v18
	v_lshlrev_b32_e32 v21, 24, v16
	s_wait_alu 0xfffd
	v_xor_b32_e32 v17, vcc_lo, v17
	v_cmp_gt_i32_e32 vcc_lo, 0, v19
	v_not_b32_e32 v19, v20
	s_wait_alu 0xf1ff
	v_xor_b32_e32 v35, s0, v35
	v_cmp_gt_i32_e64 s0, 0, v20
	v_and_b32_e32 v17, exec_lo, v17
	v_not_b32_e32 v20, v22
	v_ashrrev_i32_e32 v19, 31, v19
	s_wait_alu 0xfffd
	v_xor_b32_e32 v18, vcc_lo, v18
	v_cmp_gt_i32_e32 vcc_lo, 0, v22
	v_and_b32_e32 v17, v17, v35
	v_not_b32_e32 v22, v23
	v_ashrrev_i32_e32 v20, 31, v20
	s_wait_alu 0xf1ff
	v_xor_b32_e32 v19, s0, v19
	v_cmp_gt_i32_e64 s0, 0, v23
	v_and_b32_e32 v17, v17, v18
	v_not_b32_e32 v18, v34
	v_ashrrev_i32_e32 v22, 31, v22
	s_wait_alu 0xfffd
	v_xor_b32_e32 v20, vcc_lo, v20
	v_cmp_gt_i32_e32 vcc_lo, 0, v34
	v_and_b32_e32 v17, v17, v19
	v_not_b32_e32 v19, v21
	v_ashrrev_i32_e32 v18, 31, v18
	s_wait_alu 0xf1ff
	v_xor_b32_e32 v22, s0, v22
	v_lshlrev_b32_e32 v16, 5, v16
	v_and_b32_e32 v17, v17, v20
	v_cmp_gt_i32_e64 s0, 0, v21
	v_ashrrev_i32_e32 v19, 31, v19
	s_wait_alu 0xfffd
	v_xor_b32_e32 v18, vcc_lo, v18
	v_add_nc_u32_e32 v72, v24, v16
	v_and_b32_e32 v17, v17, v22
	s_wait_alu 0xf1ff
	v_xor_b32_e32 v16, s0, v19
	ds_load_b32 v70, v72 offset:32
	v_and_b32_e32 v17, v17, v18
	; wave barrier
	s_delay_alu instid0(VALU_DEP_1) | instskip(NEXT) | instid1(VALU_DEP_1)
	v_and_b32_e32 v16, v17, v16
	v_mbcnt_lo_u32_b32 v71, v16, 0
	v_cmp_ne_u32_e64 s0, 0, v16
	s_delay_alu instid0(VALU_DEP_2)
	v_cmp_eq_u32_e32 vcc_lo, 0, v71
	s_and_b32 s10, s0, vcc_lo
	s_wait_alu 0xfffe
	s_and_saveexec_b32 s0, s10
	s_cbranch_execz .LBB236_105
; %bb.104:
	s_wait_dscnt 0x0
	v_bcnt_u32_b32 v16, v16, v70
	ds_store_b32 v72, v16 offset:32
.LBB236_105:
	s_wait_alu 0xfffe
	s_or_b32 exec_lo, exec_lo, s0
	v_cmp_ne_u16_e32 vcc_lo, 0x8000, v30
	; wave barrier
	s_wait_alu 0xfffd
	v_cndmask_b32_e32 v16, 0x7fff, v30, vcc_lo
	s_delay_alu instid0(VALU_DEP_1) | instskip(NEXT) | instid1(VALU_DEP_1)
	v_and_b32_e32 v16, 0xffff, v16
	v_and_b32_e32 v16, s1, v16
	s_delay_alu instid0(VALU_DEP_1)
	v_and_b32_e32 v17, 1, v16
	v_lshlrev_b32_e32 v18, 30, v16
	v_lshlrev_b32_e32 v19, 29, v16
	;; [unrolled: 1-line block ×4, first 2 shown]
	v_add_co_u32 v17, s0, v17, -1
	s_wait_alu 0xf1ff
	v_cndmask_b32_e64 v21, 0, 1, s0
	v_not_b32_e32 v35, v18
	v_cmp_gt_i32_e64 s0, 0, v18
	v_not_b32_e32 v18, v19
	v_lshlrev_b32_e32 v23, 26, v16
	v_cmp_ne_u32_e32 vcc_lo, 0, v21
	v_ashrrev_i32_e32 v35, 31, v35
	v_lshlrev_b32_e32 v34, 25, v16
	v_ashrrev_i32_e32 v18, 31, v18
	v_lshlrev_b32_e32 v21, 24, v16
	s_wait_alu 0xfffd
	v_xor_b32_e32 v17, vcc_lo, v17
	v_cmp_gt_i32_e32 vcc_lo, 0, v19
	v_not_b32_e32 v19, v20
	s_wait_alu 0xf1ff
	v_xor_b32_e32 v35, s0, v35
	v_cmp_gt_i32_e64 s0, 0, v20
	v_and_b32_e32 v17, exec_lo, v17
	v_not_b32_e32 v20, v22
	v_ashrrev_i32_e32 v19, 31, v19
	s_wait_alu 0xfffd
	v_xor_b32_e32 v18, vcc_lo, v18
	v_cmp_gt_i32_e32 vcc_lo, 0, v22
	v_and_b32_e32 v17, v17, v35
	v_not_b32_e32 v22, v23
	v_ashrrev_i32_e32 v20, 31, v20
	s_wait_alu 0xf1ff
	v_xor_b32_e32 v19, s0, v19
	v_cmp_gt_i32_e64 s0, 0, v23
	v_and_b32_e32 v17, v17, v18
	v_not_b32_e32 v18, v34
	v_ashrrev_i32_e32 v22, 31, v22
	s_wait_alu 0xfffd
	v_xor_b32_e32 v20, vcc_lo, v20
	v_cmp_gt_i32_e32 vcc_lo, 0, v34
	v_and_b32_e32 v17, v17, v19
	v_not_b32_e32 v19, v21
	v_ashrrev_i32_e32 v18, 31, v18
	s_wait_alu 0xf1ff
	v_xor_b32_e32 v22, s0, v22
	v_lshlrev_b32_e32 v16, 5, v16
	v_and_b32_e32 v17, v17, v20
	v_cmp_gt_i32_e64 s0, 0, v21
	v_ashrrev_i32_e32 v19, 31, v19
	s_wait_alu 0xfffd
	v_xor_b32_e32 v18, vcc_lo, v18
	v_add_nc_u32_e32 v75, v24, v16
	v_and_b32_e32 v17, v17, v22
	s_wait_alu 0xf1ff
	v_xor_b32_e32 v16, s0, v19
	ds_load_b32 v73, v75 offset:32
	v_and_b32_e32 v17, v17, v18
	; wave barrier
	s_delay_alu instid0(VALU_DEP_1) | instskip(NEXT) | instid1(VALU_DEP_1)
	v_and_b32_e32 v16, v17, v16
	v_mbcnt_lo_u32_b32 v74, v16, 0
	v_cmp_ne_u32_e64 s0, 0, v16
	s_delay_alu instid0(VALU_DEP_2)
	v_cmp_eq_u32_e32 vcc_lo, 0, v74
	s_and_b32 s10, s0, vcc_lo
	s_wait_alu 0xfffe
	s_and_saveexec_b32 s0, s10
	s_cbranch_execz .LBB236_107
; %bb.106:
	s_wait_dscnt 0x0
	v_bcnt_u32_b32 v16, v16, v73
	ds_store_b32 v75, v16 offset:32
.LBB236_107:
	s_wait_alu 0xfffe
	s_or_b32 exec_lo, exec_lo, s0
	v_cmp_ne_u16_e32 vcc_lo, 0x8000, v31
	; wave barrier
	s_wait_alu 0xfffd
	v_cndmask_b32_e32 v16, 0x7fff, v31, vcc_lo
	s_delay_alu instid0(VALU_DEP_1) | instskip(NEXT) | instid1(VALU_DEP_1)
	v_and_b32_e32 v16, 0xffff, v16
	v_and_b32_e32 v16, s1, v16
	s_delay_alu instid0(VALU_DEP_1)
	v_and_b32_e32 v17, 1, v16
	v_lshlrev_b32_e32 v18, 30, v16
	v_lshlrev_b32_e32 v19, 29, v16
	;; [unrolled: 1-line block ×4, first 2 shown]
	v_add_co_u32 v17, s0, v17, -1
	s_wait_alu 0xf1ff
	v_cndmask_b32_e64 v21, 0, 1, s0
	v_not_b32_e32 v35, v18
	v_cmp_gt_i32_e64 s0, 0, v18
	v_not_b32_e32 v18, v19
	v_lshlrev_b32_e32 v23, 26, v16
	v_cmp_ne_u32_e32 vcc_lo, 0, v21
	v_ashrrev_i32_e32 v35, 31, v35
	v_lshlrev_b32_e32 v34, 25, v16
	v_ashrrev_i32_e32 v18, 31, v18
	v_lshlrev_b32_e32 v21, 24, v16
	s_wait_alu 0xfffd
	v_xor_b32_e32 v17, vcc_lo, v17
	v_cmp_gt_i32_e32 vcc_lo, 0, v19
	v_not_b32_e32 v19, v20
	s_wait_alu 0xf1ff
	v_xor_b32_e32 v35, s0, v35
	v_cmp_gt_i32_e64 s0, 0, v20
	v_and_b32_e32 v17, exec_lo, v17
	v_not_b32_e32 v20, v22
	v_ashrrev_i32_e32 v19, 31, v19
	s_wait_alu 0xfffd
	v_xor_b32_e32 v18, vcc_lo, v18
	v_cmp_gt_i32_e32 vcc_lo, 0, v22
	v_and_b32_e32 v17, v17, v35
	v_not_b32_e32 v22, v23
	v_ashrrev_i32_e32 v20, 31, v20
	s_wait_alu 0xf1ff
	v_xor_b32_e32 v19, s0, v19
	v_cmp_gt_i32_e64 s0, 0, v23
	v_and_b32_e32 v17, v17, v18
	v_not_b32_e32 v18, v34
	v_ashrrev_i32_e32 v22, 31, v22
	s_wait_alu 0xfffd
	v_xor_b32_e32 v20, vcc_lo, v20
	v_cmp_gt_i32_e32 vcc_lo, 0, v34
	v_and_b32_e32 v17, v17, v19
	v_not_b32_e32 v19, v21
	v_ashrrev_i32_e32 v18, 31, v18
	s_wait_alu 0xf1ff
	v_xor_b32_e32 v22, s0, v22
	v_lshlrev_b32_e32 v16, 5, v16
	v_and_b32_e32 v17, v17, v20
	v_cmp_gt_i32_e64 s0, 0, v21
	v_ashrrev_i32_e32 v19, 31, v19
	s_wait_alu 0xfffd
	v_xor_b32_e32 v18, vcc_lo, v18
	v_add_nc_u32_e32 v78, v24, v16
	v_and_b32_e32 v17, v17, v22
	s_wait_alu 0xf1ff
	v_xor_b32_e32 v16, s0, v19
	ds_load_b32 v76, v78 offset:32
	v_and_b32_e32 v17, v17, v18
	; wave barrier
	s_delay_alu instid0(VALU_DEP_1) | instskip(NEXT) | instid1(VALU_DEP_1)
	v_and_b32_e32 v16, v17, v16
	v_mbcnt_lo_u32_b32 v77, v16, 0
	v_cmp_ne_u32_e64 s0, 0, v16
	s_delay_alu instid0(VALU_DEP_2)
	v_cmp_eq_u32_e32 vcc_lo, 0, v77
	s_and_b32 s10, s0, vcc_lo
	s_wait_alu 0xfffe
	s_and_saveexec_b32 s0, s10
	s_cbranch_execz .LBB236_109
; %bb.108:
	s_wait_dscnt 0x0
	v_bcnt_u32_b32 v16, v16, v76
	ds_store_b32 v78, v16 offset:32
.LBB236_109:
	s_wait_alu 0xfffe
	s_or_b32 exec_lo, exec_lo, s0
	v_cmp_ne_u16_e32 vcc_lo, 0x8000, v32
	; wave barrier
	s_wait_alu 0xfffd
	v_cndmask_b32_e32 v16, 0x7fff, v32, vcc_lo
	s_delay_alu instid0(VALU_DEP_1) | instskip(NEXT) | instid1(VALU_DEP_1)
	v_and_b32_e32 v16, 0xffff, v16
	v_and_b32_e32 v16, s1, v16
	s_delay_alu instid0(VALU_DEP_1)
	v_and_b32_e32 v17, 1, v16
	v_lshlrev_b32_e32 v18, 30, v16
	v_lshlrev_b32_e32 v19, 29, v16
	v_lshlrev_b32_e32 v20, 28, v16
	v_lshlrev_b32_e32 v22, 27, v16
	v_add_co_u32 v17, s0, v17, -1
	s_wait_alu 0xf1ff
	v_cndmask_b32_e64 v21, 0, 1, s0
	v_not_b32_e32 v35, v18
	v_cmp_gt_i32_e64 s0, 0, v18
	v_not_b32_e32 v18, v19
	v_lshlrev_b32_e32 v23, 26, v16
	v_cmp_ne_u32_e32 vcc_lo, 0, v21
	v_ashrrev_i32_e32 v35, 31, v35
	v_lshlrev_b32_e32 v34, 25, v16
	v_ashrrev_i32_e32 v18, 31, v18
	v_lshlrev_b32_e32 v21, 24, v16
	s_wait_alu 0xfffd
	v_xor_b32_e32 v17, vcc_lo, v17
	v_cmp_gt_i32_e32 vcc_lo, 0, v19
	v_not_b32_e32 v19, v20
	s_wait_alu 0xf1ff
	v_xor_b32_e32 v35, s0, v35
	v_cmp_gt_i32_e64 s0, 0, v20
	v_and_b32_e32 v17, exec_lo, v17
	v_not_b32_e32 v20, v22
	v_ashrrev_i32_e32 v19, 31, v19
	s_wait_alu 0xfffd
	v_xor_b32_e32 v18, vcc_lo, v18
	v_cmp_gt_i32_e32 vcc_lo, 0, v22
	v_and_b32_e32 v17, v17, v35
	v_not_b32_e32 v22, v23
	v_ashrrev_i32_e32 v20, 31, v20
	s_wait_alu 0xf1ff
	v_xor_b32_e32 v19, s0, v19
	v_cmp_gt_i32_e64 s0, 0, v23
	v_and_b32_e32 v17, v17, v18
	v_not_b32_e32 v18, v34
	v_ashrrev_i32_e32 v22, 31, v22
	s_wait_alu 0xfffd
	v_xor_b32_e32 v20, vcc_lo, v20
	v_cmp_gt_i32_e32 vcc_lo, 0, v34
	v_and_b32_e32 v17, v17, v19
	v_not_b32_e32 v19, v21
	v_ashrrev_i32_e32 v18, 31, v18
	s_wait_alu 0xf1ff
	v_xor_b32_e32 v22, s0, v22
	v_lshlrev_b32_e32 v16, 5, v16
	v_and_b32_e32 v17, v17, v20
	v_cmp_gt_i32_e64 s0, 0, v21
	v_ashrrev_i32_e32 v19, 31, v19
	s_wait_alu 0xfffd
	v_xor_b32_e32 v18, vcc_lo, v18
	v_add_nc_u32_e32 v81, v24, v16
	v_and_b32_e32 v17, v17, v22
	s_wait_alu 0xf1ff
	v_xor_b32_e32 v16, s0, v19
	ds_load_b32 v79, v81 offset:32
	v_and_b32_e32 v17, v17, v18
	; wave barrier
	s_delay_alu instid0(VALU_DEP_1) | instskip(NEXT) | instid1(VALU_DEP_1)
	v_and_b32_e32 v16, v17, v16
	v_mbcnt_lo_u32_b32 v80, v16, 0
	v_cmp_ne_u32_e64 s0, 0, v16
	s_delay_alu instid0(VALU_DEP_2)
	v_cmp_eq_u32_e32 vcc_lo, 0, v80
	s_and_b32 s10, s0, vcc_lo
	s_wait_alu 0xfffe
	s_and_saveexec_b32 s0, s10
	s_cbranch_execz .LBB236_111
; %bb.110:
	s_wait_dscnt 0x0
	v_bcnt_u32_b32 v16, v16, v79
	ds_store_b32 v81, v16 offset:32
.LBB236_111:
	s_wait_alu 0xfffe
	s_or_b32 exec_lo, exec_lo, s0
	v_cmp_ne_u16_e32 vcc_lo, 0x8000, v33
	; wave barrier
	s_wait_alu 0xfffd
	v_cndmask_b32_e32 v16, 0x7fff, v33, vcc_lo
	s_delay_alu instid0(VALU_DEP_1) | instskip(NEXT) | instid1(VALU_DEP_1)
	v_and_b32_e32 v16, 0xffff, v16
	v_and_b32_e32 v16, s1, v16
	s_delay_alu instid0(VALU_DEP_1)
	v_and_b32_e32 v17, 1, v16
	v_lshlrev_b32_e32 v18, 30, v16
	v_lshlrev_b32_e32 v19, 29, v16
	;; [unrolled: 1-line block ×4, first 2 shown]
	v_add_co_u32 v17, s0, v17, -1
	s_wait_alu 0xf1ff
	v_cndmask_b32_e64 v21, 0, 1, s0
	v_not_b32_e32 v35, v18
	v_cmp_gt_i32_e64 s0, 0, v18
	v_not_b32_e32 v18, v19
	v_lshlrev_b32_e32 v23, 26, v16
	v_cmp_ne_u32_e32 vcc_lo, 0, v21
	v_ashrrev_i32_e32 v35, 31, v35
	v_lshlrev_b32_e32 v34, 25, v16
	v_ashrrev_i32_e32 v18, 31, v18
	v_lshlrev_b32_e32 v21, 24, v16
	s_wait_alu 0xfffd
	v_xor_b32_e32 v17, vcc_lo, v17
	v_cmp_gt_i32_e32 vcc_lo, 0, v19
	v_not_b32_e32 v19, v20
	s_wait_alu 0xf1ff
	v_xor_b32_e32 v35, s0, v35
	v_cmp_gt_i32_e64 s0, 0, v20
	v_and_b32_e32 v17, exec_lo, v17
	v_not_b32_e32 v20, v22
	v_ashrrev_i32_e32 v19, 31, v19
	s_wait_alu 0xfffd
	v_xor_b32_e32 v18, vcc_lo, v18
	v_cmp_gt_i32_e32 vcc_lo, 0, v22
	v_and_b32_e32 v17, v17, v35
	v_not_b32_e32 v22, v23
	v_ashrrev_i32_e32 v20, 31, v20
	s_wait_alu 0xf1ff
	v_xor_b32_e32 v19, s0, v19
	v_cmp_gt_i32_e64 s0, 0, v23
	v_and_b32_e32 v17, v17, v18
	v_not_b32_e32 v18, v34
	v_ashrrev_i32_e32 v22, 31, v22
	s_wait_alu 0xfffd
	v_xor_b32_e32 v20, vcc_lo, v20
	v_cmp_gt_i32_e32 vcc_lo, 0, v34
	v_and_b32_e32 v17, v17, v19
	v_not_b32_e32 v19, v21
	v_ashrrev_i32_e32 v18, 31, v18
	s_wait_alu 0xf1ff
	v_xor_b32_e32 v22, s0, v22
	v_lshlrev_b32_e32 v16, 5, v16
	v_and_b32_e32 v17, v17, v20
	v_cmp_gt_i32_e64 s0, 0, v21
	v_ashrrev_i32_e32 v19, 31, v19
	s_wait_alu 0xfffd
	v_xor_b32_e32 v18, vcc_lo, v18
	v_add_nc_u32_e32 v84, v24, v16
	v_and_b32_e32 v17, v17, v22
	v_min_u32_e32 v34, 0xe0, v68
	s_wait_alu 0xf1ff
	v_xor_b32_e32 v16, s0, v19
	ds_load_b32 v82, v84 offset:32
	v_and_b32_e32 v17, v17, v18
	; wave barrier
	s_delay_alu instid0(VALU_DEP_1) | instskip(NEXT) | instid1(VALU_DEP_1)
	v_and_b32_e32 v16, v17, v16
	v_mbcnt_lo_u32_b32 v83, v16, 0
	v_cmp_ne_u32_e64 s0, 0, v16
	s_delay_alu instid0(VALU_DEP_2)
	v_cmp_eq_u32_e32 vcc_lo, 0, v83
	s_and_b32 s1, s0, vcc_lo
	s_wait_alu 0xfffe
	s_and_saveexec_b32 s0, s1
	s_cbranch_execz .LBB236_113
; %bb.112:
	s_wait_dscnt 0x0
	v_bcnt_u32_b32 v16, v16, v82
	ds_store_b32 v84, v16 offset:32
.LBB236_113:
	s_wait_alu 0xfffe
	s_or_b32 exec_lo, exec_lo, s0
	; wave barrier
	s_wait_loadcnt_dscnt 0x0
	s_barrier_signal -1
	s_barrier_wait -1
	global_inv scope:SCOPE_SE
	ds_load_b128 v[20:23], v65 offset:32
	ds_load_b128 v[16:19], v65 offset:48
	v_and_b32_e32 v68, 16, v67
	v_or_b32_e32 v34, 31, v34
	s_delay_alu instid0(VALU_DEP_2) | instskip(NEXT) | instid1(VALU_DEP_2)
	v_cmp_eq_u32_e64 s17, 0, v68
	v_cmp_eq_u32_e64 s15, v41, v34
	s_wait_dscnt 0x1
	v_add_nc_u32_e32 v35, v21, v20
	s_delay_alu instid0(VALU_DEP_1) | instskip(SKIP_1) | instid1(VALU_DEP_1)
	v_add3_u32 v35, v35, v22, v23
	s_wait_dscnt 0x0
	v_add3_u32 v35, v35, v16, v17
	s_delay_alu instid0(VALU_DEP_1) | instskip(SKIP_1) | instid1(VALU_DEP_2)
	v_add3_u32 v19, v35, v18, v19
	v_and_b32_e32 v35, 15, v67
	v_mov_b32_dpp v37, v19 row_shr:1 row_mask:0xf bank_mask:0xf
	s_delay_alu instid0(VALU_DEP_2)
	v_cmp_eq_u32_e64 s1, 0, v35
	v_cmp_lt_u32_e64 s11, 1, v35
	v_cmp_lt_u32_e64 s12, 3, v35
	;; [unrolled: 1-line block ×3, first 2 shown]
	s_wait_alu 0xf1ff
	v_cndmask_b32_e64 v37, v37, 0, s1
	s_delay_alu instid0(VALU_DEP_1) | instskip(NEXT) | instid1(VALU_DEP_1)
	v_add_nc_u32_e32 v19, v37, v19
	v_mov_b32_dpp v37, v19 row_shr:2 row_mask:0xf bank_mask:0xf
	s_delay_alu instid0(VALU_DEP_1) | instskip(NEXT) | instid1(VALU_DEP_1)
	v_cndmask_b32_e64 v37, 0, v37, s11
	v_add_nc_u32_e32 v19, v19, v37
	s_delay_alu instid0(VALU_DEP_1) | instskip(NEXT) | instid1(VALU_DEP_1)
	v_mov_b32_dpp v37, v19 row_shr:4 row_mask:0xf bank_mask:0xf
	v_cndmask_b32_e64 v37, 0, v37, s12
	s_delay_alu instid0(VALU_DEP_1) | instskip(NEXT) | instid1(VALU_DEP_1)
	v_add_nc_u32_e32 v19, v19, v37
	v_mov_b32_dpp v37, v19 row_shr:8 row_mask:0xf bank_mask:0xf
	s_delay_alu instid0(VALU_DEP_1) | instskip(NEXT) | instid1(VALU_DEP_1)
	v_cndmask_b32_e64 v35, 0, v37, s14
	v_add_nc_u32_e32 v37, v19, v35
	v_bfe_i32 v35, v67, 4, 1
	ds_swizzle_b32 v19, v37 offset:swizzle(BROADCAST,32,15)
	s_wait_dscnt 0x0
	v_and_b32_e32 v85, v35, v19
	v_mul_i32_i24_e32 v19, 0xffffffe4, v41
	v_lshlrev_b32_e32 v35, 2, v66
	s_delay_alu instid0(VALU_DEP_3)
	v_add_nc_u32_e32 v37, v37, v85
	s_and_saveexec_b32 s0, s15
; %bb.114:
	ds_store_b32 v35, v37
; %bb.115:
	s_wait_alu 0xfffe
	s_or_b32 exec_lo, exec_lo, s0
	v_and_b32_e32 v34, 7, v67
	v_cmp_gt_u32_e64 s16, 8, v41
	s_wait_loadcnt_dscnt 0x0
	s_barrier_signal -1
	s_barrier_wait -1
	v_cmp_eq_u32_e64 s13, 0, v34
	v_cmp_lt_u32_e64 s10, 1, v34
	v_cmp_lt_u32_e32 vcc_lo, 3, v34
	v_add_nc_u32_e32 v34, v65, v19
	global_inv scope:SCOPE_SE
	s_and_saveexec_b32 s0, s16
	s_cbranch_execz .LBB236_117
; %bb.116:
	ds_load_b32 v19, v34
	s_wait_dscnt 0x0
	v_mov_b32_dpp v66, v19 row_shr:1 row_mask:0xf bank_mask:0xf
	s_delay_alu instid0(VALU_DEP_1) | instskip(NEXT) | instid1(VALU_DEP_1)
	v_cndmask_b32_e64 v66, v66, 0, s13
	v_add_nc_u32_e32 v19, v66, v19
	s_delay_alu instid0(VALU_DEP_1) | instskip(NEXT) | instid1(VALU_DEP_1)
	v_mov_b32_dpp v66, v19 row_shr:2 row_mask:0xf bank_mask:0xf
	v_cndmask_b32_e64 v66, 0, v66, s10
	s_delay_alu instid0(VALU_DEP_1) | instskip(NEXT) | instid1(VALU_DEP_1)
	v_add_nc_u32_e32 v19, v19, v66
	v_mov_b32_dpp v66, v19 row_shr:4 row_mask:0xf bank_mask:0xf
	s_wait_alu 0xfffd
	s_delay_alu instid0(VALU_DEP_1) | instskip(NEXT) | instid1(VALU_DEP_1)
	v_cndmask_b32_e32 v66, 0, v66, vcc_lo
	v_add_nc_u32_e32 v19, v19, v66
	ds_store_b32 v34, v19
.LBB236_117:
	s_wait_alu 0xfffe
	s_or_b32 exec_lo, exec_lo, s0
	v_mul_u32_u24_e32 v19, 6, v36
	v_sub_co_u32 v66, s0, v67, 1
	v_cmp_lt_u32_e64 s18, 31, v41
	v_add_nc_u32_e32 v36, -4, v35
	v_mov_b32_e32 v68, 0
	s_wait_loadcnt_dscnt 0x0
	s_barrier_signal -1
	s_barrier_wait -1
	global_inv scope:SCOPE_SE
	s_and_saveexec_b32 s19, s18
; %bb.118:
	ds_load_b32 v68, v36
; %bb.119:
	s_wait_alu 0xfffe
	s_or_b32 exec_lo, exec_lo, s19
	v_cmp_gt_i32_e64 s19, 0, v66
	s_mov_b32 s24, 0
	s_min_u32 s20, s20, 8
	s_mov_b32 s25, s24
	s_mov_b32 s26, s24
	v_cndmask_b32_e64 v66, v66, v67, s19
	s_mov_b32 s27, s24
	s_wait_dscnt 0x0
	v_add_nc_u32_e32 v67, v68, v37
	v_cmp_eq_u32_e64 s19, 0, v41
	s_wait_alu 0xfffe
	s_lshl_b32 s20, -1, s20
	v_lshlrev_b32_e32 v37, 2, v66
	s_wait_alu 0xfffe
	s_not_b32 s33, s20
	ds_bpermute_b32 v66, v37, v67
	s_wait_dscnt 0x0
	v_cndmask_b32_e64 v66, v66, v68, s0
	s_delay_alu instid0(VALU_DEP_1) | instskip(NEXT) | instid1(VALU_DEP_1)
	v_cndmask_b32_e64 v85, v66, 0, s19
	v_add_nc_u32_e32 v86, v85, v20
	s_delay_alu instid0(VALU_DEP_1) | instskip(NEXT) | instid1(VALU_DEP_1)
	v_add_nc_u32_e32 v87, v86, v21
	v_add_nc_u32_e32 v88, v87, v22
	s_delay_alu instid0(VALU_DEP_1) | instskip(NEXT) | instid1(VALU_DEP_1)
	v_add_nc_u32_e32 v20, v88, v23
	;; [unrolled: 3-line block ×3, first 2 shown]
	v_add_nc_u32_e32 v23, v22, v18
	ds_store_b128 v65, v[85:88] offset:32
	ds_store_b128 v65, v[20:23] offset:48
	s_wait_loadcnt_dscnt 0x0
	s_barrier_signal -1
	s_barrier_wait -1
	global_inv scope:SCOPE_SE
	ds_load_b32 v16, v39 offset:32
	ds_load_b32 v17, v43 offset:32
	;; [unrolled: 1-line block ×8, first 2 shown]
	v_add_nc_u32_e32 v43, v25, v19
	s_wait_loadcnt_dscnt 0x0
	s_barrier_signal -1
	s_barrier_wait -1
	global_inv scope:SCOPE_SE
	v_add_nc_u32_e32 v38, v16, v38
	v_add3_u32 v40, v42, v40, v17
	v_add3_u32 v42, v45, v44, v18
	v_add3_u32 v44, v71, v70, v20
	v_add3_u32 v45, v74, v73, v21
	v_add3_u32 v66, v77, v76, v22
	v_add3_u32 v67, v80, v79, v23
	v_add3_u32 v68, v83, v82, v39
	v_lshlrev_b32_e32 v16, 1, v38
	v_lshlrev_b32_e32 v17, 1, v40
	;; [unrolled: 1-line block ×8, first 2 shown]
	ds_store_b16 v16, v26
	ds_store_b16 v17, v27
	;; [unrolled: 1-line block ×8, first 2 shown]
	s_wait_loadcnt_dscnt 0x0
	s_barrier_signal -1
	s_barrier_wait -1
	global_inv scope:SCOPE_SE
	ds_load_u16 v26, v25
	ds_load_u16 v27, v25 offset:64
	ds_load_u16 v28, v25 offset:128
	;; [unrolled: 1-line block ×7, first 2 shown]
	v_mad_co_u64_u32 v[38:39], null, v38, 6, v[16:17]
	v_mad_co_u64_u32 v[16:17], null, v40, 6, v[17:18]
	;; [unrolled: 1-line block ×3, first 2 shown]
	s_wait_loadcnt_dscnt 0x0
	s_barrier_signal -1
	s_barrier_wait -1
	global_inv scope:SCOPE_SE
	v_mad_co_u64_u32 v[18:19], null, v44, 6, v[19:20]
	v_lshrrev_b16 v33, 8, v26
	v_cmp_ne_u16_e64 s20, 0x8000, v26
	ds_store_b64 v38, v[8:9]
	v_mad_co_u64_u32 v[19:20], null, v45, 6, v[20:21]
	v_mad_co_u64_u32 v[20:21], null, v66, 6, v[21:22]
	s_wait_alu 0xf1ff
	v_cndmask_b32_e64 v33, 0x7f, v33, s20
	v_mad_co_u64_u32 v[21:22], null, v67, 6, v[22:23]
	v_mad_co_u64_u32 v[22:23], null, v68, 6, v[23:24]
	s_delay_alu instid0(VALU_DEP_3)
	v_and_b32_e32 v8, 0xffff, v33
	ds_store_b64 v16, v[10:11]
	ds_store_b64 v17, v[0:1]
	ds_store_b64 v18, v[2:3]
	ds_store_b64 v19, v[4:5]
	ds_store_b64 v20, v[6:7]
	ds_store_b64 v21, v[12:13]
	ds_store_b64 v22, v[14:15]
	v_and_b32_e32 v23, s33, v8
	s_wait_loadcnt_dscnt 0x0
	s_barrier_signal -1
	s_barrier_wait -1
	global_inv scope:SCOPE_SE
	v_and_b32_e32 v0, 1, v23
	v_lshlrev_b32_e32 v1, 30, v23
	v_lshlrev_b32_e32 v2, 29, v23
	v_lshlrev_b32_e32 v3, 28, v23
	v_lshlrev_b32_e32 v5, 27, v23
	v_add_co_u32 v0, s20, v0, -1
	s_wait_alu 0xf1ff
	v_cndmask_b32_e64 v4, 0, 1, s20
	v_not_b32_e32 v8, v1
	v_cmp_gt_i32_e64 s21, 0, v1
	v_not_b32_e32 v1, v2
	v_lshlrev_b32_e32 v6, 26, v23
	v_cmp_ne_u32_e64 s20, 0, v4
	v_ashrrev_i32_e32 v8, 31, v8
	v_lshlrev_b32_e32 v7, 25, v23
	v_ashrrev_i32_e32 v1, 31, v1
	v_lshlrev_b32_e32 v4, 24, v23
	s_wait_alu 0xf1ff
	v_xor_b32_e32 v0, s20, v0
	v_cmp_gt_i32_e64 s20, 0, v2
	v_not_b32_e32 v2, v3
	v_xor_b32_e32 v8, s21, v8
	v_cmp_gt_i32_e64 s21, 0, v3
	v_and_b32_e32 v0, exec_lo, v0
	v_not_b32_e32 v3, v5
	v_ashrrev_i32_e32 v2, 31, v2
	s_wait_alu 0xf1ff
	v_xor_b32_e32 v1, s20, v1
	v_cmp_gt_i32_e64 s20, 0, v5
	v_and_b32_e32 v0, v0, v8
	v_not_b32_e32 v5, v6
	v_ashrrev_i32_e32 v3, 31, v3
	v_xor_b32_e32 v2, s21, v2
	v_cmp_gt_i32_e64 s21, 0, v6
	v_and_b32_e32 v0, v0, v1
	v_not_b32_e32 v1, v7
	v_ashrrev_i32_e32 v5, 31, v5
	s_wait_alu 0xf1ff
	v_xor_b32_e32 v3, s20, v3
	v_cmp_gt_i32_e64 s20, 0, v7
	v_and_b32_e32 v0, v0, v2
	v_not_b32_e32 v2, v4
	v_ashrrev_i32_e32 v1, 31, v1
	v_xor_b32_e32 v5, s21, v5
	v_cmp_gt_i32_e64 s21, 0, v4
	v_and_b32_e32 v0, v0, v3
	v_ashrrev_i32_e32 v2, 31, v2
	s_wait_alu 0xf1ff
	v_xor_b32_e32 v1, s20, v1
	v_dual_mov_b32 v17, s24 :: v_dual_mov_b32 v18, s25
	v_and_b32_e32 v0, v0, v5
	v_xor_b32_e32 v16, s21, v2
	ds_load_2addr_b64 v[4:7], v43 offset1:32
	v_dual_mov_b32 v19, s26 :: v_dual_mov_b32 v20, s27
	v_and_b32_e32 v21, v0, v1
	ds_load_2addr_b64 v[12:15], v43 offset0:64 offset1:96
	ds_load_2addr_b64 v[8:11], v43 offset0:128 offset1:160
	;; [unrolled: 1-line block ×3, first 2 shown]
	v_lshl_add_u32 v38, v23, 5, v24
	s_wait_loadcnt_dscnt 0x0
	s_barrier_signal -1
	v_and_b32_e32 v16, v21, v16
	s_barrier_wait -1
	global_inv scope:SCOPE_SE
	ds_store_b128 v65, v[17:20] offset:32
	ds_store_b128 v65, v[17:20] offset:48
	s_wait_loadcnt_dscnt 0x0
	v_mbcnt_lo_u32_b32 v33, v16, 0
	v_cmp_ne_u32_e64 s21, 0, v16
	s_barrier_signal -1
	s_barrier_wait -1
	global_inv scope:SCOPE_SE
	v_cmp_eq_u32_e64 s20, 0, v33
	; wave barrier
	s_and_b32 s21, s21, s20
	s_wait_alu 0xfffe
	s_and_saveexec_b32 s20, s21
; %bb.120:
	v_bcnt_u32_b32 v16, v16, 0
	ds_store_b32 v38, v16 offset:32
; %bb.121:
	s_wait_alu 0xfffe
	s_or_b32 exec_lo, exec_lo, s20
	v_lshrrev_b16 v16, 8, v27
	v_cmp_ne_u16_e64 s20, 0x8000, v27
	; wave barrier
	s_wait_alu 0xf1ff
	s_delay_alu instid0(VALU_DEP_1) | instskip(NEXT) | instid1(VALU_DEP_1)
	v_cndmask_b32_e64 v16, 0x7f, v16, s20
	v_and_b32_e32 v16, s33, v16
	s_delay_alu instid0(VALU_DEP_1)
	v_and_b32_e32 v17, 1, v16
	v_lshlrev_b32_e32 v18, 30, v16
	v_lshlrev_b32_e32 v19, 29, v16
	;; [unrolled: 1-line block ×4, first 2 shown]
	v_add_co_u32 v17, s20, v17, -1
	s_wait_alu 0xf1ff
	v_cndmask_b32_e64 v21, 0, 1, s20
	v_not_b32_e32 v40, v18
	v_cmp_gt_i32_e64 s21, 0, v18
	v_not_b32_e32 v18, v19
	v_lshlrev_b32_e32 v23, 26, v16
	v_cmp_ne_u32_e64 s20, 0, v21
	v_ashrrev_i32_e32 v40, 31, v40
	v_lshlrev_b32_e32 v39, 25, v16
	v_ashrrev_i32_e32 v18, 31, v18
	v_lshlrev_b32_e32 v21, 24, v16
	s_wait_alu 0xf1ff
	v_xor_b32_e32 v17, s20, v17
	v_cmp_gt_i32_e64 s20, 0, v19
	v_not_b32_e32 v19, v20
	v_xor_b32_e32 v40, s21, v40
	v_cmp_gt_i32_e64 s21, 0, v20
	v_and_b32_e32 v17, exec_lo, v17
	v_not_b32_e32 v20, v22
	v_ashrrev_i32_e32 v19, 31, v19
	s_wait_alu 0xf1ff
	v_xor_b32_e32 v18, s20, v18
	v_cmp_gt_i32_e64 s20, 0, v22
	v_and_b32_e32 v17, v17, v40
	v_not_b32_e32 v22, v23
	v_ashrrev_i32_e32 v20, 31, v20
	v_xor_b32_e32 v19, s21, v19
	v_cmp_gt_i32_e64 s21, 0, v23
	v_and_b32_e32 v17, v17, v18
	v_not_b32_e32 v18, v39
	v_ashrrev_i32_e32 v22, 31, v22
	s_wait_alu 0xf1ff
	v_xor_b32_e32 v20, s20, v20
	v_cmp_gt_i32_e64 s20, 0, v39
	v_and_b32_e32 v17, v17, v19
	v_not_b32_e32 v19, v21
	v_ashrrev_i32_e32 v18, 31, v18
	v_xor_b32_e32 v22, s21, v22
	v_cmp_gt_i32_e64 s21, 0, v21
	v_and_b32_e32 v17, v17, v20
	v_ashrrev_i32_e32 v19, 31, v19
	s_wait_alu 0xf1ff
	v_xor_b32_e32 v18, s20, v18
	v_lshl_add_u32 v42, v16, 5, v24
	v_and_b32_e32 v17, v17, v22
	v_xor_b32_e32 v16, s21, v19
	ds_load_b32 v39, v42 offset:32
	v_and_b32_e32 v17, v17, v18
	; wave barrier
	s_delay_alu instid0(VALU_DEP_1) | instskip(NEXT) | instid1(VALU_DEP_1)
	v_and_b32_e32 v16, v17, v16
	v_mbcnt_lo_u32_b32 v40, v16, 0
	v_cmp_ne_u32_e64 s21, 0, v16
	s_delay_alu instid0(VALU_DEP_2)
	v_cmp_eq_u32_e64 s20, 0, v40
	s_and_b32 s21, s21, s20
	s_wait_alu 0xfffe
	s_and_saveexec_b32 s20, s21
	s_cbranch_execz .LBB236_123
; %bb.122:
	s_wait_dscnt 0x0
	v_bcnt_u32_b32 v16, v16, v39
	ds_store_b32 v42, v16 offset:32
.LBB236_123:
	s_wait_alu 0xfffe
	s_or_b32 exec_lo, exec_lo, s20
	v_lshrrev_b16 v16, 8, v28
	v_cmp_ne_u16_e64 s20, 0x8000, v28
	; wave barrier
	s_wait_alu 0xf1ff
	s_delay_alu instid0(VALU_DEP_1) | instskip(NEXT) | instid1(VALU_DEP_1)
	v_cndmask_b32_e64 v16, 0x7f, v16, s20
	v_and_b32_e32 v16, s33, v16
	s_delay_alu instid0(VALU_DEP_1)
	v_and_b32_e32 v17, 1, v16
	v_lshlrev_b32_e32 v18, 30, v16
	v_lshlrev_b32_e32 v19, 29, v16
	;; [unrolled: 1-line block ×4, first 2 shown]
	v_add_co_u32 v17, s20, v17, -1
	s_wait_alu 0xf1ff
	v_cndmask_b32_e64 v21, 0, 1, s20
	v_not_b32_e32 v44, v18
	v_cmp_gt_i32_e64 s21, 0, v18
	v_not_b32_e32 v18, v19
	v_lshlrev_b32_e32 v23, 26, v16
	v_cmp_ne_u32_e64 s20, 0, v21
	v_ashrrev_i32_e32 v44, 31, v44
	v_lshlrev_b32_e32 v43, 25, v16
	v_ashrrev_i32_e32 v18, 31, v18
	v_lshlrev_b32_e32 v21, 24, v16
	s_wait_alu 0xf1ff
	v_xor_b32_e32 v17, s20, v17
	v_cmp_gt_i32_e64 s20, 0, v19
	v_not_b32_e32 v19, v20
	v_xor_b32_e32 v44, s21, v44
	v_cmp_gt_i32_e64 s21, 0, v20
	v_and_b32_e32 v17, exec_lo, v17
	v_not_b32_e32 v20, v22
	v_ashrrev_i32_e32 v19, 31, v19
	s_wait_alu 0xf1ff
	v_xor_b32_e32 v18, s20, v18
	v_cmp_gt_i32_e64 s20, 0, v22
	v_and_b32_e32 v17, v17, v44
	v_not_b32_e32 v22, v23
	v_ashrrev_i32_e32 v20, 31, v20
	v_xor_b32_e32 v19, s21, v19
	v_cmp_gt_i32_e64 s21, 0, v23
	v_and_b32_e32 v17, v17, v18
	v_not_b32_e32 v18, v43
	v_ashrrev_i32_e32 v22, 31, v22
	s_wait_alu 0xf1ff
	v_xor_b32_e32 v20, s20, v20
	v_cmp_gt_i32_e64 s20, 0, v43
	v_and_b32_e32 v17, v17, v19
	v_not_b32_e32 v19, v21
	v_ashrrev_i32_e32 v18, 31, v18
	v_xor_b32_e32 v22, s21, v22
	v_cmp_gt_i32_e64 s21, 0, v21
	v_and_b32_e32 v17, v17, v20
	v_ashrrev_i32_e32 v19, 31, v19
	s_wait_alu 0xf1ff
	v_xor_b32_e32 v18, s20, v18
	v_lshl_add_u32 v45, v16, 5, v24
	v_and_b32_e32 v17, v17, v22
	v_xor_b32_e32 v16, s21, v19
	ds_load_b32 v43, v45 offset:32
	v_and_b32_e32 v17, v17, v18
	; wave barrier
	s_delay_alu instid0(VALU_DEP_1) | instskip(NEXT) | instid1(VALU_DEP_1)
	v_and_b32_e32 v16, v17, v16
	v_mbcnt_lo_u32_b32 v44, v16, 0
	v_cmp_ne_u32_e64 s21, 0, v16
	s_delay_alu instid0(VALU_DEP_2)
	v_cmp_eq_u32_e64 s20, 0, v44
	s_and_b32 s21, s21, s20
	s_wait_alu 0xfffe
	s_and_saveexec_b32 s20, s21
	s_cbranch_execz .LBB236_125
; %bb.124:
	s_wait_dscnt 0x0
	v_bcnt_u32_b32 v16, v16, v43
	ds_store_b32 v45, v16 offset:32
.LBB236_125:
	s_wait_alu 0xfffe
	s_or_b32 exec_lo, exec_lo, s20
	v_lshrrev_b16 v16, 8, v29
	v_cmp_ne_u16_e64 s20, 0x8000, v29
	; wave barrier
	s_wait_alu 0xf1ff
	s_delay_alu instid0(VALU_DEP_1) | instskip(NEXT) | instid1(VALU_DEP_1)
	v_cndmask_b32_e64 v16, 0x7f, v16, s20
	v_and_b32_e32 v16, s33, v16
	s_delay_alu instid0(VALU_DEP_1)
	v_and_b32_e32 v17, 1, v16
	v_lshlrev_b32_e32 v18, 30, v16
	v_lshlrev_b32_e32 v19, 29, v16
	v_lshlrev_b32_e32 v20, 28, v16
	v_lshlrev_b32_e32 v22, 27, v16
	v_add_co_u32 v17, s20, v17, -1
	s_wait_alu 0xf1ff
	v_cndmask_b32_e64 v21, 0, 1, s20
	v_not_b32_e32 v67, v18
	v_cmp_gt_i32_e64 s21, 0, v18
	v_not_b32_e32 v18, v19
	v_lshlrev_b32_e32 v23, 26, v16
	v_cmp_ne_u32_e64 s20, 0, v21
	v_ashrrev_i32_e32 v67, 31, v67
	v_lshlrev_b32_e32 v66, 25, v16
	v_ashrrev_i32_e32 v18, 31, v18
	v_lshlrev_b32_e32 v21, 24, v16
	s_wait_alu 0xf1ff
	v_xor_b32_e32 v17, s20, v17
	v_cmp_gt_i32_e64 s20, 0, v19
	v_not_b32_e32 v19, v20
	v_xor_b32_e32 v67, s21, v67
	v_cmp_gt_i32_e64 s21, 0, v20
	v_and_b32_e32 v17, exec_lo, v17
	v_not_b32_e32 v20, v22
	v_ashrrev_i32_e32 v19, 31, v19
	s_wait_alu 0xf1ff
	v_xor_b32_e32 v18, s20, v18
	v_cmp_gt_i32_e64 s20, 0, v22
	v_and_b32_e32 v17, v17, v67
	v_not_b32_e32 v22, v23
	v_ashrrev_i32_e32 v20, 31, v20
	v_xor_b32_e32 v19, s21, v19
	v_cmp_gt_i32_e64 s21, 0, v23
	v_and_b32_e32 v17, v17, v18
	v_not_b32_e32 v18, v66
	v_ashrrev_i32_e32 v22, 31, v22
	s_wait_alu 0xf1ff
	v_xor_b32_e32 v20, s20, v20
	v_cmp_gt_i32_e64 s20, 0, v66
	v_and_b32_e32 v17, v17, v19
	v_not_b32_e32 v19, v21
	v_ashrrev_i32_e32 v18, 31, v18
	v_xor_b32_e32 v22, s21, v22
	v_cmp_gt_i32_e64 s21, 0, v21
	v_and_b32_e32 v17, v17, v20
	v_ashrrev_i32_e32 v19, 31, v19
	s_wait_alu 0xf1ff
	v_xor_b32_e32 v18, s20, v18
	v_lshl_add_u32 v68, v16, 5, v24
	v_and_b32_e32 v17, v17, v22
	v_xor_b32_e32 v16, s21, v19
	ds_load_b32 v66, v68 offset:32
	v_and_b32_e32 v17, v17, v18
	; wave barrier
	s_delay_alu instid0(VALU_DEP_1) | instskip(NEXT) | instid1(VALU_DEP_1)
	v_and_b32_e32 v16, v17, v16
	v_mbcnt_lo_u32_b32 v67, v16, 0
	v_cmp_ne_u32_e64 s21, 0, v16
	s_delay_alu instid0(VALU_DEP_2)
	v_cmp_eq_u32_e64 s20, 0, v67
	s_and_b32 s21, s21, s20
	s_wait_alu 0xfffe
	s_and_saveexec_b32 s20, s21
	s_cbranch_execz .LBB236_127
; %bb.126:
	s_wait_dscnt 0x0
	v_bcnt_u32_b32 v16, v16, v66
	ds_store_b32 v68, v16 offset:32
.LBB236_127:
	s_wait_alu 0xfffe
	s_or_b32 exec_lo, exec_lo, s20
	v_lshrrev_b16 v16, 8, v30
	v_cmp_ne_u16_e64 s20, 0x8000, v30
	; wave barrier
	s_wait_alu 0xf1ff
	s_delay_alu instid0(VALU_DEP_1) | instskip(NEXT) | instid1(VALU_DEP_1)
	v_cndmask_b32_e64 v16, 0x7f, v16, s20
	v_and_b32_e32 v16, s33, v16
	s_delay_alu instid0(VALU_DEP_1)
	v_and_b32_e32 v17, 1, v16
	v_lshlrev_b32_e32 v18, 30, v16
	v_lshlrev_b32_e32 v19, 29, v16
	v_lshlrev_b32_e32 v20, 28, v16
	v_lshlrev_b32_e32 v22, 27, v16
	v_add_co_u32 v17, s20, v17, -1
	s_wait_alu 0xf1ff
	v_cndmask_b32_e64 v21, 0, 1, s20
	v_not_b32_e32 v70, v18
	v_cmp_gt_i32_e64 s21, 0, v18
	v_not_b32_e32 v18, v19
	v_lshlrev_b32_e32 v23, 26, v16
	v_cmp_ne_u32_e64 s20, 0, v21
	v_ashrrev_i32_e32 v70, 31, v70
	v_lshlrev_b32_e32 v69, 25, v16
	v_ashrrev_i32_e32 v18, 31, v18
	v_lshlrev_b32_e32 v21, 24, v16
	s_wait_alu 0xf1ff
	v_xor_b32_e32 v17, s20, v17
	v_cmp_gt_i32_e64 s20, 0, v19
	v_not_b32_e32 v19, v20
	v_xor_b32_e32 v70, s21, v70
	v_cmp_gt_i32_e64 s21, 0, v20
	v_and_b32_e32 v17, exec_lo, v17
	v_not_b32_e32 v20, v22
	v_ashrrev_i32_e32 v19, 31, v19
	s_wait_alu 0xf1ff
	v_xor_b32_e32 v18, s20, v18
	v_cmp_gt_i32_e64 s20, 0, v22
	v_and_b32_e32 v17, v17, v70
	v_not_b32_e32 v22, v23
	v_ashrrev_i32_e32 v20, 31, v20
	v_xor_b32_e32 v19, s21, v19
	v_cmp_gt_i32_e64 s21, 0, v23
	v_and_b32_e32 v17, v17, v18
	v_not_b32_e32 v18, v69
	v_ashrrev_i32_e32 v22, 31, v22
	s_wait_alu 0xf1ff
	v_xor_b32_e32 v20, s20, v20
	v_cmp_gt_i32_e64 s20, 0, v69
	v_and_b32_e32 v17, v17, v19
	v_not_b32_e32 v19, v21
	v_ashrrev_i32_e32 v18, 31, v18
	v_xor_b32_e32 v22, s21, v22
	v_cmp_gt_i32_e64 s21, 0, v21
	v_and_b32_e32 v17, v17, v20
	v_ashrrev_i32_e32 v19, 31, v19
	s_wait_alu 0xf1ff
	v_xor_b32_e32 v18, s20, v18
	v_lshl_add_u32 v71, v16, 5, v24
	v_and_b32_e32 v17, v17, v22
	v_xor_b32_e32 v16, s21, v19
	ds_load_b32 v69, v71 offset:32
	v_and_b32_e32 v17, v17, v18
	; wave barrier
	s_delay_alu instid0(VALU_DEP_1) | instskip(NEXT) | instid1(VALU_DEP_1)
	v_and_b32_e32 v16, v17, v16
	v_mbcnt_lo_u32_b32 v70, v16, 0
	v_cmp_ne_u32_e64 s21, 0, v16
	s_delay_alu instid0(VALU_DEP_2)
	v_cmp_eq_u32_e64 s20, 0, v70
	s_and_b32 s21, s21, s20
	s_wait_alu 0xfffe
	s_and_saveexec_b32 s20, s21
	s_cbranch_execz .LBB236_129
; %bb.128:
	s_wait_dscnt 0x0
	v_bcnt_u32_b32 v16, v16, v69
	ds_store_b32 v71, v16 offset:32
.LBB236_129:
	s_wait_alu 0xfffe
	s_or_b32 exec_lo, exec_lo, s20
	v_lshrrev_b16 v16, 8, v31
	v_cmp_ne_u16_e64 s20, 0x8000, v31
	; wave barrier
	s_wait_alu 0xf1ff
	s_delay_alu instid0(VALU_DEP_1) | instskip(NEXT) | instid1(VALU_DEP_1)
	v_cndmask_b32_e64 v16, 0x7f, v16, s20
	v_and_b32_e32 v16, s33, v16
	s_delay_alu instid0(VALU_DEP_1)
	v_and_b32_e32 v17, 1, v16
	v_lshlrev_b32_e32 v18, 30, v16
	v_lshlrev_b32_e32 v19, 29, v16
	;; [unrolled: 1-line block ×4, first 2 shown]
	v_add_co_u32 v17, s20, v17, -1
	s_wait_alu 0xf1ff
	v_cndmask_b32_e64 v21, 0, 1, s20
	v_not_b32_e32 v73, v18
	v_cmp_gt_i32_e64 s21, 0, v18
	v_not_b32_e32 v18, v19
	v_lshlrev_b32_e32 v23, 26, v16
	v_cmp_ne_u32_e64 s20, 0, v21
	v_ashrrev_i32_e32 v73, 31, v73
	v_lshlrev_b32_e32 v72, 25, v16
	v_ashrrev_i32_e32 v18, 31, v18
	v_lshlrev_b32_e32 v21, 24, v16
	s_wait_alu 0xf1ff
	v_xor_b32_e32 v17, s20, v17
	v_cmp_gt_i32_e64 s20, 0, v19
	v_not_b32_e32 v19, v20
	v_xor_b32_e32 v73, s21, v73
	v_cmp_gt_i32_e64 s21, 0, v20
	v_and_b32_e32 v17, exec_lo, v17
	v_not_b32_e32 v20, v22
	v_ashrrev_i32_e32 v19, 31, v19
	s_wait_alu 0xf1ff
	v_xor_b32_e32 v18, s20, v18
	v_cmp_gt_i32_e64 s20, 0, v22
	v_and_b32_e32 v17, v17, v73
	v_not_b32_e32 v22, v23
	v_ashrrev_i32_e32 v20, 31, v20
	v_xor_b32_e32 v19, s21, v19
	v_cmp_gt_i32_e64 s21, 0, v23
	v_and_b32_e32 v17, v17, v18
	v_not_b32_e32 v18, v72
	v_ashrrev_i32_e32 v22, 31, v22
	s_wait_alu 0xf1ff
	v_xor_b32_e32 v20, s20, v20
	v_cmp_gt_i32_e64 s20, 0, v72
	v_and_b32_e32 v17, v17, v19
	v_not_b32_e32 v19, v21
	v_ashrrev_i32_e32 v18, 31, v18
	v_xor_b32_e32 v22, s21, v22
	v_cmp_gt_i32_e64 s21, 0, v21
	v_and_b32_e32 v17, v17, v20
	v_ashrrev_i32_e32 v19, 31, v19
	s_wait_alu 0xf1ff
	v_xor_b32_e32 v18, s20, v18
	v_lshl_add_u32 v74, v16, 5, v24
	v_and_b32_e32 v17, v17, v22
	v_xor_b32_e32 v16, s21, v19
	ds_load_b32 v72, v74 offset:32
	v_and_b32_e32 v17, v17, v18
	; wave barrier
	s_delay_alu instid0(VALU_DEP_1) | instskip(NEXT) | instid1(VALU_DEP_1)
	v_and_b32_e32 v16, v17, v16
	v_mbcnt_lo_u32_b32 v73, v16, 0
	v_cmp_ne_u32_e64 s21, 0, v16
	s_delay_alu instid0(VALU_DEP_2)
	v_cmp_eq_u32_e64 s20, 0, v73
	s_and_b32 s21, s21, s20
	s_wait_alu 0xfffe
	s_and_saveexec_b32 s20, s21
	s_cbranch_execz .LBB236_131
; %bb.130:
	s_wait_dscnt 0x0
	v_bcnt_u32_b32 v16, v16, v72
	ds_store_b32 v74, v16 offset:32
.LBB236_131:
	s_wait_alu 0xfffe
	s_or_b32 exec_lo, exec_lo, s20
	v_lshrrev_b16 v16, 8, v32
	v_cmp_ne_u16_e64 s20, 0x8000, v32
	; wave barrier
	s_wait_alu 0xf1ff
	s_delay_alu instid0(VALU_DEP_1) | instskip(NEXT) | instid1(VALU_DEP_1)
	v_cndmask_b32_e64 v16, 0x7f, v16, s20
	v_and_b32_e32 v16, s33, v16
	s_delay_alu instid0(VALU_DEP_1)
	v_and_b32_e32 v17, 1, v16
	v_lshlrev_b32_e32 v18, 30, v16
	v_lshlrev_b32_e32 v19, 29, v16
	;; [unrolled: 1-line block ×4, first 2 shown]
	v_add_co_u32 v17, s20, v17, -1
	s_wait_alu 0xf1ff
	v_cndmask_b32_e64 v21, 0, 1, s20
	v_not_b32_e32 v76, v18
	v_cmp_gt_i32_e64 s21, 0, v18
	v_not_b32_e32 v18, v19
	v_lshlrev_b32_e32 v23, 26, v16
	v_cmp_ne_u32_e64 s20, 0, v21
	v_ashrrev_i32_e32 v76, 31, v76
	v_lshlrev_b32_e32 v75, 25, v16
	v_ashrrev_i32_e32 v18, 31, v18
	v_lshlrev_b32_e32 v21, 24, v16
	s_wait_alu 0xf1ff
	v_xor_b32_e32 v17, s20, v17
	v_cmp_gt_i32_e64 s20, 0, v19
	v_not_b32_e32 v19, v20
	v_xor_b32_e32 v76, s21, v76
	v_cmp_gt_i32_e64 s21, 0, v20
	v_and_b32_e32 v17, exec_lo, v17
	v_not_b32_e32 v20, v22
	v_ashrrev_i32_e32 v19, 31, v19
	s_wait_alu 0xf1ff
	v_xor_b32_e32 v18, s20, v18
	v_cmp_gt_i32_e64 s20, 0, v22
	v_and_b32_e32 v17, v17, v76
	v_not_b32_e32 v22, v23
	v_ashrrev_i32_e32 v20, 31, v20
	v_xor_b32_e32 v19, s21, v19
	v_cmp_gt_i32_e64 s21, 0, v23
	v_and_b32_e32 v17, v17, v18
	v_not_b32_e32 v18, v75
	v_ashrrev_i32_e32 v22, 31, v22
	s_wait_alu 0xf1ff
	v_xor_b32_e32 v20, s20, v20
	v_cmp_gt_i32_e64 s20, 0, v75
	v_and_b32_e32 v17, v17, v19
	v_not_b32_e32 v19, v21
	v_ashrrev_i32_e32 v18, 31, v18
	v_xor_b32_e32 v22, s21, v22
	v_cmp_gt_i32_e64 s21, 0, v21
	v_and_b32_e32 v17, v17, v20
	v_ashrrev_i32_e32 v19, 31, v19
	s_wait_alu 0xf1ff
	v_xor_b32_e32 v18, s20, v18
	v_lshl_add_u32 v77, v16, 5, v24
	v_and_b32_e32 v17, v17, v22
	v_xor_b32_e32 v16, s21, v19
	ds_load_b32 v75, v77 offset:32
	v_and_b32_e32 v17, v17, v18
	; wave barrier
	s_delay_alu instid0(VALU_DEP_1) | instskip(NEXT) | instid1(VALU_DEP_1)
	v_and_b32_e32 v16, v17, v16
	v_mbcnt_lo_u32_b32 v76, v16, 0
	v_cmp_ne_u32_e64 s21, 0, v16
	s_delay_alu instid0(VALU_DEP_2)
	v_cmp_eq_u32_e64 s20, 0, v76
	s_and_b32 s21, s21, s20
	s_wait_alu 0xfffe
	s_and_saveexec_b32 s20, s21
	s_cbranch_execz .LBB236_133
; %bb.132:
	s_wait_dscnt 0x0
	v_bcnt_u32_b32 v16, v16, v75
	ds_store_b32 v77, v16 offset:32
.LBB236_133:
	s_wait_alu 0xfffe
	s_or_b32 exec_lo, exec_lo, s20
	v_lshrrev_b16 v16, 8, v25
	v_cmp_ne_u16_e64 s20, 0x8000, v25
	; wave barrier
	s_wait_alu 0xf1ff
	s_delay_alu instid0(VALU_DEP_1) | instskip(NEXT) | instid1(VALU_DEP_1)
	v_cndmask_b32_e64 v16, 0x7f, v16, s20
	v_and_b32_e32 v16, s33, v16
	s_delay_alu instid0(VALU_DEP_1)
	v_and_b32_e32 v17, 1, v16
	v_lshlrev_b32_e32 v18, 30, v16
	v_lshlrev_b32_e32 v19, 29, v16
	v_lshlrev_b32_e32 v20, 28, v16
	v_lshlrev_b32_e32 v22, 27, v16
	v_add_co_u32 v17, s20, v17, -1
	s_wait_alu 0xf1ff
	v_cndmask_b32_e64 v21, 0, 1, s20
	v_not_b32_e32 v79, v18
	v_cmp_gt_i32_e64 s21, 0, v18
	v_not_b32_e32 v18, v19
	v_lshlrev_b32_e32 v23, 26, v16
	v_cmp_ne_u32_e64 s20, 0, v21
	v_ashrrev_i32_e32 v79, 31, v79
	v_lshlrev_b32_e32 v78, 25, v16
	v_ashrrev_i32_e32 v18, 31, v18
	v_lshlrev_b32_e32 v21, 24, v16
	s_wait_alu 0xf1ff
	v_xor_b32_e32 v17, s20, v17
	v_cmp_gt_i32_e64 s20, 0, v19
	v_not_b32_e32 v19, v20
	v_xor_b32_e32 v79, s21, v79
	v_cmp_gt_i32_e64 s21, 0, v20
	v_and_b32_e32 v17, exec_lo, v17
	v_not_b32_e32 v20, v22
	v_ashrrev_i32_e32 v19, 31, v19
	s_wait_alu 0xf1ff
	v_xor_b32_e32 v18, s20, v18
	v_cmp_gt_i32_e64 s20, 0, v22
	v_and_b32_e32 v17, v17, v79
	v_not_b32_e32 v22, v23
	v_ashrrev_i32_e32 v20, 31, v20
	v_xor_b32_e32 v19, s21, v19
	v_cmp_gt_i32_e64 s21, 0, v23
	v_and_b32_e32 v17, v17, v18
	v_not_b32_e32 v18, v78
	v_ashrrev_i32_e32 v22, 31, v22
	s_wait_alu 0xf1ff
	v_xor_b32_e32 v20, s20, v20
	v_cmp_gt_i32_e64 s20, 0, v78
	v_and_b32_e32 v17, v17, v19
	v_not_b32_e32 v19, v21
	v_ashrrev_i32_e32 v18, 31, v18
	v_xor_b32_e32 v22, s21, v22
	v_cmp_gt_i32_e64 s21, 0, v21
	v_and_b32_e32 v17, v17, v20
	v_ashrrev_i32_e32 v19, 31, v19
	s_wait_alu 0xf1ff
	v_xor_b32_e32 v18, s20, v18
	v_lshl_add_u32 v79, v16, 5, v24
	v_and_b32_e32 v17, v17, v22
	v_xor_b32_e32 v16, s21, v19
	ds_load_b32 v24, v79 offset:32
	v_and_b32_e32 v17, v17, v18
	; wave barrier
	s_delay_alu instid0(VALU_DEP_1) | instskip(NEXT) | instid1(VALU_DEP_1)
	v_and_b32_e32 v16, v17, v16
	v_mbcnt_lo_u32_b32 v78, v16, 0
	v_cmp_ne_u32_e64 s21, 0, v16
	s_delay_alu instid0(VALU_DEP_2)
	v_cmp_eq_u32_e64 s20, 0, v78
	s_and_b32 s21, s21, s20
	s_wait_alu 0xfffe
	s_and_saveexec_b32 s20, s21
	s_cbranch_execz .LBB236_135
; %bb.134:
	s_wait_dscnt 0x0
	v_bcnt_u32_b32 v16, v16, v24
	ds_store_b32 v79, v16 offset:32
.LBB236_135:
	s_wait_alu 0xfffe
	s_or_b32 exec_lo, exec_lo, s20
	; wave barrier
	s_wait_loadcnt_dscnt 0x0
	s_barrier_signal -1
	s_barrier_wait -1
	global_inv scope:SCOPE_SE
	ds_load_b128 v[20:23], v65 offset:32
	ds_load_b128 v[16:19], v65 offset:48
	s_wait_dscnt 0x1
	v_add_nc_u32_e32 v80, v21, v20
	s_delay_alu instid0(VALU_DEP_1) | instskip(SKIP_1) | instid1(VALU_DEP_1)
	v_add3_u32 v80, v80, v22, v23
	s_wait_dscnt 0x0
	v_add3_u32 v80, v80, v16, v17
	s_delay_alu instid0(VALU_DEP_1) | instskip(NEXT) | instid1(VALU_DEP_1)
	v_add3_u32 v19, v80, v18, v19
	v_mov_b32_dpp v80, v19 row_shr:1 row_mask:0xf bank_mask:0xf
	s_delay_alu instid0(VALU_DEP_1) | instskip(NEXT) | instid1(VALU_DEP_1)
	v_cndmask_b32_e64 v80, v80, 0, s1
	v_add_nc_u32_e32 v19, v80, v19
	s_delay_alu instid0(VALU_DEP_1) | instskip(NEXT) | instid1(VALU_DEP_1)
	v_mov_b32_dpp v80, v19 row_shr:2 row_mask:0xf bank_mask:0xf
	v_cndmask_b32_e64 v80, 0, v80, s11
	s_delay_alu instid0(VALU_DEP_1) | instskip(NEXT) | instid1(VALU_DEP_1)
	v_add_nc_u32_e32 v19, v19, v80
	v_mov_b32_dpp v80, v19 row_shr:4 row_mask:0xf bank_mask:0xf
	s_delay_alu instid0(VALU_DEP_1) | instskip(NEXT) | instid1(VALU_DEP_1)
	v_cndmask_b32_e64 v80, 0, v80, s12
	v_add_nc_u32_e32 v19, v19, v80
	s_delay_alu instid0(VALU_DEP_1) | instskip(NEXT) | instid1(VALU_DEP_1)
	v_mov_b32_dpp v80, v19 row_shr:8 row_mask:0xf bank_mask:0xf
	v_cndmask_b32_e64 v80, 0, v80, s14
	s_delay_alu instid0(VALU_DEP_1) | instskip(SKIP_3) | instid1(VALU_DEP_1)
	v_add_nc_u32_e32 v19, v19, v80
	ds_swizzle_b32 v80, v19 offset:swizzle(BROADCAST,32,15)
	s_wait_dscnt 0x0
	v_cndmask_b32_e64 v80, v80, 0, s17
	v_add_nc_u32_e32 v19, v19, v80
	s_and_saveexec_b32 s1, s15
; %bb.136:
	ds_store_b32 v35, v19
; %bb.137:
	s_wait_alu 0xfffe
	s_or_b32 exec_lo, exec_lo, s1
	s_wait_loadcnt_dscnt 0x0
	s_barrier_signal -1
	s_barrier_wait -1
	global_inv scope:SCOPE_SE
	s_and_saveexec_b32 s1, s16
	s_cbranch_execz .LBB236_139
; %bb.138:
	ds_load_b32 v35, v34
	s_wait_dscnt 0x0
	v_mov_b32_dpp v80, v35 row_shr:1 row_mask:0xf bank_mask:0xf
	s_delay_alu instid0(VALU_DEP_1) | instskip(NEXT) | instid1(VALU_DEP_1)
	v_cndmask_b32_e64 v80, v80, 0, s13
	v_add_nc_u32_e32 v35, v80, v35
	s_delay_alu instid0(VALU_DEP_1) | instskip(NEXT) | instid1(VALU_DEP_1)
	v_mov_b32_dpp v80, v35 row_shr:2 row_mask:0xf bank_mask:0xf
	v_cndmask_b32_e64 v80, 0, v80, s10
	s_delay_alu instid0(VALU_DEP_1) | instskip(NEXT) | instid1(VALU_DEP_1)
	v_add_nc_u32_e32 v35, v35, v80
	v_mov_b32_dpp v80, v35 row_shr:4 row_mask:0xf bank_mask:0xf
	s_wait_alu 0xfffd
	s_delay_alu instid0(VALU_DEP_1) | instskip(NEXT) | instid1(VALU_DEP_1)
	v_cndmask_b32_e32 v80, 0, v80, vcc_lo
	v_add_nc_u32_e32 v35, v35, v80
	ds_store_b32 v34, v35
.LBB236_139:
	s_wait_alu 0xfffe
	s_or_b32 exec_lo, exec_lo, s1
	v_mov_b32_e32 v34, 0
	s_wait_loadcnt_dscnt 0x0
	s_barrier_signal -1
	s_barrier_wait -1
	global_inv scope:SCOPE_SE
	s_and_saveexec_b32 s1, s18
; %bb.140:
	ds_load_b32 v34, v36
; %bb.141:
	s_wait_alu 0xfffe
	s_or_b32 exec_lo, exec_lo, s1
	s_wait_dscnt 0x0
	v_add_nc_u32_e32 v19, v34, v19
	ds_bpermute_b32 v19, v37, v19
	s_wait_dscnt 0x0
	v_cndmask_b32_e64 v19, v19, v34, s0
	s_delay_alu instid0(VALU_DEP_1) | instskip(NEXT) | instid1(VALU_DEP_1)
	v_cndmask_b32_e64 v19, v19, 0, s19
	v_add_nc_u32_e32 v20, v19, v20
	s_delay_alu instid0(VALU_DEP_1) | instskip(NEXT) | instid1(VALU_DEP_1)
	v_add_nc_u32_e32 v21, v20, v21
	v_add_nc_u32_e32 v22, v21, v22
	s_delay_alu instid0(VALU_DEP_1) | instskip(NEXT) | instid1(VALU_DEP_1)
	v_add_nc_u32_e32 v34, v22, v23
	;; [unrolled: 3-line block ×3, first 2 shown]
	v_add_nc_u32_e32 v37, v36, v18
	ds_store_b128 v65, v[19:22] offset:32
	ds_store_b128 v65, v[34:37] offset:48
	s_wait_loadcnt_dscnt 0x0
	s_barrier_signal -1
	s_barrier_wait -1
	global_inv scope:SCOPE_SE
	ds_load_b32 v16, v79 offset:32
	ds_load_b32 v17, v77 offset:32
	;; [unrolled: 1-line block ×8, first 2 shown]
	s_wait_loadcnt_dscnt 0x0
	s_barrier_signal -1
	s_barrier_wait -1
	global_inv scope:SCOPE_SE
	v_lshlrev_b32_e32 v34, 1, v64
	s_delay_alu instid0(VALU_DEP_1)
	v_mad_u32_u24 v37, v41, 48, v34
	v_add3_u32 v35, v78, v24, v16
	v_add3_u32 v36, v76, v75, v17
	;; [unrolled: 1-line block ×3, first 2 shown]
	v_add_nc_u32_e32 v24, v19, v33
	v_add3_u32 v33, v40, v39, v20
	v_add3_u32 v39, v44, v43, v21
	;; [unrolled: 1-line block ×4, first 2 shown]
	v_lshlrev_b32_e32 v16, 1, v24
	v_lshlrev_b32_e32 v17, 1, v33
	;; [unrolled: 1-line block ×8, first 2 shown]
	ds_store_b16 v16, v26
	ds_store_b16 v17, v27
	;; [unrolled: 1-line block ×8, first 2 shown]
	v_mad_co_u64_u32 v[24:25], null, v24, 6, v[16:17]
	v_mad_co_u64_u32 v[16:17], null, v33, 6, v[17:18]
	;; [unrolled: 1-line block ×7, first 2 shown]
	s_wait_loadcnt_dscnt 0x0
	s_barrier_signal -1
	s_barrier_wait -1
	global_inv scope:SCOPE_SE
	v_mad_co_u64_u32 v[22:23], null, v35, 6, v[23:24]
	ds_load_b128 v[33:36], v34
	s_wait_loadcnt_dscnt 0x0
	s_barrier_signal -1
	s_barrier_wait -1
	global_inv scope:SCOPE_SE
	ds_store_b64 v24, v[4:5]
	ds_store_b64 v16, v[6:7]
	;; [unrolled: 1-line block ×8, first 2 shown]
	s_wait_loadcnt_dscnt 0x0
	s_barrier_signal -1
	s_barrier_wait -1
	global_inv scope:SCOPE_SE
	ds_load_b128 v[29:32], v37
	ds_load_b128 v[25:28], v37 offset:16
	ds_load_b128 v[21:24], v37 offset:32
	;; [unrolled: 1-line block ×3, first 2 shown]
	v_cmp_gt_i16_e32 vcc_lo, 0, v33
	v_lshrrev_b32_e32 v0, 16, v33
	v_lshrrev_b32_e32 v2, 16, v34
	;; [unrolled: 1-line block ×4, first 2 shown]
	s_wait_alu 0xfffd
	v_cndmask_b32_e64 v1, 0x7fff, 0, vcc_lo
	v_cmp_gt_i16_e32 vcc_lo, 0, v34
	s_wait_alu 0xfffd
	v_cndmask_b32_e64 v3, 0x7fff, 0, vcc_lo
	v_cmp_gt_i16_e32 vcc_lo, 0, v35
	;; [unrolled: 3-line block ×5, first 2 shown]
	s_delay_alu instid0(VALU_DEP_2) | instskip(SKIP_3) | instid1(VALU_DEP_3)
	v_perm_b32 v0, v0, v1, 0x5040100
	s_wait_alu 0xfffd
	v_cndmask_b32_e64 v2, 0x7fff, 0, vcc_lo
	v_cmp_gt_i16_e32 vcc_lo, 0, v4
	v_xor_b32_e32 v0, v0, v33
	s_delay_alu instid0(VALU_DEP_3) | instskip(SKIP_3) | instid1(VALU_DEP_3)
	v_perm_b32 v1, v2, v3, 0x5040100
	s_wait_alu 0xfffd
	v_cndmask_b32_e64 v4, 0x7fff, 0, vcc_lo
	v_cmp_gt_i16_e32 vcc_lo, 0, v6
	v_xor_b32_e32 v34, v1, v34
	s_delay_alu instid0(VALU_DEP_3) | instskip(SKIP_2) | instid1(VALU_DEP_2)
	v_perm_b32 v2, v4, v5, 0x5040100
	s_wait_alu 0xfffd
	v_cndmask_b32_e64 v6, 0x7fff, 0, vcc_lo
	v_xor_b32_e32 v33, v2, v35
	s_delay_alu instid0(VALU_DEP_2) | instskip(NEXT) | instid1(VALU_DEP_1)
	v_perm_b32 v3, v6, v7, 0x5040100
	v_xor_b32_e32 v35, v3, v36
.LBB236_142:
	v_mad_co_u64_u32 v[9:10], null, s22, v41, 0
	s_wait_loadcnt_dscnt 0x0
	s_barrier_signal -1
	s_barrier_wait -1
	global_inv scope:SCOPE_SE
	ds_store_2addr_b32 v54, v0, v34 offset1:1
	ds_store_2addr_b32 v54, v33, v35 offset0:2 offset1:3
	s_wait_loadcnt_dscnt 0x0
	v_mov_b32_e32 v0, v10
	s_barrier_signal -1
	s_barrier_wait -1
	global_inv scope:SCOPE_SE
	ds_load_u16 v8, v47 offset:512
	ds_load_u16 v7, v48 offset:1024
	;; [unrolled: 1-line block ×7, first 2 shown]
	v_mad_co_u64_u32 v[0:1], null, s23, v41, v[0:1]
	s_delay_alu instid0(VALU_DEP_1) | instskip(NEXT) | instid1(VALU_DEP_1)
	v_mov_b32_e32 v10, v0
	v_lshlrev_b64_e32 v[0:1], 1, v[9:10]
	s_delay_alu instid0(VALU_DEP_1) | instskip(SKIP_1) | instid1(VALU_DEP_2)
	v_add_co_u32 v0, vcc_lo, s30, v0
	s_wait_alu 0xfffd
	v_add_co_ci_u32_e64 v1, null, s31, v1, vcc_lo
	s_and_saveexec_b32 s0, s2
	s_cbranch_execnz .LBB236_161
; %bb.143:
	s_wait_alu 0xfffe
	s_or_b32 exec_lo, exec_lo, s0
	s_and_saveexec_b32 s0, s3
	s_cbranch_execnz .LBB236_162
.LBB236_144:
	s_wait_alu 0xfffe
	s_or_b32 exec_lo, exec_lo, s0
	s_and_saveexec_b32 s0, s4
	s_cbranch_execnz .LBB236_163
.LBB236_145:
	s_wait_alu 0xfffe
	s_or_b32 exec_lo, exec_lo, s0
	s_and_saveexec_b32 s0, s5
	s_cbranch_execnz .LBB236_164
.LBB236_146:
	s_wait_alu 0xfffe
	s_or_b32 exec_lo, exec_lo, s0
	s_and_saveexec_b32 s0, s6
	s_cbranch_execnz .LBB236_165
.LBB236_147:
	s_wait_alu 0xfffe
	s_or_b32 exec_lo, exec_lo, s0
	s_and_saveexec_b32 s0, s7
	s_cbranch_execnz .LBB236_166
.LBB236_148:
	s_wait_alu 0xfffe
	s_or_b32 exec_lo, exec_lo, s0
	s_and_saveexec_b32 s0, s8
	s_cbranch_execnz .LBB236_167
.LBB236_149:
	s_wait_alu 0xfffe
	s_or_b32 exec_lo, exec_lo, s0
	s_and_saveexec_b32 s0, s9
	s_cbranch_execz .LBB236_151
.LBB236_150:
	v_mad_co_u64_u32 v[0:1], null, 0xe00, s22, v[0:1]
	s_wait_dscnt 0x0
	s_delay_alu instid0(VALU_DEP_1) | instskip(NEXT) | instid1(VALU_DEP_1)
	v_mad_co_u64_u32 v[3:4], null, 0xe00, s23, v[1:2]
	v_mov_b32_e32 v1, v3
	global_store_b16 v[0:1], v2, off
.LBB236_151:
	s_wait_alu 0xfffe
	s_or_b32 exec_lo, exec_lo, s0
	s_wait_dscnt 0x0
	v_mad_co_u64_u32 v[2:3], null, s28, v41, 0
	s_wait_loadcnt 0x0
	s_wait_storecnt 0x0
	s_barrier_signal -1
	s_barrier_wait -1
	global_inv scope:SCOPE_SE
	ds_store_2addr_b64 v63, v[29:30], v[31:32] offset1:1
	ds_store_2addr_b64 v63, v[25:26], v[27:28] offset0:2 offset1:3
	ds_store_2addr_b64 v63, v[21:22], v[23:24] offset0:4 offset1:5
	;; [unrolled: 1-line block ×3, first 2 shown]
	s_wait_loadcnt_dscnt 0x0
	v_mov_b32_e32 v0, v3
	s_barrier_signal -1
	s_barrier_wait -1
	global_inv scope:SCOPE_SE
	v_mad_co_u64_u32 v[3:4], null, s29, v41, v[0:1]
	ds_load_b64 v[14:15], v56 offset:2048
	ds_load_b64 v[12:13], v57 offset:4096
	;; [unrolled: 1-line block ×7, first 2 shown]
	v_lshlrev_b64_e32 v[2:3], 3, v[2:3]
	s_delay_alu instid0(VALU_DEP_1) | instskip(SKIP_1) | instid1(VALU_DEP_2)
	v_add_co_u32 v2, vcc_lo, s34, v2
	s_wait_alu 0xfffd
	v_add_co_ci_u32_e64 v3, null, s35, v3, vcc_lo
	s_and_saveexec_b32 s0, s2
	s_cbranch_execnz .LBB236_168
; %bb.152:
	s_wait_alu 0xfffe
	s_or_b32 exec_lo, exec_lo, s0
	s_and_saveexec_b32 s0, s3
	s_cbranch_execnz .LBB236_169
.LBB236_153:
	s_wait_alu 0xfffe
	s_or_b32 exec_lo, exec_lo, s0
	s_and_saveexec_b32 s0, s4
	s_cbranch_execnz .LBB236_170
.LBB236_154:
	s_wait_alu 0xfffe
	s_or_b32 exec_lo, exec_lo, s0
	s_and_saveexec_b32 s0, s5
	s_cbranch_execnz .LBB236_171
.LBB236_155:
	s_wait_alu 0xfffe
	s_or_b32 exec_lo, exec_lo, s0
	s_and_saveexec_b32 s0, s6
	s_cbranch_execnz .LBB236_172
.LBB236_156:
	s_wait_alu 0xfffe
	s_or_b32 exec_lo, exec_lo, s0
	s_and_saveexec_b32 s0, s7
	s_cbranch_execnz .LBB236_173
.LBB236_157:
	s_wait_alu 0xfffe
	s_or_b32 exec_lo, exec_lo, s0
	s_and_saveexec_b32 s0, s8
	s_cbranch_execnz .LBB236_174
.LBB236_158:
	s_wait_alu 0xfffe
	s_or_b32 exec_lo, exec_lo, s0
	s_and_saveexec_b32 s0, s9
	s_cbranch_execz .LBB236_160
.LBB236_159:
	v_mad_co_u64_u32 v[2:3], null, 0x3800, s28, v[2:3]
	s_wait_dscnt 0x1
	s_delay_alu instid0(VALU_DEP_1)
	v_mad_co_u64_u32 v[3:4], null, 0x3800, s29, v[3:4]
	s_wait_dscnt 0x0
	global_store_b64 v[2:3], v[0:1], off
.LBB236_160:
	s_nop 0
	s_sendmsg sendmsg(MSG_DEALLOC_VGPRS)
	s_endpgm
.LBB236_161:
	ds_load_u16 v9, v46
	s_wait_dscnt 0x0
	global_store_b16 v[0:1], v9, off
	s_wait_alu 0xfffe
	s_or_b32 exec_lo, exec_lo, s0
	s_and_saveexec_b32 s0, s3
	s_cbranch_execz .LBB236_144
.LBB236_162:
	s_lshl_b64 s[10:11], s[22:23], 9
	s_wait_alu 0xfffe
	v_add_co_u32 v9, vcc_lo, v0, s10
	s_wait_alu 0xfffd
	v_add_co_ci_u32_e64 v10, null, s11, v1, vcc_lo
	s_wait_dscnt 0x6
	global_store_b16 v[9:10], v8, off
	s_or_b32 exec_lo, exec_lo, s0
	s_and_saveexec_b32 s0, s4
	s_cbranch_execz .LBB236_145
.LBB236_163:
	s_lshl_b64 s[10:11], s[22:23], 10
	s_wait_dscnt 0x6
	s_wait_alu 0xfffe
	v_add_co_u32 v8, vcc_lo, v0, s10
	s_wait_alu 0xfffd
	v_add_co_ci_u32_e64 v9, null, s11, v1, vcc_lo
	s_wait_dscnt 0x5
	global_store_b16 v[8:9], v7, off
	s_or_b32 exec_lo, exec_lo, s0
	s_and_saveexec_b32 s0, s5
	s_cbranch_execz .LBB236_146
.LBB236_164:
	s_wait_dscnt 0x5
	v_mad_co_u64_u32 v[7:8], null, 0x600, s22, v[0:1]
	s_delay_alu instid0(VALU_DEP_1)
	v_mad_co_u64_u32 v[8:9], null, 0x600, s23, v[8:9]
	s_wait_dscnt 0x4
	global_store_b16 v[7:8], v6, off
	s_wait_alu 0xfffe
	s_or_b32 exec_lo, exec_lo, s0
	s_and_saveexec_b32 s0, s6
	s_cbranch_execz .LBB236_147
.LBB236_165:
	s_lshl_b64 s[10:11], s[22:23], 11
	s_wait_dscnt 0x4
	s_wait_alu 0xfffe
	v_add_co_u32 v6, vcc_lo, v0, s10
	s_wait_alu 0xfffd
	v_add_co_ci_u32_e64 v7, null, s11, v1, vcc_lo
	s_wait_dscnt 0x3
	global_store_b16 v[6:7], v5, off
	s_or_b32 exec_lo, exec_lo, s0
	s_and_saveexec_b32 s0, s7
	s_cbranch_execz .LBB236_148
.LBB236_166:
	s_wait_dscnt 0x3
	v_mad_co_u64_u32 v[5:6], null, 0xa00, s22, v[0:1]
	s_delay_alu instid0(VALU_DEP_1)
	v_mad_co_u64_u32 v[6:7], null, 0xa00, s23, v[6:7]
	s_wait_dscnt 0x2
	global_store_b16 v[5:6], v4, off
	s_wait_alu 0xfffe
	s_or_b32 exec_lo, exec_lo, s0
	s_and_saveexec_b32 s0, s8
	s_cbranch_execz .LBB236_149
.LBB236_167:
	s_wait_dscnt 0x2
	v_mad_co_u64_u32 v[4:5], null, 0xc00, s22, v[0:1]
	s_delay_alu instid0(VALU_DEP_1)
	v_mad_co_u64_u32 v[5:6], null, 0xc00, s23, v[5:6]
	s_wait_dscnt 0x1
	global_store_b16 v[4:5], v3, off
	s_wait_alu 0xfffe
	s_or_b32 exec_lo, exec_lo, s0
	s_and_saveexec_b32 s0, s9
	s_cbranch_execnz .LBB236_150
	s_branch .LBB236_151
.LBB236_168:
	ds_load_b64 v[16:17], v55
	s_wait_dscnt 0x0
	global_store_b64 v[2:3], v[16:17], off
	s_wait_alu 0xfffe
	s_or_b32 exec_lo, exec_lo, s0
	s_and_saveexec_b32 s0, s3
	s_cbranch_execz .LBB236_153
.LBB236_169:
	s_lshl_b64 s[2:3], s[28:29], 11
	s_wait_alu 0xfffe
	v_add_co_u32 v16, vcc_lo, v2, s2
	s_wait_alu 0xfffd
	v_add_co_ci_u32_e64 v17, null, s3, v3, vcc_lo
	s_wait_dscnt 0x6
	global_store_b64 v[16:17], v[14:15], off
	s_or_b32 exec_lo, exec_lo, s0
	s_and_saveexec_b32 s0, s4
	s_cbranch_execz .LBB236_154
.LBB236_170:
	s_lshl_b64 s[2:3], s[28:29], 12
	s_wait_dscnt 0x6
	s_wait_alu 0xfffe
	v_add_co_u32 v14, vcc_lo, v2, s2
	s_wait_alu 0xfffd
	v_add_co_ci_u32_e64 v15, null, s3, v3, vcc_lo
	s_wait_dscnt 0x5
	global_store_b64 v[14:15], v[12:13], off
	s_or_b32 exec_lo, exec_lo, s0
	s_and_saveexec_b32 s0, s5
	s_cbranch_execz .LBB236_155
.LBB236_171:
	s_wait_dscnt 0x5
	v_mad_co_u64_u32 v[12:13], null, 0x1800, s28, v[2:3]
	s_delay_alu instid0(VALU_DEP_1)
	v_mad_co_u64_u32 v[13:14], null, 0x1800, s29, v[13:14]
	s_wait_dscnt 0x4
	global_store_b64 v[12:13], v[10:11], off
	s_wait_alu 0xfffe
	s_or_b32 exec_lo, exec_lo, s0
	s_and_saveexec_b32 s0, s6
	s_cbranch_execz .LBB236_156
.LBB236_172:
	s_lshl_b64 s[2:3], s[28:29], 13
	s_wait_dscnt 0x4
	s_wait_alu 0xfffe
	v_add_co_u32 v10, vcc_lo, v2, s2
	s_wait_alu 0xfffd
	v_add_co_ci_u32_e64 v11, null, s3, v3, vcc_lo
	s_wait_dscnt 0x3
	global_store_b64 v[10:11], v[8:9], off
	s_or_b32 exec_lo, exec_lo, s0
	s_and_saveexec_b32 s0, s7
	s_cbranch_execz .LBB236_157
.LBB236_173:
	s_wait_dscnt 0x3
	v_mad_co_u64_u32 v[8:9], null, 0x2800, s28, v[2:3]
	s_delay_alu instid0(VALU_DEP_1)
	v_mad_co_u64_u32 v[9:10], null, 0x2800, s29, v[9:10]
	s_wait_dscnt 0x2
	global_store_b64 v[8:9], v[6:7], off
	s_wait_alu 0xfffe
	s_or_b32 exec_lo, exec_lo, s0
	s_and_saveexec_b32 s0, s8
	s_cbranch_execz .LBB236_158
.LBB236_174:
	s_wait_dscnt 0x2
	v_mad_co_u64_u32 v[6:7], null, 0x3000, s28, v[2:3]
	s_delay_alu instid0(VALU_DEP_1)
	v_mad_co_u64_u32 v[7:8], null, 0x3000, s29, v[7:8]
	s_wait_dscnt 0x1
	global_store_b64 v[6:7], v[4:5], off
	s_wait_alu 0xfffe
	s_or_b32 exec_lo, exec_lo, s0
	s_and_saveexec_b32 s0, s9
	s_cbranch_execnz .LBB236_159
	s_branch .LBB236_160
	.section	.rodata,"a",@progbits
	.p2align	6, 0x0
	.amdhsa_kernel _ZN2at6native18radixSortKVInPlaceILin1ELin1ELi256ELi8EN3c104HalfElmEEvNS_4cuda6detail10TensorInfoIT3_T5_EES8_S8_S8_NS6_IT4_S8_EES8_b
		.amdhsa_group_segment_fixed_size 16896
		.amdhsa_private_segment_fixed_size 0
		.amdhsa_kernarg_size 1128
		.amdhsa_user_sgpr_count 2
		.amdhsa_user_sgpr_dispatch_ptr 0
		.amdhsa_user_sgpr_queue_ptr 0
		.amdhsa_user_sgpr_kernarg_segment_ptr 1
		.amdhsa_user_sgpr_dispatch_id 0
		.amdhsa_user_sgpr_private_segment_size 0
		.amdhsa_wavefront_size32 1
		.amdhsa_uses_dynamic_stack 0
		.amdhsa_enable_private_segment 0
		.amdhsa_system_sgpr_workgroup_id_x 1
		.amdhsa_system_sgpr_workgroup_id_y 1
		.amdhsa_system_sgpr_workgroup_id_z 1
		.amdhsa_system_sgpr_workgroup_info 0
		.amdhsa_system_vgpr_workitem_id 2
		.amdhsa_next_free_vgpr 111
		.amdhsa_next_free_sgpr 38
		.amdhsa_reserve_vcc 1
		.amdhsa_float_round_mode_32 0
		.amdhsa_float_round_mode_16_64 0
		.amdhsa_float_denorm_mode_32 3
		.amdhsa_float_denorm_mode_16_64 3
		.amdhsa_fp16_overflow 0
		.amdhsa_workgroup_processor_mode 1
		.amdhsa_memory_ordered 1
		.amdhsa_forward_progress 1
		.amdhsa_inst_pref_size 191
		.amdhsa_round_robin_scheduling 0
		.amdhsa_exception_fp_ieee_invalid_op 0
		.amdhsa_exception_fp_denorm_src 0
		.amdhsa_exception_fp_ieee_div_zero 0
		.amdhsa_exception_fp_ieee_overflow 0
		.amdhsa_exception_fp_ieee_underflow 0
		.amdhsa_exception_fp_ieee_inexact 0
		.amdhsa_exception_int_div_zero 0
	.end_amdhsa_kernel
	.section	.text._ZN2at6native18radixSortKVInPlaceILin1ELin1ELi256ELi8EN3c104HalfElmEEvNS_4cuda6detail10TensorInfoIT3_T5_EES8_S8_S8_NS6_IT4_S8_EES8_b,"axG",@progbits,_ZN2at6native18radixSortKVInPlaceILin1ELin1ELi256ELi8EN3c104HalfElmEEvNS_4cuda6detail10TensorInfoIT3_T5_EES8_S8_S8_NS6_IT4_S8_EES8_b,comdat
.Lfunc_end236:
	.size	_ZN2at6native18radixSortKVInPlaceILin1ELin1ELi256ELi8EN3c104HalfElmEEvNS_4cuda6detail10TensorInfoIT3_T5_EES8_S8_S8_NS6_IT4_S8_EES8_b, .Lfunc_end236-_ZN2at6native18radixSortKVInPlaceILin1ELin1ELi256ELi8EN3c104HalfElmEEvNS_4cuda6detail10TensorInfoIT3_T5_EES8_S8_S8_NS6_IT4_S8_EES8_b
                                        ; -- End function
	.set _ZN2at6native18radixSortKVInPlaceILin1ELin1ELi256ELi8EN3c104HalfElmEEvNS_4cuda6detail10TensorInfoIT3_T5_EES8_S8_S8_NS6_IT4_S8_EES8_b.num_vgpr, 111
	.set _ZN2at6native18radixSortKVInPlaceILin1ELin1ELi256ELi8EN3c104HalfElmEEvNS_4cuda6detail10TensorInfoIT3_T5_EES8_S8_S8_NS6_IT4_S8_EES8_b.num_agpr, 0
	.set _ZN2at6native18radixSortKVInPlaceILin1ELin1ELi256ELi8EN3c104HalfElmEEvNS_4cuda6detail10TensorInfoIT3_T5_EES8_S8_S8_NS6_IT4_S8_EES8_b.numbered_sgpr, 38
	.set _ZN2at6native18radixSortKVInPlaceILin1ELin1ELi256ELi8EN3c104HalfElmEEvNS_4cuda6detail10TensorInfoIT3_T5_EES8_S8_S8_NS6_IT4_S8_EES8_b.num_named_barrier, 0
	.set _ZN2at6native18radixSortKVInPlaceILin1ELin1ELi256ELi8EN3c104HalfElmEEvNS_4cuda6detail10TensorInfoIT3_T5_EES8_S8_S8_NS6_IT4_S8_EES8_b.private_seg_size, 0
	.set _ZN2at6native18radixSortKVInPlaceILin1ELin1ELi256ELi8EN3c104HalfElmEEvNS_4cuda6detail10TensorInfoIT3_T5_EES8_S8_S8_NS6_IT4_S8_EES8_b.uses_vcc, 1
	.set _ZN2at6native18radixSortKVInPlaceILin1ELin1ELi256ELi8EN3c104HalfElmEEvNS_4cuda6detail10TensorInfoIT3_T5_EES8_S8_S8_NS6_IT4_S8_EES8_b.uses_flat_scratch, 0
	.set _ZN2at6native18radixSortKVInPlaceILin1ELin1ELi256ELi8EN3c104HalfElmEEvNS_4cuda6detail10TensorInfoIT3_T5_EES8_S8_S8_NS6_IT4_S8_EES8_b.has_dyn_sized_stack, 0
	.set _ZN2at6native18radixSortKVInPlaceILin1ELin1ELi256ELi8EN3c104HalfElmEEvNS_4cuda6detail10TensorInfoIT3_T5_EES8_S8_S8_NS6_IT4_S8_EES8_b.has_recursion, 0
	.set _ZN2at6native18radixSortKVInPlaceILin1ELin1ELi256ELi8EN3c104HalfElmEEvNS_4cuda6detail10TensorInfoIT3_T5_EES8_S8_S8_NS6_IT4_S8_EES8_b.has_indirect_call, 0
	.section	.AMDGPU.csdata,"",@progbits
; Kernel info:
; codeLenInByte = 24364
; TotalNumSgprs: 40
; NumVgprs: 111
; ScratchSize: 0
; MemoryBound: 0
; FloatMode: 240
; IeeeMode: 1
; LDSByteSize: 16896 bytes/workgroup (compile time only)
; SGPRBlocks: 0
; VGPRBlocks: 13
; NumSGPRsForWavesPerEU: 40
; NumVGPRsForWavesPerEU: 111
; Occupancy: 12
; WaveLimiterHint : 1
; COMPUTE_PGM_RSRC2:SCRATCH_EN: 0
; COMPUTE_PGM_RSRC2:USER_SGPR: 2
; COMPUTE_PGM_RSRC2:TRAP_HANDLER: 0
; COMPUTE_PGM_RSRC2:TGID_X_EN: 1
; COMPUTE_PGM_RSRC2:TGID_Y_EN: 1
; COMPUTE_PGM_RSRC2:TGID_Z_EN: 1
; COMPUTE_PGM_RSRC2:TIDIG_COMP_CNT: 2
	.section	.text._ZN2at6native18radixSortKVInPlaceILin1ELin1ELi128ELi8EN3c104HalfElmEEvNS_4cuda6detail10TensorInfoIT3_T5_EES8_S8_S8_NS6_IT4_S8_EES8_b,"axG",@progbits,_ZN2at6native18radixSortKVInPlaceILin1ELin1ELi128ELi8EN3c104HalfElmEEvNS_4cuda6detail10TensorInfoIT3_T5_EES8_S8_S8_NS6_IT4_S8_EES8_b,comdat
	.protected	_ZN2at6native18radixSortKVInPlaceILin1ELin1ELi128ELi8EN3c104HalfElmEEvNS_4cuda6detail10TensorInfoIT3_T5_EES8_S8_S8_NS6_IT4_S8_EES8_b ; -- Begin function _ZN2at6native18radixSortKVInPlaceILin1ELin1ELi128ELi8EN3c104HalfElmEEvNS_4cuda6detail10TensorInfoIT3_T5_EES8_S8_S8_NS6_IT4_S8_EES8_b
	.globl	_ZN2at6native18radixSortKVInPlaceILin1ELin1ELi128ELi8EN3c104HalfElmEEvNS_4cuda6detail10TensorInfoIT3_T5_EES8_S8_S8_NS6_IT4_S8_EES8_b
	.p2align	8
	.type	_ZN2at6native18radixSortKVInPlaceILin1ELin1ELi128ELi8EN3c104HalfElmEEvNS_4cuda6detail10TensorInfoIT3_T5_EES8_S8_S8_NS6_IT4_S8_EES8_b,@function
_ZN2at6native18radixSortKVInPlaceILin1ELin1ELi128ELi8EN3c104HalfElmEEvNS_4cuda6detail10TensorInfoIT3_T5_EES8_S8_S8_NS6_IT4_S8_EES8_b: ; @_ZN2at6native18radixSortKVInPlaceILin1ELin1ELi128ELi8EN3c104HalfElmEEvNS_4cuda6detail10TensorInfoIT3_T5_EES8_S8_S8_NS6_IT4_S8_EES8_b
; %bb.0:
	s_clause 0x1
	s_load_b64 s[2:3], s[0:1], 0x368
	s_load_b128 s[8:11], s[0:1], 0x1a0
	s_lshr_b32 s4, ttmp7, 16
	s_and_b32 s5, ttmp7, 0xffff
	s_wait_kmcnt 0x0
	s_mul_i32 s3, s3, s4
	s_delay_alu instid0(SALU_CYCLE_1) | instskip(NEXT) | instid1(SALU_CYCLE_1)
	s_add_co_i32 s3, s3, s5
	s_mul_i32 s2, s3, s2
	s_mov_b32 s3, 0
	s_add_co_i32 s2, s2, ttmp9
	s_delay_alu instid0(SALU_CYCLE_1)
	v_cmp_le_u64_e64 s4, s[8:9], s[2:3]
	s_and_b32 vcc_lo, exec_lo, s4
	s_cbranch_vccnz .LBB237_160
; %bb.1:
	s_clause 0x1
	s_load_b32 s9, s[0:1], 0x198
	s_load_b64 s[22:23], s[0:1], 0x1b0
	s_mov_b64 s[4:5], 0
	s_mov_b64 s[6:7], s[2:3]
	s_wait_kmcnt 0x0
	s_cmp_lt_i32 s9, 2
	s_cbranch_scc1 .LBB237_9
; %bb.2:
	s_mov_b32 s8, 0
	s_add_co_i32 s4, s9, -1
	s_wait_alu 0xfffe
	s_mov_b32 s5, s8
	s_add_co_i32 s11, s9, 1
	s_lshl_b64 s[4:5], s[4:5], 3
	s_mov_b64 s[14:15], s[2:3]
	s_add_nc_u64 s[6:7], s[0:1], s[4:5]
	s_mov_b64 s[4:5], 0
	s_add_nc_u64 s[12:13], s[6:7], 8
.LBB237_3:                              ; =>This Inner Loop Header: Depth=1
	s_load_b64 s[16:17], s[12:13], 0x0
	s_wait_kmcnt 0x0
	s_or_b64 s[6:7], s[14:15], s[16:17]
	s_wait_alu 0xfffe
	s_mov_b32 s9, s7
                                        ; implicit-def: $sgpr6_sgpr7
	s_wait_alu 0xfffe
	s_cmp_lg_u64 s[8:9], 0
	s_mov_b32 s9, -1
	s_cbranch_scc0 .LBB237_5
; %bb.4:                                ;   in Loop: Header=BB237_3 Depth=1
	s_cvt_f32_u32 s6, s16
	s_cvt_f32_u32 s7, s17
	s_sub_nc_u64 s[18:19], 0, s[16:17]
	s_mov_b32 s21, s8
	s_mov_b32 s27, s8
	s_wait_alu 0xfffe
	s_fmamk_f32 s6, s7, 0x4f800000, s6
	s_wait_alu 0xfffe
	s_delay_alu instid0(SALU_CYCLE_2) | instskip(NEXT) | instid1(TRANS32_DEP_1)
	v_s_rcp_f32 s6, s6
	s_mul_f32 s6, s6, 0x5f7ffffc
	s_wait_alu 0xfffe
	s_delay_alu instid0(SALU_CYCLE_2) | instskip(SKIP_1) | instid1(SALU_CYCLE_2)
	s_mul_f32 s7, s6, 0x2f800000
	s_wait_alu 0xfffe
	s_trunc_f32 s7, s7
	s_wait_alu 0xfffe
	s_delay_alu instid0(SALU_CYCLE_2) | instskip(SKIP_2) | instid1(SALU_CYCLE_1)
	s_fmamk_f32 s6, s7, 0xcf800000, s6
	s_cvt_u32_f32 s7, s7
	s_wait_alu 0xfffe
	s_cvt_u32_f32 s6, s6
	s_wait_alu 0xfffe
	s_delay_alu instid0(SALU_CYCLE_2) | instskip(NEXT) | instid1(SALU_CYCLE_1)
	s_mul_u64 s[24:25], s[18:19], s[6:7]
	s_mul_hi_u32 s29, s6, s25
	s_mul_i32 s28, s6, s25
	s_mul_hi_u32 s20, s6, s24
	s_mul_i32 s26, s7, s24
	s_add_nc_u64 s[20:21], s[20:21], s[28:29]
	s_mul_hi_u32 s9, s7, s24
	s_mul_hi_u32 s30, s7, s25
	s_add_co_u32 s20, s20, s26
	s_wait_alu 0xfffe
	s_add_co_ci_u32 s26, s21, s9
	s_mul_i32 s24, s7, s25
	s_add_co_ci_u32 s25, s30, 0
	s_delay_alu instid0(SALU_CYCLE_1)
	s_add_nc_u64 s[20:21], s[26:27], s[24:25]
	s_mov_b32 s25, s8
	s_add_co_u32 s6, s6, s20
	s_cselect_b32 s9, -1, 0
	s_wait_alu 0xfffe
	s_cmp_lg_u32 s9, 0
	s_add_co_ci_u32 s7, s7, s21
	s_mov_b32 s21, s8
	s_wait_alu 0xfffe
	s_mul_u64 s[18:19], s[18:19], s[6:7]
	s_delay_alu instid0(SALU_CYCLE_1)
	s_mul_hi_u32 s27, s6, s19
	s_mul_i32 s26, s6, s19
	s_mul_hi_u32 s20, s6, s18
	s_mul_i32 s24, s7, s18
	s_add_nc_u64 s[20:21], s[20:21], s[26:27]
	s_mul_hi_u32 s9, s7, s18
	s_mul_hi_u32 s28, s7, s19
	s_mul_i32 s18, s7, s19
	s_add_co_u32 s19, s20, s24
	s_wait_alu 0xfffe
	s_add_co_ci_u32 s24, s21, s9
	s_add_co_ci_u32 s19, s28, 0
	s_mov_b32 s21, s8
	s_add_nc_u64 s[18:19], s[24:25], s[18:19]
	s_delay_alu instid0(SALU_CYCLE_1)
	s_add_co_u32 s6, s6, s18
	s_cselect_b32 s9, -1, 0
	s_wait_alu 0xfffe
	s_mul_hi_u32 s20, s14, s6
	s_cmp_lg_u32 s9, 0
	s_mul_hi_u32 s9, s15, s6
	s_add_co_ci_u32 s18, s7, s19
	s_mul_i32 s19, s15, s6
	s_mul_hi_u32 s7, s14, s18
	s_mul_i32 s6, s14, s18
	s_mul_hi_u32 s26, s15, s18
	s_wait_alu 0xfffe
	s_add_nc_u64 s[6:7], s[20:21], s[6:7]
	s_mul_i32 s18, s15, s18
	s_wait_alu 0xfffe
	s_add_co_u32 s6, s6, s19
	s_add_co_ci_u32 s24, s7, s9
	s_add_co_ci_u32 s19, s26, 0
	s_delay_alu instid0(SALU_CYCLE_1) | instskip(SKIP_2) | instid1(SALU_CYCLE_1)
	s_add_nc_u64 s[6:7], s[24:25], s[18:19]
	s_wait_alu 0xfffe
	s_mul_u64 s[18:19], s[16:17], s[6:7]
	s_sub_co_u32 s9, s14, s18
	s_cselect_b32 s18, -1, 0
	s_sub_co_i32 s20, s15, s19
	s_cmp_lg_u32 s18, 0
	s_sub_co_ci_u32 s20, s20, s17
	s_wait_alu 0xfffe
	s_sub_co_u32 s21, s9, s16
	s_cselect_b32 s24, -1, 0
	s_delay_alu instid0(SALU_CYCLE_1) | instskip(SKIP_1) | instid1(SALU_CYCLE_1)
	s_cmp_lg_u32 s24, 0
	s_sub_co_ci_u32 s20, s20, 0
	s_cmp_ge_u32 s20, s17
	s_cselect_b32 s24, -1, 0
	s_cmp_ge_u32 s21, s16
	s_cselect_b32 s25, -1, 0
	s_cmp_eq_u32 s20, s17
	s_add_nc_u64 s[20:21], s[6:7], 1
	s_cselect_b32 s26, s25, s24
	s_add_nc_u64 s[24:25], s[6:7], 2
	s_cmp_lg_u32 s26, 0
	s_cselect_b32 s20, s24, s20
	s_cselect_b32 s21, s25, s21
	s_cmp_lg_u32 s18, 0
	s_sub_co_ci_u32 s18, s15, s19
	s_delay_alu instid0(SALU_CYCLE_1)
	s_cmp_ge_u32 s18, s17
	s_cselect_b32 s19, -1, 0
	s_cmp_ge_u32 s9, s16
	s_cselect_b32 s9, -1, 0
	s_cmp_eq_u32 s18, s17
	s_wait_alu 0xfffe
	s_cselect_b32 s9, s9, s19
	s_wait_alu 0xfffe
	s_cmp_lg_u32 s9, 0
	s_mov_b32 s9, 0
	s_cselect_b32 s7, s21, s7
	s_cselect_b32 s6, s20, s6
.LBB237_5:                              ;   in Loop: Header=BB237_3 Depth=1
	s_wait_alu 0xfffe
	s_and_not1_b32 vcc_lo, exec_lo, s9
	s_cbranch_vccnz .LBB237_7
; %bb.6:                                ;   in Loop: Header=BB237_3 Depth=1
	v_cvt_f32_u32_e32 v1, s16
	s_sub_co_i32 s7, 0, s16
	s_delay_alu instid0(VALU_DEP_1) | instskip(NEXT) | instid1(TRANS32_DEP_1)
	v_rcp_iflag_f32_e32 v1, v1
	v_mul_f32_e32 v1, 0x4f7ffffe, v1
	s_delay_alu instid0(VALU_DEP_1) | instskip(NEXT) | instid1(VALU_DEP_1)
	v_cvt_u32_f32_e32 v1, v1
	v_readfirstlane_b32 s6, v1
	s_wait_alu 0xfffe
	s_mul_i32 s7, s7, s6
	s_wait_alu 0xfffe
	s_mul_hi_u32 s7, s6, s7
	s_wait_alu 0xfffe
	s_add_co_i32 s6, s6, s7
	s_wait_alu 0xfffe
	s_mul_hi_u32 s6, s14, s6
	s_wait_alu 0xfffe
	s_mul_i32 s7, s6, s16
	s_add_co_i32 s9, s6, 1
	s_wait_alu 0xfffe
	s_sub_co_i32 s7, s14, s7
	s_wait_alu 0xfffe
	s_sub_co_i32 s18, s7, s16
	s_cmp_ge_u32 s7, s16
	s_cselect_b32 s6, s9, s6
	s_cselect_b32 s7, s18, s7
	s_wait_alu 0xfffe
	s_add_co_i32 s9, s6, 1
	s_cmp_ge_u32 s7, s16
	s_mov_b32 s7, s8
	s_wait_alu 0xfffe
	s_cselect_b32 s6, s9, s6
.LBB237_7:                              ;   in Loop: Header=BB237_3 Depth=1
	s_load_b64 s[18:19], s[12:13], 0xc8
	s_mul_u64 s[16:17], s[6:7], s[16:17]
	s_add_co_i32 s11, s11, -1
	s_wait_alu 0xfffe
	s_sub_nc_u64 s[14:15], s[14:15], s[16:17]
	s_cmp_gt_u32 s11, 2
	s_add_nc_u64 s[12:13], s[12:13], -8
	s_wait_kmcnt 0x0
	s_mul_u64 s[14:15], s[18:19], s[14:15]
	s_delay_alu instid0(SALU_CYCLE_1)
	s_add_nc_u64 s[4:5], s[14:15], s[4:5]
	s_cbranch_scc0 .LBB237_9
; %bb.8:                                ;   in Loop: Header=BB237_3 Depth=1
	s_mov_b64 s[14:15], s[6:7]
	s_branch .LBB237_3
.LBB237_9:
	s_load_b32 s9, s[0:1], 0x350
	s_add_nc_u64 s[36:37], s[0:1], 0x368
	s_mov_b64 s[12:13], 0
	s_wait_kmcnt 0x0
	s_cmp_lt_i32 s9, 2
	s_cbranch_scc1 .LBB237_17
; %bb.10:
	s_mov_b32 s8, 0
	s_add_co_i32 s12, s9, -1
	s_wait_alu 0xfffe
	s_mov_b32 s13, s8
	s_add_co_i32 s11, s9, 1
	s_lshl_b64 s[12:13], s[12:13], 3
	s_delay_alu instid0(SALU_CYCLE_1) | instskip(NEXT) | instid1(SALU_CYCLE_1)
	s_add_nc_u64 s[12:13], s[0:1], s[12:13]
	s_add_nc_u64 s[16:17], s[12:13], 0x1c0
	s_mov_b64 s[12:13], 0
.LBB237_11:                             ; =>This Inner Loop Header: Depth=1
	s_load_b64 s[18:19], s[16:17], 0x0
	s_wait_kmcnt 0x0
	s_or_b64 s[14:15], s[2:3], s[18:19]
	s_delay_alu instid0(SALU_CYCLE_1)
	s_mov_b32 s9, s15
                                        ; implicit-def: $sgpr14_sgpr15
	s_wait_alu 0xfffe
	s_cmp_lg_u64 s[8:9], 0
	s_mov_b32 s9, -1
	s_cbranch_scc0 .LBB237_13
; %bb.12:                               ;   in Loop: Header=BB237_11 Depth=1
	s_cvt_f32_u32 s9, s18
	s_cvt_f32_u32 s14, s19
	s_sub_nc_u64 s[20:21], 0, s[18:19]
	s_mov_b32 s25, s8
	s_mov_b32 s29, s8
	s_wait_alu 0xfffe
	s_fmamk_f32 s9, s14, 0x4f800000, s9
	s_wait_alu 0xfffe
	s_delay_alu instid0(SALU_CYCLE_2) | instskip(NEXT) | instid1(TRANS32_DEP_1)
	v_s_rcp_f32 s9, s9
	s_mul_f32 s9, s9, 0x5f7ffffc
	s_wait_alu 0xfffe
	s_delay_alu instid0(SALU_CYCLE_2) | instskip(NEXT) | instid1(SALU_CYCLE_3)
	s_mul_f32 s14, s9, 0x2f800000
	s_trunc_f32 s14, s14
	s_delay_alu instid0(SALU_CYCLE_3) | instskip(SKIP_2) | instid1(SALU_CYCLE_1)
	s_fmamk_f32 s9, s14, 0xcf800000, s9
	s_cvt_u32_f32 s15, s14
	s_wait_alu 0xfffe
	s_cvt_u32_f32 s14, s9
	s_delay_alu instid0(SALU_CYCLE_3) | instskip(NEXT) | instid1(SALU_CYCLE_1)
	s_mul_u64 s[26:27], s[20:21], s[14:15]
	s_mul_hi_u32 s31, s14, s27
	s_mul_i32 s30, s14, s27
	s_mul_hi_u32 s24, s14, s26
	s_mul_i32 s28, s15, s26
	s_add_nc_u64 s[24:25], s[24:25], s[30:31]
	s_mul_hi_u32 s9, s15, s26
	s_mul_hi_u32 s33, s15, s27
	s_add_co_u32 s24, s24, s28
	s_wait_alu 0xfffe
	s_add_co_ci_u32 s28, s25, s9
	s_mul_i32 s26, s15, s27
	s_add_co_ci_u32 s27, s33, 0
	s_delay_alu instid0(SALU_CYCLE_1)
	s_add_nc_u64 s[24:25], s[28:29], s[26:27]
	s_mov_b32 s27, s8
	s_add_co_u32 s14, s14, s24
	s_cselect_b32 s9, -1, 0
	s_wait_alu 0xfffe
	s_cmp_lg_u32 s9, 0
	s_add_co_ci_u32 s15, s15, s25
	s_mov_b32 s25, s8
	s_mul_u64 s[20:21], s[20:21], s[14:15]
	s_delay_alu instid0(SALU_CYCLE_1)
	s_mul_hi_u32 s29, s14, s21
	s_mul_i32 s28, s14, s21
	s_mul_hi_u32 s24, s14, s20
	s_mul_i32 s26, s15, s20
	s_add_nc_u64 s[24:25], s[24:25], s[28:29]
	s_mul_hi_u32 s9, s15, s20
	s_mul_hi_u32 s30, s15, s21
	s_mul_i32 s20, s15, s21
	s_add_co_u32 s21, s24, s26
	s_wait_alu 0xfffe
	s_add_co_ci_u32 s26, s25, s9
	s_add_co_ci_u32 s21, s30, 0
	s_mov_b32 s25, s8
	s_add_nc_u64 s[20:21], s[26:27], s[20:21]
	s_delay_alu instid0(SALU_CYCLE_1)
	s_add_co_u32 s9, s14, s20
	s_cselect_b32 s14, -1, 0
	s_wait_alu 0xfffe
	s_mul_hi_u32 s24, s2, s9
	s_cmp_lg_u32 s14, 0
	s_mul_hi_u32 s26, s3, s9
	s_add_co_ci_u32 s20, s15, s21
	s_mul_i32 s9, s3, s9
	s_mul_hi_u32 s15, s2, s20
	s_mul_i32 s14, s2, s20
	s_mul_hi_u32 s21, s3, s20
	s_add_nc_u64 s[14:15], s[24:25], s[14:15]
	s_mul_i32 s20, s3, s20
	s_wait_alu 0xfffe
	s_add_co_u32 s9, s14, s9
	s_add_co_ci_u32 s26, s15, s26
	s_add_co_ci_u32 s21, s21, 0
	s_delay_alu instid0(SALU_CYCLE_1) | instskip(NEXT) | instid1(SALU_CYCLE_1)
	s_add_nc_u64 s[14:15], s[26:27], s[20:21]
	s_mul_u64 s[20:21], s[18:19], s[14:15]
	s_delay_alu instid0(SALU_CYCLE_1)
	s_sub_co_u32 s9, s2, s20
	s_cselect_b32 s20, -1, 0
	s_sub_co_i32 s24, s3, s21
	s_cmp_lg_u32 s20, 0
	s_sub_co_ci_u32 s24, s24, s19
	s_wait_alu 0xfffe
	s_sub_co_u32 s25, s9, s18
	s_cselect_b32 s26, -1, 0
	s_delay_alu instid0(SALU_CYCLE_1) | instskip(SKIP_1) | instid1(SALU_CYCLE_1)
	s_cmp_lg_u32 s26, 0
	s_sub_co_ci_u32 s24, s24, 0
	s_cmp_ge_u32 s24, s19
	s_cselect_b32 s26, -1, 0
	s_cmp_ge_u32 s25, s18
	s_cselect_b32 s27, -1, 0
	s_cmp_eq_u32 s24, s19
	s_add_nc_u64 s[24:25], s[14:15], 1
	s_cselect_b32 s28, s27, s26
	s_add_nc_u64 s[26:27], s[14:15], 2
	s_cmp_lg_u32 s28, 0
	s_cselect_b32 s24, s26, s24
	s_cselect_b32 s25, s27, s25
	s_cmp_lg_u32 s20, 0
	s_sub_co_ci_u32 s20, s3, s21
	s_delay_alu instid0(SALU_CYCLE_1)
	s_cmp_ge_u32 s20, s19
	s_cselect_b32 s21, -1, 0
	s_cmp_ge_u32 s9, s18
	s_cselect_b32 s9, -1, 0
	s_cmp_eq_u32 s20, s19
	s_wait_alu 0xfffe
	s_cselect_b32 s9, s9, s21
	s_wait_alu 0xfffe
	s_cmp_lg_u32 s9, 0
	s_mov_b32 s9, 0
	s_cselect_b32 s15, s25, s15
	s_cselect_b32 s14, s24, s14
.LBB237_13:                             ;   in Loop: Header=BB237_11 Depth=1
	s_wait_alu 0xfffe
	s_and_not1_b32 vcc_lo, exec_lo, s9
	s_cbranch_vccnz .LBB237_15
; %bb.14:                               ;   in Loop: Header=BB237_11 Depth=1
	v_cvt_f32_u32_e32 v1, s18
	s_sub_co_i32 s14, 0, s18
	s_delay_alu instid0(VALU_DEP_1) | instskip(NEXT) | instid1(TRANS32_DEP_1)
	v_rcp_iflag_f32_e32 v1, v1
	v_mul_f32_e32 v1, 0x4f7ffffe, v1
	s_delay_alu instid0(VALU_DEP_1) | instskip(NEXT) | instid1(VALU_DEP_1)
	v_cvt_u32_f32_e32 v1, v1
	v_readfirstlane_b32 s9, v1
	s_mul_i32 s14, s14, s9
	s_delay_alu instid0(SALU_CYCLE_1) | instskip(NEXT) | instid1(SALU_CYCLE_1)
	s_mul_hi_u32 s14, s9, s14
	s_add_co_i32 s9, s9, s14
	s_wait_alu 0xfffe
	s_mul_hi_u32 s9, s2, s9
	s_wait_alu 0xfffe
	s_mul_i32 s14, s9, s18
	s_add_co_i32 s15, s9, 1
	s_sub_co_i32 s14, s2, s14
	s_delay_alu instid0(SALU_CYCLE_1)
	s_sub_co_i32 s20, s14, s18
	s_cmp_ge_u32 s14, s18
	s_cselect_b32 s9, s15, s9
	s_cselect_b32 s14, s20, s14
	s_wait_alu 0xfffe
	s_add_co_i32 s15, s9, 1
	s_cmp_ge_u32 s14, s18
	s_cselect_b32 s14, s15, s9
	s_mov_b32 s15, s8
.LBB237_15:                             ;   in Loop: Header=BB237_11 Depth=1
	s_load_b64 s[20:21], s[16:17], 0xc8
	s_mul_u64 s[18:19], s[14:15], s[18:19]
	s_add_co_i32 s11, s11, -1
	s_wait_alu 0xfffe
	s_sub_nc_u64 s[2:3], s[2:3], s[18:19]
	s_cmp_gt_u32 s11, 2
	s_add_nc_u64 s[16:17], s[16:17], -8
	s_wait_kmcnt 0x0
	s_wait_alu 0xfffe
	s_mul_u64 s[2:3], s[20:21], s[2:3]
	s_wait_alu 0xfffe
	s_add_nc_u64 s[12:13], s[2:3], s[12:13]
	s_cbranch_scc0 .LBB237_18
; %bb.16:                               ;   in Loop: Header=BB237_11 Depth=1
	s_mov_b64 s[2:3], s[14:15]
	s_branch .LBB237_11
.LBB237_17:
	s_mov_b64 s[14:15], s[2:3]
.LBB237_18:
	s_clause 0x2
	s_load_b64 s[2:3], s[0:1], 0xd0
	s_load_b32 s11, s[0:1], 0x360
	s_load_b64 s[8:9], s[0:1], 0x0
	v_and_b32_e32 v41, 0x3ff, v0
	s_wait_kmcnt 0x0
	s_mul_u64 s[2:3], s[2:3], s[6:7]
	s_bitcmp1_b32 s11, 0
	s_mov_b32 s6, 0xffff
	s_cselect_b32 s11, -1, 0
	s_delay_alu instid0(SALU_CYCLE_1)
	s_and_b32 s7, s11, exec_lo
	s_wait_alu 0xfffe
	s_cselect_b32 s20, s6, 0x7fff
	s_lshl_b64 s[6:7], s[2:3], 1
	v_cmp_gt_u32_e64 s2, s10, v41
	v_mov_b32_e32 v1, s20
	s_wait_alu 0xfffe
	s_add_nc_u64 s[6:7], s[8:9], s[6:7]
	s_lshl_b64 s[4:5], s[4:5], 1
	s_wait_alu 0xfffe
	s_add_nc_u64 s[30:31], s[6:7], s[4:5]
	s_and_saveexec_b32 s3, s2
	s_cbranch_execz .LBB237_20
; %bb.19:
	v_mad_co_u64_u32 v[1:2], null, s22, v41, 0
	s_delay_alu instid0(VALU_DEP_1) | instskip(NEXT) | instid1(VALU_DEP_1)
	v_mad_co_u64_u32 v[2:3], null, s23, v41, v[2:3]
	v_lshlrev_b64_e32 v[1:2], 1, v[1:2]
	s_delay_alu instid0(VALU_DEP_1) | instskip(NEXT) | instid1(VALU_DEP_1)
	v_add_co_u32 v1, vcc_lo, s30, v1
	v_add_co_ci_u32_e64 v2, null, s31, v2, vcc_lo
	global_load_u16 v1, v[1:2], off
.LBB237_20:
	s_wait_alu 0xfffe
	s_or_b32 exec_lo, exec_lo, s3
	v_dual_mov_b32 v2, s20 :: v_dual_add_nc_u32 v17, 0x80, v41
	s_delay_alu instid0(VALU_DEP_1)
	v_cmp_gt_u32_e64 s3, s10, v17
	s_and_saveexec_b32 s4, s3
	s_cbranch_execz .LBB237_22
; %bb.21:
	v_mad_co_u64_u32 v[2:3], null, s22, v17, 0
	s_delay_alu instid0(VALU_DEP_1) | instskip(NEXT) | instid1(VALU_DEP_1)
	v_mad_co_u64_u32 v[3:4], null, s23, v17, v[3:4]
	v_lshlrev_b64_e32 v[2:3], 1, v[2:3]
	s_delay_alu instid0(VALU_DEP_1) | instskip(SKIP_1) | instid1(VALU_DEP_2)
	v_add_co_u32 v2, vcc_lo, s30, v2
	s_wait_alu 0xfffd
	v_add_co_ci_u32_e64 v3, null, s31, v3, vcc_lo
	global_load_u16 v2, v[2:3], off
.LBB237_22:
	s_or_b32 exec_lo, exec_lo, s4
	v_dual_mov_b32 v3, s20 :: v_dual_add_nc_u32 v18, 0x100, v41
	s_delay_alu instid0(VALU_DEP_1)
	v_cmp_gt_u32_e64 s4, s10, v18
	s_and_saveexec_b32 s5, s4
	s_cbranch_execz .LBB237_24
; %bb.23:
	v_mad_co_u64_u32 v[3:4], null, s22, v18, 0
	s_delay_alu instid0(VALU_DEP_1) | instskip(NEXT) | instid1(VALU_DEP_1)
	v_mad_co_u64_u32 v[4:5], null, s23, v18, v[4:5]
	v_lshlrev_b64_e32 v[3:4], 1, v[3:4]
	s_delay_alu instid0(VALU_DEP_1) | instskip(SKIP_1) | instid1(VALU_DEP_2)
	v_add_co_u32 v3, vcc_lo, s30, v3
	s_wait_alu 0xfffd
	v_add_co_ci_u32_e64 v4, null, s31, v4, vcc_lo
	global_load_u16 v3, v[3:4], off
.LBB237_24:
	s_or_b32 exec_lo, exec_lo, s5
	v_dual_mov_b32 v4, s20 :: v_dual_add_nc_u32 v19, 0x180, v41
	s_delay_alu instid0(VALU_DEP_1)
	v_cmp_gt_u32_e64 s5, s10, v19
	s_and_saveexec_b32 s6, s5
	s_cbranch_execz .LBB237_26
; %bb.25:
	v_mad_co_u64_u32 v[4:5], null, s22, v19, 0
	s_delay_alu instid0(VALU_DEP_1) | instskip(NEXT) | instid1(VALU_DEP_1)
	v_mad_co_u64_u32 v[5:6], null, s23, v19, v[5:6]
	v_lshlrev_b64_e32 v[4:5], 1, v[4:5]
	s_delay_alu instid0(VALU_DEP_1) | instskip(SKIP_1) | instid1(VALU_DEP_2)
	v_add_co_u32 v4, vcc_lo, s30, v4
	s_wait_alu 0xfffd
	v_add_co_ci_u32_e64 v5, null, s31, v5, vcc_lo
	global_load_u16 v4, v[4:5], off
.LBB237_26:
	s_wait_alu 0xfffe
	s_or_b32 exec_lo, exec_lo, s6
	v_dual_mov_b32 v5, s20 :: v_dual_add_nc_u32 v20, 0x200, v41
	s_delay_alu instid0(VALU_DEP_1)
	v_cmp_gt_u32_e64 s6, s10, v20
	s_and_saveexec_b32 s7, s6
	s_cbranch_execz .LBB237_28
; %bb.27:
	v_mad_co_u64_u32 v[5:6], null, s22, v20, 0
	s_delay_alu instid0(VALU_DEP_1) | instskip(NEXT) | instid1(VALU_DEP_1)
	v_mad_co_u64_u32 v[6:7], null, s23, v20, v[6:7]
	v_lshlrev_b64_e32 v[5:6], 1, v[5:6]
	s_delay_alu instid0(VALU_DEP_1) | instskip(SKIP_1) | instid1(VALU_DEP_2)
	v_add_co_u32 v5, vcc_lo, s30, v5
	s_wait_alu 0xfffd
	v_add_co_ci_u32_e64 v6, null, s31, v6, vcc_lo
	global_load_u16 v5, v[5:6], off
.LBB237_28:
	s_wait_alu 0xfffe
	s_or_b32 exec_lo, exec_lo, s7
	v_dual_mov_b32 v6, s20 :: v_dual_add_nc_u32 v21, 0x280, v41
	s_delay_alu instid0(VALU_DEP_1)
	v_cmp_gt_u32_e64 s7, s10, v21
	s_and_saveexec_b32 s8, s7
	s_cbranch_execz .LBB237_30
; %bb.29:
	v_mad_co_u64_u32 v[6:7], null, s22, v21, 0
	s_delay_alu instid0(VALU_DEP_1) | instskip(NEXT) | instid1(VALU_DEP_1)
	v_mad_co_u64_u32 v[7:8], null, s23, v21, v[7:8]
	v_lshlrev_b64_e32 v[6:7], 1, v[6:7]
	s_delay_alu instid0(VALU_DEP_1) | instskip(SKIP_1) | instid1(VALU_DEP_2)
	v_add_co_u32 v6, vcc_lo, s30, v6
	s_wait_alu 0xfffd
	v_add_co_ci_u32_e64 v7, null, s31, v7, vcc_lo
	global_load_u16 v6, v[6:7], off
.LBB237_30:
	;; [unrolled: 18-line block ×3, first 2 shown]
	s_wait_alu 0xfffe
	s_or_b32 exec_lo, exec_lo, s9
	s_clause 0x1
	s_load_b64 s[18:19], s[0:1], 0x288
	s_load_b64 s[16:17], s[0:1], 0x1b8
	v_dual_mov_b32 v8, s20 :: v_dual_add_nc_u32 v23, 0x380, v41
	s_delay_alu instid0(VALU_DEP_1)
	v_cmp_gt_u32_e64 s9, s10, v23
	s_and_saveexec_b32 s10, s9
	s_cbranch_execz .LBB237_34
; %bb.33:
	v_mad_co_u64_u32 v[8:9], null, s22, v23, 0
	s_delay_alu instid0(VALU_DEP_1) | instskip(NEXT) | instid1(VALU_DEP_1)
	v_mad_co_u64_u32 v[9:10], null, s23, v23, v[9:10]
	v_lshlrev_b64_e32 v[8:9], 1, v[8:9]
	s_delay_alu instid0(VALU_DEP_1) | instskip(SKIP_1) | instid1(VALU_DEP_2)
	v_add_co_u32 v8, vcc_lo, s30, v8
	s_wait_alu 0xfffd
	v_add_co_ci_u32_e64 v9, null, s31, v9, vcc_lo
	global_load_u16 v8, v[8:9], off
.LBB237_34:
	s_wait_alu 0xfffe
	s_or_b32 exec_lo, exec_lo, s10
	v_lshrrev_b32_e32 v9, 4, v41
	v_lshrrev_b32_e32 v10, 4, v17
	;; [unrolled: 1-line block ×3, first 2 shown]
	v_lshlrev_b32_e32 v12, 1, v41
	v_lshrrev_b32_e32 v13, 4, v19
	v_and_b32_e32 v9, 60, v9
	v_and_b32_e32 v10, 0x7c, v10
	;; [unrolled: 1-line block ×3, first 2 shown]
	v_lshrrev_b32_e32 v14, 4, v23
	s_load_b64 s[28:29], s[0:1], 0x358
	v_add_nc_u32_e32 v46, v9, v12
	v_add_nc_u32_e32 v47, v10, v12
	v_add_nc_u32_e32 v48, v11, v12
	v_and_b32_e32 v9, 0x7c, v13
	v_lshrrev_b32_e32 v10, 4, v20
	v_lshrrev_b32_e32 v11, 4, v21
	;; [unrolled: 1-line block ×3, first 2 shown]
	s_wait_kmcnt 0x0
	s_mul_u64 s[14:15], s[18:19], s[14:15]
	v_add_nc_u32_e32 v49, v9, v12
	v_and_b32_e32 v9, 0x7c, v10
	v_and_b32_e32 v10, 0x7c, v11
	;; [unrolled: 1-line block ×4, first 2 shown]
	v_lshrrev_b32_e32 v14, 1, v41
	v_add_nc_u32_e32 v50, v9, v12
	v_add_nc_u32_e32 v51, v10, v12
	;; [unrolled: 1-line block ×4, first 2 shown]
	v_and_b32_e32 v9, 0x1fc, v14
	v_mov_b32_e32 v11, 0
	v_mov_b32_e32 v12, 0
	s_wait_loadcnt 0x0
	ds_store_b16 v46, v1
	ds_store_b16 v47, v2 offset:256
	ds_store_b16 v48, v3 offset:512
	;; [unrolled: 1-line block ×7, first 2 shown]
	s_wait_dscnt 0x0
	v_lshl_add_u32 v54, v41, 4, v9
	s_barrier_signal -1
	s_barrier_wait -1
	global_inv scope:SCOPE_SE
	ds_load_2addr_b32 v[44:45], v54 offset1:1
	ds_load_2addr_b32 v[42:43], v54 offset0:2 offset1:3
	v_mov_b32_e32 v1, 0
	s_lshl_b64 s[14:15], s[14:15], 3
	s_lshl_b64 s[12:13], s[12:13], 3
	s_add_nc_u64 s[14:15], s[16:17], s[14:15]
	s_wait_loadcnt_dscnt 0x0
	v_dual_mov_b32 v2, v1 :: v_dual_mov_b32 v13, v1
	v_dual_mov_b32 v14, v1 :: v_dual_mov_b32 v15, v1
	;; [unrolled: 1-line block ×6, first 2 shown]
	v_mov_b32_e32 v10, v1
	s_add_nc_u64 s[34:35], s[14:15], s[12:13]
	s_barrier_signal -1
	s_barrier_wait -1
	global_inv scope:SCOPE_SE
	s_and_saveexec_b32 s0, s2
	s_cbranch_execnz .LBB237_90
; %bb.35:
	s_or_b32 exec_lo, exec_lo, s0
	s_and_saveexec_b32 s0, s3
	s_cbranch_execnz .LBB237_91
.LBB237_36:
	s_or_b32 exec_lo, exec_lo, s0
	s_and_saveexec_b32 s0, s4
	s_cbranch_execnz .LBB237_92
.LBB237_37:
	s_or_b32 exec_lo, exec_lo, s0
	s_and_saveexec_b32 s0, s5
	s_cbranch_execnz .LBB237_93
.LBB237_38:
	s_or_b32 exec_lo, exec_lo, s0
	s_and_saveexec_b32 s0, s6
	s_cbranch_execnz .LBB237_94
.LBB237_39:
	s_or_b32 exec_lo, exec_lo, s0
	s_and_saveexec_b32 s0, s7
	s_cbranch_execnz .LBB237_95
.LBB237_40:
	s_or_b32 exec_lo, exec_lo, s0
	s_and_saveexec_b32 s0, s8
	s_cbranch_execz .LBB237_42
.LBB237_41:
	v_mad_co_u64_u32 v[7:8], null, s28, v22, 0
	s_delay_alu instid0(VALU_DEP_1) | instskip(NEXT) | instid1(VALU_DEP_1)
	v_mad_co_u64_u32 v[24:25], null, s29, v22, v[8:9]
	v_mov_b32_e32 v8, v24
	s_delay_alu instid0(VALU_DEP_1) | instskip(NEXT) | instid1(VALU_DEP_1)
	v_lshlrev_b64_e32 v[7:8], 3, v[7:8]
	v_add_co_u32 v7, vcc_lo, s34, v7
	s_wait_alu 0xfffd
	s_delay_alu instid0(VALU_DEP_2)
	v_add_co_ci_u32_e64 v8, null, s35, v8, vcc_lo
	global_load_b64 v[7:8], v[7:8], off
.LBB237_42:
	s_or_b32 exec_lo, exec_lo, s0
	v_lshrrev_b32_e32 v66, 5, v41
	v_lshrrev_b32_e32 v27, 5, v17
	;; [unrolled: 1-line block ×8, first 2 shown]
	v_lshlrev_b32_e32 v64, 3, v41
	v_lshrrev_b32_e32 v17, 2, v41
	s_xor_b32 s0, s11, -1
	s_and_saveexec_b32 s1, s9
	s_cbranch_execz .LBB237_44
; %bb.43:
	v_mad_co_u64_u32 v[9:10], null, s28, v23, 0
	s_wait_loadcnt 0x0
	s_delay_alu instid0(VALU_DEP_1) | instskip(NEXT) | instid1(VALU_DEP_1)
	v_mad_co_u64_u32 v[21:22], null, s29, v23, v[10:11]
	v_mov_b32_e32 v10, v21
	s_delay_alu instid0(VALU_DEP_1) | instskip(NEXT) | instid1(VALU_DEP_1)
	v_lshlrev_b64_e32 v[9:10], 3, v[9:10]
	v_add_co_u32 v9, vcc_lo, s34, v9
	s_wait_alu 0xfffd
	s_delay_alu instid0(VALU_DEP_2)
	v_add_co_ci_u32_e64 v10, null, s35, v10, vcc_lo
	global_load_b64 v[9:10], v[9:10], off
.LBB237_44:
	s_or_b32 exec_lo, exec_lo, s1
	v_lshl_add_u32 v55, v66, 3, v64
	v_lshl_add_u32 v56, v27, 3, v64
	;; [unrolled: 1-line block ×5, first 2 shown]
	s_wait_loadcnt 0x0
	ds_store_b64 v55, v[11:12]
	ds_store_b64 v56, v[1:2] offset:1024
	ds_store_b64 v57, v[13:14] offset:2048
	ds_store_b64 v58, v[15:16] offset:3072
	v_lshlrev_b32_e32 v1, 3, v64
	v_lshl_add_u32 v60, v20, 3, v64
	v_lshl_add_u32 v61, v19, 3, v64
	;; [unrolled: 1-line block ×3, first 2 shown]
	ds_store_b64 v59, v[3:4] offset:4096
	ds_store_b64 v60, v[5:6] offset:5120
	;; [unrolled: 1-line block ×4, first 2 shown]
	v_lshl_add_u32 v63, v17, 3, v1
	s_wait_dscnt 0x0
	s_barrier_signal -1
	s_barrier_wait -1
	global_inv scope:SCOPE_SE
	ds_load_2addr_b64 v[13:16], v63 offset1:1
	ds_load_2addr_b64 v[9:12], v63 offset0:2 offset1:3
	ds_load_2addr_b64 v[5:8], v63 offset0:4 offset1:5
	;; [unrolled: 1-line block ×3, first 2 shown]
	v_bfe_u32 v69, v0, 10, 10
	v_bfe_u32 v70, v0, 20, 10
	v_mbcnt_lo_u32_b32 v67, -1, 0
	v_and_b32_e32 v68, 0x3e0, v41
	v_lshlrev_b32_e32 v65, 2, v64
	s_and_b32 vcc_lo, exec_lo, s0
	s_wait_loadcnt_dscnt 0x0
	s_barrier_signal -1
	s_barrier_wait -1
	global_inv scope:SCOPE_SE
	s_wait_alu 0xfffe
	s_cbranch_vccz .LBB237_96
; %bb.45:
	v_pk_ashrrev_i16 v0, 15, v44 op_sel_hi:[0,1]
	v_pk_ashrrev_i16 v17, 15, v45 op_sel_hi:[0,1]
	;; [unrolled: 1-line block ×4, first 2 shown]
	v_or_b32_e32 v21, v67, v68
	v_or_b32_e32 v0, 0x80008000, v0
	v_or_b32_e32 v20, 0x80008000, v17
	v_or_b32_e32 v22, 0x80008000, v18
	v_or_b32_e32 v24, 0x80008000, v19
	v_and_or_b32 v82, 0x1f00, v64, v67
	s_mov_b32 s12, 0
	v_xor_b32_e32 v17, v0, v44
	v_xor_b32_e32 v18, v20, v45
	;; [unrolled: 1-line block ×4, first 2 shown]
	s_mov_b32 s13, s12
	s_mov_b32 s14, s12
	;; [unrolled: 1-line block ×3, first 2 shown]
	v_lshlrev_b32_e32 v23, 4, v21
	v_lshlrev_b32_e32 v71, 1, v82
	s_getpc_b64 s[0:1]
	s_sext_i32_i16 s1, s1
	s_add_co_u32 s0, s0, _ZN7rocprim17ROCPRIM_400000_NS16block_radix_sortI6__halfLj128ELj8ElLj1ELj1ELj0ELNS0_26block_radix_rank_algorithmE1ELNS0_18block_padding_hintE2ELNS0_4arch9wavefront6targetE0EE19radix_bits_per_passE@rel32@lo+8
	s_add_co_ci_u32 s1, s1, _ZN7rocprim17ROCPRIM_400000_NS16block_radix_sortI6__halfLj128ELj8ElLj1ELj1ELj0ELNS0_26block_radix_rank_algorithmE1ELNS0_18block_padding_hintE2ELNS0_4arch9wavefront6targetE0EE19radix_bits_per_passE@rel32@hi+16
	s_load_b32 s19, s[0:1], 0x0
	ds_store_b128 v23, v[17:20]
	; wave barrier
	ds_load_u16 v72, v71
	v_mad_u32_u24 v0, v21, 48, v23
	ds_load_u16 v73, v71 offset:64
	ds_load_u16 v74, v71 offset:128
	;; [unrolled: 1-line block ×7, first 2 shown]
	s_wait_loadcnt_dscnt 0x0
	s_barrier_signal -1
	s_barrier_wait -1
	global_inv scope:SCOPE_SE
	ds_store_b128 v0, v[13:16]
	ds_store_b128 v0, v[9:12] offset:16
	ds_store_b128 v0, v[5:8] offset:32
	ds_store_b128 v0, v[1:4] offset:48
	v_mad_u32_u24 v29, v82, 6, v71
	; wave barrier
	s_wait_kmcnt 0x0
	s_min_u32 s0, s19, 16
	s_delay_alu instid0(SALU_CYCLE_1) | instskip(SKIP_4) | instid1(VALU_DEP_1)
	s_lshl_b32 s0, -1, s0
	v_cmp_ne_u16_e32 vcc_lo, 0x7fff, v72
	s_not_b32 s1, s0
	s_wait_alu 0xfffd
	v_cndmask_b32_e32 v17, 0xffff8000, v72, vcc_lo
	v_and_b32_e32 v17, 0xffff, v17
	s_delay_alu instid0(VALU_DEP_1)
	v_and_b32_e32 v40, s1, v17
	ds_load_2addr_b64 v[17:20], v29 offset1:32
	ds_load_2addr_b64 v[25:28], v29 offset0:64 offset1:96
	ds_load_2addr_b64 v[21:24], v29 offset0:128 offset1:160
	;; [unrolled: 1-line block ×3, first 2 shown]
	s_wait_loadcnt_dscnt 0x0
	v_and_b32_e32 v0, 1, v40
	v_lshlrev_b32_e32 v33, 30, v40
	v_lshlrev_b32_e32 v36, 28, v40
	s_barrier_signal -1
	s_barrier_wait -1
	v_add_co_u32 v0, s0, v0, -1
	s_wait_alu 0xf1ff
	v_cndmask_b32_e64 v34, 0, 1, s0
	v_not_b32_e32 v35, v33
	v_cmp_gt_i32_e64 s0, 0, v33
	global_inv scope:SCOPE_SE
	v_cmp_ne_u32_e32 vcc_lo, 0, v34
	v_lshlrev_b32_e32 v34, 29, v40
	v_ashrrev_i32_e32 v33, 31, v35
	s_wait_alu 0xfffd
	v_xor_b32_e32 v0, vcc_lo, v0
	s_delay_alu instid0(VALU_DEP_3)
	v_not_b32_e32 v35, v34
	s_wait_alu 0xf1ff
	v_xor_b32_e32 v33, s0, v33
	v_cmp_gt_i32_e32 vcc_lo, 0, v34
	s_load_b32 s0, s[36:37], 0xc
	v_and_b32_e32 v0, exec_lo, v0
	v_ashrrev_i32_e32 v34, 31, v35
	v_not_b32_e32 v35, v36
	s_delay_alu instid0(VALU_DEP_3) | instskip(SKIP_1) | instid1(VALU_DEP_4)
	v_and_b32_e32 v0, v0, v33
	v_lshlrev_b32_e32 v33, 27, v40
	v_xor_b32_e32 v34, vcc_lo, v34
	v_cmp_gt_i32_e32 vcc_lo, 0, v36
	v_ashrrev_i32_e32 v35, 31, v35
	s_delay_alu instid0(VALU_DEP_4) | instskip(NEXT) | instid1(VALU_DEP_4)
	v_not_b32_e32 v36, v33
	v_and_b32_e32 v0, v0, v34
	v_lshlrev_b32_e32 v34, 26, v40
	s_wait_alu 0xfffd
	v_xor_b32_e32 v35, vcc_lo, v35
	v_cmp_gt_i32_e32 vcc_lo, 0, v33
	v_ashrrev_i32_e32 v33, 31, v36
	v_not_b32_e32 v36, v34
	s_delay_alu instid0(VALU_DEP_4)
	v_and_b32_e32 v0, v0, v35
	v_lshlrev_b32_e32 v35, 25, v40
	s_wait_alu 0xfffd
	v_xor_b32_e32 v33, vcc_lo, v33
	v_cmp_gt_i32_e32 vcc_lo, 0, v34
	v_ashrrev_i32_e32 v34, 31, v36
	s_wait_kmcnt 0x0
	s_lshr_b32 s10, s0, 16
	v_not_b32_e32 v36, v35
	v_and_b32_e32 v0, v0, v33
	v_lshlrev_b32_e32 v33, 24, v40
	s_wait_alu 0xfffd
	v_xor_b32_e32 v34, vcc_lo, v34
	v_cmp_gt_i32_e32 vcc_lo, 0, v35
	v_ashrrev_i32_e32 v35, 31, v36
	s_wait_alu 0xfffe
	v_mad_u32_u24 v37, v70, s10, v69
	v_not_b32_e32 v36, v33
	v_and_b32_e32 v0, v0, v34
	s_and_b32 s0, s0, 0xffff
	s_wait_alu 0xfffd
	v_xor_b32_e32 v34, vcc_lo, v35
	v_cmp_gt_i32_e32 vcc_lo, 0, v33
	v_ashrrev_i32_e32 v33, 31, v36
	s_wait_alu 0xfffe
	v_mad_co_u64_u32 v[38:39], null, v37, s0, v[41:42]
	v_dual_mov_b32 v37, s15 :: v_dual_and_b32 v0, v0, v34
	s_wait_alu 0xfffd
	v_xor_b32_e32 v33, vcc_lo, v33
	v_dual_mov_b32 v36, s14 :: v_dual_mov_b32 v35, s13
	v_mov_b32_e32 v34, s12
	ds_store_b128 v65, v[34:37] offset:16
	ds_store_b128 v65, v[34:37] offset:32
	v_and_b32_e32 v33, v0, v33
	v_lshrrev_b32_e32 v0, 5, v38
	v_lshlrev_b32_e32 v34, 4, v40
	s_wait_loadcnt_dscnt 0x0
	s_barrier_signal -1
	v_mbcnt_lo_u32_b32 v84, v33, 0
	v_lshlrev_b32_e32 v0, 2, v0
	v_cmp_ne_u32_e64 s0, 0, v33
	s_barrier_wait -1
	global_inv scope:SCOPE_SE
	v_cmp_eq_u32_e32 vcc_lo, 0, v84
	v_add_nc_u32_e32 v85, v0, v34
	; wave barrier
	s_and_b32 s10, s0, vcc_lo
	s_wait_alu 0xfffe
	s_and_saveexec_b32 s0, s10
; %bb.46:
	v_bcnt_u32_b32 v33, v33, 0
	ds_store_b32 v85, v33 offset:16
; %bb.47:
	s_wait_alu 0xfffe
	s_or_b32 exec_lo, exec_lo, s0
	v_cmp_ne_u16_e32 vcc_lo, 0x7fff, v73
	; wave barrier
	s_wait_alu 0xfffd
	v_cndmask_b32_e32 v33, 0xffff8000, v73, vcc_lo
	s_delay_alu instid0(VALU_DEP_1) | instskip(NEXT) | instid1(VALU_DEP_1)
	v_and_b32_e32 v33, 0xffff, v33
	v_and_b32_e32 v33, s1, v33
	s_delay_alu instid0(VALU_DEP_1)
	v_and_b32_e32 v34, 1, v33
	v_lshlrev_b32_e32 v35, 30, v33
	v_lshlrev_b32_e32 v36, 29, v33
	;; [unrolled: 1-line block ×4, first 2 shown]
	v_add_co_u32 v34, s0, v34, -1
	s_wait_alu 0xf1ff
	v_cndmask_b32_e64 v38, 0, 1, s0
	v_not_b32_e32 v81, v35
	v_cmp_gt_i32_e64 s0, 0, v35
	v_not_b32_e32 v35, v36
	v_lshlrev_b32_e32 v40, 26, v33
	v_cmp_ne_u32_e32 vcc_lo, 0, v38
	v_ashrrev_i32_e32 v81, 31, v81
	v_lshlrev_b32_e32 v80, 25, v33
	v_ashrrev_i32_e32 v35, 31, v35
	v_lshlrev_b32_e32 v38, 24, v33
	s_wait_alu 0xfffd
	v_xor_b32_e32 v34, vcc_lo, v34
	v_cmp_gt_i32_e32 vcc_lo, 0, v36
	v_not_b32_e32 v36, v37
	s_wait_alu 0xf1ff
	v_xor_b32_e32 v81, s0, v81
	v_cmp_gt_i32_e64 s0, 0, v37
	v_and_b32_e32 v34, exec_lo, v34
	v_not_b32_e32 v37, v39
	v_ashrrev_i32_e32 v36, 31, v36
	s_wait_alu 0xfffd
	v_xor_b32_e32 v35, vcc_lo, v35
	v_cmp_gt_i32_e32 vcc_lo, 0, v39
	v_and_b32_e32 v34, v34, v81
	v_not_b32_e32 v39, v40
	v_ashrrev_i32_e32 v37, 31, v37
	s_wait_alu 0xf1ff
	v_xor_b32_e32 v36, s0, v36
	v_cmp_gt_i32_e64 s0, 0, v40
	v_and_b32_e32 v34, v34, v35
	v_not_b32_e32 v35, v80
	v_ashrrev_i32_e32 v39, 31, v39
	s_wait_alu 0xfffd
	v_xor_b32_e32 v37, vcc_lo, v37
	v_cmp_gt_i32_e32 vcc_lo, 0, v80
	v_and_b32_e32 v34, v34, v36
	v_not_b32_e32 v36, v38
	v_ashrrev_i32_e32 v35, 31, v35
	s_wait_alu 0xf1ff
	v_xor_b32_e32 v39, s0, v39
	v_lshlrev_b32_e32 v33, 4, v33
	v_and_b32_e32 v34, v34, v37
	v_cmp_gt_i32_e64 s0, 0, v38
	v_ashrrev_i32_e32 v36, 31, v36
	s_wait_alu 0xfffd
	v_xor_b32_e32 v35, vcc_lo, v35
	v_add_nc_u32_e32 v88, v0, v33
	v_and_b32_e32 v34, v34, v39
	s_wait_alu 0xf1ff
	v_xor_b32_e32 v33, s0, v36
	ds_load_b32 v86, v88 offset:16
	v_and_b32_e32 v34, v34, v35
	; wave barrier
	s_delay_alu instid0(VALU_DEP_1) | instskip(NEXT) | instid1(VALU_DEP_1)
	v_and_b32_e32 v33, v34, v33
	v_mbcnt_lo_u32_b32 v87, v33, 0
	v_cmp_ne_u32_e64 s0, 0, v33
	s_delay_alu instid0(VALU_DEP_2)
	v_cmp_eq_u32_e32 vcc_lo, 0, v87
	s_and_b32 s10, s0, vcc_lo
	s_wait_alu 0xfffe
	s_and_saveexec_b32 s0, s10
	s_cbranch_execz .LBB237_49
; %bb.48:
	s_wait_dscnt 0x0
	v_bcnt_u32_b32 v33, v33, v86
	ds_store_b32 v88, v33 offset:16
.LBB237_49:
	s_wait_alu 0xfffe
	s_or_b32 exec_lo, exec_lo, s0
	v_cmp_ne_u16_e32 vcc_lo, 0x7fff, v74
	; wave barrier
	s_wait_alu 0xfffd
	v_cndmask_b32_e32 v33, 0xffff8000, v74, vcc_lo
	s_delay_alu instid0(VALU_DEP_1) | instskip(NEXT) | instid1(VALU_DEP_1)
	v_and_b32_e32 v33, 0xffff, v33
	v_and_b32_e32 v33, s1, v33
	s_delay_alu instid0(VALU_DEP_1)
	v_and_b32_e32 v34, 1, v33
	v_lshlrev_b32_e32 v35, 30, v33
	v_lshlrev_b32_e32 v36, 29, v33
	v_lshlrev_b32_e32 v37, 28, v33
	v_lshlrev_b32_e32 v39, 27, v33
	v_add_co_u32 v34, s0, v34, -1
	s_wait_alu 0xf1ff
	v_cndmask_b32_e64 v38, 0, 1, s0
	v_not_b32_e32 v81, v35
	v_cmp_gt_i32_e64 s0, 0, v35
	v_not_b32_e32 v35, v36
	v_lshlrev_b32_e32 v40, 26, v33
	v_cmp_ne_u32_e32 vcc_lo, 0, v38
	v_ashrrev_i32_e32 v81, 31, v81
	v_lshlrev_b32_e32 v80, 25, v33
	v_ashrrev_i32_e32 v35, 31, v35
	v_lshlrev_b32_e32 v38, 24, v33
	s_wait_alu 0xfffd
	v_xor_b32_e32 v34, vcc_lo, v34
	v_cmp_gt_i32_e32 vcc_lo, 0, v36
	v_not_b32_e32 v36, v37
	s_wait_alu 0xf1ff
	v_xor_b32_e32 v81, s0, v81
	v_cmp_gt_i32_e64 s0, 0, v37
	v_and_b32_e32 v34, exec_lo, v34
	v_not_b32_e32 v37, v39
	v_ashrrev_i32_e32 v36, 31, v36
	s_wait_alu 0xfffd
	v_xor_b32_e32 v35, vcc_lo, v35
	v_cmp_gt_i32_e32 vcc_lo, 0, v39
	v_and_b32_e32 v34, v34, v81
	v_not_b32_e32 v39, v40
	v_ashrrev_i32_e32 v37, 31, v37
	s_wait_alu 0xf1ff
	v_xor_b32_e32 v36, s0, v36
	v_cmp_gt_i32_e64 s0, 0, v40
	v_and_b32_e32 v34, v34, v35
	v_not_b32_e32 v35, v80
	v_ashrrev_i32_e32 v39, 31, v39
	s_wait_alu 0xfffd
	v_xor_b32_e32 v37, vcc_lo, v37
	v_cmp_gt_i32_e32 vcc_lo, 0, v80
	v_and_b32_e32 v34, v34, v36
	v_not_b32_e32 v36, v38
	v_ashrrev_i32_e32 v35, 31, v35
	s_wait_alu 0xf1ff
	v_xor_b32_e32 v39, s0, v39
	v_lshlrev_b32_e32 v33, 4, v33
	v_and_b32_e32 v34, v34, v37
	v_cmp_gt_i32_e64 s0, 0, v38
	v_ashrrev_i32_e32 v36, 31, v36
	s_wait_alu 0xfffd
	v_xor_b32_e32 v35, vcc_lo, v35
	v_add_nc_u32_e32 v91, v0, v33
	v_and_b32_e32 v34, v34, v39
	s_wait_alu 0xf1ff
	v_xor_b32_e32 v33, s0, v36
	ds_load_b32 v89, v91 offset:16
	v_and_b32_e32 v34, v34, v35
	; wave barrier
	s_delay_alu instid0(VALU_DEP_1) | instskip(NEXT) | instid1(VALU_DEP_1)
	v_and_b32_e32 v33, v34, v33
	v_mbcnt_lo_u32_b32 v90, v33, 0
	v_cmp_ne_u32_e64 s0, 0, v33
	s_delay_alu instid0(VALU_DEP_2)
	v_cmp_eq_u32_e32 vcc_lo, 0, v90
	s_and_b32 s10, s0, vcc_lo
	s_wait_alu 0xfffe
	s_and_saveexec_b32 s0, s10
	s_cbranch_execz .LBB237_51
; %bb.50:
	s_wait_dscnt 0x0
	v_bcnt_u32_b32 v33, v33, v89
	ds_store_b32 v91, v33 offset:16
.LBB237_51:
	s_wait_alu 0xfffe
	s_or_b32 exec_lo, exec_lo, s0
	v_cmp_ne_u16_e32 vcc_lo, 0x7fff, v75
	; wave barrier
	s_wait_alu 0xfffd
	v_cndmask_b32_e32 v33, 0xffff8000, v75, vcc_lo
	s_delay_alu instid0(VALU_DEP_1) | instskip(NEXT) | instid1(VALU_DEP_1)
	v_and_b32_e32 v33, 0xffff, v33
	v_and_b32_e32 v33, s1, v33
	s_delay_alu instid0(VALU_DEP_1)
	v_and_b32_e32 v34, 1, v33
	v_lshlrev_b32_e32 v35, 30, v33
	v_lshlrev_b32_e32 v36, 29, v33
	;; [unrolled: 1-line block ×4, first 2 shown]
	v_add_co_u32 v34, s0, v34, -1
	s_wait_alu 0xf1ff
	v_cndmask_b32_e64 v38, 0, 1, s0
	v_not_b32_e32 v81, v35
	v_cmp_gt_i32_e64 s0, 0, v35
	v_not_b32_e32 v35, v36
	v_lshlrev_b32_e32 v40, 26, v33
	v_cmp_ne_u32_e32 vcc_lo, 0, v38
	v_ashrrev_i32_e32 v81, 31, v81
	v_lshlrev_b32_e32 v80, 25, v33
	v_ashrrev_i32_e32 v35, 31, v35
	v_lshlrev_b32_e32 v38, 24, v33
	s_wait_alu 0xfffd
	v_xor_b32_e32 v34, vcc_lo, v34
	v_cmp_gt_i32_e32 vcc_lo, 0, v36
	v_not_b32_e32 v36, v37
	s_wait_alu 0xf1ff
	v_xor_b32_e32 v81, s0, v81
	v_cmp_gt_i32_e64 s0, 0, v37
	v_and_b32_e32 v34, exec_lo, v34
	v_not_b32_e32 v37, v39
	v_ashrrev_i32_e32 v36, 31, v36
	s_wait_alu 0xfffd
	v_xor_b32_e32 v35, vcc_lo, v35
	v_cmp_gt_i32_e32 vcc_lo, 0, v39
	v_and_b32_e32 v34, v34, v81
	v_not_b32_e32 v39, v40
	v_ashrrev_i32_e32 v37, 31, v37
	s_wait_alu 0xf1ff
	v_xor_b32_e32 v36, s0, v36
	v_cmp_gt_i32_e64 s0, 0, v40
	v_and_b32_e32 v34, v34, v35
	v_not_b32_e32 v35, v80
	v_ashrrev_i32_e32 v39, 31, v39
	s_wait_alu 0xfffd
	v_xor_b32_e32 v37, vcc_lo, v37
	v_cmp_gt_i32_e32 vcc_lo, 0, v80
	v_and_b32_e32 v34, v34, v36
	v_not_b32_e32 v36, v38
	v_ashrrev_i32_e32 v35, 31, v35
	s_wait_alu 0xf1ff
	v_xor_b32_e32 v39, s0, v39
	v_lshlrev_b32_e32 v33, 4, v33
	v_and_b32_e32 v34, v34, v37
	v_cmp_gt_i32_e64 s0, 0, v38
	v_ashrrev_i32_e32 v36, 31, v36
	s_wait_alu 0xfffd
	v_xor_b32_e32 v35, vcc_lo, v35
	v_add_nc_u32_e32 v94, v0, v33
	v_and_b32_e32 v34, v34, v39
	s_wait_alu 0xf1ff
	v_xor_b32_e32 v33, s0, v36
	ds_load_b32 v92, v94 offset:16
	v_and_b32_e32 v34, v34, v35
	; wave barrier
	s_delay_alu instid0(VALU_DEP_1) | instskip(NEXT) | instid1(VALU_DEP_1)
	v_and_b32_e32 v33, v34, v33
	v_mbcnt_lo_u32_b32 v93, v33, 0
	v_cmp_ne_u32_e64 s0, 0, v33
	s_delay_alu instid0(VALU_DEP_2)
	v_cmp_eq_u32_e32 vcc_lo, 0, v93
	s_and_b32 s10, s0, vcc_lo
	s_wait_alu 0xfffe
	s_and_saveexec_b32 s0, s10
	s_cbranch_execz .LBB237_53
; %bb.52:
	s_wait_dscnt 0x0
	v_bcnt_u32_b32 v33, v33, v92
	ds_store_b32 v94, v33 offset:16
.LBB237_53:
	s_wait_alu 0xfffe
	s_or_b32 exec_lo, exec_lo, s0
	v_cmp_ne_u16_e32 vcc_lo, 0x7fff, v76
	; wave barrier
	s_wait_alu 0xfffd
	v_cndmask_b32_e32 v33, 0xffff8000, v76, vcc_lo
	s_delay_alu instid0(VALU_DEP_1) | instskip(NEXT) | instid1(VALU_DEP_1)
	v_and_b32_e32 v33, 0xffff, v33
	v_and_b32_e32 v33, s1, v33
	s_delay_alu instid0(VALU_DEP_1)
	v_and_b32_e32 v34, 1, v33
	v_lshlrev_b32_e32 v35, 30, v33
	v_lshlrev_b32_e32 v36, 29, v33
	;; [unrolled: 1-line block ×4, first 2 shown]
	v_add_co_u32 v34, s0, v34, -1
	s_wait_alu 0xf1ff
	v_cndmask_b32_e64 v38, 0, 1, s0
	v_not_b32_e32 v81, v35
	v_cmp_gt_i32_e64 s0, 0, v35
	v_not_b32_e32 v35, v36
	v_lshlrev_b32_e32 v40, 26, v33
	v_cmp_ne_u32_e32 vcc_lo, 0, v38
	v_ashrrev_i32_e32 v81, 31, v81
	v_lshlrev_b32_e32 v80, 25, v33
	v_ashrrev_i32_e32 v35, 31, v35
	v_lshlrev_b32_e32 v38, 24, v33
	s_wait_alu 0xfffd
	v_xor_b32_e32 v34, vcc_lo, v34
	v_cmp_gt_i32_e32 vcc_lo, 0, v36
	v_not_b32_e32 v36, v37
	s_wait_alu 0xf1ff
	v_xor_b32_e32 v81, s0, v81
	v_cmp_gt_i32_e64 s0, 0, v37
	v_and_b32_e32 v34, exec_lo, v34
	v_not_b32_e32 v37, v39
	v_ashrrev_i32_e32 v36, 31, v36
	s_wait_alu 0xfffd
	v_xor_b32_e32 v35, vcc_lo, v35
	v_cmp_gt_i32_e32 vcc_lo, 0, v39
	v_and_b32_e32 v34, v34, v81
	v_not_b32_e32 v39, v40
	v_ashrrev_i32_e32 v37, 31, v37
	s_wait_alu 0xf1ff
	v_xor_b32_e32 v36, s0, v36
	v_cmp_gt_i32_e64 s0, 0, v40
	v_and_b32_e32 v34, v34, v35
	v_not_b32_e32 v35, v80
	v_ashrrev_i32_e32 v39, 31, v39
	s_wait_alu 0xfffd
	v_xor_b32_e32 v37, vcc_lo, v37
	v_cmp_gt_i32_e32 vcc_lo, 0, v80
	v_and_b32_e32 v34, v34, v36
	v_not_b32_e32 v36, v38
	v_ashrrev_i32_e32 v35, 31, v35
	s_wait_alu 0xf1ff
	v_xor_b32_e32 v39, s0, v39
	v_lshlrev_b32_e32 v33, 4, v33
	v_and_b32_e32 v34, v34, v37
	v_cmp_gt_i32_e64 s0, 0, v38
	v_ashrrev_i32_e32 v36, 31, v36
	s_wait_alu 0xfffd
	v_xor_b32_e32 v35, vcc_lo, v35
	v_add_nc_u32_e32 v97, v0, v33
	v_and_b32_e32 v34, v34, v39
	s_wait_alu 0xf1ff
	v_xor_b32_e32 v33, s0, v36
	ds_load_b32 v95, v97 offset:16
	v_and_b32_e32 v34, v34, v35
	; wave barrier
	s_delay_alu instid0(VALU_DEP_1) | instskip(NEXT) | instid1(VALU_DEP_1)
	v_and_b32_e32 v33, v34, v33
	v_mbcnt_lo_u32_b32 v96, v33, 0
	v_cmp_ne_u32_e64 s0, 0, v33
	s_delay_alu instid0(VALU_DEP_2)
	v_cmp_eq_u32_e32 vcc_lo, 0, v96
	s_and_b32 s10, s0, vcc_lo
	s_wait_alu 0xfffe
	s_and_saveexec_b32 s0, s10
	s_cbranch_execz .LBB237_55
; %bb.54:
	s_wait_dscnt 0x0
	v_bcnt_u32_b32 v33, v33, v95
	ds_store_b32 v97, v33 offset:16
.LBB237_55:
	s_wait_alu 0xfffe
	s_or_b32 exec_lo, exec_lo, s0
	v_cmp_ne_u16_e32 vcc_lo, 0x7fff, v77
	; wave barrier
	s_wait_alu 0xfffd
	v_cndmask_b32_e32 v33, 0xffff8000, v77, vcc_lo
	s_delay_alu instid0(VALU_DEP_1) | instskip(NEXT) | instid1(VALU_DEP_1)
	v_and_b32_e32 v33, 0xffff, v33
	v_and_b32_e32 v33, s1, v33
	s_delay_alu instid0(VALU_DEP_1)
	v_and_b32_e32 v34, 1, v33
	v_lshlrev_b32_e32 v35, 30, v33
	v_lshlrev_b32_e32 v36, 29, v33
	;; [unrolled: 1-line block ×4, first 2 shown]
	v_add_co_u32 v34, s0, v34, -1
	s_wait_alu 0xf1ff
	v_cndmask_b32_e64 v38, 0, 1, s0
	v_not_b32_e32 v81, v35
	v_cmp_gt_i32_e64 s0, 0, v35
	v_not_b32_e32 v35, v36
	v_lshlrev_b32_e32 v40, 26, v33
	v_cmp_ne_u32_e32 vcc_lo, 0, v38
	v_ashrrev_i32_e32 v81, 31, v81
	v_lshlrev_b32_e32 v80, 25, v33
	v_ashrrev_i32_e32 v35, 31, v35
	v_lshlrev_b32_e32 v38, 24, v33
	s_wait_alu 0xfffd
	v_xor_b32_e32 v34, vcc_lo, v34
	v_cmp_gt_i32_e32 vcc_lo, 0, v36
	v_not_b32_e32 v36, v37
	s_wait_alu 0xf1ff
	v_xor_b32_e32 v81, s0, v81
	v_cmp_gt_i32_e64 s0, 0, v37
	v_and_b32_e32 v34, exec_lo, v34
	v_not_b32_e32 v37, v39
	v_ashrrev_i32_e32 v36, 31, v36
	s_wait_alu 0xfffd
	v_xor_b32_e32 v35, vcc_lo, v35
	v_cmp_gt_i32_e32 vcc_lo, 0, v39
	v_and_b32_e32 v34, v34, v81
	v_not_b32_e32 v39, v40
	v_ashrrev_i32_e32 v37, 31, v37
	s_wait_alu 0xf1ff
	v_xor_b32_e32 v36, s0, v36
	v_cmp_gt_i32_e64 s0, 0, v40
	v_and_b32_e32 v34, v34, v35
	v_not_b32_e32 v35, v80
	v_ashrrev_i32_e32 v39, 31, v39
	s_wait_alu 0xfffd
	v_xor_b32_e32 v37, vcc_lo, v37
	v_cmp_gt_i32_e32 vcc_lo, 0, v80
	v_and_b32_e32 v34, v34, v36
	v_not_b32_e32 v36, v38
	v_ashrrev_i32_e32 v35, 31, v35
	s_wait_alu 0xf1ff
	v_xor_b32_e32 v39, s0, v39
	v_lshlrev_b32_e32 v33, 4, v33
	v_and_b32_e32 v34, v34, v37
	v_cmp_gt_i32_e64 s0, 0, v38
	v_ashrrev_i32_e32 v36, 31, v36
	s_wait_alu 0xfffd
	v_xor_b32_e32 v35, vcc_lo, v35
	v_add_nc_u32_e32 v100, v0, v33
	v_and_b32_e32 v34, v34, v39
	s_wait_alu 0xf1ff
	v_xor_b32_e32 v33, s0, v36
	ds_load_b32 v98, v100 offset:16
	v_and_b32_e32 v34, v34, v35
	; wave barrier
	s_delay_alu instid0(VALU_DEP_1) | instskip(NEXT) | instid1(VALU_DEP_1)
	v_and_b32_e32 v33, v34, v33
	v_mbcnt_lo_u32_b32 v99, v33, 0
	v_cmp_ne_u32_e64 s0, 0, v33
	s_delay_alu instid0(VALU_DEP_2)
	v_cmp_eq_u32_e32 vcc_lo, 0, v99
	s_and_b32 s10, s0, vcc_lo
	s_wait_alu 0xfffe
	s_and_saveexec_b32 s0, s10
	s_cbranch_execz .LBB237_57
; %bb.56:
	s_wait_dscnt 0x0
	v_bcnt_u32_b32 v33, v33, v98
	ds_store_b32 v100, v33 offset:16
.LBB237_57:
	s_wait_alu 0xfffe
	s_or_b32 exec_lo, exec_lo, s0
	v_cmp_ne_u16_e32 vcc_lo, 0x7fff, v78
	; wave barrier
	s_wait_alu 0xfffd
	v_cndmask_b32_e32 v33, 0xffff8000, v78, vcc_lo
	s_delay_alu instid0(VALU_DEP_1) | instskip(NEXT) | instid1(VALU_DEP_1)
	v_and_b32_e32 v33, 0xffff, v33
	v_and_b32_e32 v33, s1, v33
	s_delay_alu instid0(VALU_DEP_1)
	v_and_b32_e32 v34, 1, v33
	v_lshlrev_b32_e32 v35, 30, v33
	v_lshlrev_b32_e32 v36, 29, v33
	;; [unrolled: 1-line block ×4, first 2 shown]
	v_add_co_u32 v34, s0, v34, -1
	s_wait_alu 0xf1ff
	v_cndmask_b32_e64 v38, 0, 1, s0
	v_not_b32_e32 v81, v35
	v_cmp_gt_i32_e64 s0, 0, v35
	v_not_b32_e32 v35, v36
	v_lshlrev_b32_e32 v40, 26, v33
	v_cmp_ne_u32_e32 vcc_lo, 0, v38
	v_ashrrev_i32_e32 v81, 31, v81
	v_lshlrev_b32_e32 v80, 25, v33
	v_ashrrev_i32_e32 v35, 31, v35
	v_lshlrev_b32_e32 v38, 24, v33
	s_wait_alu 0xfffd
	v_xor_b32_e32 v34, vcc_lo, v34
	v_cmp_gt_i32_e32 vcc_lo, 0, v36
	v_not_b32_e32 v36, v37
	s_wait_alu 0xf1ff
	v_xor_b32_e32 v81, s0, v81
	v_cmp_gt_i32_e64 s0, 0, v37
	v_and_b32_e32 v34, exec_lo, v34
	v_not_b32_e32 v37, v39
	v_ashrrev_i32_e32 v36, 31, v36
	s_wait_alu 0xfffd
	v_xor_b32_e32 v35, vcc_lo, v35
	v_cmp_gt_i32_e32 vcc_lo, 0, v39
	v_and_b32_e32 v34, v34, v81
	v_not_b32_e32 v39, v40
	v_ashrrev_i32_e32 v37, 31, v37
	s_wait_alu 0xf1ff
	v_xor_b32_e32 v36, s0, v36
	v_cmp_gt_i32_e64 s0, 0, v40
	v_and_b32_e32 v34, v34, v35
	v_not_b32_e32 v35, v80
	v_ashrrev_i32_e32 v39, 31, v39
	s_wait_alu 0xfffd
	v_xor_b32_e32 v37, vcc_lo, v37
	v_cmp_gt_i32_e32 vcc_lo, 0, v80
	v_and_b32_e32 v34, v34, v36
	v_not_b32_e32 v36, v38
	v_ashrrev_i32_e32 v35, 31, v35
	s_wait_alu 0xf1ff
	v_xor_b32_e32 v39, s0, v39
	v_lshlrev_b32_e32 v33, 4, v33
	v_and_b32_e32 v34, v34, v37
	v_cmp_gt_i32_e64 s0, 0, v38
	v_ashrrev_i32_e32 v36, 31, v36
	s_wait_alu 0xfffd
	v_xor_b32_e32 v35, vcc_lo, v35
	v_add_nc_u32_e32 v103, v0, v33
	v_and_b32_e32 v34, v34, v39
	s_wait_alu 0xf1ff
	v_xor_b32_e32 v33, s0, v36
	ds_load_b32 v101, v103 offset:16
	v_and_b32_e32 v34, v34, v35
	; wave barrier
	s_delay_alu instid0(VALU_DEP_1) | instskip(NEXT) | instid1(VALU_DEP_1)
	v_and_b32_e32 v33, v34, v33
	v_mbcnt_lo_u32_b32 v102, v33, 0
	v_cmp_ne_u32_e64 s0, 0, v33
	s_delay_alu instid0(VALU_DEP_2)
	v_cmp_eq_u32_e32 vcc_lo, 0, v102
	s_and_b32 s10, s0, vcc_lo
	s_wait_alu 0xfffe
	s_and_saveexec_b32 s0, s10
	s_cbranch_execz .LBB237_59
; %bb.58:
	s_wait_dscnt 0x0
	v_bcnt_u32_b32 v33, v33, v101
	ds_store_b32 v103, v33 offset:16
.LBB237_59:
	s_wait_alu 0xfffe
	s_or_b32 exec_lo, exec_lo, s0
	v_cmp_ne_u16_e32 vcc_lo, 0x7fff, v79
	; wave barrier
	s_wait_alu 0xfffd
	v_cndmask_b32_e32 v33, 0xffff8000, v79, vcc_lo
	s_delay_alu instid0(VALU_DEP_1) | instskip(NEXT) | instid1(VALU_DEP_1)
	v_and_b32_e32 v33, 0xffff, v33
	v_and_b32_e32 v33, s1, v33
	s_delay_alu instid0(VALU_DEP_1)
	v_and_b32_e32 v34, 1, v33
	v_lshlrev_b32_e32 v35, 30, v33
	v_lshlrev_b32_e32 v36, 29, v33
	;; [unrolled: 1-line block ×4, first 2 shown]
	v_add_co_u32 v34, s0, v34, -1
	s_wait_alu 0xf1ff
	v_cndmask_b32_e64 v38, 0, 1, s0
	v_not_b32_e32 v81, v35
	v_cmp_gt_i32_e64 s0, 0, v35
	v_not_b32_e32 v35, v36
	v_lshlrev_b32_e32 v40, 26, v33
	v_cmp_ne_u32_e32 vcc_lo, 0, v38
	v_ashrrev_i32_e32 v81, 31, v81
	v_lshlrev_b32_e32 v80, 25, v33
	v_ashrrev_i32_e32 v35, 31, v35
	v_lshlrev_b32_e32 v38, 24, v33
	s_wait_alu 0xfffd
	v_xor_b32_e32 v34, vcc_lo, v34
	v_cmp_gt_i32_e32 vcc_lo, 0, v36
	v_not_b32_e32 v36, v37
	s_wait_alu 0xf1ff
	v_xor_b32_e32 v81, s0, v81
	v_cmp_gt_i32_e64 s0, 0, v37
	v_and_b32_e32 v34, exec_lo, v34
	v_not_b32_e32 v37, v39
	v_ashrrev_i32_e32 v36, 31, v36
	s_wait_alu 0xfffd
	v_xor_b32_e32 v35, vcc_lo, v35
	v_cmp_gt_i32_e32 vcc_lo, 0, v39
	v_and_b32_e32 v34, v34, v81
	v_not_b32_e32 v39, v40
	v_ashrrev_i32_e32 v37, 31, v37
	s_wait_alu 0xf1ff
	v_xor_b32_e32 v36, s0, v36
	v_cmp_gt_i32_e64 s0, 0, v40
	v_and_b32_e32 v34, v34, v35
	v_not_b32_e32 v35, v80
	v_ashrrev_i32_e32 v39, 31, v39
	s_wait_alu 0xfffd
	v_xor_b32_e32 v37, vcc_lo, v37
	v_cmp_gt_i32_e32 vcc_lo, 0, v80
	v_and_b32_e32 v34, v34, v36
	v_not_b32_e32 v36, v38
	v_ashrrev_i32_e32 v35, 31, v35
	s_wait_alu 0xf1ff
	v_xor_b32_e32 v39, s0, v39
	v_lshlrev_b32_e32 v33, 4, v33
	v_and_b32_e32 v34, v34, v37
	v_cmp_gt_i32_e64 s0, 0, v38
	v_ashrrev_i32_e32 v36, 31, v36
	s_wait_alu 0xfffd
	v_xor_b32_e32 v35, vcc_lo, v35
	v_add_nc_u32_e32 v106, v0, v33
	v_and_b32_e32 v34, v34, v39
	v_min_u32_e32 v80, 0x60, v68
	s_wait_alu 0xf1ff
	v_xor_b32_e32 v33, s0, v36
	ds_load_b32 v104, v106 offset:16
	v_and_b32_e32 v34, v34, v35
	; wave barrier
	s_delay_alu instid0(VALU_DEP_1) | instskip(NEXT) | instid1(VALU_DEP_1)
	v_and_b32_e32 v33, v34, v33
	v_mbcnt_lo_u32_b32 v105, v33, 0
	v_cmp_ne_u32_e64 s0, 0, v33
	s_delay_alu instid0(VALU_DEP_2)
	v_cmp_eq_u32_e32 vcc_lo, 0, v105
	s_and_b32 s1, s0, vcc_lo
	s_wait_alu 0xfffe
	s_and_saveexec_b32 s0, s1
	s_cbranch_execz .LBB237_61
; %bb.60:
	s_wait_dscnt 0x0
	v_bcnt_u32_b32 v33, v33, v104
	ds_store_b32 v106, v33 offset:16
.LBB237_61:
	s_wait_alu 0xfffe
	s_or_b32 exec_lo, exec_lo, s0
	; wave barrier
	s_wait_loadcnt_dscnt 0x0
	s_barrier_signal -1
	s_barrier_wait -1
	global_inv scope:SCOPE_SE
	ds_load_b128 v[37:40], v65 offset:16
	ds_load_b128 v[33:36], v65 offset:32
	v_and_b32_e32 v107, 16, v67
	v_or_b32_e32 v80, 31, v80
	s_delay_alu instid0(VALU_DEP_2) | instskip(NEXT) | instid1(VALU_DEP_2)
	v_cmp_eq_u32_e64 s16, 0, v107
	v_cmp_eq_u32_e64 s14, v41, v80
	v_lshlrev_b32_e32 v80, 2, v66
	s_wait_dscnt 0x1
	v_add_nc_u32_e32 v81, v38, v37
	s_delay_alu instid0(VALU_DEP_1) | instskip(SKIP_1) | instid1(VALU_DEP_1)
	v_add3_u32 v81, v81, v39, v40
	s_wait_dscnt 0x0
	v_add3_u32 v81, v81, v33, v34
	s_delay_alu instid0(VALU_DEP_1) | instskip(SKIP_1) | instid1(VALU_DEP_2)
	v_add3_u32 v36, v81, v35, v36
	v_and_b32_e32 v81, 15, v67
	v_mov_b32_dpp v83, v36 row_shr:1 row_mask:0xf bank_mask:0xf
	s_delay_alu instid0(VALU_DEP_2)
	v_cmp_eq_u32_e64 s0, 0, v81
	v_cmp_lt_u32_e64 s10, 1, v81
	v_cmp_lt_u32_e64 s11, 3, v81
	;; [unrolled: 1-line block ×3, first 2 shown]
	s_wait_alu 0xf1ff
	v_cndmask_b32_e64 v83, v83, 0, s0
	s_delay_alu instid0(VALU_DEP_1) | instskip(NEXT) | instid1(VALU_DEP_1)
	v_add_nc_u32_e32 v36, v83, v36
	v_mov_b32_dpp v83, v36 row_shr:2 row_mask:0xf bank_mask:0xf
	s_delay_alu instid0(VALU_DEP_1) | instskip(NEXT) | instid1(VALU_DEP_1)
	v_cndmask_b32_e64 v83, 0, v83, s10
	v_add_nc_u32_e32 v36, v36, v83
	s_delay_alu instid0(VALU_DEP_1) | instskip(NEXT) | instid1(VALU_DEP_1)
	v_mov_b32_dpp v83, v36 row_shr:4 row_mask:0xf bank_mask:0xf
	v_cndmask_b32_e64 v83, 0, v83, s11
	s_delay_alu instid0(VALU_DEP_1) | instskip(NEXT) | instid1(VALU_DEP_1)
	v_add_nc_u32_e32 v36, v36, v83
	v_mov_b32_dpp v83, v36 row_shr:8 row_mask:0xf bank_mask:0xf
	s_delay_alu instid0(VALU_DEP_1) | instskip(SKIP_1) | instid1(VALU_DEP_2)
	v_cndmask_b32_e64 v81, 0, v83, s13
	v_bfe_i32 v83, v67, 4, 1
	v_add_nc_u32_e32 v81, v36, v81
	ds_swizzle_b32 v36, v81 offset:swizzle(BROADCAST,32,15)
	s_wait_dscnt 0x0
	v_and_b32_e32 v83, v83, v36
	v_mul_i32_i24_e32 v36, 0xffffffe4, v41
	s_delay_alu instid0(VALU_DEP_2)
	v_add_nc_u32_e32 v83, v81, v83
	s_and_saveexec_b32 s1, s14
; %bb.62:
	ds_store_b32 v80, v83
; %bb.63:
	s_wait_alu 0xfffe
	s_or_b32 exec_lo, exec_lo, s1
	v_and_b32_e32 v81, 3, v67
	v_cmp_gt_u32_e64 s15, 4, v41
	s_wait_loadcnt_dscnt 0x0
	s_barrier_signal -1
	s_barrier_wait -1
	v_cmp_eq_u32_e64 s12, 0, v81
	v_cmp_lt_u32_e64 s1, 1, v81
	v_add_nc_u32_e32 v81, v65, v36
	global_inv scope:SCOPE_SE
	s_and_saveexec_b32 s17, s15
	s_cbranch_execz .LBB237_65
; %bb.64:
	ds_load_b32 v36, v81
	s_wait_dscnt 0x0
	v_mov_b32_dpp v107, v36 row_shr:1 row_mask:0xf bank_mask:0xf
	s_delay_alu instid0(VALU_DEP_1) | instskip(NEXT) | instid1(VALU_DEP_1)
	v_cndmask_b32_e64 v107, v107, 0, s12
	v_add_nc_u32_e32 v36, v107, v36
	s_delay_alu instid0(VALU_DEP_1) | instskip(NEXT) | instid1(VALU_DEP_1)
	v_mov_b32_dpp v107, v36 row_shr:2 row_mask:0xf bank_mask:0xf
	v_cndmask_b32_e64 v107, 0, v107, s1
	s_delay_alu instid0(VALU_DEP_1)
	v_add_nc_u32_e32 v36, v36, v107
	ds_store_b32 v81, v36
.LBB237_65:
	s_wait_alu 0xfffe
	s_or_b32 exec_lo, exec_lo, s17
	v_mul_u32_u24_e32 v36, 6, v82
	v_sub_co_u32 v107, vcc_lo, v67, 1
	v_cmp_lt_u32_e64 s17, 31, v41
	v_add_nc_u32_e32 v82, -4, v80
	v_mov_b32_e32 v108, 0
	s_wait_loadcnt_dscnt 0x0
	s_barrier_signal -1
	s_barrier_wait -1
	global_inv scope:SCOPE_SE
	s_and_saveexec_b32 s18, s17
; %bb.66:
	ds_load_b32 v108, v82
; %bb.67:
	s_wait_alu 0xfffe
	s_or_b32 exec_lo, exec_lo, s18
	v_cmp_gt_i32_e64 s18, 0, v107
	s_mov_b32 s24, 0
	s_min_u32 s19, s19, 8
	s_mov_b32 s25, s24
	s_mov_b32 s26, s24
	v_cndmask_b32_e64 v107, v107, v67, s18
	s_mov_b32 s27, s24
	s_wait_dscnt 0x0
	v_add_nc_u32_e32 v109, v108, v83
	v_cmp_eq_u32_e64 s18, 0, v41
	s_wait_alu 0xfffe
	s_lshl_b32 s19, -1, s19
	v_lshlrev_b32_e32 v83, 2, v107
	s_wait_alu 0xfffe
	s_not_b32 s21, s19
	ds_bpermute_b32 v107, v83, v109
	s_wait_dscnt 0x0
	s_wait_alu 0xfffd
	v_cndmask_b32_e32 v107, v107, v108, vcc_lo
	s_delay_alu instid0(VALU_DEP_1) | instskip(NEXT) | instid1(VALU_DEP_1)
	v_cndmask_b32_e64 v107, v107, 0, s18
	v_add_nc_u32_e32 v108, v107, v37
	s_delay_alu instid0(VALU_DEP_1) | instskip(NEXT) | instid1(VALU_DEP_1)
	v_add_nc_u32_e32 v109, v108, v38
	v_add_nc_u32_e32 v110, v109, v39
	s_delay_alu instid0(VALU_DEP_1) | instskip(NEXT) | instid1(VALU_DEP_1)
	v_add_nc_u32_e32 v37, v110, v40
	;; [unrolled: 3-line block ×3, first 2 shown]
	v_add_nc_u32_e32 v40, v39, v35
	ds_store_b128 v65, v[107:110] offset:16
	ds_store_b128 v65, v[37:40] offset:32
	s_wait_loadcnt_dscnt 0x0
	s_barrier_signal -1
	s_barrier_wait -1
	global_inv scope:SCOPE_SE
	ds_load_b32 v33, v85 offset:16
	ds_load_b32 v34, v88 offset:16
	;; [unrolled: 1-line block ×8, first 2 shown]
	v_add_nc_u32_e32 v88, v71, v36
	s_wait_loadcnt_dscnt 0x0
	s_barrier_signal -1
	s_barrier_wait -1
	global_inv scope:SCOPE_SE
	v_add_nc_u32_e32 v84, v33, v84
	v_add3_u32 v86, v87, v86, v34
	v_add3_u32 v87, v90, v89, v35
	;; [unrolled: 1-line block ×7, first 2 shown]
	v_lshlrev_b32_e32 v33, 1, v84
	v_lshlrev_b32_e32 v34, 1, v86
	v_lshlrev_b32_e32 v35, 1, v87
	v_lshlrev_b32_e32 v36, 1, v89
	v_lshlrev_b32_e32 v37, 1, v90
	v_lshlrev_b32_e32 v38, 1, v91
	v_lshlrev_b32_e32 v39, 1, v92
	v_lshlrev_b32_e32 v40, 1, v93
	ds_store_b16 v33, v72
	ds_store_b16 v34, v73
	;; [unrolled: 1-line block ×8, first 2 shown]
	s_wait_loadcnt_dscnt 0x0
	s_barrier_signal -1
	s_barrier_wait -1
	global_inv scope:SCOPE_SE
	ds_load_u16 v72, v71
	ds_load_u16 v73, v71 offset:64
	ds_load_u16 v74, v71 offset:128
	;; [unrolled: 1-line block ×7, first 2 shown]
	v_mad_co_u64_u32 v[84:85], null, v84, 6, v[33:34]
	v_mad_co_u64_u32 v[33:34], null, v86, 6, v[34:35]
	;; [unrolled: 1-line block ×3, first 2 shown]
	s_wait_loadcnt_dscnt 0x0
	s_barrier_signal -1
	s_barrier_wait -1
	global_inv scope:SCOPE_SE
	v_mad_co_u64_u32 v[35:36], null, v89, 6, v[36:37]
	v_lshrrev_b16 v79, 8, v72
	v_cmp_ne_u16_e64 s19, 0x7fff, v72
	ds_store_b64 v84, v[17:18]
	v_mad_co_u64_u32 v[36:37], null, v90, 6, v[37:38]
	v_mad_co_u64_u32 v[37:38], null, v91, 6, v[38:39]
	s_wait_alu 0xf1ff
	v_cndmask_b32_e64 v79, 0x80, v79, s19
	v_mad_co_u64_u32 v[38:39], null, v92, 6, v[39:40]
	v_mad_co_u64_u32 v[39:40], null, v93, 6, v[40:41]
	s_delay_alu instid0(VALU_DEP_3)
	v_and_b32_e32 v17, 0xffff, v79
	ds_store_b64 v33, v[19:20]
	ds_store_b64 v34, v[25:26]
	;; [unrolled: 1-line block ×7, first 2 shown]
	s_wait_alu 0xfffe
	v_and_b32_e32 v40, s21, v17
	s_wait_loadcnt_dscnt 0x0
	s_barrier_signal -1
	s_barrier_wait -1
	global_inv scope:SCOPE_SE
	v_and_b32_e32 v17, 1, v40
	v_lshlrev_b32_e32 v18, 30, v40
	v_lshlrev_b32_e32 v19, 29, v40
	;; [unrolled: 1-line block ×4, first 2 shown]
	v_add_co_u32 v17, s19, v17, -1
	s_wait_alu 0xf1ff
	v_cndmask_b32_e64 v21, 0, 1, s19
	v_not_b32_e32 v25, v18
	v_cmp_gt_i32_e64 s20, 0, v18
	v_not_b32_e32 v18, v19
	v_lshlrev_b32_e32 v23, 26, v40
	v_cmp_ne_u32_e64 s19, 0, v21
	v_ashrrev_i32_e32 v25, 31, v25
	v_lshlrev_b32_e32 v24, 25, v40
	v_ashrrev_i32_e32 v18, 31, v18
	v_lshlrev_b32_e32 v21, 24, v40
	s_wait_alu 0xf1ff
	v_xor_b32_e32 v17, s19, v17
	v_cmp_gt_i32_e64 s19, 0, v19
	v_not_b32_e32 v19, v20
	v_xor_b32_e32 v25, s20, v25
	v_cmp_gt_i32_e64 s20, 0, v20
	v_and_b32_e32 v17, exec_lo, v17
	v_not_b32_e32 v20, v22
	v_ashrrev_i32_e32 v19, 31, v19
	s_wait_alu 0xf1ff
	v_xor_b32_e32 v18, s19, v18
	v_cmp_gt_i32_e64 s19, 0, v22
	v_and_b32_e32 v17, v17, v25
	v_not_b32_e32 v22, v23
	v_ashrrev_i32_e32 v20, 31, v20
	v_xor_b32_e32 v19, s20, v19
	v_cmp_gt_i32_e64 s20, 0, v23
	v_and_b32_e32 v17, v17, v18
	v_not_b32_e32 v18, v24
	v_ashrrev_i32_e32 v22, 31, v22
	s_wait_alu 0xf1ff
	v_xor_b32_e32 v20, s19, v20
	v_cmp_gt_i32_e64 s19, 0, v24
	v_and_b32_e32 v17, v17, v19
	v_not_b32_e32 v19, v21
	v_ashrrev_i32_e32 v18, 31, v18
	v_xor_b32_e32 v22, s20, v22
	v_cmp_gt_i32_e64 s20, 0, v21
	v_and_b32_e32 v17, v17, v20
	v_ashrrev_i32_e32 v19, 31, v19
	s_wait_alu 0xf1ff
	v_xor_b32_e32 v18, s19, v18
	v_dual_mov_b32 v37, s27 :: v_dual_mov_b32 v36, s26
	v_and_b32_e32 v17, v17, v22
	v_xor_b32_e32 v33, s20, v19
	ds_load_2addr_b64 v[21:24], v88 offset1:32
	v_dual_mov_b32 v35, s25 :: v_dual_mov_b32 v34, s24
	v_and_b32_e32 v38, v17, v18
	ds_load_2addr_b64 v[29:32], v88 offset0:64 offset1:96
	ds_load_2addr_b64 v[25:28], v88 offset0:128 offset1:160
	;; [unrolled: 1-line block ×3, first 2 shown]
	v_lshl_add_u32 v84, v40, 4, v0
	s_wait_loadcnt_dscnt 0x0
	s_barrier_signal -1
	v_and_b32_e32 v33, v38, v33
	s_barrier_wait -1
	global_inv scope:SCOPE_SE
	ds_store_b128 v65, v[34:37] offset:16
	ds_store_b128 v65, v[34:37] offset:32
	s_wait_loadcnt_dscnt 0x0
	v_mbcnt_lo_u32_b32 v79, v33, 0
	v_cmp_ne_u32_e64 s20, 0, v33
	s_barrier_signal -1
	s_barrier_wait -1
	global_inv scope:SCOPE_SE
	v_cmp_eq_u32_e64 s19, 0, v79
	; wave barrier
	s_and_b32 s20, s20, s19
	s_wait_alu 0xfffe
	s_and_saveexec_b32 s19, s20
; %bb.68:
	v_bcnt_u32_b32 v33, v33, 0
	ds_store_b32 v84, v33 offset:16
; %bb.69:
	s_wait_alu 0xfffe
	s_or_b32 exec_lo, exec_lo, s19
	v_lshrrev_b16 v33, 8, v73
	v_cmp_ne_u16_e64 s19, 0x7fff, v73
	; wave barrier
	s_wait_alu 0xf1ff
	s_delay_alu instid0(VALU_DEP_1) | instskip(NEXT) | instid1(VALU_DEP_1)
	v_cndmask_b32_e64 v33, 0x80, v33, s19
	v_and_b32_e32 v33, s21, v33
	s_delay_alu instid0(VALU_DEP_1)
	v_and_b32_e32 v34, 1, v33
	v_lshlrev_b32_e32 v35, 30, v33
	v_lshlrev_b32_e32 v36, 29, v33
	;; [unrolled: 1-line block ×4, first 2 shown]
	v_add_co_u32 v34, s19, v34, -1
	s_wait_alu 0xf1ff
	v_cndmask_b32_e64 v38, 0, 1, s19
	v_not_b32_e32 v86, v35
	v_cmp_gt_i32_e64 s20, 0, v35
	v_not_b32_e32 v35, v36
	v_lshlrev_b32_e32 v40, 26, v33
	v_cmp_ne_u32_e64 s19, 0, v38
	v_ashrrev_i32_e32 v86, 31, v86
	v_lshlrev_b32_e32 v85, 25, v33
	v_ashrrev_i32_e32 v35, 31, v35
	v_lshlrev_b32_e32 v38, 24, v33
	s_wait_alu 0xf1ff
	v_xor_b32_e32 v34, s19, v34
	v_cmp_gt_i32_e64 s19, 0, v36
	v_not_b32_e32 v36, v37
	v_xor_b32_e32 v86, s20, v86
	v_cmp_gt_i32_e64 s20, 0, v37
	v_and_b32_e32 v34, exec_lo, v34
	v_not_b32_e32 v37, v39
	v_ashrrev_i32_e32 v36, 31, v36
	s_wait_alu 0xf1ff
	v_xor_b32_e32 v35, s19, v35
	v_cmp_gt_i32_e64 s19, 0, v39
	v_and_b32_e32 v34, v34, v86
	v_not_b32_e32 v39, v40
	v_ashrrev_i32_e32 v37, 31, v37
	v_xor_b32_e32 v36, s20, v36
	v_cmp_gt_i32_e64 s20, 0, v40
	v_and_b32_e32 v34, v34, v35
	v_not_b32_e32 v35, v85
	v_ashrrev_i32_e32 v39, 31, v39
	s_wait_alu 0xf1ff
	v_xor_b32_e32 v37, s19, v37
	v_cmp_gt_i32_e64 s19, 0, v85
	v_and_b32_e32 v34, v34, v36
	v_not_b32_e32 v36, v38
	v_ashrrev_i32_e32 v35, 31, v35
	v_xor_b32_e32 v39, s20, v39
	v_cmp_gt_i32_e64 s20, 0, v38
	v_and_b32_e32 v34, v34, v37
	v_ashrrev_i32_e32 v36, 31, v36
	s_wait_alu 0xf1ff
	v_xor_b32_e32 v35, s19, v35
	v_lshl_add_u32 v87, v33, 4, v0
	v_and_b32_e32 v34, v34, v39
	v_xor_b32_e32 v33, s20, v36
	ds_load_b32 v85, v87 offset:16
	v_and_b32_e32 v34, v34, v35
	; wave barrier
	s_delay_alu instid0(VALU_DEP_1) | instskip(NEXT) | instid1(VALU_DEP_1)
	v_and_b32_e32 v33, v34, v33
	v_mbcnt_lo_u32_b32 v86, v33, 0
	v_cmp_ne_u32_e64 s20, 0, v33
	s_delay_alu instid0(VALU_DEP_2)
	v_cmp_eq_u32_e64 s19, 0, v86
	s_and_b32 s20, s20, s19
	s_wait_alu 0xfffe
	s_and_saveexec_b32 s19, s20
	s_cbranch_execz .LBB237_71
; %bb.70:
	s_wait_dscnt 0x0
	v_bcnt_u32_b32 v33, v33, v85
	ds_store_b32 v87, v33 offset:16
.LBB237_71:
	s_wait_alu 0xfffe
	s_or_b32 exec_lo, exec_lo, s19
	v_lshrrev_b16 v33, 8, v74
	v_cmp_ne_u16_e64 s19, 0x7fff, v74
	; wave barrier
	s_wait_alu 0xf1ff
	s_delay_alu instid0(VALU_DEP_1) | instskip(NEXT) | instid1(VALU_DEP_1)
	v_cndmask_b32_e64 v33, 0x80, v33, s19
	v_and_b32_e32 v33, s21, v33
	s_delay_alu instid0(VALU_DEP_1)
	v_and_b32_e32 v34, 1, v33
	v_lshlrev_b32_e32 v35, 30, v33
	v_lshlrev_b32_e32 v36, 29, v33
	;; [unrolled: 1-line block ×4, first 2 shown]
	v_add_co_u32 v34, s19, v34, -1
	s_wait_alu 0xf1ff
	v_cndmask_b32_e64 v38, 0, 1, s19
	v_not_b32_e32 v89, v35
	v_cmp_gt_i32_e64 s20, 0, v35
	v_not_b32_e32 v35, v36
	v_lshlrev_b32_e32 v40, 26, v33
	v_cmp_ne_u32_e64 s19, 0, v38
	v_ashrrev_i32_e32 v89, 31, v89
	v_lshlrev_b32_e32 v88, 25, v33
	v_ashrrev_i32_e32 v35, 31, v35
	v_lshlrev_b32_e32 v38, 24, v33
	s_wait_alu 0xf1ff
	v_xor_b32_e32 v34, s19, v34
	v_cmp_gt_i32_e64 s19, 0, v36
	v_not_b32_e32 v36, v37
	v_xor_b32_e32 v89, s20, v89
	v_cmp_gt_i32_e64 s20, 0, v37
	v_and_b32_e32 v34, exec_lo, v34
	v_not_b32_e32 v37, v39
	v_ashrrev_i32_e32 v36, 31, v36
	s_wait_alu 0xf1ff
	v_xor_b32_e32 v35, s19, v35
	v_cmp_gt_i32_e64 s19, 0, v39
	v_and_b32_e32 v34, v34, v89
	v_not_b32_e32 v39, v40
	v_ashrrev_i32_e32 v37, 31, v37
	v_xor_b32_e32 v36, s20, v36
	v_cmp_gt_i32_e64 s20, 0, v40
	v_and_b32_e32 v34, v34, v35
	v_not_b32_e32 v35, v88
	v_ashrrev_i32_e32 v39, 31, v39
	s_wait_alu 0xf1ff
	v_xor_b32_e32 v37, s19, v37
	v_cmp_gt_i32_e64 s19, 0, v88
	v_and_b32_e32 v34, v34, v36
	v_not_b32_e32 v36, v38
	v_ashrrev_i32_e32 v35, 31, v35
	v_xor_b32_e32 v39, s20, v39
	v_cmp_gt_i32_e64 s20, 0, v38
	v_and_b32_e32 v34, v34, v37
	v_ashrrev_i32_e32 v36, 31, v36
	s_wait_alu 0xf1ff
	v_xor_b32_e32 v35, s19, v35
	v_lshl_add_u32 v90, v33, 4, v0
	v_and_b32_e32 v34, v34, v39
	v_xor_b32_e32 v33, s20, v36
	ds_load_b32 v88, v90 offset:16
	v_and_b32_e32 v34, v34, v35
	; wave barrier
	s_delay_alu instid0(VALU_DEP_1) | instskip(NEXT) | instid1(VALU_DEP_1)
	v_and_b32_e32 v33, v34, v33
	v_mbcnt_lo_u32_b32 v89, v33, 0
	v_cmp_ne_u32_e64 s20, 0, v33
	s_delay_alu instid0(VALU_DEP_2)
	v_cmp_eq_u32_e64 s19, 0, v89
	s_and_b32 s20, s20, s19
	s_wait_alu 0xfffe
	s_and_saveexec_b32 s19, s20
	s_cbranch_execz .LBB237_73
; %bb.72:
	s_wait_dscnt 0x0
	v_bcnt_u32_b32 v33, v33, v88
	ds_store_b32 v90, v33 offset:16
.LBB237_73:
	s_wait_alu 0xfffe
	s_or_b32 exec_lo, exec_lo, s19
	v_lshrrev_b16 v33, 8, v75
	v_cmp_ne_u16_e64 s19, 0x7fff, v75
	; wave barrier
	s_wait_alu 0xf1ff
	s_delay_alu instid0(VALU_DEP_1) | instskip(NEXT) | instid1(VALU_DEP_1)
	v_cndmask_b32_e64 v33, 0x80, v33, s19
	v_and_b32_e32 v33, s21, v33
	s_delay_alu instid0(VALU_DEP_1)
	v_and_b32_e32 v34, 1, v33
	v_lshlrev_b32_e32 v35, 30, v33
	v_lshlrev_b32_e32 v36, 29, v33
	;; [unrolled: 1-line block ×4, first 2 shown]
	v_add_co_u32 v34, s19, v34, -1
	s_wait_alu 0xf1ff
	v_cndmask_b32_e64 v38, 0, 1, s19
	v_not_b32_e32 v92, v35
	v_cmp_gt_i32_e64 s20, 0, v35
	v_not_b32_e32 v35, v36
	v_lshlrev_b32_e32 v40, 26, v33
	v_cmp_ne_u32_e64 s19, 0, v38
	v_ashrrev_i32_e32 v92, 31, v92
	v_lshlrev_b32_e32 v91, 25, v33
	v_ashrrev_i32_e32 v35, 31, v35
	v_lshlrev_b32_e32 v38, 24, v33
	s_wait_alu 0xf1ff
	v_xor_b32_e32 v34, s19, v34
	v_cmp_gt_i32_e64 s19, 0, v36
	v_not_b32_e32 v36, v37
	v_xor_b32_e32 v92, s20, v92
	v_cmp_gt_i32_e64 s20, 0, v37
	v_and_b32_e32 v34, exec_lo, v34
	v_not_b32_e32 v37, v39
	v_ashrrev_i32_e32 v36, 31, v36
	s_wait_alu 0xf1ff
	v_xor_b32_e32 v35, s19, v35
	v_cmp_gt_i32_e64 s19, 0, v39
	v_and_b32_e32 v34, v34, v92
	v_not_b32_e32 v39, v40
	v_ashrrev_i32_e32 v37, 31, v37
	v_xor_b32_e32 v36, s20, v36
	v_cmp_gt_i32_e64 s20, 0, v40
	v_and_b32_e32 v34, v34, v35
	v_not_b32_e32 v35, v91
	v_ashrrev_i32_e32 v39, 31, v39
	s_wait_alu 0xf1ff
	v_xor_b32_e32 v37, s19, v37
	v_cmp_gt_i32_e64 s19, 0, v91
	v_and_b32_e32 v34, v34, v36
	v_not_b32_e32 v36, v38
	v_ashrrev_i32_e32 v35, 31, v35
	v_xor_b32_e32 v39, s20, v39
	v_cmp_gt_i32_e64 s20, 0, v38
	v_and_b32_e32 v34, v34, v37
	v_ashrrev_i32_e32 v36, 31, v36
	s_wait_alu 0xf1ff
	v_xor_b32_e32 v35, s19, v35
	v_lshl_add_u32 v93, v33, 4, v0
	v_and_b32_e32 v34, v34, v39
	v_xor_b32_e32 v33, s20, v36
	ds_load_b32 v91, v93 offset:16
	v_and_b32_e32 v34, v34, v35
	; wave barrier
	s_delay_alu instid0(VALU_DEP_1) | instskip(NEXT) | instid1(VALU_DEP_1)
	v_and_b32_e32 v33, v34, v33
	v_mbcnt_lo_u32_b32 v92, v33, 0
	v_cmp_ne_u32_e64 s20, 0, v33
	s_delay_alu instid0(VALU_DEP_2)
	v_cmp_eq_u32_e64 s19, 0, v92
	s_and_b32 s20, s20, s19
	s_wait_alu 0xfffe
	s_and_saveexec_b32 s19, s20
	s_cbranch_execz .LBB237_75
; %bb.74:
	s_wait_dscnt 0x0
	v_bcnt_u32_b32 v33, v33, v91
	ds_store_b32 v93, v33 offset:16
.LBB237_75:
	s_wait_alu 0xfffe
	s_or_b32 exec_lo, exec_lo, s19
	v_lshrrev_b16 v33, 8, v76
	v_cmp_ne_u16_e64 s19, 0x7fff, v76
	; wave barrier
	s_wait_alu 0xf1ff
	s_delay_alu instid0(VALU_DEP_1) | instskip(NEXT) | instid1(VALU_DEP_1)
	v_cndmask_b32_e64 v33, 0x80, v33, s19
	v_and_b32_e32 v33, s21, v33
	s_delay_alu instid0(VALU_DEP_1)
	v_and_b32_e32 v34, 1, v33
	v_lshlrev_b32_e32 v35, 30, v33
	v_lshlrev_b32_e32 v36, 29, v33
	;; [unrolled: 1-line block ×4, first 2 shown]
	v_add_co_u32 v34, s19, v34, -1
	s_wait_alu 0xf1ff
	v_cndmask_b32_e64 v38, 0, 1, s19
	v_not_b32_e32 v95, v35
	v_cmp_gt_i32_e64 s20, 0, v35
	v_not_b32_e32 v35, v36
	v_lshlrev_b32_e32 v40, 26, v33
	v_cmp_ne_u32_e64 s19, 0, v38
	v_ashrrev_i32_e32 v95, 31, v95
	v_lshlrev_b32_e32 v94, 25, v33
	v_ashrrev_i32_e32 v35, 31, v35
	v_lshlrev_b32_e32 v38, 24, v33
	s_wait_alu 0xf1ff
	v_xor_b32_e32 v34, s19, v34
	v_cmp_gt_i32_e64 s19, 0, v36
	v_not_b32_e32 v36, v37
	v_xor_b32_e32 v95, s20, v95
	v_cmp_gt_i32_e64 s20, 0, v37
	v_and_b32_e32 v34, exec_lo, v34
	v_not_b32_e32 v37, v39
	v_ashrrev_i32_e32 v36, 31, v36
	s_wait_alu 0xf1ff
	v_xor_b32_e32 v35, s19, v35
	v_cmp_gt_i32_e64 s19, 0, v39
	v_and_b32_e32 v34, v34, v95
	v_not_b32_e32 v39, v40
	v_ashrrev_i32_e32 v37, 31, v37
	v_xor_b32_e32 v36, s20, v36
	v_cmp_gt_i32_e64 s20, 0, v40
	v_and_b32_e32 v34, v34, v35
	v_not_b32_e32 v35, v94
	v_ashrrev_i32_e32 v39, 31, v39
	s_wait_alu 0xf1ff
	v_xor_b32_e32 v37, s19, v37
	v_cmp_gt_i32_e64 s19, 0, v94
	v_and_b32_e32 v34, v34, v36
	v_not_b32_e32 v36, v38
	v_ashrrev_i32_e32 v35, 31, v35
	v_xor_b32_e32 v39, s20, v39
	v_cmp_gt_i32_e64 s20, 0, v38
	v_and_b32_e32 v34, v34, v37
	v_ashrrev_i32_e32 v36, 31, v36
	s_wait_alu 0xf1ff
	v_xor_b32_e32 v35, s19, v35
	v_lshl_add_u32 v96, v33, 4, v0
	v_and_b32_e32 v34, v34, v39
	v_xor_b32_e32 v33, s20, v36
	ds_load_b32 v94, v96 offset:16
	v_and_b32_e32 v34, v34, v35
	; wave barrier
	s_delay_alu instid0(VALU_DEP_1) | instskip(NEXT) | instid1(VALU_DEP_1)
	v_and_b32_e32 v33, v34, v33
	v_mbcnt_lo_u32_b32 v95, v33, 0
	v_cmp_ne_u32_e64 s20, 0, v33
	s_delay_alu instid0(VALU_DEP_2)
	v_cmp_eq_u32_e64 s19, 0, v95
	s_and_b32 s20, s20, s19
	s_wait_alu 0xfffe
	s_and_saveexec_b32 s19, s20
	s_cbranch_execz .LBB237_77
; %bb.76:
	s_wait_dscnt 0x0
	v_bcnt_u32_b32 v33, v33, v94
	ds_store_b32 v96, v33 offset:16
.LBB237_77:
	s_wait_alu 0xfffe
	s_or_b32 exec_lo, exec_lo, s19
	v_lshrrev_b16 v33, 8, v77
	v_cmp_ne_u16_e64 s19, 0x7fff, v77
	; wave barrier
	s_wait_alu 0xf1ff
	s_delay_alu instid0(VALU_DEP_1) | instskip(NEXT) | instid1(VALU_DEP_1)
	v_cndmask_b32_e64 v33, 0x80, v33, s19
	v_and_b32_e32 v33, s21, v33
	s_delay_alu instid0(VALU_DEP_1)
	v_and_b32_e32 v34, 1, v33
	v_lshlrev_b32_e32 v35, 30, v33
	v_lshlrev_b32_e32 v36, 29, v33
	;; [unrolled: 1-line block ×4, first 2 shown]
	v_add_co_u32 v34, s19, v34, -1
	s_wait_alu 0xf1ff
	v_cndmask_b32_e64 v38, 0, 1, s19
	v_not_b32_e32 v98, v35
	v_cmp_gt_i32_e64 s20, 0, v35
	v_not_b32_e32 v35, v36
	v_lshlrev_b32_e32 v40, 26, v33
	v_cmp_ne_u32_e64 s19, 0, v38
	v_ashrrev_i32_e32 v98, 31, v98
	v_lshlrev_b32_e32 v97, 25, v33
	v_ashrrev_i32_e32 v35, 31, v35
	v_lshlrev_b32_e32 v38, 24, v33
	s_wait_alu 0xf1ff
	v_xor_b32_e32 v34, s19, v34
	v_cmp_gt_i32_e64 s19, 0, v36
	v_not_b32_e32 v36, v37
	v_xor_b32_e32 v98, s20, v98
	v_cmp_gt_i32_e64 s20, 0, v37
	v_and_b32_e32 v34, exec_lo, v34
	v_not_b32_e32 v37, v39
	v_ashrrev_i32_e32 v36, 31, v36
	s_wait_alu 0xf1ff
	v_xor_b32_e32 v35, s19, v35
	v_cmp_gt_i32_e64 s19, 0, v39
	v_and_b32_e32 v34, v34, v98
	v_not_b32_e32 v39, v40
	v_ashrrev_i32_e32 v37, 31, v37
	v_xor_b32_e32 v36, s20, v36
	v_cmp_gt_i32_e64 s20, 0, v40
	v_and_b32_e32 v34, v34, v35
	v_not_b32_e32 v35, v97
	v_ashrrev_i32_e32 v39, 31, v39
	s_wait_alu 0xf1ff
	v_xor_b32_e32 v37, s19, v37
	v_cmp_gt_i32_e64 s19, 0, v97
	v_and_b32_e32 v34, v34, v36
	v_not_b32_e32 v36, v38
	v_ashrrev_i32_e32 v35, 31, v35
	v_xor_b32_e32 v39, s20, v39
	v_cmp_gt_i32_e64 s20, 0, v38
	v_and_b32_e32 v34, v34, v37
	v_ashrrev_i32_e32 v36, 31, v36
	s_wait_alu 0xf1ff
	v_xor_b32_e32 v35, s19, v35
	v_lshl_add_u32 v99, v33, 4, v0
	v_and_b32_e32 v34, v34, v39
	v_xor_b32_e32 v33, s20, v36
	ds_load_b32 v97, v99 offset:16
	v_and_b32_e32 v34, v34, v35
	; wave barrier
	s_delay_alu instid0(VALU_DEP_1) | instskip(NEXT) | instid1(VALU_DEP_1)
	v_and_b32_e32 v33, v34, v33
	v_mbcnt_lo_u32_b32 v98, v33, 0
	v_cmp_ne_u32_e64 s20, 0, v33
	s_delay_alu instid0(VALU_DEP_2)
	v_cmp_eq_u32_e64 s19, 0, v98
	s_and_b32 s20, s20, s19
	s_wait_alu 0xfffe
	s_and_saveexec_b32 s19, s20
	s_cbranch_execz .LBB237_79
; %bb.78:
	s_wait_dscnt 0x0
	v_bcnt_u32_b32 v33, v33, v97
	ds_store_b32 v99, v33 offset:16
.LBB237_79:
	s_wait_alu 0xfffe
	s_or_b32 exec_lo, exec_lo, s19
	v_lshrrev_b16 v33, 8, v78
	v_cmp_ne_u16_e64 s19, 0x7fff, v78
	; wave barrier
	s_wait_alu 0xf1ff
	s_delay_alu instid0(VALU_DEP_1) | instskip(NEXT) | instid1(VALU_DEP_1)
	v_cndmask_b32_e64 v33, 0x80, v33, s19
	v_and_b32_e32 v33, s21, v33
	s_delay_alu instid0(VALU_DEP_1)
	v_and_b32_e32 v34, 1, v33
	v_lshlrev_b32_e32 v35, 30, v33
	v_lshlrev_b32_e32 v36, 29, v33
	;; [unrolled: 1-line block ×4, first 2 shown]
	v_add_co_u32 v34, s19, v34, -1
	s_wait_alu 0xf1ff
	v_cndmask_b32_e64 v38, 0, 1, s19
	v_not_b32_e32 v101, v35
	v_cmp_gt_i32_e64 s20, 0, v35
	v_not_b32_e32 v35, v36
	v_lshlrev_b32_e32 v40, 26, v33
	v_cmp_ne_u32_e64 s19, 0, v38
	v_ashrrev_i32_e32 v101, 31, v101
	v_lshlrev_b32_e32 v100, 25, v33
	v_ashrrev_i32_e32 v35, 31, v35
	v_lshlrev_b32_e32 v38, 24, v33
	s_wait_alu 0xf1ff
	v_xor_b32_e32 v34, s19, v34
	v_cmp_gt_i32_e64 s19, 0, v36
	v_not_b32_e32 v36, v37
	v_xor_b32_e32 v101, s20, v101
	v_cmp_gt_i32_e64 s20, 0, v37
	v_and_b32_e32 v34, exec_lo, v34
	v_not_b32_e32 v37, v39
	v_ashrrev_i32_e32 v36, 31, v36
	s_wait_alu 0xf1ff
	v_xor_b32_e32 v35, s19, v35
	v_cmp_gt_i32_e64 s19, 0, v39
	v_and_b32_e32 v34, v34, v101
	v_not_b32_e32 v39, v40
	v_ashrrev_i32_e32 v37, 31, v37
	v_xor_b32_e32 v36, s20, v36
	v_cmp_gt_i32_e64 s20, 0, v40
	v_and_b32_e32 v34, v34, v35
	v_not_b32_e32 v35, v100
	v_ashrrev_i32_e32 v39, 31, v39
	s_wait_alu 0xf1ff
	v_xor_b32_e32 v37, s19, v37
	v_cmp_gt_i32_e64 s19, 0, v100
	v_and_b32_e32 v34, v34, v36
	v_not_b32_e32 v36, v38
	v_ashrrev_i32_e32 v35, 31, v35
	v_xor_b32_e32 v39, s20, v39
	v_cmp_gt_i32_e64 s20, 0, v38
	v_and_b32_e32 v34, v34, v37
	v_ashrrev_i32_e32 v36, 31, v36
	s_wait_alu 0xf1ff
	v_xor_b32_e32 v35, s19, v35
	v_lshl_add_u32 v102, v33, 4, v0
	v_and_b32_e32 v34, v34, v39
	v_xor_b32_e32 v33, s20, v36
	ds_load_b32 v100, v102 offset:16
	v_and_b32_e32 v34, v34, v35
	; wave barrier
	s_delay_alu instid0(VALU_DEP_1) | instskip(NEXT) | instid1(VALU_DEP_1)
	v_and_b32_e32 v33, v34, v33
	v_mbcnt_lo_u32_b32 v101, v33, 0
	v_cmp_ne_u32_e64 s20, 0, v33
	s_delay_alu instid0(VALU_DEP_2)
	v_cmp_eq_u32_e64 s19, 0, v101
	s_and_b32 s20, s20, s19
	s_wait_alu 0xfffe
	s_and_saveexec_b32 s19, s20
	s_cbranch_execz .LBB237_81
; %bb.80:
	s_wait_dscnt 0x0
	v_bcnt_u32_b32 v33, v33, v100
	ds_store_b32 v102, v33 offset:16
.LBB237_81:
	s_wait_alu 0xfffe
	s_or_b32 exec_lo, exec_lo, s19
	v_lshrrev_b16 v33, 8, v71
	v_cmp_ne_u16_e64 s19, 0x7fff, v71
	; wave barrier
	s_wait_alu 0xf1ff
	s_delay_alu instid0(VALU_DEP_1) | instskip(NEXT) | instid1(VALU_DEP_1)
	v_cndmask_b32_e64 v33, 0x80, v33, s19
	v_and_b32_e32 v33, s21, v33
	s_delay_alu instid0(VALU_DEP_1)
	v_and_b32_e32 v34, 1, v33
	v_lshlrev_b32_e32 v35, 30, v33
	v_lshlrev_b32_e32 v36, 29, v33
	;; [unrolled: 1-line block ×4, first 2 shown]
	v_add_co_u32 v34, s19, v34, -1
	s_wait_alu 0xf1ff
	v_cndmask_b32_e64 v38, 0, 1, s19
	v_not_b32_e32 v104, v35
	v_cmp_gt_i32_e64 s20, 0, v35
	v_not_b32_e32 v35, v36
	v_lshlrev_b32_e32 v40, 26, v33
	v_cmp_ne_u32_e64 s19, 0, v38
	v_ashrrev_i32_e32 v104, 31, v104
	v_lshlrev_b32_e32 v103, 25, v33
	v_ashrrev_i32_e32 v35, 31, v35
	v_lshlrev_b32_e32 v38, 24, v33
	s_wait_alu 0xf1ff
	v_xor_b32_e32 v34, s19, v34
	v_cmp_gt_i32_e64 s19, 0, v36
	v_not_b32_e32 v36, v37
	v_xor_b32_e32 v104, s20, v104
	v_cmp_gt_i32_e64 s20, 0, v37
	v_and_b32_e32 v34, exec_lo, v34
	v_not_b32_e32 v37, v39
	v_ashrrev_i32_e32 v36, 31, v36
	s_wait_alu 0xf1ff
	v_xor_b32_e32 v35, s19, v35
	v_cmp_gt_i32_e64 s19, 0, v39
	v_and_b32_e32 v34, v34, v104
	v_not_b32_e32 v39, v40
	v_ashrrev_i32_e32 v37, 31, v37
	v_xor_b32_e32 v36, s20, v36
	v_cmp_gt_i32_e64 s20, 0, v40
	v_and_b32_e32 v34, v34, v35
	v_not_b32_e32 v35, v103
	v_ashrrev_i32_e32 v39, 31, v39
	s_wait_alu 0xf1ff
	v_xor_b32_e32 v37, s19, v37
	v_cmp_gt_i32_e64 s19, 0, v103
	v_and_b32_e32 v34, v34, v36
	v_not_b32_e32 v36, v38
	v_ashrrev_i32_e32 v35, 31, v35
	v_xor_b32_e32 v39, s20, v39
	v_cmp_gt_i32_e64 s20, 0, v38
	v_and_b32_e32 v34, v34, v37
	v_ashrrev_i32_e32 v36, 31, v36
	s_wait_alu 0xf1ff
	v_xor_b32_e32 v35, s19, v35
	v_lshl_add_u32 v104, v33, 4, v0
	v_and_b32_e32 v34, v34, v39
	v_xor_b32_e32 v33, s20, v36
	ds_load_b32 v0, v104 offset:16
	v_and_b32_e32 v34, v34, v35
	; wave barrier
	s_delay_alu instid0(VALU_DEP_1) | instskip(NEXT) | instid1(VALU_DEP_1)
	v_and_b32_e32 v33, v34, v33
	v_mbcnt_lo_u32_b32 v103, v33, 0
	v_cmp_ne_u32_e64 s20, 0, v33
	s_delay_alu instid0(VALU_DEP_2)
	v_cmp_eq_u32_e64 s19, 0, v103
	s_and_b32 s20, s20, s19
	s_wait_alu 0xfffe
	s_and_saveexec_b32 s19, s20
	s_cbranch_execz .LBB237_83
; %bb.82:
	s_wait_dscnt 0x0
	v_bcnt_u32_b32 v33, v33, v0
	ds_store_b32 v104, v33 offset:16
.LBB237_83:
	s_wait_alu 0xfffe
	s_or_b32 exec_lo, exec_lo, s19
	; wave barrier
	s_wait_loadcnt_dscnt 0x0
	s_barrier_signal -1
	s_barrier_wait -1
	global_inv scope:SCOPE_SE
	ds_load_b128 v[37:40], v65 offset:16
	ds_load_b128 v[33:36], v65 offset:32
	s_wait_dscnt 0x1
	v_add_nc_u32_e32 v105, v38, v37
	s_delay_alu instid0(VALU_DEP_1) | instskip(SKIP_1) | instid1(VALU_DEP_1)
	v_add3_u32 v105, v105, v39, v40
	s_wait_dscnt 0x0
	v_add3_u32 v105, v105, v33, v34
	s_delay_alu instid0(VALU_DEP_1) | instskip(NEXT) | instid1(VALU_DEP_1)
	v_add3_u32 v36, v105, v35, v36
	v_mov_b32_dpp v105, v36 row_shr:1 row_mask:0xf bank_mask:0xf
	s_delay_alu instid0(VALU_DEP_1) | instskip(NEXT) | instid1(VALU_DEP_1)
	v_cndmask_b32_e64 v105, v105, 0, s0
	v_add_nc_u32_e32 v36, v105, v36
	s_delay_alu instid0(VALU_DEP_1) | instskip(NEXT) | instid1(VALU_DEP_1)
	v_mov_b32_dpp v105, v36 row_shr:2 row_mask:0xf bank_mask:0xf
	v_cndmask_b32_e64 v105, 0, v105, s10
	s_delay_alu instid0(VALU_DEP_1) | instskip(NEXT) | instid1(VALU_DEP_1)
	v_add_nc_u32_e32 v36, v36, v105
	v_mov_b32_dpp v105, v36 row_shr:4 row_mask:0xf bank_mask:0xf
	s_delay_alu instid0(VALU_DEP_1) | instskip(NEXT) | instid1(VALU_DEP_1)
	v_cndmask_b32_e64 v105, 0, v105, s11
	v_add_nc_u32_e32 v36, v36, v105
	s_delay_alu instid0(VALU_DEP_1) | instskip(NEXT) | instid1(VALU_DEP_1)
	v_mov_b32_dpp v105, v36 row_shr:8 row_mask:0xf bank_mask:0xf
	v_cndmask_b32_e64 v105, 0, v105, s13
	s_delay_alu instid0(VALU_DEP_1) | instskip(SKIP_3) | instid1(VALU_DEP_1)
	v_add_nc_u32_e32 v36, v36, v105
	ds_swizzle_b32 v105, v36 offset:swizzle(BROADCAST,32,15)
	s_wait_dscnt 0x0
	v_cndmask_b32_e64 v105, v105, 0, s16
	v_add_nc_u32_e32 v36, v36, v105
	s_and_saveexec_b32 s0, s14
; %bb.84:
	ds_store_b32 v80, v36
; %bb.85:
	s_wait_alu 0xfffe
	s_or_b32 exec_lo, exec_lo, s0
	s_wait_loadcnt_dscnt 0x0
	s_barrier_signal -1
	s_barrier_wait -1
	global_inv scope:SCOPE_SE
	s_and_saveexec_b32 s0, s15
	s_cbranch_execz .LBB237_87
; %bb.86:
	ds_load_b32 v80, v81
	s_wait_dscnt 0x0
	v_mov_b32_dpp v105, v80 row_shr:1 row_mask:0xf bank_mask:0xf
	s_delay_alu instid0(VALU_DEP_1) | instskip(NEXT) | instid1(VALU_DEP_1)
	v_cndmask_b32_e64 v105, v105, 0, s12
	v_add_nc_u32_e32 v80, v105, v80
	s_delay_alu instid0(VALU_DEP_1) | instskip(NEXT) | instid1(VALU_DEP_1)
	v_mov_b32_dpp v105, v80 row_shr:2 row_mask:0xf bank_mask:0xf
	v_cndmask_b32_e64 v105, 0, v105, s1
	s_delay_alu instid0(VALU_DEP_1)
	v_add_nc_u32_e32 v80, v80, v105
	ds_store_b32 v81, v80
.LBB237_87:
	s_wait_alu 0xfffe
	s_or_b32 exec_lo, exec_lo, s0
	v_mov_b32_e32 v80, 0
	s_wait_loadcnt_dscnt 0x0
	s_barrier_signal -1
	s_barrier_wait -1
	global_inv scope:SCOPE_SE
	s_and_saveexec_b32 s0, s17
; %bb.88:
	ds_load_b32 v80, v82
; %bb.89:
	s_wait_alu 0xfffe
	s_or_b32 exec_lo, exec_lo, s0
	s_wait_dscnt 0x0
	v_add_nc_u32_e32 v36, v80, v36
	ds_bpermute_b32 v36, v83, v36
	s_wait_dscnt 0x0
	v_cndmask_b32_e32 v36, v36, v80, vcc_lo
	s_delay_alu instid0(VALU_DEP_1) | instskip(NEXT) | instid1(VALU_DEP_1)
	v_cndmask_b32_e64 v36, v36, 0, s18
	v_add_nc_u32_e32 v37, v36, v37
	s_delay_alu instid0(VALU_DEP_1) | instskip(NEXT) | instid1(VALU_DEP_1)
	v_add_nc_u32_e32 v38, v37, v38
	v_add_nc_u32_e32 v39, v38, v39
	s_delay_alu instid0(VALU_DEP_1) | instskip(NEXT) | instid1(VALU_DEP_1)
	v_add_nc_u32_e32 v80, v39, v40
	;; [unrolled: 3-line block ×3, first 2 shown]
	v_add_nc_u32_e32 v83, v82, v35
	ds_store_b128 v65, v[36:39] offset:16
	ds_store_b128 v65, v[80:83] offset:32
	s_wait_loadcnt_dscnt 0x0
	s_barrier_signal -1
	s_barrier_wait -1
	global_inv scope:SCOPE_SE
	ds_load_b32 v33, v104 offset:16
	ds_load_b32 v34, v102 offset:16
	;; [unrolled: 1-line block ×8, first 2 shown]
	v_lshlrev_b32_e32 v80, 1, v64
	s_wait_loadcnt_dscnt 0x0
	s_barrier_signal -1
	s_barrier_wait -1
	global_inv scope:SCOPE_SE
	v_mad_u32_u24 v81, v41, 48, v80
	v_add3_u32 v82, v103, v0, v33
	v_add3_u32 v83, v101, v100, v34
	;; [unrolled: 1-line block ×3, first 2 shown]
	v_add_nc_u32_e32 v79, v36, v79
	v_add3_u32 v85, v86, v85, v37
	v_add3_u32 v86, v89, v88, v38
	;; [unrolled: 1-line block ×4, first 2 shown]
	v_lshlrev_b32_e32 v0, 1, v79
	v_lshlrev_b32_e32 v33, 1, v85
	;; [unrolled: 1-line block ×8, first 2 shown]
	ds_store_b16 v0, v72
	ds_store_b16 v33, v73
	;; [unrolled: 1-line block ×8, first 2 shown]
	v_mad_co_u64_u32 v[71:72], null, v79, 6, v[0:1]
	v_mad_co_u64_u32 v[72:73], null, v85, 6, v[33:34]
	;; [unrolled: 1-line block ×4, first 2 shown]
	s_wait_loadcnt_dscnt 0x0
	s_barrier_signal -1
	s_barrier_wait -1
	global_inv scope:SCOPE_SE
	v_mad_co_u64_u32 v[75:76], null, v40, 6, v[36:37]
	ds_load_b128 v[33:36], v80
	v_mad_co_u64_u32 v[76:77], null, v84, 6, v[37:38]
	v_mad_co_u64_u32 v[37:38], null, v83, 6, v[38:39]
	;; [unrolled: 1-line block ×3, first 2 shown]
	s_wait_loadcnt_dscnt 0x0
	s_barrier_signal -1
	s_barrier_wait -1
	global_inv scope:SCOPE_SE
	ds_store_b64 v71, v[21:22]
	ds_store_b64 v72, v[23:24]
	;; [unrolled: 1-line block ×8, first 2 shown]
	s_wait_loadcnt_dscnt 0x0
	s_barrier_signal -1
	s_barrier_wait -1
	global_inv scope:SCOPE_SE
	ds_load_b128 v[29:32], v81
	ds_load_b128 v[25:28], v81 offset:16
	ds_load_b128 v[21:24], v81 offset:32
	;; [unrolled: 1-line block ×3, first 2 shown]
	v_cmp_lt_i16_e32 vcc_lo, -1, v33
	v_lshrrev_b32_e32 v0, 16, v33
	v_lshrrev_b32_e32 v38, 16, v34
	;; [unrolled: 1-line block ×4, first 2 shown]
	s_wait_alu 0xfffd
	v_cndmask_b32_e64 v37, 0xffff8000, -1, vcc_lo
	v_cmp_lt_i16_e32 vcc_lo, -1, v34
	s_wait_alu 0xfffd
	v_cndmask_b32_e64 v39, 0xffff8000, -1, vcc_lo
	v_cmp_lt_i16_e32 vcc_lo, -1, v35
	s_wait_alu 0xfffd
	v_cndmask_b32_e64 v71, 0xffff8000, -1, vcc_lo
	v_cmp_lt_i16_e32 vcc_lo, -1, v36
	s_wait_alu 0xfffd
	v_cndmask_b32_e64 v73, 0xffff8000, -1, vcc_lo
	v_cmp_lt_i16_e32 vcc_lo, -1, v0
	s_wait_alu 0xfffd
	v_cndmask_b32_e64 v0, 0xffff8000, -1, vcc_lo
	v_cmp_lt_i16_e32 vcc_lo, -1, v38
	s_delay_alu instid0(VALU_DEP_2) | instskip(SKIP_3) | instid1(VALU_DEP_3)
	v_perm_b32 v0, v0, v37, 0x5040100
	s_wait_alu 0xfffd
	v_cndmask_b32_e64 v38, 0xffff8000, -1, vcc_lo
	v_cmp_lt_i16_e32 vcc_lo, -1, v40
	v_xor_b32_e32 v0, v0, v33
	s_delay_alu instid0(VALU_DEP_3) | instskip(SKIP_3) | instid1(VALU_DEP_3)
	v_perm_b32 v37, v38, v39, 0x5040100
	s_wait_alu 0xfffd
	v_cndmask_b32_e64 v40, 0xffff8000, -1, vcc_lo
	v_cmp_lt_i16_e32 vcc_lo, -1, v72
	v_xor_b32_e32 v34, v37, v34
	s_delay_alu instid0(VALU_DEP_3) | instskip(SKIP_2) | instid1(VALU_DEP_2)
	v_perm_b32 v38, v40, v71, 0x5040100
	s_wait_alu 0xfffd
	v_cndmask_b32_e64 v72, 0xffff8000, -1, vcc_lo
	v_xor_b32_e32 v33, v38, v35
	s_delay_alu instid0(VALU_DEP_2) | instskip(NEXT) | instid1(VALU_DEP_1)
	v_perm_b32 v39, v72, v73, 0x5040100
	v_xor_b32_e32 v35, v39, v36
	s_branch .LBB237_142
.LBB237_90:
	v_mad_co_u64_u32 v[2:3], null, s28, v41, 0
	v_dual_mov_b32 v14, v1 :: v_dual_mov_b32 v15, v1
	v_mov_b32_e32 v16, v1
	v_dual_mov_b32 v6, v1 :: v_dual_mov_b32 v7, v1
	v_dual_mov_b32 v8, v1 :: v_dual_mov_b32 v9, v1
	v_mad_co_u64_u32 v[3:4], null, s29, v41, v[3:4]
	v_dual_mov_b32 v4, v1 :: v_dual_mov_b32 v5, v1
	v_dual_mov_b32 v10, v1 :: v_dual_mov_b32 v13, v1
	s_delay_alu instid0(VALU_DEP_3) | instskip(NEXT) | instid1(VALU_DEP_1)
	v_lshlrev_b64_e32 v[2:3], 3, v[2:3]
	v_add_co_u32 v2, vcc_lo, s34, v2
	s_wait_alu 0xfffd
	s_delay_alu instid0(VALU_DEP_2)
	v_add_co_ci_u32_e64 v3, null, s35, v3, vcc_lo
	global_load_b64 v[11:12], v[2:3], off
	v_dual_mov_b32 v2, v1 :: v_dual_mov_b32 v3, v1
	s_or_b32 exec_lo, exec_lo, s0
	s_and_saveexec_b32 s0, s3
	s_cbranch_execz .LBB237_36
.LBB237_91:
	v_mad_co_u64_u32 v[1:2], null, s28, v17, 0
	s_delay_alu instid0(VALU_DEP_1) | instskip(NEXT) | instid1(VALU_DEP_1)
	v_mad_co_u64_u32 v[24:25], null, s29, v17, v[2:3]
	v_mov_b32_e32 v2, v24
	s_delay_alu instid0(VALU_DEP_1) | instskip(NEXT) | instid1(VALU_DEP_1)
	v_lshlrev_b64_e32 v[1:2], 3, v[1:2]
	v_add_co_u32 v1, vcc_lo, s34, v1
	s_wait_alu 0xfffd
	s_delay_alu instid0(VALU_DEP_2)
	v_add_co_ci_u32_e64 v2, null, s35, v2, vcc_lo
	global_load_b64 v[1:2], v[1:2], off
	s_or_b32 exec_lo, exec_lo, s0
	s_and_saveexec_b32 s0, s4
	s_cbranch_execz .LBB237_37
.LBB237_92:
	v_mad_co_u64_u32 v[13:14], null, s28, v18, 0
	s_delay_alu instid0(VALU_DEP_1) | instskip(NEXT) | instid1(VALU_DEP_1)
	v_mad_co_u64_u32 v[24:25], null, s29, v18, v[14:15]
	v_mov_b32_e32 v14, v24
	s_delay_alu instid0(VALU_DEP_1) | instskip(NEXT) | instid1(VALU_DEP_1)
	v_lshlrev_b64_e32 v[13:14], 3, v[13:14]
	v_add_co_u32 v13, vcc_lo, s34, v13
	s_wait_alu 0xfffd
	s_delay_alu instid0(VALU_DEP_2)
	v_add_co_ci_u32_e64 v14, null, s35, v14, vcc_lo
	global_load_b64 v[13:14], v[13:14], off
	s_or_b32 exec_lo, exec_lo, s0
	s_and_saveexec_b32 s0, s5
	s_cbranch_execz .LBB237_38
.LBB237_93:
	v_mad_co_u64_u32 v[15:16], null, s28, v19, 0
	s_delay_alu instid0(VALU_DEP_1) | instskip(NEXT) | instid1(VALU_DEP_1)
	v_mad_co_u64_u32 v[24:25], null, s29, v19, v[16:17]
	v_mov_b32_e32 v16, v24
	s_delay_alu instid0(VALU_DEP_1) | instskip(NEXT) | instid1(VALU_DEP_1)
	v_lshlrev_b64_e32 v[15:16], 3, v[15:16]
	v_add_co_u32 v15, vcc_lo, s34, v15
	s_wait_alu 0xfffd
	s_delay_alu instid0(VALU_DEP_2)
	v_add_co_ci_u32_e64 v16, null, s35, v16, vcc_lo
	global_load_b64 v[15:16], v[15:16], off
	s_or_b32 exec_lo, exec_lo, s0
	s_and_saveexec_b32 s0, s6
	s_cbranch_execz .LBB237_39
.LBB237_94:
	v_mad_co_u64_u32 v[3:4], null, s28, v20, 0
	s_delay_alu instid0(VALU_DEP_1) | instskip(NEXT) | instid1(VALU_DEP_1)
	v_mad_co_u64_u32 v[24:25], null, s29, v20, v[4:5]
	v_mov_b32_e32 v4, v24
	s_delay_alu instid0(VALU_DEP_1) | instskip(NEXT) | instid1(VALU_DEP_1)
	v_lshlrev_b64_e32 v[3:4], 3, v[3:4]
	v_add_co_u32 v3, vcc_lo, s34, v3
	s_wait_alu 0xfffd
	s_delay_alu instid0(VALU_DEP_2)
	v_add_co_ci_u32_e64 v4, null, s35, v4, vcc_lo
	global_load_b64 v[3:4], v[3:4], off
	s_or_b32 exec_lo, exec_lo, s0
	s_and_saveexec_b32 s0, s7
	s_cbranch_execz .LBB237_40
.LBB237_95:
	v_mad_co_u64_u32 v[5:6], null, s28, v21, 0
	s_delay_alu instid0(VALU_DEP_1) | instskip(NEXT) | instid1(VALU_DEP_1)
	v_mad_co_u64_u32 v[24:25], null, s29, v21, v[6:7]
	v_mov_b32_e32 v6, v24
	s_delay_alu instid0(VALU_DEP_1) | instskip(NEXT) | instid1(VALU_DEP_1)
	v_lshlrev_b64_e32 v[5:6], 3, v[5:6]
	v_add_co_u32 v5, vcc_lo, s34, v5
	s_wait_alu 0xfffd
	s_delay_alu instid0(VALU_DEP_2)
	v_add_co_ci_u32_e64 v6, null, s35, v6, vcc_lo
	global_load_b64 v[5:6], v[5:6], off
	s_or_b32 exec_lo, exec_lo, s0
	s_and_saveexec_b32 s0, s8
	s_cbranch_execnz .LBB237_41
	s_branch .LBB237_42
.LBB237_96:
                                        ; implicit-def: $vgpr19_vgpr20
                                        ; implicit-def: $vgpr23_vgpr24
                                        ; implicit-def: $vgpr27_vgpr28
                                        ; implicit-def: $vgpr31_vgpr32
                                        ; implicit-def: $vgpr35
                                        ; implicit-def: $vgpr33
                                        ; implicit-def: $vgpr34
                                        ; implicit-def: $vgpr0
	s_cbranch_execz .LBB237_142
; %bb.97:
	v_lshrrev_b32_e32 v0, 16, v44
	v_cmp_gt_i16_e32 vcc_lo, 0, v44
	s_wait_dscnt 0x0
	v_lshrrev_b32_e32 v17, 16, v45
	v_lshrrev_b32_e32 v18, 16, v42
	v_lshrrev_b32_e32 v19, 16, v43
	v_or_b32_e32 v21, v67, v68
	s_wait_alu 0xfffd
	v_cndmask_b32_e64 v20, 0x7fff, 0, vcc_lo
	v_cmp_gt_i16_e32 vcc_lo, 0, v0
	v_and_or_b32 v36, 0x1f00, v64, v67
	s_mov_b32 s12, 0
	s_getpc_b64 s[0:1]
	s_sext_i32_i16 s1, s1
	s_add_co_u32 s0, s0, _ZN7rocprim17ROCPRIM_400000_NS16block_radix_sortI6__halfLj128ELj8ElLj1ELj1ELj0ELNS0_26block_radix_rank_algorithmE1ELNS0_18block_padding_hintE2ELNS0_4arch9wavefront6targetE0EE19radix_bits_per_passE@rel32@lo+8
	s_add_co_ci_u32 s1, s1, _ZN7rocprim17ROCPRIM_400000_NS16block_radix_sortI6__halfLj128ELj8ElLj1ELj1ELj0ELNS0_26block_radix_rank_algorithmE1ELNS0_18block_padding_hintE2ELNS0_4arch9wavefront6targetE0EE19radix_bits_per_passE@rel32@hi+16
	s_mov_b32 s13, s12
	s_wait_alu 0xfffd
	v_cndmask_b32_e64 v0, 0x7fff, 0, vcc_lo
	v_cmp_gt_i16_e32 vcc_lo, 0, v45
	s_mov_b32 s14, s12
	s_mov_b32 s15, s12
	v_lshlrev_b32_e32 v25, 1, v36
	v_perm_b32 v0, v0, v20, 0x5040100
	s_wait_alu 0xfffd
	v_cndmask_b32_e64 v22, 0x7fff, 0, vcc_lo
	v_cmp_gt_i16_e32 vcc_lo, 0, v17
	s_load_b32 s19, s[0:1], 0x0
	v_cndmask_b32_e64 v17, 0x7fff, 0, vcc_lo
	v_cmp_gt_i16_e32 vcc_lo, 0, v42
	s_delay_alu instid0(VALU_DEP_2)
	v_perm_b32 v20, v17, v22, 0x5040100
	s_wait_alu 0xfffd
	v_cndmask_b32_e64 v23, 0x7fff, 0, vcc_lo
	v_cmp_gt_i16_e32 vcc_lo, 0, v18
	v_xor_b32_e32 v17, v0, v44
	s_wait_alu 0xfffd
	v_cndmask_b32_e64 v18, 0x7fff, 0, vcc_lo
	v_cmp_gt_i16_e32 vcc_lo, 0, v43
	s_wait_kmcnt 0x0
	s_min_u32 s0, s19, 16
	s_delay_alu instid0(VALU_DEP_2)
	v_perm_b32 v22, v18, v23, 0x5040100
	s_wait_alu 0xfffd
	v_cndmask_b32_e64 v24, 0x7fff, 0, vcc_lo
	v_cmp_gt_i16_e32 vcc_lo, 0, v19
	v_lshlrev_b32_e32 v23, 4, v21
	v_xor_b32_e32 v18, v20, v45
	s_lshl_b32 s0, -1, s0
	s_wait_alu 0xfffd
	v_cndmask_b32_e64 v19, 0x7fff, 0, vcc_lo
	s_not_b32 s1, s0
	s_delay_alu instid0(VALU_DEP_1) | instskip(SKIP_1) | instid1(VALU_DEP_2)
	v_perm_b32 v24, v19, v24, 0x5040100
	v_xor_b32_e32 v19, v22, v42
	v_xor_b32_e32 v20, v24, v43
	ds_store_b128 v23, v[17:20]
	; wave barrier
	ds_load_u16 v26, v25
	ds_load_u16 v27, v25 offset:64
	ds_load_u16 v28, v25 offset:128
	;; [unrolled: 1-line block ×7, first 2 shown]
	s_wait_loadcnt_dscnt 0x0
	s_barrier_signal -1
	s_barrier_wait -1
	global_inv scope:SCOPE_SE
	v_cmp_ne_u16_e32 vcc_lo, 0x8000, v26
	s_wait_alu 0xfffd
	v_cndmask_b32_e32 v0, 0x7fff, v26, vcc_lo
	v_mad_u32_u24 v17, v21, 48, v23
	ds_store_b128 v17, v[13:16]
	ds_store_b128 v17, v[9:12] offset:16
	v_and_b32_e32 v0, 0xffff, v0
	ds_store_b128 v17, v[5:8] offset:32
	ds_store_b128 v17, v[1:4] offset:48
	v_mad_u32_u24 v12, v36, 6, v25
	; wave barrier
	v_and_b32_e32 v23, s1, v0
	ds_load_2addr_b64 v[8:11], v12 offset1:32
	ds_load_2addr_b64 v[0:3], v12 offset0:64 offset1:96
	v_and_b32_e32 v4, 1, v23
	v_lshlrev_b32_e32 v18, 30, v23
	v_lshlrev_b32_e32 v19, 29, v23
	;; [unrolled: 1-line block ×3, first 2 shown]
	s_delay_alu instid0(VALU_DEP_4)
	v_add_co_u32 v16, s0, v4, -1
	s_wait_alu 0xf1ff
	v_cndmask_b32_e64 v17, 0, 1, s0
	ds_load_2addr_b64 v[4:7], v12 offset0:128 offset1:160
	ds_load_2addr_b64 v[12:15], v12 offset0:192 offset1:224
	s_wait_loadcnt_dscnt 0x0
	s_barrier_signal -1
	v_cmp_ne_u32_e32 vcc_lo, 0, v17
	v_not_b32_e32 v17, v18
	s_barrier_wait -1
	global_inv scope:SCOPE_SE
	s_load_b32 s0, s[36:37], 0xc
	v_xor_b32_e32 v16, vcc_lo, v16
	v_cmp_gt_i32_e32 vcc_lo, 0, v18
	v_ashrrev_i32_e32 v17, 31, v17
	v_not_b32_e32 v18, v19
	s_delay_alu instid0(VALU_DEP_4) | instskip(SKIP_1) | instid1(VALU_DEP_3)
	v_and_b32_e32 v16, exec_lo, v16
	s_wait_alu 0xfffd
	v_xor_b32_e32 v17, vcc_lo, v17
	v_cmp_gt_i32_e32 vcc_lo, 0, v19
	v_ashrrev_i32_e32 v18, 31, v18
	v_not_b32_e32 v19, v20
	s_delay_alu instid0(VALU_DEP_4)
	v_and_b32_e32 v16, v16, v17
	v_lshlrev_b32_e32 v17, 27, v23
	s_wait_alu 0xfffd
	v_xor_b32_e32 v18, vcc_lo, v18
	v_cmp_gt_i32_e32 vcc_lo, 0, v20
	v_ashrrev_i32_e32 v19, 31, v19
	v_not_b32_e32 v20, v17
	s_delay_alu instid0(VALU_DEP_4)
	v_and_b32_e32 v16, v16, v18
	v_lshlrev_b32_e32 v18, 26, v23
	s_wait_alu 0xfffd
	v_xor_b32_e32 v19, vcc_lo, v19
	v_cmp_gt_i32_e32 vcc_lo, 0, v17
	v_ashrrev_i32_e32 v17, 31, v20
	s_wait_kmcnt 0x0
	s_lshr_b32 s10, s0, 16
	v_not_b32_e32 v20, v18
	v_and_b32_e32 v16, v16, v19
	v_lshlrev_b32_e32 v19, 25, v23
	s_wait_alu 0xfffd
	v_xor_b32_e32 v17, vcc_lo, v17
	v_cmp_gt_i32_e32 vcc_lo, 0, v18
	v_ashrrev_i32_e32 v18, 31, v20
	s_wait_alu 0xfffe
	v_mad_u32_u24 v21, v70, s10, v69
	v_not_b32_e32 v20, v19
	v_and_b32_e32 v16, v16, v17
	v_lshlrev_b32_e32 v17, 24, v23
	s_wait_alu 0xfffd
	v_xor_b32_e32 v18, vcc_lo, v18
	v_cmp_gt_i32_e32 vcc_lo, 0, v19
	v_ashrrev_i32_e32 v19, 31, v20
	s_and_b32 s0, s0, 0xffff
	v_not_b32_e32 v20, v17
	v_and_b32_e32 v16, v16, v18
	s_wait_alu 0xfffe
	v_mad_co_u64_u32 v[21:22], null, v21, s0, v[41:42]
	s_wait_alu 0xfffd
	v_xor_b32_e32 v18, vcc_lo, v19
	v_cmp_gt_i32_e32 vcc_lo, 0, v17
	v_ashrrev_i32_e32 v17, 31, v20
	s_delay_alu instid0(VALU_DEP_3) | instskip(SKIP_2) | instid1(VALU_DEP_3)
	v_and_b32_e32 v16, v16, v18
	v_lshrrev_b32_e32 v21, 5, v21
	s_wait_alu 0xfffd
	v_xor_b32_e32 v22, vcc_lo, v17
	v_dual_mov_b32 v20, s15 :: v_dual_mov_b32 v19, s14
	v_dual_mov_b32 v18, s13 :: v_dual_mov_b32 v17, s12
	s_delay_alu instid0(VALU_DEP_3)
	v_and_b32_e32 v16, v16, v22
	ds_store_b128 v65, v[17:20] offset:16
	ds_store_b128 v65, v[17:20] offset:32
	v_mbcnt_lo_u32_b32 v38, v16, 0
	v_lshlrev_b32_e32 v24, 2, v21
	v_lshlrev_b32_e32 v17, 4, v23
	v_cmp_ne_u32_e64 s0, 0, v16
	s_wait_loadcnt_dscnt 0x0
	v_cmp_eq_u32_e32 vcc_lo, 0, v38
	s_barrier_signal -1
	v_add_nc_u32_e32 v39, v24, v17
	s_barrier_wait -1
	global_inv scope:SCOPE_SE
	s_and_b32 s10, s0, vcc_lo
	; wave barrier
	s_wait_alu 0xfffe
	s_and_saveexec_b32 s0, s10
; %bb.98:
	v_bcnt_u32_b32 v16, v16, 0
	ds_store_b32 v39, v16 offset:16
; %bb.99:
	s_wait_alu 0xfffe
	s_or_b32 exec_lo, exec_lo, s0
	v_cmp_ne_u16_e32 vcc_lo, 0x8000, v27
	; wave barrier
	s_wait_alu 0xfffd
	v_cndmask_b32_e32 v16, 0x7fff, v27, vcc_lo
	s_delay_alu instid0(VALU_DEP_1) | instskip(NEXT) | instid1(VALU_DEP_1)
	v_and_b32_e32 v16, 0xffff, v16
	v_and_b32_e32 v16, s1, v16
	s_delay_alu instid0(VALU_DEP_1)
	v_and_b32_e32 v17, 1, v16
	v_lshlrev_b32_e32 v18, 30, v16
	v_lshlrev_b32_e32 v19, 29, v16
	;; [unrolled: 1-line block ×4, first 2 shown]
	v_add_co_u32 v17, s0, v17, -1
	s_wait_alu 0xf1ff
	v_cndmask_b32_e64 v21, 0, 1, s0
	v_not_b32_e32 v35, v18
	v_cmp_gt_i32_e64 s0, 0, v18
	v_not_b32_e32 v18, v19
	v_lshlrev_b32_e32 v23, 26, v16
	v_cmp_ne_u32_e32 vcc_lo, 0, v21
	v_ashrrev_i32_e32 v35, 31, v35
	v_lshlrev_b32_e32 v34, 25, v16
	v_ashrrev_i32_e32 v18, 31, v18
	v_lshlrev_b32_e32 v21, 24, v16
	s_wait_alu 0xfffd
	v_xor_b32_e32 v17, vcc_lo, v17
	v_cmp_gt_i32_e32 vcc_lo, 0, v19
	v_not_b32_e32 v19, v20
	s_wait_alu 0xf1ff
	v_xor_b32_e32 v35, s0, v35
	v_cmp_gt_i32_e64 s0, 0, v20
	v_and_b32_e32 v17, exec_lo, v17
	v_not_b32_e32 v20, v22
	v_ashrrev_i32_e32 v19, 31, v19
	s_wait_alu 0xfffd
	v_xor_b32_e32 v18, vcc_lo, v18
	v_cmp_gt_i32_e32 vcc_lo, 0, v22
	v_and_b32_e32 v17, v17, v35
	v_not_b32_e32 v22, v23
	v_ashrrev_i32_e32 v20, 31, v20
	s_wait_alu 0xf1ff
	v_xor_b32_e32 v19, s0, v19
	v_cmp_gt_i32_e64 s0, 0, v23
	v_and_b32_e32 v17, v17, v18
	v_not_b32_e32 v18, v34
	v_ashrrev_i32_e32 v22, 31, v22
	s_wait_alu 0xfffd
	v_xor_b32_e32 v20, vcc_lo, v20
	v_cmp_gt_i32_e32 vcc_lo, 0, v34
	v_and_b32_e32 v17, v17, v19
	v_not_b32_e32 v19, v21
	v_ashrrev_i32_e32 v18, 31, v18
	s_wait_alu 0xf1ff
	v_xor_b32_e32 v22, s0, v22
	v_lshlrev_b32_e32 v16, 4, v16
	v_and_b32_e32 v17, v17, v20
	v_cmp_gt_i32_e64 s0, 0, v21
	v_ashrrev_i32_e32 v19, 31, v19
	s_wait_alu 0xfffd
	v_xor_b32_e32 v18, vcc_lo, v18
	v_add_nc_u32_e32 v43, v24, v16
	v_and_b32_e32 v17, v17, v22
	s_wait_alu 0xf1ff
	v_xor_b32_e32 v16, s0, v19
	ds_load_b32 v40, v43 offset:16
	v_and_b32_e32 v17, v17, v18
	; wave barrier
	s_delay_alu instid0(VALU_DEP_1) | instskip(NEXT) | instid1(VALU_DEP_1)
	v_and_b32_e32 v16, v17, v16
	v_mbcnt_lo_u32_b32 v42, v16, 0
	v_cmp_ne_u32_e64 s0, 0, v16
	s_delay_alu instid0(VALU_DEP_2)
	v_cmp_eq_u32_e32 vcc_lo, 0, v42
	s_and_b32 s10, s0, vcc_lo
	s_wait_alu 0xfffe
	s_and_saveexec_b32 s0, s10
	s_cbranch_execz .LBB237_101
; %bb.100:
	s_wait_dscnt 0x0
	v_bcnt_u32_b32 v16, v16, v40
	ds_store_b32 v43, v16 offset:16
.LBB237_101:
	s_wait_alu 0xfffe
	s_or_b32 exec_lo, exec_lo, s0
	v_cmp_ne_u16_e32 vcc_lo, 0x8000, v28
	; wave barrier
	s_wait_alu 0xfffd
	v_cndmask_b32_e32 v16, 0x7fff, v28, vcc_lo
	s_delay_alu instid0(VALU_DEP_1) | instskip(NEXT) | instid1(VALU_DEP_1)
	v_and_b32_e32 v16, 0xffff, v16
	v_and_b32_e32 v16, s1, v16
	s_delay_alu instid0(VALU_DEP_1)
	v_and_b32_e32 v17, 1, v16
	v_lshlrev_b32_e32 v18, 30, v16
	v_lshlrev_b32_e32 v19, 29, v16
	;; [unrolled: 1-line block ×4, first 2 shown]
	v_add_co_u32 v17, s0, v17, -1
	s_wait_alu 0xf1ff
	v_cndmask_b32_e64 v21, 0, 1, s0
	v_not_b32_e32 v35, v18
	v_cmp_gt_i32_e64 s0, 0, v18
	v_not_b32_e32 v18, v19
	v_lshlrev_b32_e32 v23, 26, v16
	v_cmp_ne_u32_e32 vcc_lo, 0, v21
	v_ashrrev_i32_e32 v35, 31, v35
	v_lshlrev_b32_e32 v34, 25, v16
	v_ashrrev_i32_e32 v18, 31, v18
	v_lshlrev_b32_e32 v21, 24, v16
	s_wait_alu 0xfffd
	v_xor_b32_e32 v17, vcc_lo, v17
	v_cmp_gt_i32_e32 vcc_lo, 0, v19
	v_not_b32_e32 v19, v20
	s_wait_alu 0xf1ff
	v_xor_b32_e32 v35, s0, v35
	v_cmp_gt_i32_e64 s0, 0, v20
	v_and_b32_e32 v17, exec_lo, v17
	v_not_b32_e32 v20, v22
	v_ashrrev_i32_e32 v19, 31, v19
	s_wait_alu 0xfffd
	v_xor_b32_e32 v18, vcc_lo, v18
	v_cmp_gt_i32_e32 vcc_lo, 0, v22
	v_and_b32_e32 v17, v17, v35
	v_not_b32_e32 v22, v23
	v_ashrrev_i32_e32 v20, 31, v20
	s_wait_alu 0xf1ff
	v_xor_b32_e32 v19, s0, v19
	v_cmp_gt_i32_e64 s0, 0, v23
	v_and_b32_e32 v17, v17, v18
	v_not_b32_e32 v18, v34
	v_ashrrev_i32_e32 v22, 31, v22
	s_wait_alu 0xfffd
	v_xor_b32_e32 v20, vcc_lo, v20
	v_cmp_gt_i32_e32 vcc_lo, 0, v34
	v_and_b32_e32 v17, v17, v19
	v_not_b32_e32 v19, v21
	v_ashrrev_i32_e32 v18, 31, v18
	s_wait_alu 0xf1ff
	v_xor_b32_e32 v22, s0, v22
	v_lshlrev_b32_e32 v16, 4, v16
	v_and_b32_e32 v17, v17, v20
	v_cmp_gt_i32_e64 s0, 0, v21
	v_ashrrev_i32_e32 v19, 31, v19
	s_wait_alu 0xfffd
	v_xor_b32_e32 v18, vcc_lo, v18
	v_add_nc_u32_e32 v69, v24, v16
	v_and_b32_e32 v17, v17, v22
	s_wait_alu 0xf1ff
	v_xor_b32_e32 v16, s0, v19
	ds_load_b32 v44, v69 offset:16
	v_and_b32_e32 v17, v17, v18
	; wave barrier
	s_delay_alu instid0(VALU_DEP_1) | instskip(NEXT) | instid1(VALU_DEP_1)
	v_and_b32_e32 v16, v17, v16
	v_mbcnt_lo_u32_b32 v45, v16, 0
	v_cmp_ne_u32_e64 s0, 0, v16
	s_delay_alu instid0(VALU_DEP_2)
	v_cmp_eq_u32_e32 vcc_lo, 0, v45
	s_and_b32 s10, s0, vcc_lo
	s_wait_alu 0xfffe
	s_and_saveexec_b32 s0, s10
	s_cbranch_execz .LBB237_103
; %bb.102:
	s_wait_dscnt 0x0
	v_bcnt_u32_b32 v16, v16, v44
	ds_store_b32 v69, v16 offset:16
.LBB237_103:
	s_wait_alu 0xfffe
	s_or_b32 exec_lo, exec_lo, s0
	v_cmp_ne_u16_e32 vcc_lo, 0x8000, v29
	; wave barrier
	s_wait_alu 0xfffd
	v_cndmask_b32_e32 v16, 0x7fff, v29, vcc_lo
	s_delay_alu instid0(VALU_DEP_1) | instskip(NEXT) | instid1(VALU_DEP_1)
	v_and_b32_e32 v16, 0xffff, v16
	v_and_b32_e32 v16, s1, v16
	s_delay_alu instid0(VALU_DEP_1)
	v_and_b32_e32 v17, 1, v16
	v_lshlrev_b32_e32 v18, 30, v16
	v_lshlrev_b32_e32 v19, 29, v16
	;; [unrolled: 1-line block ×4, first 2 shown]
	v_add_co_u32 v17, s0, v17, -1
	s_wait_alu 0xf1ff
	v_cndmask_b32_e64 v21, 0, 1, s0
	v_not_b32_e32 v35, v18
	v_cmp_gt_i32_e64 s0, 0, v18
	v_not_b32_e32 v18, v19
	v_lshlrev_b32_e32 v23, 26, v16
	v_cmp_ne_u32_e32 vcc_lo, 0, v21
	v_ashrrev_i32_e32 v35, 31, v35
	v_lshlrev_b32_e32 v34, 25, v16
	v_ashrrev_i32_e32 v18, 31, v18
	v_lshlrev_b32_e32 v21, 24, v16
	s_wait_alu 0xfffd
	v_xor_b32_e32 v17, vcc_lo, v17
	v_cmp_gt_i32_e32 vcc_lo, 0, v19
	v_not_b32_e32 v19, v20
	s_wait_alu 0xf1ff
	v_xor_b32_e32 v35, s0, v35
	v_cmp_gt_i32_e64 s0, 0, v20
	v_and_b32_e32 v17, exec_lo, v17
	v_not_b32_e32 v20, v22
	v_ashrrev_i32_e32 v19, 31, v19
	s_wait_alu 0xfffd
	v_xor_b32_e32 v18, vcc_lo, v18
	v_cmp_gt_i32_e32 vcc_lo, 0, v22
	v_and_b32_e32 v17, v17, v35
	v_not_b32_e32 v22, v23
	v_ashrrev_i32_e32 v20, 31, v20
	s_wait_alu 0xf1ff
	v_xor_b32_e32 v19, s0, v19
	v_cmp_gt_i32_e64 s0, 0, v23
	v_and_b32_e32 v17, v17, v18
	v_not_b32_e32 v18, v34
	v_ashrrev_i32_e32 v22, 31, v22
	s_wait_alu 0xfffd
	v_xor_b32_e32 v20, vcc_lo, v20
	v_cmp_gt_i32_e32 vcc_lo, 0, v34
	v_and_b32_e32 v17, v17, v19
	v_not_b32_e32 v19, v21
	v_ashrrev_i32_e32 v18, 31, v18
	s_wait_alu 0xf1ff
	v_xor_b32_e32 v22, s0, v22
	v_lshlrev_b32_e32 v16, 4, v16
	v_and_b32_e32 v17, v17, v20
	v_cmp_gt_i32_e64 s0, 0, v21
	v_ashrrev_i32_e32 v19, 31, v19
	s_wait_alu 0xfffd
	v_xor_b32_e32 v18, vcc_lo, v18
	v_add_nc_u32_e32 v72, v24, v16
	v_and_b32_e32 v17, v17, v22
	s_wait_alu 0xf1ff
	v_xor_b32_e32 v16, s0, v19
	ds_load_b32 v70, v72 offset:16
	v_and_b32_e32 v17, v17, v18
	; wave barrier
	s_delay_alu instid0(VALU_DEP_1) | instskip(NEXT) | instid1(VALU_DEP_1)
	v_and_b32_e32 v16, v17, v16
	v_mbcnt_lo_u32_b32 v71, v16, 0
	v_cmp_ne_u32_e64 s0, 0, v16
	s_delay_alu instid0(VALU_DEP_2)
	v_cmp_eq_u32_e32 vcc_lo, 0, v71
	s_and_b32 s10, s0, vcc_lo
	s_wait_alu 0xfffe
	s_and_saveexec_b32 s0, s10
	s_cbranch_execz .LBB237_105
; %bb.104:
	s_wait_dscnt 0x0
	v_bcnt_u32_b32 v16, v16, v70
	ds_store_b32 v72, v16 offset:16
.LBB237_105:
	s_wait_alu 0xfffe
	s_or_b32 exec_lo, exec_lo, s0
	v_cmp_ne_u16_e32 vcc_lo, 0x8000, v30
	; wave barrier
	s_wait_alu 0xfffd
	v_cndmask_b32_e32 v16, 0x7fff, v30, vcc_lo
	s_delay_alu instid0(VALU_DEP_1) | instskip(NEXT) | instid1(VALU_DEP_1)
	v_and_b32_e32 v16, 0xffff, v16
	v_and_b32_e32 v16, s1, v16
	s_delay_alu instid0(VALU_DEP_1)
	v_and_b32_e32 v17, 1, v16
	v_lshlrev_b32_e32 v18, 30, v16
	v_lshlrev_b32_e32 v19, 29, v16
	;; [unrolled: 1-line block ×4, first 2 shown]
	v_add_co_u32 v17, s0, v17, -1
	s_wait_alu 0xf1ff
	v_cndmask_b32_e64 v21, 0, 1, s0
	v_not_b32_e32 v35, v18
	v_cmp_gt_i32_e64 s0, 0, v18
	v_not_b32_e32 v18, v19
	v_lshlrev_b32_e32 v23, 26, v16
	v_cmp_ne_u32_e32 vcc_lo, 0, v21
	v_ashrrev_i32_e32 v35, 31, v35
	v_lshlrev_b32_e32 v34, 25, v16
	v_ashrrev_i32_e32 v18, 31, v18
	v_lshlrev_b32_e32 v21, 24, v16
	s_wait_alu 0xfffd
	v_xor_b32_e32 v17, vcc_lo, v17
	v_cmp_gt_i32_e32 vcc_lo, 0, v19
	v_not_b32_e32 v19, v20
	s_wait_alu 0xf1ff
	v_xor_b32_e32 v35, s0, v35
	v_cmp_gt_i32_e64 s0, 0, v20
	v_and_b32_e32 v17, exec_lo, v17
	v_not_b32_e32 v20, v22
	v_ashrrev_i32_e32 v19, 31, v19
	s_wait_alu 0xfffd
	v_xor_b32_e32 v18, vcc_lo, v18
	v_cmp_gt_i32_e32 vcc_lo, 0, v22
	v_and_b32_e32 v17, v17, v35
	v_not_b32_e32 v22, v23
	v_ashrrev_i32_e32 v20, 31, v20
	s_wait_alu 0xf1ff
	v_xor_b32_e32 v19, s0, v19
	v_cmp_gt_i32_e64 s0, 0, v23
	v_and_b32_e32 v17, v17, v18
	v_not_b32_e32 v18, v34
	v_ashrrev_i32_e32 v22, 31, v22
	s_wait_alu 0xfffd
	v_xor_b32_e32 v20, vcc_lo, v20
	v_cmp_gt_i32_e32 vcc_lo, 0, v34
	v_and_b32_e32 v17, v17, v19
	v_not_b32_e32 v19, v21
	v_ashrrev_i32_e32 v18, 31, v18
	s_wait_alu 0xf1ff
	v_xor_b32_e32 v22, s0, v22
	v_lshlrev_b32_e32 v16, 4, v16
	v_and_b32_e32 v17, v17, v20
	v_cmp_gt_i32_e64 s0, 0, v21
	v_ashrrev_i32_e32 v19, 31, v19
	s_wait_alu 0xfffd
	v_xor_b32_e32 v18, vcc_lo, v18
	v_add_nc_u32_e32 v75, v24, v16
	v_and_b32_e32 v17, v17, v22
	s_wait_alu 0xf1ff
	v_xor_b32_e32 v16, s0, v19
	ds_load_b32 v73, v75 offset:16
	v_and_b32_e32 v17, v17, v18
	; wave barrier
	s_delay_alu instid0(VALU_DEP_1) | instskip(NEXT) | instid1(VALU_DEP_1)
	v_and_b32_e32 v16, v17, v16
	v_mbcnt_lo_u32_b32 v74, v16, 0
	v_cmp_ne_u32_e64 s0, 0, v16
	s_delay_alu instid0(VALU_DEP_2)
	v_cmp_eq_u32_e32 vcc_lo, 0, v74
	s_and_b32 s10, s0, vcc_lo
	s_wait_alu 0xfffe
	s_and_saveexec_b32 s0, s10
	s_cbranch_execz .LBB237_107
; %bb.106:
	s_wait_dscnt 0x0
	v_bcnt_u32_b32 v16, v16, v73
	ds_store_b32 v75, v16 offset:16
.LBB237_107:
	s_wait_alu 0xfffe
	s_or_b32 exec_lo, exec_lo, s0
	v_cmp_ne_u16_e32 vcc_lo, 0x8000, v31
	; wave barrier
	s_wait_alu 0xfffd
	v_cndmask_b32_e32 v16, 0x7fff, v31, vcc_lo
	s_delay_alu instid0(VALU_DEP_1) | instskip(NEXT) | instid1(VALU_DEP_1)
	v_and_b32_e32 v16, 0xffff, v16
	v_and_b32_e32 v16, s1, v16
	s_delay_alu instid0(VALU_DEP_1)
	v_and_b32_e32 v17, 1, v16
	v_lshlrev_b32_e32 v18, 30, v16
	v_lshlrev_b32_e32 v19, 29, v16
	;; [unrolled: 1-line block ×4, first 2 shown]
	v_add_co_u32 v17, s0, v17, -1
	s_wait_alu 0xf1ff
	v_cndmask_b32_e64 v21, 0, 1, s0
	v_not_b32_e32 v35, v18
	v_cmp_gt_i32_e64 s0, 0, v18
	v_not_b32_e32 v18, v19
	v_lshlrev_b32_e32 v23, 26, v16
	v_cmp_ne_u32_e32 vcc_lo, 0, v21
	v_ashrrev_i32_e32 v35, 31, v35
	v_lshlrev_b32_e32 v34, 25, v16
	v_ashrrev_i32_e32 v18, 31, v18
	v_lshlrev_b32_e32 v21, 24, v16
	s_wait_alu 0xfffd
	v_xor_b32_e32 v17, vcc_lo, v17
	v_cmp_gt_i32_e32 vcc_lo, 0, v19
	v_not_b32_e32 v19, v20
	s_wait_alu 0xf1ff
	v_xor_b32_e32 v35, s0, v35
	v_cmp_gt_i32_e64 s0, 0, v20
	v_and_b32_e32 v17, exec_lo, v17
	v_not_b32_e32 v20, v22
	v_ashrrev_i32_e32 v19, 31, v19
	s_wait_alu 0xfffd
	v_xor_b32_e32 v18, vcc_lo, v18
	v_cmp_gt_i32_e32 vcc_lo, 0, v22
	v_and_b32_e32 v17, v17, v35
	v_not_b32_e32 v22, v23
	v_ashrrev_i32_e32 v20, 31, v20
	s_wait_alu 0xf1ff
	v_xor_b32_e32 v19, s0, v19
	v_cmp_gt_i32_e64 s0, 0, v23
	v_and_b32_e32 v17, v17, v18
	v_not_b32_e32 v18, v34
	v_ashrrev_i32_e32 v22, 31, v22
	s_wait_alu 0xfffd
	v_xor_b32_e32 v20, vcc_lo, v20
	v_cmp_gt_i32_e32 vcc_lo, 0, v34
	v_and_b32_e32 v17, v17, v19
	v_not_b32_e32 v19, v21
	v_ashrrev_i32_e32 v18, 31, v18
	s_wait_alu 0xf1ff
	v_xor_b32_e32 v22, s0, v22
	v_lshlrev_b32_e32 v16, 4, v16
	v_and_b32_e32 v17, v17, v20
	v_cmp_gt_i32_e64 s0, 0, v21
	v_ashrrev_i32_e32 v19, 31, v19
	s_wait_alu 0xfffd
	v_xor_b32_e32 v18, vcc_lo, v18
	v_add_nc_u32_e32 v78, v24, v16
	v_and_b32_e32 v17, v17, v22
	s_wait_alu 0xf1ff
	v_xor_b32_e32 v16, s0, v19
	ds_load_b32 v76, v78 offset:16
	v_and_b32_e32 v17, v17, v18
	; wave barrier
	s_delay_alu instid0(VALU_DEP_1) | instskip(NEXT) | instid1(VALU_DEP_1)
	v_and_b32_e32 v16, v17, v16
	v_mbcnt_lo_u32_b32 v77, v16, 0
	v_cmp_ne_u32_e64 s0, 0, v16
	s_delay_alu instid0(VALU_DEP_2)
	v_cmp_eq_u32_e32 vcc_lo, 0, v77
	s_and_b32 s10, s0, vcc_lo
	s_wait_alu 0xfffe
	s_and_saveexec_b32 s0, s10
	s_cbranch_execz .LBB237_109
; %bb.108:
	s_wait_dscnt 0x0
	v_bcnt_u32_b32 v16, v16, v76
	ds_store_b32 v78, v16 offset:16
.LBB237_109:
	s_wait_alu 0xfffe
	s_or_b32 exec_lo, exec_lo, s0
	v_cmp_ne_u16_e32 vcc_lo, 0x8000, v32
	; wave barrier
	s_wait_alu 0xfffd
	v_cndmask_b32_e32 v16, 0x7fff, v32, vcc_lo
	s_delay_alu instid0(VALU_DEP_1) | instskip(NEXT) | instid1(VALU_DEP_1)
	v_and_b32_e32 v16, 0xffff, v16
	v_and_b32_e32 v16, s1, v16
	s_delay_alu instid0(VALU_DEP_1)
	v_and_b32_e32 v17, 1, v16
	v_lshlrev_b32_e32 v18, 30, v16
	v_lshlrev_b32_e32 v19, 29, v16
	;; [unrolled: 1-line block ×4, first 2 shown]
	v_add_co_u32 v17, s0, v17, -1
	s_wait_alu 0xf1ff
	v_cndmask_b32_e64 v21, 0, 1, s0
	v_not_b32_e32 v35, v18
	v_cmp_gt_i32_e64 s0, 0, v18
	v_not_b32_e32 v18, v19
	v_lshlrev_b32_e32 v23, 26, v16
	v_cmp_ne_u32_e32 vcc_lo, 0, v21
	v_ashrrev_i32_e32 v35, 31, v35
	v_lshlrev_b32_e32 v34, 25, v16
	v_ashrrev_i32_e32 v18, 31, v18
	v_lshlrev_b32_e32 v21, 24, v16
	s_wait_alu 0xfffd
	v_xor_b32_e32 v17, vcc_lo, v17
	v_cmp_gt_i32_e32 vcc_lo, 0, v19
	v_not_b32_e32 v19, v20
	s_wait_alu 0xf1ff
	v_xor_b32_e32 v35, s0, v35
	v_cmp_gt_i32_e64 s0, 0, v20
	v_and_b32_e32 v17, exec_lo, v17
	v_not_b32_e32 v20, v22
	v_ashrrev_i32_e32 v19, 31, v19
	s_wait_alu 0xfffd
	v_xor_b32_e32 v18, vcc_lo, v18
	v_cmp_gt_i32_e32 vcc_lo, 0, v22
	v_and_b32_e32 v17, v17, v35
	v_not_b32_e32 v22, v23
	v_ashrrev_i32_e32 v20, 31, v20
	s_wait_alu 0xf1ff
	v_xor_b32_e32 v19, s0, v19
	v_cmp_gt_i32_e64 s0, 0, v23
	v_and_b32_e32 v17, v17, v18
	v_not_b32_e32 v18, v34
	v_ashrrev_i32_e32 v22, 31, v22
	s_wait_alu 0xfffd
	v_xor_b32_e32 v20, vcc_lo, v20
	v_cmp_gt_i32_e32 vcc_lo, 0, v34
	v_and_b32_e32 v17, v17, v19
	v_not_b32_e32 v19, v21
	v_ashrrev_i32_e32 v18, 31, v18
	s_wait_alu 0xf1ff
	v_xor_b32_e32 v22, s0, v22
	v_lshlrev_b32_e32 v16, 4, v16
	v_and_b32_e32 v17, v17, v20
	v_cmp_gt_i32_e64 s0, 0, v21
	v_ashrrev_i32_e32 v19, 31, v19
	s_wait_alu 0xfffd
	v_xor_b32_e32 v18, vcc_lo, v18
	v_add_nc_u32_e32 v81, v24, v16
	v_and_b32_e32 v17, v17, v22
	s_wait_alu 0xf1ff
	v_xor_b32_e32 v16, s0, v19
	ds_load_b32 v79, v81 offset:16
	v_and_b32_e32 v17, v17, v18
	; wave barrier
	s_delay_alu instid0(VALU_DEP_1) | instskip(NEXT) | instid1(VALU_DEP_1)
	v_and_b32_e32 v16, v17, v16
	v_mbcnt_lo_u32_b32 v80, v16, 0
	v_cmp_ne_u32_e64 s0, 0, v16
	s_delay_alu instid0(VALU_DEP_2)
	v_cmp_eq_u32_e32 vcc_lo, 0, v80
	s_and_b32 s10, s0, vcc_lo
	s_wait_alu 0xfffe
	s_and_saveexec_b32 s0, s10
	s_cbranch_execz .LBB237_111
; %bb.110:
	s_wait_dscnt 0x0
	v_bcnt_u32_b32 v16, v16, v79
	ds_store_b32 v81, v16 offset:16
.LBB237_111:
	s_wait_alu 0xfffe
	s_or_b32 exec_lo, exec_lo, s0
	v_cmp_ne_u16_e32 vcc_lo, 0x8000, v33
	; wave barrier
	s_wait_alu 0xfffd
	v_cndmask_b32_e32 v16, 0x7fff, v33, vcc_lo
	s_delay_alu instid0(VALU_DEP_1) | instskip(NEXT) | instid1(VALU_DEP_1)
	v_and_b32_e32 v16, 0xffff, v16
	v_and_b32_e32 v16, s1, v16
	s_delay_alu instid0(VALU_DEP_1)
	v_and_b32_e32 v17, 1, v16
	v_lshlrev_b32_e32 v18, 30, v16
	v_lshlrev_b32_e32 v19, 29, v16
	;; [unrolled: 1-line block ×4, first 2 shown]
	v_add_co_u32 v17, s0, v17, -1
	s_wait_alu 0xf1ff
	v_cndmask_b32_e64 v21, 0, 1, s0
	v_not_b32_e32 v35, v18
	v_cmp_gt_i32_e64 s0, 0, v18
	v_not_b32_e32 v18, v19
	v_lshlrev_b32_e32 v23, 26, v16
	v_cmp_ne_u32_e32 vcc_lo, 0, v21
	v_ashrrev_i32_e32 v35, 31, v35
	v_lshlrev_b32_e32 v34, 25, v16
	v_ashrrev_i32_e32 v18, 31, v18
	v_lshlrev_b32_e32 v21, 24, v16
	s_wait_alu 0xfffd
	v_xor_b32_e32 v17, vcc_lo, v17
	v_cmp_gt_i32_e32 vcc_lo, 0, v19
	v_not_b32_e32 v19, v20
	s_wait_alu 0xf1ff
	v_xor_b32_e32 v35, s0, v35
	v_cmp_gt_i32_e64 s0, 0, v20
	v_and_b32_e32 v17, exec_lo, v17
	v_not_b32_e32 v20, v22
	v_ashrrev_i32_e32 v19, 31, v19
	s_wait_alu 0xfffd
	v_xor_b32_e32 v18, vcc_lo, v18
	v_cmp_gt_i32_e32 vcc_lo, 0, v22
	v_and_b32_e32 v17, v17, v35
	v_not_b32_e32 v22, v23
	v_ashrrev_i32_e32 v20, 31, v20
	s_wait_alu 0xf1ff
	v_xor_b32_e32 v19, s0, v19
	v_cmp_gt_i32_e64 s0, 0, v23
	v_and_b32_e32 v17, v17, v18
	v_not_b32_e32 v18, v34
	v_ashrrev_i32_e32 v22, 31, v22
	s_wait_alu 0xfffd
	v_xor_b32_e32 v20, vcc_lo, v20
	v_cmp_gt_i32_e32 vcc_lo, 0, v34
	v_and_b32_e32 v17, v17, v19
	v_not_b32_e32 v19, v21
	v_ashrrev_i32_e32 v18, 31, v18
	s_wait_alu 0xf1ff
	v_xor_b32_e32 v22, s0, v22
	v_lshlrev_b32_e32 v16, 4, v16
	v_and_b32_e32 v17, v17, v20
	v_cmp_gt_i32_e64 s0, 0, v21
	v_ashrrev_i32_e32 v19, 31, v19
	s_wait_alu 0xfffd
	v_xor_b32_e32 v18, vcc_lo, v18
	v_add_nc_u32_e32 v84, v24, v16
	v_and_b32_e32 v17, v17, v22
	v_min_u32_e32 v34, 0x60, v68
	s_wait_alu 0xf1ff
	v_xor_b32_e32 v16, s0, v19
	ds_load_b32 v82, v84 offset:16
	v_and_b32_e32 v17, v17, v18
	; wave barrier
	s_delay_alu instid0(VALU_DEP_1) | instskip(NEXT) | instid1(VALU_DEP_1)
	v_and_b32_e32 v16, v17, v16
	v_mbcnt_lo_u32_b32 v83, v16, 0
	v_cmp_ne_u32_e64 s0, 0, v16
	s_delay_alu instid0(VALU_DEP_2)
	v_cmp_eq_u32_e32 vcc_lo, 0, v83
	s_and_b32 s1, s0, vcc_lo
	s_wait_alu 0xfffe
	s_and_saveexec_b32 s0, s1
	s_cbranch_execz .LBB237_113
; %bb.112:
	s_wait_dscnt 0x0
	v_bcnt_u32_b32 v16, v16, v82
	ds_store_b32 v84, v16 offset:16
.LBB237_113:
	s_wait_alu 0xfffe
	s_or_b32 exec_lo, exec_lo, s0
	; wave barrier
	s_wait_loadcnt_dscnt 0x0
	s_barrier_signal -1
	s_barrier_wait -1
	global_inv scope:SCOPE_SE
	ds_load_b128 v[20:23], v65 offset:16
	ds_load_b128 v[16:19], v65 offset:32
	v_and_b32_e32 v68, 16, v67
	v_or_b32_e32 v34, 31, v34
	s_delay_alu instid0(VALU_DEP_2) | instskip(NEXT) | instid1(VALU_DEP_2)
	v_cmp_eq_u32_e64 s16, 0, v68
	v_cmp_eq_u32_e64 s14, v41, v34
	v_lshlrev_b32_e32 v34, 2, v66
	s_wait_dscnt 0x1
	v_add_nc_u32_e32 v35, v21, v20
	s_delay_alu instid0(VALU_DEP_1) | instskip(SKIP_1) | instid1(VALU_DEP_1)
	v_add3_u32 v35, v35, v22, v23
	s_wait_dscnt 0x0
	v_add3_u32 v35, v35, v16, v17
	s_delay_alu instid0(VALU_DEP_1) | instskip(SKIP_1) | instid1(VALU_DEP_2)
	v_add3_u32 v19, v35, v18, v19
	v_and_b32_e32 v35, 15, v67
	v_mov_b32_dpp v37, v19 row_shr:1 row_mask:0xf bank_mask:0xf
	s_delay_alu instid0(VALU_DEP_2)
	v_cmp_eq_u32_e64 s0, 0, v35
	v_cmp_lt_u32_e64 s10, 1, v35
	v_cmp_lt_u32_e64 s11, 3, v35
	;; [unrolled: 1-line block ×3, first 2 shown]
	s_wait_alu 0xf1ff
	v_cndmask_b32_e64 v37, v37, 0, s0
	s_delay_alu instid0(VALU_DEP_1) | instskip(NEXT) | instid1(VALU_DEP_1)
	v_add_nc_u32_e32 v19, v37, v19
	v_mov_b32_dpp v37, v19 row_shr:2 row_mask:0xf bank_mask:0xf
	s_delay_alu instid0(VALU_DEP_1) | instskip(NEXT) | instid1(VALU_DEP_1)
	v_cndmask_b32_e64 v37, 0, v37, s10
	v_add_nc_u32_e32 v19, v19, v37
	s_delay_alu instid0(VALU_DEP_1) | instskip(NEXT) | instid1(VALU_DEP_1)
	v_mov_b32_dpp v37, v19 row_shr:4 row_mask:0xf bank_mask:0xf
	v_cndmask_b32_e64 v37, 0, v37, s11
	s_delay_alu instid0(VALU_DEP_1) | instskip(NEXT) | instid1(VALU_DEP_1)
	v_add_nc_u32_e32 v19, v19, v37
	v_mov_b32_dpp v37, v19 row_shr:8 row_mask:0xf bank_mask:0xf
	s_delay_alu instid0(VALU_DEP_1) | instskip(SKIP_1) | instid1(VALU_DEP_2)
	v_cndmask_b32_e64 v35, 0, v37, s13
	v_bfe_i32 v37, v67, 4, 1
	v_add_nc_u32_e32 v35, v19, v35
	ds_swizzle_b32 v19, v35 offset:swizzle(BROADCAST,32,15)
	s_wait_dscnt 0x0
	v_and_b32_e32 v37, v37, v19
	v_mul_i32_i24_e32 v19, 0xffffffe4, v41
	s_delay_alu instid0(VALU_DEP_2)
	v_add_nc_u32_e32 v37, v35, v37
	s_and_saveexec_b32 s1, s14
; %bb.114:
	ds_store_b32 v34, v37
; %bb.115:
	s_wait_alu 0xfffe
	s_or_b32 exec_lo, exec_lo, s1
	v_and_b32_e32 v35, 3, v67
	v_cmp_gt_u32_e64 s15, 4, v41
	s_wait_loadcnt_dscnt 0x0
	s_barrier_signal -1
	s_barrier_wait -1
	v_cmp_eq_u32_e64 s12, 0, v35
	v_cmp_lt_u32_e64 s1, 1, v35
	v_add_nc_u32_e32 v35, v65, v19
	global_inv scope:SCOPE_SE
	s_and_saveexec_b32 s17, s15
	s_cbranch_execz .LBB237_117
; %bb.116:
	ds_load_b32 v19, v35
	s_wait_dscnt 0x0
	v_mov_b32_dpp v66, v19 row_shr:1 row_mask:0xf bank_mask:0xf
	s_delay_alu instid0(VALU_DEP_1) | instskip(NEXT) | instid1(VALU_DEP_1)
	v_cndmask_b32_e64 v66, v66, 0, s12
	v_add_nc_u32_e32 v19, v66, v19
	s_delay_alu instid0(VALU_DEP_1) | instskip(NEXT) | instid1(VALU_DEP_1)
	v_mov_b32_dpp v66, v19 row_shr:2 row_mask:0xf bank_mask:0xf
	v_cndmask_b32_e64 v66, 0, v66, s1
	s_delay_alu instid0(VALU_DEP_1)
	v_add_nc_u32_e32 v19, v19, v66
	ds_store_b32 v35, v19
.LBB237_117:
	s_wait_alu 0xfffe
	s_or_b32 exec_lo, exec_lo, s17
	v_mul_u32_u24_e32 v19, 6, v36
	v_sub_co_u32 v66, vcc_lo, v67, 1
	v_cmp_lt_u32_e64 s17, 31, v41
	v_add_nc_u32_e32 v36, -4, v34
	v_mov_b32_e32 v68, 0
	s_wait_loadcnt_dscnt 0x0
	s_barrier_signal -1
	s_barrier_wait -1
	global_inv scope:SCOPE_SE
	s_and_saveexec_b32 s18, s17
; %bb.118:
	ds_load_b32 v68, v36
; %bb.119:
	s_wait_alu 0xfffe
	s_or_b32 exec_lo, exec_lo, s18
	v_cmp_gt_i32_e64 s18, 0, v66
	s_mov_b32 s24, 0
	s_min_u32 s19, s19, 8
	s_mov_b32 s25, s24
	s_mov_b32 s26, s24
	v_cndmask_b32_e64 v66, v66, v67, s18
	s_wait_dscnt 0x0
	v_add_nc_u32_e32 v67, v68, v37
	s_mov_b32 s27, s24
	v_cmp_eq_u32_e64 s18, 0, v41
	s_wait_alu 0xfffe
	s_lshl_b32 s19, -1, s19
	v_lshlrev_b32_e32 v37, 2, v66
	s_wait_alu 0xfffe
	s_not_b32 s21, s19
	ds_bpermute_b32 v66, v37, v67
	s_wait_dscnt 0x0
	s_wait_alu 0xfffd
	v_cndmask_b32_e32 v66, v66, v68, vcc_lo
	s_delay_alu instid0(VALU_DEP_1) | instskip(NEXT) | instid1(VALU_DEP_1)
	v_cndmask_b32_e64 v85, v66, 0, s18
	v_add_nc_u32_e32 v86, v85, v20
	s_delay_alu instid0(VALU_DEP_1) | instskip(NEXT) | instid1(VALU_DEP_1)
	v_add_nc_u32_e32 v87, v86, v21
	v_add_nc_u32_e32 v88, v87, v22
	s_delay_alu instid0(VALU_DEP_1) | instskip(NEXT) | instid1(VALU_DEP_1)
	v_add_nc_u32_e32 v20, v88, v23
	;; [unrolled: 3-line block ×3, first 2 shown]
	v_add_nc_u32_e32 v23, v22, v18
	ds_store_b128 v65, v[85:88] offset:16
	ds_store_b128 v65, v[20:23] offset:32
	s_wait_loadcnt_dscnt 0x0
	s_barrier_signal -1
	s_barrier_wait -1
	global_inv scope:SCOPE_SE
	ds_load_b32 v16, v39 offset:16
	ds_load_b32 v17, v43 offset:16
	;; [unrolled: 1-line block ×8, first 2 shown]
	v_add_nc_u32_e32 v43, v25, v19
	s_wait_loadcnt_dscnt 0x0
	s_barrier_signal -1
	s_barrier_wait -1
	global_inv scope:SCOPE_SE
	v_add_nc_u32_e32 v38, v16, v38
	v_add3_u32 v40, v42, v40, v17
	v_add3_u32 v42, v45, v44, v18
	;; [unrolled: 1-line block ×7, first 2 shown]
	v_lshlrev_b32_e32 v16, 1, v38
	v_lshlrev_b32_e32 v17, 1, v40
	;; [unrolled: 1-line block ×8, first 2 shown]
	ds_store_b16 v16, v26
	ds_store_b16 v17, v27
	;; [unrolled: 1-line block ×8, first 2 shown]
	s_wait_loadcnt_dscnt 0x0
	s_barrier_signal -1
	s_barrier_wait -1
	global_inv scope:SCOPE_SE
	ds_load_u16 v26, v25
	ds_load_u16 v27, v25 offset:64
	ds_load_u16 v28, v25 offset:128
	;; [unrolled: 1-line block ×7, first 2 shown]
	v_mad_co_u64_u32 v[38:39], null, v38, 6, v[16:17]
	v_mad_co_u64_u32 v[16:17], null, v40, 6, v[17:18]
	v_mad_co_u64_u32 v[17:18], null, v42, 6, v[18:19]
	s_wait_loadcnt_dscnt 0x0
	s_barrier_signal -1
	s_barrier_wait -1
	global_inv scope:SCOPE_SE
	v_mad_co_u64_u32 v[18:19], null, v44, 6, v[19:20]
	v_lshrrev_b16 v33, 8, v26
	v_cmp_ne_u16_e64 s19, 0x8000, v26
	ds_store_b64 v38, v[8:9]
	v_mad_co_u64_u32 v[19:20], null, v45, 6, v[20:21]
	v_mad_co_u64_u32 v[20:21], null, v66, 6, v[21:22]
	s_wait_alu 0xf1ff
	v_cndmask_b32_e64 v33, 0x7f, v33, s19
	v_mad_co_u64_u32 v[21:22], null, v67, 6, v[22:23]
	v_mad_co_u64_u32 v[22:23], null, v68, 6, v[23:24]
	s_delay_alu instid0(VALU_DEP_3)
	v_and_b32_e32 v8, 0xffff, v33
	ds_store_b64 v16, v[10:11]
	ds_store_b64 v17, v[0:1]
	;; [unrolled: 1-line block ×7, first 2 shown]
	s_wait_alu 0xfffe
	v_and_b32_e32 v23, s21, v8
	s_wait_loadcnt_dscnt 0x0
	s_barrier_signal -1
	s_barrier_wait -1
	global_inv scope:SCOPE_SE
	v_and_b32_e32 v0, 1, v23
	v_lshlrev_b32_e32 v1, 30, v23
	v_lshlrev_b32_e32 v2, 29, v23
	;; [unrolled: 1-line block ×4, first 2 shown]
	v_add_co_u32 v0, s19, v0, -1
	s_wait_alu 0xf1ff
	v_cndmask_b32_e64 v4, 0, 1, s19
	v_not_b32_e32 v8, v1
	v_cmp_gt_i32_e64 s20, 0, v1
	v_not_b32_e32 v1, v2
	v_lshlrev_b32_e32 v6, 26, v23
	v_cmp_ne_u32_e64 s19, 0, v4
	v_ashrrev_i32_e32 v8, 31, v8
	v_lshlrev_b32_e32 v7, 25, v23
	v_ashrrev_i32_e32 v1, 31, v1
	v_lshlrev_b32_e32 v4, 24, v23
	s_wait_alu 0xf1ff
	v_xor_b32_e32 v0, s19, v0
	v_cmp_gt_i32_e64 s19, 0, v2
	v_not_b32_e32 v2, v3
	v_xor_b32_e32 v8, s20, v8
	v_cmp_gt_i32_e64 s20, 0, v3
	v_and_b32_e32 v0, exec_lo, v0
	v_not_b32_e32 v3, v5
	v_ashrrev_i32_e32 v2, 31, v2
	s_wait_alu 0xf1ff
	v_xor_b32_e32 v1, s19, v1
	v_cmp_gt_i32_e64 s19, 0, v5
	v_and_b32_e32 v0, v0, v8
	v_not_b32_e32 v5, v6
	v_ashrrev_i32_e32 v3, 31, v3
	v_xor_b32_e32 v2, s20, v2
	v_cmp_gt_i32_e64 s20, 0, v6
	v_and_b32_e32 v0, v0, v1
	v_not_b32_e32 v1, v7
	v_ashrrev_i32_e32 v5, 31, v5
	s_wait_alu 0xf1ff
	v_xor_b32_e32 v3, s19, v3
	v_cmp_gt_i32_e64 s19, 0, v7
	v_and_b32_e32 v0, v0, v2
	v_not_b32_e32 v2, v4
	v_ashrrev_i32_e32 v1, 31, v1
	v_xor_b32_e32 v5, s20, v5
	v_cmp_gt_i32_e64 s20, 0, v4
	v_and_b32_e32 v0, v0, v3
	v_ashrrev_i32_e32 v2, 31, v2
	s_wait_alu 0xf1ff
	v_xor_b32_e32 v1, s19, v1
	v_dual_mov_b32 v17, s24 :: v_dual_mov_b32 v18, s25
	v_and_b32_e32 v0, v0, v5
	v_xor_b32_e32 v16, s20, v2
	ds_load_2addr_b64 v[4:7], v43 offset1:32
	v_dual_mov_b32 v19, s26 :: v_dual_mov_b32 v20, s27
	v_and_b32_e32 v21, v0, v1
	ds_load_2addr_b64 v[12:15], v43 offset0:64 offset1:96
	ds_load_2addr_b64 v[8:11], v43 offset0:128 offset1:160
	;; [unrolled: 1-line block ×3, first 2 shown]
	v_lshl_add_u32 v38, v23, 4, v24
	s_wait_loadcnt_dscnt 0x0
	s_barrier_signal -1
	v_and_b32_e32 v16, v21, v16
	s_barrier_wait -1
	global_inv scope:SCOPE_SE
	ds_store_b128 v65, v[17:20] offset:16
	ds_store_b128 v65, v[17:20] offset:32
	s_wait_loadcnt_dscnt 0x0
	v_mbcnt_lo_u32_b32 v33, v16, 0
	v_cmp_ne_u32_e64 s20, 0, v16
	s_barrier_signal -1
	s_barrier_wait -1
	global_inv scope:SCOPE_SE
	v_cmp_eq_u32_e64 s19, 0, v33
	; wave barrier
	s_and_b32 s20, s20, s19
	s_wait_alu 0xfffe
	s_and_saveexec_b32 s19, s20
; %bb.120:
	v_bcnt_u32_b32 v16, v16, 0
	ds_store_b32 v38, v16 offset:16
; %bb.121:
	s_wait_alu 0xfffe
	s_or_b32 exec_lo, exec_lo, s19
	v_lshrrev_b16 v16, 8, v27
	v_cmp_ne_u16_e64 s19, 0x8000, v27
	; wave barrier
	s_wait_alu 0xf1ff
	s_delay_alu instid0(VALU_DEP_1) | instskip(NEXT) | instid1(VALU_DEP_1)
	v_cndmask_b32_e64 v16, 0x7f, v16, s19
	v_and_b32_e32 v16, s21, v16
	s_delay_alu instid0(VALU_DEP_1)
	v_and_b32_e32 v17, 1, v16
	v_lshlrev_b32_e32 v18, 30, v16
	v_lshlrev_b32_e32 v19, 29, v16
	;; [unrolled: 1-line block ×4, first 2 shown]
	v_add_co_u32 v17, s19, v17, -1
	s_wait_alu 0xf1ff
	v_cndmask_b32_e64 v21, 0, 1, s19
	v_not_b32_e32 v40, v18
	v_cmp_gt_i32_e64 s20, 0, v18
	v_not_b32_e32 v18, v19
	v_lshlrev_b32_e32 v23, 26, v16
	v_cmp_ne_u32_e64 s19, 0, v21
	v_ashrrev_i32_e32 v40, 31, v40
	v_lshlrev_b32_e32 v39, 25, v16
	v_ashrrev_i32_e32 v18, 31, v18
	v_lshlrev_b32_e32 v21, 24, v16
	s_wait_alu 0xf1ff
	v_xor_b32_e32 v17, s19, v17
	v_cmp_gt_i32_e64 s19, 0, v19
	v_not_b32_e32 v19, v20
	v_xor_b32_e32 v40, s20, v40
	v_cmp_gt_i32_e64 s20, 0, v20
	v_and_b32_e32 v17, exec_lo, v17
	v_not_b32_e32 v20, v22
	v_ashrrev_i32_e32 v19, 31, v19
	s_wait_alu 0xf1ff
	v_xor_b32_e32 v18, s19, v18
	v_cmp_gt_i32_e64 s19, 0, v22
	v_and_b32_e32 v17, v17, v40
	v_not_b32_e32 v22, v23
	v_ashrrev_i32_e32 v20, 31, v20
	v_xor_b32_e32 v19, s20, v19
	v_cmp_gt_i32_e64 s20, 0, v23
	v_and_b32_e32 v17, v17, v18
	v_not_b32_e32 v18, v39
	v_ashrrev_i32_e32 v22, 31, v22
	s_wait_alu 0xf1ff
	v_xor_b32_e32 v20, s19, v20
	v_cmp_gt_i32_e64 s19, 0, v39
	v_and_b32_e32 v17, v17, v19
	v_not_b32_e32 v19, v21
	v_ashrrev_i32_e32 v18, 31, v18
	v_xor_b32_e32 v22, s20, v22
	v_cmp_gt_i32_e64 s20, 0, v21
	v_and_b32_e32 v17, v17, v20
	v_ashrrev_i32_e32 v19, 31, v19
	s_wait_alu 0xf1ff
	v_xor_b32_e32 v18, s19, v18
	v_lshl_add_u32 v42, v16, 4, v24
	v_and_b32_e32 v17, v17, v22
	v_xor_b32_e32 v16, s20, v19
	ds_load_b32 v39, v42 offset:16
	v_and_b32_e32 v17, v17, v18
	; wave barrier
	s_delay_alu instid0(VALU_DEP_1) | instskip(NEXT) | instid1(VALU_DEP_1)
	v_and_b32_e32 v16, v17, v16
	v_mbcnt_lo_u32_b32 v40, v16, 0
	v_cmp_ne_u32_e64 s20, 0, v16
	s_delay_alu instid0(VALU_DEP_2)
	v_cmp_eq_u32_e64 s19, 0, v40
	s_and_b32 s20, s20, s19
	s_wait_alu 0xfffe
	s_and_saveexec_b32 s19, s20
	s_cbranch_execz .LBB237_123
; %bb.122:
	s_wait_dscnt 0x0
	v_bcnt_u32_b32 v16, v16, v39
	ds_store_b32 v42, v16 offset:16
.LBB237_123:
	s_wait_alu 0xfffe
	s_or_b32 exec_lo, exec_lo, s19
	v_lshrrev_b16 v16, 8, v28
	v_cmp_ne_u16_e64 s19, 0x8000, v28
	; wave barrier
	s_wait_alu 0xf1ff
	s_delay_alu instid0(VALU_DEP_1) | instskip(NEXT) | instid1(VALU_DEP_1)
	v_cndmask_b32_e64 v16, 0x7f, v16, s19
	v_and_b32_e32 v16, s21, v16
	s_delay_alu instid0(VALU_DEP_1)
	v_and_b32_e32 v17, 1, v16
	v_lshlrev_b32_e32 v18, 30, v16
	v_lshlrev_b32_e32 v19, 29, v16
	;; [unrolled: 1-line block ×4, first 2 shown]
	v_add_co_u32 v17, s19, v17, -1
	s_wait_alu 0xf1ff
	v_cndmask_b32_e64 v21, 0, 1, s19
	v_not_b32_e32 v44, v18
	v_cmp_gt_i32_e64 s20, 0, v18
	v_not_b32_e32 v18, v19
	v_lshlrev_b32_e32 v23, 26, v16
	v_cmp_ne_u32_e64 s19, 0, v21
	v_ashrrev_i32_e32 v44, 31, v44
	v_lshlrev_b32_e32 v43, 25, v16
	v_ashrrev_i32_e32 v18, 31, v18
	v_lshlrev_b32_e32 v21, 24, v16
	s_wait_alu 0xf1ff
	v_xor_b32_e32 v17, s19, v17
	v_cmp_gt_i32_e64 s19, 0, v19
	v_not_b32_e32 v19, v20
	v_xor_b32_e32 v44, s20, v44
	v_cmp_gt_i32_e64 s20, 0, v20
	v_and_b32_e32 v17, exec_lo, v17
	v_not_b32_e32 v20, v22
	v_ashrrev_i32_e32 v19, 31, v19
	s_wait_alu 0xf1ff
	v_xor_b32_e32 v18, s19, v18
	v_cmp_gt_i32_e64 s19, 0, v22
	v_and_b32_e32 v17, v17, v44
	v_not_b32_e32 v22, v23
	v_ashrrev_i32_e32 v20, 31, v20
	v_xor_b32_e32 v19, s20, v19
	v_cmp_gt_i32_e64 s20, 0, v23
	v_and_b32_e32 v17, v17, v18
	v_not_b32_e32 v18, v43
	v_ashrrev_i32_e32 v22, 31, v22
	s_wait_alu 0xf1ff
	v_xor_b32_e32 v20, s19, v20
	v_cmp_gt_i32_e64 s19, 0, v43
	v_and_b32_e32 v17, v17, v19
	v_not_b32_e32 v19, v21
	v_ashrrev_i32_e32 v18, 31, v18
	v_xor_b32_e32 v22, s20, v22
	v_cmp_gt_i32_e64 s20, 0, v21
	v_and_b32_e32 v17, v17, v20
	v_ashrrev_i32_e32 v19, 31, v19
	s_wait_alu 0xf1ff
	v_xor_b32_e32 v18, s19, v18
	v_lshl_add_u32 v45, v16, 4, v24
	v_and_b32_e32 v17, v17, v22
	v_xor_b32_e32 v16, s20, v19
	ds_load_b32 v43, v45 offset:16
	v_and_b32_e32 v17, v17, v18
	; wave barrier
	s_delay_alu instid0(VALU_DEP_1) | instskip(NEXT) | instid1(VALU_DEP_1)
	v_and_b32_e32 v16, v17, v16
	v_mbcnt_lo_u32_b32 v44, v16, 0
	v_cmp_ne_u32_e64 s20, 0, v16
	s_delay_alu instid0(VALU_DEP_2)
	v_cmp_eq_u32_e64 s19, 0, v44
	s_and_b32 s20, s20, s19
	s_wait_alu 0xfffe
	s_and_saveexec_b32 s19, s20
	s_cbranch_execz .LBB237_125
; %bb.124:
	s_wait_dscnt 0x0
	v_bcnt_u32_b32 v16, v16, v43
	ds_store_b32 v45, v16 offset:16
.LBB237_125:
	s_wait_alu 0xfffe
	s_or_b32 exec_lo, exec_lo, s19
	v_lshrrev_b16 v16, 8, v29
	v_cmp_ne_u16_e64 s19, 0x8000, v29
	; wave barrier
	s_wait_alu 0xf1ff
	s_delay_alu instid0(VALU_DEP_1) | instskip(NEXT) | instid1(VALU_DEP_1)
	v_cndmask_b32_e64 v16, 0x7f, v16, s19
	v_and_b32_e32 v16, s21, v16
	s_delay_alu instid0(VALU_DEP_1)
	v_and_b32_e32 v17, 1, v16
	v_lshlrev_b32_e32 v18, 30, v16
	v_lshlrev_b32_e32 v19, 29, v16
	;; [unrolled: 1-line block ×4, first 2 shown]
	v_add_co_u32 v17, s19, v17, -1
	s_wait_alu 0xf1ff
	v_cndmask_b32_e64 v21, 0, 1, s19
	v_not_b32_e32 v67, v18
	v_cmp_gt_i32_e64 s20, 0, v18
	v_not_b32_e32 v18, v19
	v_lshlrev_b32_e32 v23, 26, v16
	v_cmp_ne_u32_e64 s19, 0, v21
	v_ashrrev_i32_e32 v67, 31, v67
	v_lshlrev_b32_e32 v66, 25, v16
	v_ashrrev_i32_e32 v18, 31, v18
	v_lshlrev_b32_e32 v21, 24, v16
	s_wait_alu 0xf1ff
	v_xor_b32_e32 v17, s19, v17
	v_cmp_gt_i32_e64 s19, 0, v19
	v_not_b32_e32 v19, v20
	v_xor_b32_e32 v67, s20, v67
	v_cmp_gt_i32_e64 s20, 0, v20
	v_and_b32_e32 v17, exec_lo, v17
	v_not_b32_e32 v20, v22
	v_ashrrev_i32_e32 v19, 31, v19
	s_wait_alu 0xf1ff
	v_xor_b32_e32 v18, s19, v18
	v_cmp_gt_i32_e64 s19, 0, v22
	v_and_b32_e32 v17, v17, v67
	v_not_b32_e32 v22, v23
	v_ashrrev_i32_e32 v20, 31, v20
	v_xor_b32_e32 v19, s20, v19
	v_cmp_gt_i32_e64 s20, 0, v23
	v_and_b32_e32 v17, v17, v18
	v_not_b32_e32 v18, v66
	v_ashrrev_i32_e32 v22, 31, v22
	s_wait_alu 0xf1ff
	v_xor_b32_e32 v20, s19, v20
	v_cmp_gt_i32_e64 s19, 0, v66
	v_and_b32_e32 v17, v17, v19
	v_not_b32_e32 v19, v21
	v_ashrrev_i32_e32 v18, 31, v18
	v_xor_b32_e32 v22, s20, v22
	v_cmp_gt_i32_e64 s20, 0, v21
	v_and_b32_e32 v17, v17, v20
	v_ashrrev_i32_e32 v19, 31, v19
	s_wait_alu 0xf1ff
	v_xor_b32_e32 v18, s19, v18
	v_lshl_add_u32 v68, v16, 4, v24
	v_and_b32_e32 v17, v17, v22
	v_xor_b32_e32 v16, s20, v19
	ds_load_b32 v66, v68 offset:16
	v_and_b32_e32 v17, v17, v18
	; wave barrier
	s_delay_alu instid0(VALU_DEP_1) | instskip(NEXT) | instid1(VALU_DEP_1)
	v_and_b32_e32 v16, v17, v16
	v_mbcnt_lo_u32_b32 v67, v16, 0
	v_cmp_ne_u32_e64 s20, 0, v16
	s_delay_alu instid0(VALU_DEP_2)
	v_cmp_eq_u32_e64 s19, 0, v67
	s_and_b32 s20, s20, s19
	s_wait_alu 0xfffe
	s_and_saveexec_b32 s19, s20
	s_cbranch_execz .LBB237_127
; %bb.126:
	s_wait_dscnt 0x0
	v_bcnt_u32_b32 v16, v16, v66
	ds_store_b32 v68, v16 offset:16
.LBB237_127:
	s_wait_alu 0xfffe
	s_or_b32 exec_lo, exec_lo, s19
	v_lshrrev_b16 v16, 8, v30
	v_cmp_ne_u16_e64 s19, 0x8000, v30
	; wave barrier
	s_wait_alu 0xf1ff
	s_delay_alu instid0(VALU_DEP_1) | instskip(NEXT) | instid1(VALU_DEP_1)
	v_cndmask_b32_e64 v16, 0x7f, v16, s19
	v_and_b32_e32 v16, s21, v16
	s_delay_alu instid0(VALU_DEP_1)
	v_and_b32_e32 v17, 1, v16
	v_lshlrev_b32_e32 v18, 30, v16
	v_lshlrev_b32_e32 v19, 29, v16
	;; [unrolled: 1-line block ×4, first 2 shown]
	v_add_co_u32 v17, s19, v17, -1
	s_wait_alu 0xf1ff
	v_cndmask_b32_e64 v21, 0, 1, s19
	v_not_b32_e32 v70, v18
	v_cmp_gt_i32_e64 s20, 0, v18
	v_not_b32_e32 v18, v19
	v_lshlrev_b32_e32 v23, 26, v16
	v_cmp_ne_u32_e64 s19, 0, v21
	v_ashrrev_i32_e32 v70, 31, v70
	v_lshlrev_b32_e32 v69, 25, v16
	v_ashrrev_i32_e32 v18, 31, v18
	v_lshlrev_b32_e32 v21, 24, v16
	s_wait_alu 0xf1ff
	v_xor_b32_e32 v17, s19, v17
	v_cmp_gt_i32_e64 s19, 0, v19
	v_not_b32_e32 v19, v20
	v_xor_b32_e32 v70, s20, v70
	v_cmp_gt_i32_e64 s20, 0, v20
	v_and_b32_e32 v17, exec_lo, v17
	v_not_b32_e32 v20, v22
	v_ashrrev_i32_e32 v19, 31, v19
	s_wait_alu 0xf1ff
	v_xor_b32_e32 v18, s19, v18
	v_cmp_gt_i32_e64 s19, 0, v22
	v_and_b32_e32 v17, v17, v70
	v_not_b32_e32 v22, v23
	v_ashrrev_i32_e32 v20, 31, v20
	v_xor_b32_e32 v19, s20, v19
	v_cmp_gt_i32_e64 s20, 0, v23
	v_and_b32_e32 v17, v17, v18
	v_not_b32_e32 v18, v69
	v_ashrrev_i32_e32 v22, 31, v22
	s_wait_alu 0xf1ff
	v_xor_b32_e32 v20, s19, v20
	v_cmp_gt_i32_e64 s19, 0, v69
	v_and_b32_e32 v17, v17, v19
	v_not_b32_e32 v19, v21
	v_ashrrev_i32_e32 v18, 31, v18
	v_xor_b32_e32 v22, s20, v22
	v_cmp_gt_i32_e64 s20, 0, v21
	v_and_b32_e32 v17, v17, v20
	v_ashrrev_i32_e32 v19, 31, v19
	s_wait_alu 0xf1ff
	v_xor_b32_e32 v18, s19, v18
	v_lshl_add_u32 v71, v16, 4, v24
	v_and_b32_e32 v17, v17, v22
	v_xor_b32_e32 v16, s20, v19
	ds_load_b32 v69, v71 offset:16
	v_and_b32_e32 v17, v17, v18
	; wave barrier
	s_delay_alu instid0(VALU_DEP_1) | instskip(NEXT) | instid1(VALU_DEP_1)
	v_and_b32_e32 v16, v17, v16
	v_mbcnt_lo_u32_b32 v70, v16, 0
	v_cmp_ne_u32_e64 s20, 0, v16
	s_delay_alu instid0(VALU_DEP_2)
	v_cmp_eq_u32_e64 s19, 0, v70
	s_and_b32 s20, s20, s19
	s_wait_alu 0xfffe
	s_and_saveexec_b32 s19, s20
	s_cbranch_execz .LBB237_129
; %bb.128:
	s_wait_dscnt 0x0
	v_bcnt_u32_b32 v16, v16, v69
	ds_store_b32 v71, v16 offset:16
.LBB237_129:
	s_wait_alu 0xfffe
	s_or_b32 exec_lo, exec_lo, s19
	v_lshrrev_b16 v16, 8, v31
	v_cmp_ne_u16_e64 s19, 0x8000, v31
	; wave barrier
	s_wait_alu 0xf1ff
	s_delay_alu instid0(VALU_DEP_1) | instskip(NEXT) | instid1(VALU_DEP_1)
	v_cndmask_b32_e64 v16, 0x7f, v16, s19
	v_and_b32_e32 v16, s21, v16
	s_delay_alu instid0(VALU_DEP_1)
	v_and_b32_e32 v17, 1, v16
	v_lshlrev_b32_e32 v18, 30, v16
	v_lshlrev_b32_e32 v19, 29, v16
	;; [unrolled: 1-line block ×4, first 2 shown]
	v_add_co_u32 v17, s19, v17, -1
	s_wait_alu 0xf1ff
	v_cndmask_b32_e64 v21, 0, 1, s19
	v_not_b32_e32 v73, v18
	v_cmp_gt_i32_e64 s20, 0, v18
	v_not_b32_e32 v18, v19
	v_lshlrev_b32_e32 v23, 26, v16
	v_cmp_ne_u32_e64 s19, 0, v21
	v_ashrrev_i32_e32 v73, 31, v73
	v_lshlrev_b32_e32 v72, 25, v16
	v_ashrrev_i32_e32 v18, 31, v18
	v_lshlrev_b32_e32 v21, 24, v16
	s_wait_alu 0xf1ff
	v_xor_b32_e32 v17, s19, v17
	v_cmp_gt_i32_e64 s19, 0, v19
	v_not_b32_e32 v19, v20
	v_xor_b32_e32 v73, s20, v73
	v_cmp_gt_i32_e64 s20, 0, v20
	v_and_b32_e32 v17, exec_lo, v17
	v_not_b32_e32 v20, v22
	v_ashrrev_i32_e32 v19, 31, v19
	s_wait_alu 0xf1ff
	v_xor_b32_e32 v18, s19, v18
	v_cmp_gt_i32_e64 s19, 0, v22
	v_and_b32_e32 v17, v17, v73
	v_not_b32_e32 v22, v23
	v_ashrrev_i32_e32 v20, 31, v20
	v_xor_b32_e32 v19, s20, v19
	v_cmp_gt_i32_e64 s20, 0, v23
	v_and_b32_e32 v17, v17, v18
	v_not_b32_e32 v18, v72
	v_ashrrev_i32_e32 v22, 31, v22
	s_wait_alu 0xf1ff
	v_xor_b32_e32 v20, s19, v20
	v_cmp_gt_i32_e64 s19, 0, v72
	v_and_b32_e32 v17, v17, v19
	v_not_b32_e32 v19, v21
	v_ashrrev_i32_e32 v18, 31, v18
	v_xor_b32_e32 v22, s20, v22
	v_cmp_gt_i32_e64 s20, 0, v21
	v_and_b32_e32 v17, v17, v20
	v_ashrrev_i32_e32 v19, 31, v19
	s_wait_alu 0xf1ff
	v_xor_b32_e32 v18, s19, v18
	v_lshl_add_u32 v74, v16, 4, v24
	v_and_b32_e32 v17, v17, v22
	v_xor_b32_e32 v16, s20, v19
	ds_load_b32 v72, v74 offset:16
	v_and_b32_e32 v17, v17, v18
	; wave barrier
	s_delay_alu instid0(VALU_DEP_1) | instskip(NEXT) | instid1(VALU_DEP_1)
	v_and_b32_e32 v16, v17, v16
	v_mbcnt_lo_u32_b32 v73, v16, 0
	v_cmp_ne_u32_e64 s20, 0, v16
	s_delay_alu instid0(VALU_DEP_2)
	v_cmp_eq_u32_e64 s19, 0, v73
	s_and_b32 s20, s20, s19
	s_wait_alu 0xfffe
	s_and_saveexec_b32 s19, s20
	s_cbranch_execz .LBB237_131
; %bb.130:
	s_wait_dscnt 0x0
	v_bcnt_u32_b32 v16, v16, v72
	ds_store_b32 v74, v16 offset:16
.LBB237_131:
	s_wait_alu 0xfffe
	s_or_b32 exec_lo, exec_lo, s19
	v_lshrrev_b16 v16, 8, v32
	v_cmp_ne_u16_e64 s19, 0x8000, v32
	; wave barrier
	s_wait_alu 0xf1ff
	s_delay_alu instid0(VALU_DEP_1) | instskip(NEXT) | instid1(VALU_DEP_1)
	v_cndmask_b32_e64 v16, 0x7f, v16, s19
	v_and_b32_e32 v16, s21, v16
	s_delay_alu instid0(VALU_DEP_1)
	v_and_b32_e32 v17, 1, v16
	v_lshlrev_b32_e32 v18, 30, v16
	v_lshlrev_b32_e32 v19, 29, v16
	;; [unrolled: 1-line block ×4, first 2 shown]
	v_add_co_u32 v17, s19, v17, -1
	s_wait_alu 0xf1ff
	v_cndmask_b32_e64 v21, 0, 1, s19
	v_not_b32_e32 v76, v18
	v_cmp_gt_i32_e64 s20, 0, v18
	v_not_b32_e32 v18, v19
	v_lshlrev_b32_e32 v23, 26, v16
	v_cmp_ne_u32_e64 s19, 0, v21
	v_ashrrev_i32_e32 v76, 31, v76
	v_lshlrev_b32_e32 v75, 25, v16
	v_ashrrev_i32_e32 v18, 31, v18
	v_lshlrev_b32_e32 v21, 24, v16
	s_wait_alu 0xf1ff
	v_xor_b32_e32 v17, s19, v17
	v_cmp_gt_i32_e64 s19, 0, v19
	v_not_b32_e32 v19, v20
	v_xor_b32_e32 v76, s20, v76
	v_cmp_gt_i32_e64 s20, 0, v20
	v_and_b32_e32 v17, exec_lo, v17
	v_not_b32_e32 v20, v22
	v_ashrrev_i32_e32 v19, 31, v19
	s_wait_alu 0xf1ff
	v_xor_b32_e32 v18, s19, v18
	v_cmp_gt_i32_e64 s19, 0, v22
	v_and_b32_e32 v17, v17, v76
	v_not_b32_e32 v22, v23
	v_ashrrev_i32_e32 v20, 31, v20
	v_xor_b32_e32 v19, s20, v19
	v_cmp_gt_i32_e64 s20, 0, v23
	v_and_b32_e32 v17, v17, v18
	v_not_b32_e32 v18, v75
	v_ashrrev_i32_e32 v22, 31, v22
	s_wait_alu 0xf1ff
	v_xor_b32_e32 v20, s19, v20
	v_cmp_gt_i32_e64 s19, 0, v75
	v_and_b32_e32 v17, v17, v19
	v_not_b32_e32 v19, v21
	v_ashrrev_i32_e32 v18, 31, v18
	v_xor_b32_e32 v22, s20, v22
	v_cmp_gt_i32_e64 s20, 0, v21
	v_and_b32_e32 v17, v17, v20
	v_ashrrev_i32_e32 v19, 31, v19
	s_wait_alu 0xf1ff
	v_xor_b32_e32 v18, s19, v18
	v_lshl_add_u32 v77, v16, 4, v24
	v_and_b32_e32 v17, v17, v22
	v_xor_b32_e32 v16, s20, v19
	ds_load_b32 v75, v77 offset:16
	v_and_b32_e32 v17, v17, v18
	; wave barrier
	s_delay_alu instid0(VALU_DEP_1) | instskip(NEXT) | instid1(VALU_DEP_1)
	v_and_b32_e32 v16, v17, v16
	v_mbcnt_lo_u32_b32 v76, v16, 0
	v_cmp_ne_u32_e64 s20, 0, v16
	s_delay_alu instid0(VALU_DEP_2)
	v_cmp_eq_u32_e64 s19, 0, v76
	s_and_b32 s20, s20, s19
	s_wait_alu 0xfffe
	s_and_saveexec_b32 s19, s20
	s_cbranch_execz .LBB237_133
; %bb.132:
	s_wait_dscnt 0x0
	v_bcnt_u32_b32 v16, v16, v75
	ds_store_b32 v77, v16 offset:16
.LBB237_133:
	s_wait_alu 0xfffe
	s_or_b32 exec_lo, exec_lo, s19
	v_lshrrev_b16 v16, 8, v25
	v_cmp_ne_u16_e64 s19, 0x8000, v25
	; wave barrier
	s_wait_alu 0xf1ff
	s_delay_alu instid0(VALU_DEP_1) | instskip(NEXT) | instid1(VALU_DEP_1)
	v_cndmask_b32_e64 v16, 0x7f, v16, s19
	v_and_b32_e32 v16, s21, v16
	s_delay_alu instid0(VALU_DEP_1)
	v_and_b32_e32 v17, 1, v16
	v_lshlrev_b32_e32 v18, 30, v16
	v_lshlrev_b32_e32 v19, 29, v16
	;; [unrolled: 1-line block ×4, first 2 shown]
	v_add_co_u32 v17, s19, v17, -1
	s_wait_alu 0xf1ff
	v_cndmask_b32_e64 v21, 0, 1, s19
	v_not_b32_e32 v79, v18
	v_cmp_gt_i32_e64 s20, 0, v18
	v_not_b32_e32 v18, v19
	v_lshlrev_b32_e32 v23, 26, v16
	v_cmp_ne_u32_e64 s19, 0, v21
	v_ashrrev_i32_e32 v79, 31, v79
	v_lshlrev_b32_e32 v78, 25, v16
	v_ashrrev_i32_e32 v18, 31, v18
	v_lshlrev_b32_e32 v21, 24, v16
	s_wait_alu 0xf1ff
	v_xor_b32_e32 v17, s19, v17
	v_cmp_gt_i32_e64 s19, 0, v19
	v_not_b32_e32 v19, v20
	v_xor_b32_e32 v79, s20, v79
	v_cmp_gt_i32_e64 s20, 0, v20
	v_and_b32_e32 v17, exec_lo, v17
	v_not_b32_e32 v20, v22
	v_ashrrev_i32_e32 v19, 31, v19
	s_wait_alu 0xf1ff
	v_xor_b32_e32 v18, s19, v18
	v_cmp_gt_i32_e64 s19, 0, v22
	v_and_b32_e32 v17, v17, v79
	v_not_b32_e32 v22, v23
	v_ashrrev_i32_e32 v20, 31, v20
	v_xor_b32_e32 v19, s20, v19
	v_cmp_gt_i32_e64 s20, 0, v23
	v_and_b32_e32 v17, v17, v18
	v_not_b32_e32 v18, v78
	v_ashrrev_i32_e32 v22, 31, v22
	s_wait_alu 0xf1ff
	v_xor_b32_e32 v20, s19, v20
	v_cmp_gt_i32_e64 s19, 0, v78
	v_and_b32_e32 v17, v17, v19
	v_not_b32_e32 v19, v21
	v_ashrrev_i32_e32 v18, 31, v18
	v_xor_b32_e32 v22, s20, v22
	v_cmp_gt_i32_e64 s20, 0, v21
	v_and_b32_e32 v17, v17, v20
	v_ashrrev_i32_e32 v19, 31, v19
	s_wait_alu 0xf1ff
	v_xor_b32_e32 v18, s19, v18
	v_lshl_add_u32 v79, v16, 4, v24
	v_and_b32_e32 v17, v17, v22
	v_xor_b32_e32 v16, s20, v19
	ds_load_b32 v24, v79 offset:16
	v_and_b32_e32 v17, v17, v18
	; wave barrier
	s_delay_alu instid0(VALU_DEP_1) | instskip(NEXT) | instid1(VALU_DEP_1)
	v_and_b32_e32 v16, v17, v16
	v_mbcnt_lo_u32_b32 v78, v16, 0
	v_cmp_ne_u32_e64 s20, 0, v16
	s_delay_alu instid0(VALU_DEP_2)
	v_cmp_eq_u32_e64 s19, 0, v78
	s_and_b32 s20, s20, s19
	s_wait_alu 0xfffe
	s_and_saveexec_b32 s19, s20
	s_cbranch_execz .LBB237_135
; %bb.134:
	s_wait_dscnt 0x0
	v_bcnt_u32_b32 v16, v16, v24
	ds_store_b32 v79, v16 offset:16
.LBB237_135:
	s_wait_alu 0xfffe
	s_or_b32 exec_lo, exec_lo, s19
	; wave barrier
	s_wait_loadcnt_dscnt 0x0
	s_barrier_signal -1
	s_barrier_wait -1
	global_inv scope:SCOPE_SE
	ds_load_b128 v[20:23], v65 offset:16
	ds_load_b128 v[16:19], v65 offset:32
	s_wait_dscnt 0x1
	v_add_nc_u32_e32 v80, v21, v20
	s_delay_alu instid0(VALU_DEP_1) | instskip(SKIP_1) | instid1(VALU_DEP_1)
	v_add3_u32 v80, v80, v22, v23
	s_wait_dscnt 0x0
	v_add3_u32 v80, v80, v16, v17
	s_delay_alu instid0(VALU_DEP_1) | instskip(NEXT) | instid1(VALU_DEP_1)
	v_add3_u32 v19, v80, v18, v19
	v_mov_b32_dpp v80, v19 row_shr:1 row_mask:0xf bank_mask:0xf
	s_delay_alu instid0(VALU_DEP_1) | instskip(NEXT) | instid1(VALU_DEP_1)
	v_cndmask_b32_e64 v80, v80, 0, s0
	v_add_nc_u32_e32 v19, v80, v19
	s_delay_alu instid0(VALU_DEP_1) | instskip(NEXT) | instid1(VALU_DEP_1)
	v_mov_b32_dpp v80, v19 row_shr:2 row_mask:0xf bank_mask:0xf
	v_cndmask_b32_e64 v80, 0, v80, s10
	s_delay_alu instid0(VALU_DEP_1) | instskip(NEXT) | instid1(VALU_DEP_1)
	v_add_nc_u32_e32 v19, v19, v80
	v_mov_b32_dpp v80, v19 row_shr:4 row_mask:0xf bank_mask:0xf
	s_delay_alu instid0(VALU_DEP_1) | instskip(NEXT) | instid1(VALU_DEP_1)
	v_cndmask_b32_e64 v80, 0, v80, s11
	v_add_nc_u32_e32 v19, v19, v80
	s_delay_alu instid0(VALU_DEP_1) | instskip(NEXT) | instid1(VALU_DEP_1)
	v_mov_b32_dpp v80, v19 row_shr:8 row_mask:0xf bank_mask:0xf
	v_cndmask_b32_e64 v80, 0, v80, s13
	s_delay_alu instid0(VALU_DEP_1) | instskip(SKIP_3) | instid1(VALU_DEP_1)
	v_add_nc_u32_e32 v19, v19, v80
	ds_swizzle_b32 v80, v19 offset:swizzle(BROADCAST,32,15)
	s_wait_dscnt 0x0
	v_cndmask_b32_e64 v80, v80, 0, s16
	v_add_nc_u32_e32 v19, v19, v80
	s_and_saveexec_b32 s0, s14
; %bb.136:
	ds_store_b32 v34, v19
; %bb.137:
	s_wait_alu 0xfffe
	s_or_b32 exec_lo, exec_lo, s0
	s_wait_loadcnt_dscnt 0x0
	s_barrier_signal -1
	s_barrier_wait -1
	global_inv scope:SCOPE_SE
	s_and_saveexec_b32 s0, s15
	s_cbranch_execz .LBB237_139
; %bb.138:
	ds_load_b32 v34, v35
	s_wait_dscnt 0x0
	v_mov_b32_dpp v80, v34 row_shr:1 row_mask:0xf bank_mask:0xf
	s_delay_alu instid0(VALU_DEP_1) | instskip(NEXT) | instid1(VALU_DEP_1)
	v_cndmask_b32_e64 v80, v80, 0, s12
	v_add_nc_u32_e32 v34, v80, v34
	s_delay_alu instid0(VALU_DEP_1) | instskip(NEXT) | instid1(VALU_DEP_1)
	v_mov_b32_dpp v80, v34 row_shr:2 row_mask:0xf bank_mask:0xf
	v_cndmask_b32_e64 v80, 0, v80, s1
	s_delay_alu instid0(VALU_DEP_1)
	v_add_nc_u32_e32 v34, v34, v80
	ds_store_b32 v35, v34
.LBB237_139:
	s_wait_alu 0xfffe
	s_or_b32 exec_lo, exec_lo, s0
	v_mov_b32_e32 v34, 0
	s_wait_loadcnt_dscnt 0x0
	s_barrier_signal -1
	s_barrier_wait -1
	global_inv scope:SCOPE_SE
	s_and_saveexec_b32 s0, s17
; %bb.140:
	ds_load_b32 v34, v36
; %bb.141:
	s_wait_alu 0xfffe
	s_or_b32 exec_lo, exec_lo, s0
	s_wait_dscnt 0x0
	v_add_nc_u32_e32 v19, v34, v19
	ds_bpermute_b32 v19, v37, v19
	s_wait_dscnt 0x0
	v_cndmask_b32_e32 v19, v19, v34, vcc_lo
	s_delay_alu instid0(VALU_DEP_1) | instskip(NEXT) | instid1(VALU_DEP_1)
	v_cndmask_b32_e64 v19, v19, 0, s18
	v_add_nc_u32_e32 v20, v19, v20
	s_delay_alu instid0(VALU_DEP_1) | instskip(NEXT) | instid1(VALU_DEP_1)
	v_add_nc_u32_e32 v21, v20, v21
	v_add_nc_u32_e32 v22, v21, v22
	s_delay_alu instid0(VALU_DEP_1) | instskip(NEXT) | instid1(VALU_DEP_1)
	v_add_nc_u32_e32 v34, v22, v23
	;; [unrolled: 3-line block ×3, first 2 shown]
	v_add_nc_u32_e32 v37, v36, v18
	ds_store_b128 v65, v[19:22] offset:16
	ds_store_b128 v65, v[34:37] offset:32
	s_wait_loadcnt_dscnt 0x0
	s_barrier_signal -1
	s_barrier_wait -1
	global_inv scope:SCOPE_SE
	ds_load_b32 v16, v79 offset:16
	ds_load_b32 v17, v77 offset:16
	;; [unrolled: 1-line block ×8, first 2 shown]
	s_wait_loadcnt_dscnt 0x0
	s_barrier_signal -1
	s_barrier_wait -1
	global_inv scope:SCOPE_SE
	v_lshlrev_b32_e32 v34, 1, v64
	s_delay_alu instid0(VALU_DEP_1)
	v_mad_u32_u24 v37, v41, 48, v34
	v_add3_u32 v35, v78, v24, v16
	v_add3_u32 v36, v76, v75, v17
	;; [unrolled: 1-line block ×3, first 2 shown]
	v_add_nc_u32_e32 v24, v19, v33
	v_add3_u32 v33, v40, v39, v20
	v_add3_u32 v39, v44, v43, v21
	;; [unrolled: 1-line block ×4, first 2 shown]
	v_lshlrev_b32_e32 v16, 1, v24
	v_lshlrev_b32_e32 v17, 1, v33
	v_lshlrev_b32_e32 v18, 1, v39
	v_lshlrev_b32_e32 v19, 1, v40
	v_lshlrev_b32_e32 v20, 1, v42
	v_lshlrev_b32_e32 v21, 1, v38
	v_lshlrev_b32_e32 v22, 1, v36
	v_lshlrev_b32_e32 v23, 1, v35
	ds_store_b16 v16, v26
	ds_store_b16 v17, v27
	;; [unrolled: 1-line block ×8, first 2 shown]
	v_mad_co_u64_u32 v[24:25], null, v24, 6, v[16:17]
	v_mad_co_u64_u32 v[16:17], null, v33, 6, v[17:18]
	;; [unrolled: 1-line block ×7, first 2 shown]
	s_wait_loadcnt_dscnt 0x0
	s_barrier_signal -1
	s_barrier_wait -1
	global_inv scope:SCOPE_SE
	v_mad_co_u64_u32 v[22:23], null, v35, 6, v[23:24]
	ds_load_b128 v[33:36], v34
	s_wait_loadcnt_dscnt 0x0
	s_barrier_signal -1
	s_barrier_wait -1
	global_inv scope:SCOPE_SE
	ds_store_b64 v24, v[4:5]
	ds_store_b64 v16, v[6:7]
	;; [unrolled: 1-line block ×8, first 2 shown]
	s_wait_loadcnt_dscnt 0x0
	s_barrier_signal -1
	s_barrier_wait -1
	global_inv scope:SCOPE_SE
	ds_load_b128 v[29:32], v37
	ds_load_b128 v[25:28], v37 offset:16
	ds_load_b128 v[21:24], v37 offset:32
	;; [unrolled: 1-line block ×3, first 2 shown]
	v_cmp_gt_i16_e32 vcc_lo, 0, v33
	v_lshrrev_b32_e32 v0, 16, v33
	v_lshrrev_b32_e32 v2, 16, v34
	;; [unrolled: 1-line block ×4, first 2 shown]
	s_wait_alu 0xfffd
	v_cndmask_b32_e64 v1, 0x7fff, 0, vcc_lo
	v_cmp_gt_i16_e32 vcc_lo, 0, v34
	s_wait_alu 0xfffd
	v_cndmask_b32_e64 v3, 0x7fff, 0, vcc_lo
	v_cmp_gt_i16_e32 vcc_lo, 0, v35
	;; [unrolled: 3-line block ×5, first 2 shown]
	s_delay_alu instid0(VALU_DEP_2) | instskip(SKIP_3) | instid1(VALU_DEP_3)
	v_perm_b32 v0, v0, v1, 0x5040100
	s_wait_alu 0xfffd
	v_cndmask_b32_e64 v2, 0x7fff, 0, vcc_lo
	v_cmp_gt_i16_e32 vcc_lo, 0, v4
	v_xor_b32_e32 v0, v0, v33
	s_delay_alu instid0(VALU_DEP_3) | instskip(SKIP_3) | instid1(VALU_DEP_3)
	v_perm_b32 v1, v2, v3, 0x5040100
	s_wait_alu 0xfffd
	v_cndmask_b32_e64 v4, 0x7fff, 0, vcc_lo
	v_cmp_gt_i16_e32 vcc_lo, 0, v6
	v_xor_b32_e32 v34, v1, v34
	s_delay_alu instid0(VALU_DEP_3) | instskip(SKIP_2) | instid1(VALU_DEP_2)
	v_perm_b32 v2, v4, v5, 0x5040100
	s_wait_alu 0xfffd
	v_cndmask_b32_e64 v6, 0x7fff, 0, vcc_lo
	v_xor_b32_e32 v33, v2, v35
	s_delay_alu instid0(VALU_DEP_2) | instskip(NEXT) | instid1(VALU_DEP_1)
	v_perm_b32 v3, v6, v7, 0x5040100
	v_xor_b32_e32 v35, v3, v36
.LBB237_142:
	v_mad_co_u64_u32 v[9:10], null, s22, v41, 0
	s_wait_loadcnt_dscnt 0x0
	s_barrier_signal -1
	s_barrier_wait -1
	global_inv scope:SCOPE_SE
	ds_store_2addr_b32 v54, v0, v34 offset1:1
	ds_store_2addr_b32 v54, v33, v35 offset0:2 offset1:3
	s_wait_loadcnt_dscnt 0x0
	v_mov_b32_e32 v0, v10
	s_barrier_signal -1
	s_barrier_wait -1
	global_inv scope:SCOPE_SE
	ds_load_u16 v8, v47 offset:256
	ds_load_u16 v7, v48 offset:512
	;; [unrolled: 1-line block ×7, first 2 shown]
	v_mad_co_u64_u32 v[0:1], null, s23, v41, v[0:1]
	s_delay_alu instid0(VALU_DEP_1) | instskip(NEXT) | instid1(VALU_DEP_1)
	v_mov_b32_e32 v10, v0
	v_lshlrev_b64_e32 v[0:1], 1, v[9:10]
	s_delay_alu instid0(VALU_DEP_1) | instskip(SKIP_1) | instid1(VALU_DEP_2)
	v_add_co_u32 v0, vcc_lo, s30, v0
	s_wait_alu 0xfffd
	v_add_co_ci_u32_e64 v1, null, s31, v1, vcc_lo
	s_and_saveexec_b32 s0, s2
	s_cbranch_execnz .LBB237_161
; %bb.143:
	s_wait_alu 0xfffe
	s_or_b32 exec_lo, exec_lo, s0
	s_and_saveexec_b32 s0, s3
	s_cbranch_execnz .LBB237_162
.LBB237_144:
	s_wait_alu 0xfffe
	s_or_b32 exec_lo, exec_lo, s0
	s_and_saveexec_b32 s0, s4
	s_cbranch_execnz .LBB237_163
.LBB237_145:
	s_wait_alu 0xfffe
	s_or_b32 exec_lo, exec_lo, s0
	s_and_saveexec_b32 s0, s5
	s_cbranch_execnz .LBB237_164
.LBB237_146:
	s_wait_alu 0xfffe
	s_or_b32 exec_lo, exec_lo, s0
	s_and_saveexec_b32 s0, s6
	s_cbranch_execnz .LBB237_165
.LBB237_147:
	s_wait_alu 0xfffe
	s_or_b32 exec_lo, exec_lo, s0
	s_and_saveexec_b32 s0, s7
	s_cbranch_execnz .LBB237_166
.LBB237_148:
	s_wait_alu 0xfffe
	s_or_b32 exec_lo, exec_lo, s0
	s_and_saveexec_b32 s0, s8
	s_cbranch_execnz .LBB237_167
.LBB237_149:
	s_wait_alu 0xfffe
	s_or_b32 exec_lo, exec_lo, s0
	s_and_saveexec_b32 s0, s9
	s_cbranch_execz .LBB237_151
.LBB237_150:
	v_mad_co_u64_u32 v[0:1], null, 0x700, s22, v[0:1]
	s_wait_dscnt 0x0
	s_delay_alu instid0(VALU_DEP_1) | instskip(NEXT) | instid1(VALU_DEP_1)
	v_mad_co_u64_u32 v[3:4], null, 0x700, s23, v[1:2]
	v_mov_b32_e32 v1, v3
	global_store_b16 v[0:1], v2, off
.LBB237_151:
	s_wait_alu 0xfffe
	s_or_b32 exec_lo, exec_lo, s0
	s_wait_dscnt 0x0
	v_mad_co_u64_u32 v[2:3], null, s28, v41, 0
	s_wait_loadcnt 0x0
	s_wait_storecnt 0x0
	s_barrier_signal -1
	s_barrier_wait -1
	global_inv scope:SCOPE_SE
	ds_store_2addr_b64 v63, v[29:30], v[31:32] offset1:1
	ds_store_2addr_b64 v63, v[25:26], v[27:28] offset0:2 offset1:3
	ds_store_2addr_b64 v63, v[21:22], v[23:24] offset0:4 offset1:5
	;; [unrolled: 1-line block ×3, first 2 shown]
	s_wait_loadcnt_dscnt 0x0
	v_mov_b32_e32 v0, v3
	s_barrier_signal -1
	s_barrier_wait -1
	global_inv scope:SCOPE_SE
	v_mad_co_u64_u32 v[3:4], null, s29, v41, v[0:1]
	ds_load_b64 v[14:15], v56 offset:1024
	ds_load_b64 v[12:13], v57 offset:2048
	;; [unrolled: 1-line block ×7, first 2 shown]
	v_lshlrev_b64_e32 v[2:3], 3, v[2:3]
	s_delay_alu instid0(VALU_DEP_1) | instskip(SKIP_1) | instid1(VALU_DEP_2)
	v_add_co_u32 v2, vcc_lo, s34, v2
	s_wait_alu 0xfffd
	v_add_co_ci_u32_e64 v3, null, s35, v3, vcc_lo
	s_and_saveexec_b32 s0, s2
	s_cbranch_execnz .LBB237_168
; %bb.152:
	s_wait_alu 0xfffe
	s_or_b32 exec_lo, exec_lo, s0
	s_and_saveexec_b32 s0, s3
	s_cbranch_execnz .LBB237_169
.LBB237_153:
	s_wait_alu 0xfffe
	s_or_b32 exec_lo, exec_lo, s0
	s_and_saveexec_b32 s0, s4
	s_cbranch_execnz .LBB237_170
.LBB237_154:
	s_wait_alu 0xfffe
	s_or_b32 exec_lo, exec_lo, s0
	s_and_saveexec_b32 s0, s5
	s_cbranch_execnz .LBB237_171
.LBB237_155:
	s_wait_alu 0xfffe
	s_or_b32 exec_lo, exec_lo, s0
	s_and_saveexec_b32 s0, s6
	s_cbranch_execnz .LBB237_172
.LBB237_156:
	s_wait_alu 0xfffe
	s_or_b32 exec_lo, exec_lo, s0
	s_and_saveexec_b32 s0, s7
	s_cbranch_execnz .LBB237_173
.LBB237_157:
	s_wait_alu 0xfffe
	s_or_b32 exec_lo, exec_lo, s0
	s_and_saveexec_b32 s0, s8
	s_cbranch_execnz .LBB237_174
.LBB237_158:
	s_wait_alu 0xfffe
	s_or_b32 exec_lo, exec_lo, s0
	s_and_saveexec_b32 s0, s9
	s_cbranch_execz .LBB237_160
.LBB237_159:
	v_mad_co_u64_u32 v[2:3], null, 0x1c00, s28, v[2:3]
	s_wait_dscnt 0x1
	s_delay_alu instid0(VALU_DEP_1)
	v_mad_co_u64_u32 v[3:4], null, 0x1c00, s29, v[3:4]
	s_wait_dscnt 0x0
	global_store_b64 v[2:3], v[0:1], off
.LBB237_160:
	s_nop 0
	s_sendmsg sendmsg(MSG_DEALLOC_VGPRS)
	s_endpgm
.LBB237_161:
	ds_load_u16 v9, v46
	s_wait_dscnt 0x0
	global_store_b16 v[0:1], v9, off
	s_wait_alu 0xfffe
	s_or_b32 exec_lo, exec_lo, s0
	s_and_saveexec_b32 s0, s3
	s_cbranch_execz .LBB237_144
.LBB237_162:
	s_lshl_b64 s[10:11], s[22:23], 8
	s_wait_alu 0xfffe
	v_add_co_u32 v9, vcc_lo, v0, s10
	s_wait_alu 0xfffd
	v_add_co_ci_u32_e64 v10, null, s11, v1, vcc_lo
	s_wait_dscnt 0x6
	global_store_b16 v[9:10], v8, off
	s_or_b32 exec_lo, exec_lo, s0
	s_and_saveexec_b32 s0, s4
	s_cbranch_execz .LBB237_145
.LBB237_163:
	s_lshl_b64 s[10:11], s[22:23], 9
	s_wait_dscnt 0x6
	s_wait_alu 0xfffe
	v_add_co_u32 v8, vcc_lo, v0, s10
	s_wait_alu 0xfffd
	v_add_co_ci_u32_e64 v9, null, s11, v1, vcc_lo
	s_wait_dscnt 0x5
	global_store_b16 v[8:9], v7, off
	s_or_b32 exec_lo, exec_lo, s0
	s_and_saveexec_b32 s0, s5
	s_cbranch_execz .LBB237_146
.LBB237_164:
	s_wait_dscnt 0x5
	v_mad_co_u64_u32 v[7:8], null, 0x300, s22, v[0:1]
	s_delay_alu instid0(VALU_DEP_1)
	v_mad_co_u64_u32 v[8:9], null, 0x300, s23, v[8:9]
	s_wait_dscnt 0x4
	global_store_b16 v[7:8], v6, off
	s_wait_alu 0xfffe
	s_or_b32 exec_lo, exec_lo, s0
	s_and_saveexec_b32 s0, s6
	s_cbranch_execz .LBB237_147
.LBB237_165:
	s_lshl_b64 s[10:11], s[22:23], 10
	s_wait_dscnt 0x4
	s_wait_alu 0xfffe
	v_add_co_u32 v6, vcc_lo, v0, s10
	s_wait_alu 0xfffd
	v_add_co_ci_u32_e64 v7, null, s11, v1, vcc_lo
	s_wait_dscnt 0x3
	global_store_b16 v[6:7], v5, off
	s_or_b32 exec_lo, exec_lo, s0
	s_and_saveexec_b32 s0, s7
	s_cbranch_execz .LBB237_148
.LBB237_166:
	s_wait_dscnt 0x3
	v_mad_co_u64_u32 v[5:6], null, 0x500, s22, v[0:1]
	s_delay_alu instid0(VALU_DEP_1)
	v_mad_co_u64_u32 v[6:7], null, 0x500, s23, v[6:7]
	s_wait_dscnt 0x2
	global_store_b16 v[5:6], v4, off
	s_wait_alu 0xfffe
	s_or_b32 exec_lo, exec_lo, s0
	s_and_saveexec_b32 s0, s8
	s_cbranch_execz .LBB237_149
.LBB237_167:
	s_wait_dscnt 0x2
	v_mad_co_u64_u32 v[4:5], null, 0x600, s22, v[0:1]
	s_delay_alu instid0(VALU_DEP_1)
	v_mad_co_u64_u32 v[5:6], null, 0x600, s23, v[5:6]
	s_wait_dscnt 0x1
	global_store_b16 v[4:5], v3, off
	s_wait_alu 0xfffe
	s_or_b32 exec_lo, exec_lo, s0
	s_and_saveexec_b32 s0, s9
	s_cbranch_execnz .LBB237_150
	s_branch .LBB237_151
.LBB237_168:
	ds_load_b64 v[16:17], v55
	s_wait_dscnt 0x0
	global_store_b64 v[2:3], v[16:17], off
	s_wait_alu 0xfffe
	s_or_b32 exec_lo, exec_lo, s0
	s_and_saveexec_b32 s0, s3
	s_cbranch_execz .LBB237_153
.LBB237_169:
	s_lshl_b64 s[2:3], s[28:29], 10
	s_wait_alu 0xfffe
	v_add_co_u32 v16, vcc_lo, v2, s2
	s_wait_alu 0xfffd
	v_add_co_ci_u32_e64 v17, null, s3, v3, vcc_lo
	s_wait_dscnt 0x6
	global_store_b64 v[16:17], v[14:15], off
	s_or_b32 exec_lo, exec_lo, s0
	s_and_saveexec_b32 s0, s4
	s_cbranch_execz .LBB237_154
.LBB237_170:
	s_lshl_b64 s[2:3], s[28:29], 11
	s_wait_dscnt 0x6
	s_wait_alu 0xfffe
	v_add_co_u32 v14, vcc_lo, v2, s2
	s_wait_alu 0xfffd
	v_add_co_ci_u32_e64 v15, null, s3, v3, vcc_lo
	s_wait_dscnt 0x5
	global_store_b64 v[14:15], v[12:13], off
	s_or_b32 exec_lo, exec_lo, s0
	s_and_saveexec_b32 s0, s5
	s_cbranch_execz .LBB237_155
.LBB237_171:
	s_wait_dscnt 0x5
	v_mad_co_u64_u32 v[12:13], null, 0xc00, s28, v[2:3]
	s_delay_alu instid0(VALU_DEP_1)
	v_mad_co_u64_u32 v[13:14], null, 0xc00, s29, v[13:14]
	s_wait_dscnt 0x4
	global_store_b64 v[12:13], v[10:11], off
	s_wait_alu 0xfffe
	s_or_b32 exec_lo, exec_lo, s0
	s_and_saveexec_b32 s0, s6
	s_cbranch_execz .LBB237_156
.LBB237_172:
	s_lshl_b64 s[2:3], s[28:29], 12
	s_wait_dscnt 0x4
	s_wait_alu 0xfffe
	v_add_co_u32 v10, vcc_lo, v2, s2
	s_wait_alu 0xfffd
	v_add_co_ci_u32_e64 v11, null, s3, v3, vcc_lo
	s_wait_dscnt 0x3
	global_store_b64 v[10:11], v[8:9], off
	s_or_b32 exec_lo, exec_lo, s0
	s_and_saveexec_b32 s0, s7
	s_cbranch_execz .LBB237_157
.LBB237_173:
	s_wait_dscnt 0x3
	v_mad_co_u64_u32 v[8:9], null, 0x1400, s28, v[2:3]
	s_delay_alu instid0(VALU_DEP_1)
	v_mad_co_u64_u32 v[9:10], null, 0x1400, s29, v[9:10]
	s_wait_dscnt 0x2
	global_store_b64 v[8:9], v[6:7], off
	s_wait_alu 0xfffe
	s_or_b32 exec_lo, exec_lo, s0
	s_and_saveexec_b32 s0, s8
	s_cbranch_execz .LBB237_158
.LBB237_174:
	s_wait_dscnt 0x2
	v_mad_co_u64_u32 v[6:7], null, 0x1800, s28, v[2:3]
	s_delay_alu instid0(VALU_DEP_1)
	v_mad_co_u64_u32 v[7:8], null, 0x1800, s29, v[7:8]
	s_wait_dscnt 0x1
	global_store_b64 v[6:7], v[4:5], off
	s_wait_alu 0xfffe
	s_or_b32 exec_lo, exec_lo, s0
	s_and_saveexec_b32 s0, s9
	s_cbranch_execnz .LBB237_159
	s_branch .LBB237_160
	.section	.rodata,"a",@progbits
	.p2align	6, 0x0
	.amdhsa_kernel _ZN2at6native18radixSortKVInPlaceILin1ELin1ELi128ELi8EN3c104HalfElmEEvNS_4cuda6detail10TensorInfoIT3_T5_EES8_S8_S8_NS6_IT4_S8_EES8_b
		.amdhsa_group_segment_fixed_size 8448
		.amdhsa_private_segment_fixed_size 0
		.amdhsa_kernarg_size 1128
		.amdhsa_user_sgpr_count 2
		.amdhsa_user_sgpr_dispatch_ptr 0
		.amdhsa_user_sgpr_queue_ptr 0
		.amdhsa_user_sgpr_kernarg_segment_ptr 1
		.amdhsa_user_sgpr_dispatch_id 0
		.amdhsa_user_sgpr_private_segment_size 0
		.amdhsa_wavefront_size32 1
		.amdhsa_uses_dynamic_stack 0
		.amdhsa_enable_private_segment 0
		.amdhsa_system_sgpr_workgroup_id_x 1
		.amdhsa_system_sgpr_workgroup_id_y 1
		.amdhsa_system_sgpr_workgroup_id_z 1
		.amdhsa_system_sgpr_workgroup_info 0
		.amdhsa_system_vgpr_workitem_id 2
		.amdhsa_next_free_vgpr 111
		.amdhsa_next_free_sgpr 38
		.amdhsa_reserve_vcc 1
		.amdhsa_float_round_mode_32 0
		.amdhsa_float_round_mode_16_64 0
		.amdhsa_float_denorm_mode_32 3
		.amdhsa_float_denorm_mode_16_64 3
		.amdhsa_fp16_overflow 0
		.amdhsa_workgroup_processor_mode 1
		.amdhsa_memory_ordered 1
		.amdhsa_forward_progress 1
		.amdhsa_inst_pref_size 190
		.amdhsa_round_robin_scheduling 0
		.amdhsa_exception_fp_ieee_invalid_op 0
		.amdhsa_exception_fp_denorm_src 0
		.amdhsa_exception_fp_ieee_div_zero 0
		.amdhsa_exception_fp_ieee_overflow 0
		.amdhsa_exception_fp_ieee_underflow 0
		.amdhsa_exception_fp_ieee_inexact 0
		.amdhsa_exception_int_div_zero 0
	.end_amdhsa_kernel
	.section	.text._ZN2at6native18radixSortKVInPlaceILin1ELin1ELi128ELi8EN3c104HalfElmEEvNS_4cuda6detail10TensorInfoIT3_T5_EES8_S8_S8_NS6_IT4_S8_EES8_b,"axG",@progbits,_ZN2at6native18radixSortKVInPlaceILin1ELin1ELi128ELi8EN3c104HalfElmEEvNS_4cuda6detail10TensorInfoIT3_T5_EES8_S8_S8_NS6_IT4_S8_EES8_b,comdat
.Lfunc_end237:
	.size	_ZN2at6native18radixSortKVInPlaceILin1ELin1ELi128ELi8EN3c104HalfElmEEvNS_4cuda6detail10TensorInfoIT3_T5_EES8_S8_S8_NS6_IT4_S8_EES8_b, .Lfunc_end237-_ZN2at6native18radixSortKVInPlaceILin1ELin1ELi128ELi8EN3c104HalfElmEEvNS_4cuda6detail10TensorInfoIT3_T5_EES8_S8_S8_NS6_IT4_S8_EES8_b
                                        ; -- End function
	.set _ZN2at6native18radixSortKVInPlaceILin1ELin1ELi128ELi8EN3c104HalfElmEEvNS_4cuda6detail10TensorInfoIT3_T5_EES8_S8_S8_NS6_IT4_S8_EES8_b.num_vgpr, 111
	.set _ZN2at6native18radixSortKVInPlaceILin1ELin1ELi128ELi8EN3c104HalfElmEEvNS_4cuda6detail10TensorInfoIT3_T5_EES8_S8_S8_NS6_IT4_S8_EES8_b.num_agpr, 0
	.set _ZN2at6native18radixSortKVInPlaceILin1ELin1ELi128ELi8EN3c104HalfElmEEvNS_4cuda6detail10TensorInfoIT3_T5_EES8_S8_S8_NS6_IT4_S8_EES8_b.numbered_sgpr, 38
	.set _ZN2at6native18radixSortKVInPlaceILin1ELin1ELi128ELi8EN3c104HalfElmEEvNS_4cuda6detail10TensorInfoIT3_T5_EES8_S8_S8_NS6_IT4_S8_EES8_b.num_named_barrier, 0
	.set _ZN2at6native18radixSortKVInPlaceILin1ELin1ELi128ELi8EN3c104HalfElmEEvNS_4cuda6detail10TensorInfoIT3_T5_EES8_S8_S8_NS6_IT4_S8_EES8_b.private_seg_size, 0
	.set _ZN2at6native18radixSortKVInPlaceILin1ELin1ELi128ELi8EN3c104HalfElmEEvNS_4cuda6detail10TensorInfoIT3_T5_EES8_S8_S8_NS6_IT4_S8_EES8_b.uses_vcc, 1
	.set _ZN2at6native18radixSortKVInPlaceILin1ELin1ELi128ELi8EN3c104HalfElmEEvNS_4cuda6detail10TensorInfoIT3_T5_EES8_S8_S8_NS6_IT4_S8_EES8_b.uses_flat_scratch, 0
	.set _ZN2at6native18radixSortKVInPlaceILin1ELin1ELi128ELi8EN3c104HalfElmEEvNS_4cuda6detail10TensorInfoIT3_T5_EES8_S8_S8_NS6_IT4_S8_EES8_b.has_dyn_sized_stack, 0
	.set _ZN2at6native18radixSortKVInPlaceILin1ELin1ELi128ELi8EN3c104HalfElmEEvNS_4cuda6detail10TensorInfoIT3_T5_EES8_S8_S8_NS6_IT4_S8_EES8_b.has_recursion, 0
	.set _ZN2at6native18radixSortKVInPlaceILin1ELin1ELi128ELi8EN3c104HalfElmEEvNS_4cuda6detail10TensorInfoIT3_T5_EES8_S8_S8_NS6_IT4_S8_EES8_b.has_indirect_call, 0
	.section	.AMDGPU.csdata,"",@progbits
; Kernel info:
; codeLenInByte = 24260
; TotalNumSgprs: 40
; NumVgprs: 111
; ScratchSize: 0
; MemoryBound: 0
; FloatMode: 240
; IeeeMode: 1
; LDSByteSize: 8448 bytes/workgroup (compile time only)
; SGPRBlocks: 0
; VGPRBlocks: 13
; NumSGPRsForWavesPerEU: 40
; NumVGPRsForWavesPerEU: 111
; Occupancy: 12
; WaveLimiterHint : 1
; COMPUTE_PGM_RSRC2:SCRATCH_EN: 0
; COMPUTE_PGM_RSRC2:USER_SGPR: 2
; COMPUTE_PGM_RSRC2:TRAP_HANDLER: 0
; COMPUTE_PGM_RSRC2:TGID_X_EN: 1
; COMPUTE_PGM_RSRC2:TGID_Y_EN: 1
; COMPUTE_PGM_RSRC2:TGID_Z_EN: 1
; COMPUTE_PGM_RSRC2:TIDIG_COMP_CNT: 2
	.section	.text._ZN2at6native18radixSortKVInPlaceILin1ELin1ELi32ELi4EN3c104HalfElmEEvNS_4cuda6detail10TensorInfoIT3_T5_EES8_S8_S8_NS6_IT4_S8_EES8_b,"axG",@progbits,_ZN2at6native18radixSortKVInPlaceILin1ELin1ELi32ELi4EN3c104HalfElmEEvNS_4cuda6detail10TensorInfoIT3_T5_EES8_S8_S8_NS6_IT4_S8_EES8_b,comdat
	.protected	_ZN2at6native18radixSortKVInPlaceILin1ELin1ELi32ELi4EN3c104HalfElmEEvNS_4cuda6detail10TensorInfoIT3_T5_EES8_S8_S8_NS6_IT4_S8_EES8_b ; -- Begin function _ZN2at6native18radixSortKVInPlaceILin1ELin1ELi32ELi4EN3c104HalfElmEEvNS_4cuda6detail10TensorInfoIT3_T5_EES8_S8_S8_NS6_IT4_S8_EES8_b
	.globl	_ZN2at6native18radixSortKVInPlaceILin1ELin1ELi32ELi4EN3c104HalfElmEEvNS_4cuda6detail10TensorInfoIT3_T5_EES8_S8_S8_NS6_IT4_S8_EES8_b
	.p2align	8
	.type	_ZN2at6native18radixSortKVInPlaceILin1ELin1ELi32ELi4EN3c104HalfElmEEvNS_4cuda6detail10TensorInfoIT3_T5_EES8_S8_S8_NS6_IT4_S8_EES8_b,@function
_ZN2at6native18radixSortKVInPlaceILin1ELin1ELi32ELi4EN3c104HalfElmEEvNS_4cuda6detail10TensorInfoIT3_T5_EES8_S8_S8_NS6_IT4_S8_EES8_b: ; @_ZN2at6native18radixSortKVInPlaceILin1ELin1ELi32ELi4EN3c104HalfElmEEvNS_4cuda6detail10TensorInfoIT3_T5_EES8_S8_S8_NS6_IT4_S8_EES8_b
; %bb.0:
	s_clause 0x1
	s_load_b64 s[2:3], s[0:1], 0x368
	s_load_b128 s[4:7], s[0:1], 0x1a0
	s_wait_kmcnt 0x0
	s_lshr_b32 s7, ttmp7, 16
	s_and_b32 s8, ttmp7, 0xffff
	s_mul_i32 s3, s3, s7
	s_delay_alu instid0(SALU_CYCLE_1) | instskip(NEXT) | instid1(SALU_CYCLE_1)
	s_add_co_i32 s3, s3, s8
	s_mul_i32 s2, s3, s2
	s_mov_b32 s3, 0
	s_add_co_i32 s2, s2, ttmp9
	s_delay_alu instid0(SALU_CYCLE_1)
	v_cmp_le_u64_e64 s4, s[4:5], s[2:3]
	s_and_b32 vcc_lo, exec_lo, s4
	s_cbranch_vccnz .LBB238_88
; %bb.1:
	s_clause 0x1
	s_load_b32 s7, s[0:1], 0x198
	s_load_b64 s[14:15], s[0:1], 0x1b0
	s_mov_b64 s[4:5], 0
	s_mov_b64 s[10:11], s[2:3]
	s_wait_kmcnt 0x0
	s_cmp_lt_i32 s7, 2
	s_cbranch_scc1 .LBB238_9
; %bb.2:
	s_mov_b32 s8, 0
	s_add_co_i32 s4, s7, -1
	s_mov_b32 s5, s8
	s_add_co_i32 s7, s7, 1
	s_wait_alu 0xfffe
	s_lshl_b64 s[4:5], s[4:5], 3
	s_mov_b64 s[16:17], s[2:3]
	s_wait_alu 0xfffe
	s_add_nc_u64 s[10:11], s[0:1], s[4:5]
	s_mov_b64 s[4:5], 0
	s_add_nc_u64 s[12:13], s[10:11], 8
.LBB238_3:                              ; =>This Inner Loop Header: Depth=1
	s_load_b64 s[18:19], s[12:13], 0x0
	s_wait_kmcnt 0x0
	s_or_b64 s[10:11], s[16:17], s[18:19]
	s_delay_alu instid0(SALU_CYCLE_1)
	s_mov_b32 s9, s11
                                        ; implicit-def: $sgpr10_sgpr11
	s_wait_alu 0xfffe
	s_cmp_lg_u64 s[8:9], 0
	s_mov_b32 s9, -1
	s_cbranch_scc0 .LBB238_5
; %bb.4:                                ;   in Loop: Header=BB238_3 Depth=1
	s_cvt_f32_u32 s9, s18
	s_cvt_f32_u32 s10, s19
	s_sub_nc_u64 s[20:21], 0, s[18:19]
	s_mov_b32 s23, s8
	s_mov_b32 s27, s8
	s_wait_alu 0xfffe
	s_fmamk_f32 s9, s10, 0x4f800000, s9
	s_wait_alu 0xfffe
	s_delay_alu instid0(SALU_CYCLE_2) | instskip(NEXT) | instid1(TRANS32_DEP_1)
	v_s_rcp_f32 s9, s9
	s_mul_f32 s9, s9, 0x5f7ffffc
	s_wait_alu 0xfffe
	s_delay_alu instid0(SALU_CYCLE_2) | instskip(NEXT) | instid1(SALU_CYCLE_3)
	s_mul_f32 s10, s9, 0x2f800000
	s_trunc_f32 s10, s10
	s_delay_alu instid0(SALU_CYCLE_3) | instskip(SKIP_2) | instid1(SALU_CYCLE_1)
	s_fmamk_f32 s9, s10, 0xcf800000, s9
	s_cvt_u32_f32 s11, s10
	s_wait_alu 0xfffe
	s_cvt_u32_f32 s10, s9
	s_delay_alu instid0(SALU_CYCLE_3) | instskip(NEXT) | instid1(SALU_CYCLE_1)
	s_mul_u64 s[24:25], s[20:21], s[10:11]
	s_mul_hi_u32 s29, s10, s25
	s_mul_i32 s28, s10, s25
	s_mul_hi_u32 s22, s10, s24
	s_mul_i32 s26, s11, s24
	s_add_nc_u64 s[22:23], s[22:23], s[28:29]
	s_mul_hi_u32 s9, s11, s24
	s_mul_hi_u32 s30, s11, s25
	s_add_co_u32 s22, s22, s26
	s_wait_alu 0xfffe
	s_add_co_ci_u32 s26, s23, s9
	s_mul_i32 s24, s11, s25
	s_add_co_ci_u32 s25, s30, 0
	s_delay_alu instid0(SALU_CYCLE_1)
	s_add_nc_u64 s[22:23], s[26:27], s[24:25]
	s_mov_b32 s25, s8
	s_add_co_u32 s10, s10, s22
	s_cselect_b32 s9, -1, 0
	s_wait_alu 0xfffe
	s_cmp_lg_u32 s9, 0
	s_add_co_ci_u32 s11, s11, s23
	s_mov_b32 s23, s8
	s_mul_u64 s[20:21], s[20:21], s[10:11]
	s_delay_alu instid0(SALU_CYCLE_1)
	s_mul_hi_u32 s27, s10, s21
	s_mul_i32 s26, s10, s21
	s_mul_hi_u32 s22, s10, s20
	s_mul_i32 s24, s11, s20
	s_add_nc_u64 s[22:23], s[22:23], s[26:27]
	s_mul_hi_u32 s9, s11, s20
	s_mul_hi_u32 s28, s11, s21
	s_mul_i32 s20, s11, s21
	s_add_co_u32 s21, s22, s24
	s_wait_alu 0xfffe
	s_add_co_ci_u32 s24, s23, s9
	s_add_co_ci_u32 s21, s28, 0
	s_mov_b32 s23, s8
	s_add_nc_u64 s[20:21], s[24:25], s[20:21]
	s_delay_alu instid0(SALU_CYCLE_1)
	s_add_co_u32 s9, s10, s20
	s_cselect_b32 s10, -1, 0
	s_wait_alu 0xfffe
	s_mul_hi_u32 s22, s16, s9
	s_cmp_lg_u32 s10, 0
	s_mul_hi_u32 s24, s17, s9
	s_add_co_ci_u32 s20, s11, s21
	s_mul_i32 s9, s17, s9
	s_mul_hi_u32 s11, s16, s20
	s_mul_i32 s10, s16, s20
	s_mul_hi_u32 s21, s17, s20
	s_add_nc_u64 s[10:11], s[22:23], s[10:11]
	s_mul_i32 s20, s17, s20
	s_wait_alu 0xfffe
	s_add_co_u32 s9, s10, s9
	s_add_co_ci_u32 s24, s11, s24
	s_add_co_ci_u32 s21, s21, 0
	s_delay_alu instid0(SALU_CYCLE_1) | instskip(NEXT) | instid1(SALU_CYCLE_1)
	s_add_nc_u64 s[10:11], s[24:25], s[20:21]
	s_mul_u64 s[20:21], s[18:19], s[10:11]
	s_delay_alu instid0(SALU_CYCLE_1)
	s_sub_co_u32 s9, s16, s20
	s_cselect_b32 s20, -1, 0
	s_sub_co_i32 s22, s17, s21
	s_cmp_lg_u32 s20, 0
	s_sub_co_ci_u32 s22, s22, s19
	s_wait_alu 0xfffe
	s_sub_co_u32 s23, s9, s18
	s_cselect_b32 s24, -1, 0
	s_delay_alu instid0(SALU_CYCLE_1) | instskip(SKIP_1) | instid1(SALU_CYCLE_1)
	s_cmp_lg_u32 s24, 0
	s_sub_co_ci_u32 s22, s22, 0
	s_cmp_ge_u32 s22, s19
	s_cselect_b32 s24, -1, 0
	s_cmp_ge_u32 s23, s18
	s_cselect_b32 s25, -1, 0
	s_cmp_eq_u32 s22, s19
	s_add_nc_u64 s[22:23], s[10:11], 1
	s_cselect_b32 s26, s25, s24
	s_add_nc_u64 s[24:25], s[10:11], 2
	s_cmp_lg_u32 s26, 0
	s_cselect_b32 s22, s24, s22
	s_cselect_b32 s23, s25, s23
	s_cmp_lg_u32 s20, 0
	s_sub_co_ci_u32 s20, s17, s21
	s_delay_alu instid0(SALU_CYCLE_1)
	s_cmp_ge_u32 s20, s19
	s_cselect_b32 s21, -1, 0
	s_cmp_ge_u32 s9, s18
	s_cselect_b32 s9, -1, 0
	s_cmp_eq_u32 s20, s19
	s_wait_alu 0xfffe
	s_cselect_b32 s9, s9, s21
	s_wait_alu 0xfffe
	s_cmp_lg_u32 s9, 0
	s_mov_b32 s9, 0
	s_cselect_b32 s11, s23, s11
	s_cselect_b32 s10, s22, s10
.LBB238_5:                              ;   in Loop: Header=BB238_3 Depth=1
	s_wait_alu 0xfffe
	s_and_not1_b32 vcc_lo, exec_lo, s9
	s_cbranch_vccnz .LBB238_7
; %bb.6:                                ;   in Loop: Header=BB238_3 Depth=1
	v_cvt_f32_u32_e32 v1, s18
	s_sub_co_i32 s10, 0, s18
	s_delay_alu instid0(VALU_DEP_1) | instskip(NEXT) | instid1(TRANS32_DEP_1)
	v_rcp_iflag_f32_e32 v1, v1
	v_mul_f32_e32 v1, 0x4f7ffffe, v1
	s_delay_alu instid0(VALU_DEP_1) | instskip(NEXT) | instid1(VALU_DEP_1)
	v_cvt_u32_f32_e32 v1, v1
	v_readfirstlane_b32 s9, v1
	s_mul_i32 s10, s10, s9
	s_delay_alu instid0(SALU_CYCLE_1) | instskip(NEXT) | instid1(SALU_CYCLE_1)
	s_mul_hi_u32 s10, s9, s10
	s_add_co_i32 s9, s9, s10
	s_wait_alu 0xfffe
	s_mul_hi_u32 s9, s16, s9
	s_wait_alu 0xfffe
	s_mul_i32 s10, s9, s18
	s_add_co_i32 s11, s9, 1
	s_sub_co_i32 s10, s16, s10
	s_delay_alu instid0(SALU_CYCLE_1)
	s_sub_co_i32 s20, s10, s18
	s_cmp_ge_u32 s10, s18
	s_cselect_b32 s9, s11, s9
	s_cselect_b32 s10, s20, s10
	s_wait_alu 0xfffe
	s_add_co_i32 s11, s9, 1
	s_cmp_ge_u32 s10, s18
	s_cselect_b32 s10, s11, s9
	s_mov_b32 s11, s8
.LBB238_7:                              ;   in Loop: Header=BB238_3 Depth=1
	s_load_b64 s[20:21], s[12:13], 0xc8
	s_mul_u64 s[18:19], s[10:11], s[18:19]
	s_add_co_i32 s7, s7, -1
	s_wait_alu 0xfffe
	s_sub_nc_u64 s[16:17], s[16:17], s[18:19]
	s_cmp_gt_u32 s7, 2
	s_add_nc_u64 s[12:13], s[12:13], -8
	s_wait_kmcnt 0x0
	s_mul_u64 s[16:17], s[20:21], s[16:17]
	s_delay_alu instid0(SALU_CYCLE_1)
	s_add_nc_u64 s[4:5], s[16:17], s[4:5]
	s_cbranch_scc0 .LBB238_9
; %bb.8:                                ;   in Loop: Header=BB238_3 Depth=1
	s_mov_b64 s[16:17], s[10:11]
	s_branch .LBB238_3
.LBB238_9:
	s_load_b32 s7, s[0:1], 0x350
	s_add_nc_u64 s[22:23], s[0:1], 0x368
	s_mov_b64 s[8:9], 0
	s_wait_kmcnt 0x0
	s_cmp_lt_i32 s7, 2
	s_cbranch_scc1 .LBB238_17
; %bb.10:
	s_mov_b32 s12, 0
	s_add_co_i32 s8, s7, -1
	s_mov_b32 s9, s12
	s_add_co_i32 s7, s7, 1
	s_wait_alu 0xfffe
	s_lshl_b64 s[8:9], s[8:9], 3
	s_wait_alu 0xfffe
	s_add_nc_u64 s[8:9], s[0:1], s[8:9]
	s_wait_alu 0xfffe
	s_add_nc_u64 s[16:17], s[8:9], 0x1c0
	s_mov_b64 s[8:9], 0
.LBB238_11:                             ; =>This Inner Loop Header: Depth=1
	s_load_b64 s[18:19], s[16:17], 0x0
	s_wait_kmcnt 0x0
	s_or_b64 s[20:21], s[2:3], s[18:19]
	s_delay_alu instid0(SALU_CYCLE_1)
	s_mov_b32 s13, s21
                                        ; implicit-def: $sgpr20_sgpr21
	s_wait_alu 0xfffe
	s_cmp_lg_u64 s[12:13], 0
	s_mov_b32 s13, -1
	s_cbranch_scc0 .LBB238_13
; %bb.12:                               ;   in Loop: Header=BB238_11 Depth=1
	s_cvt_f32_u32 s13, s18
	s_cvt_f32_u32 s20, s19
	s_sub_nc_u64 s[24:25], 0, s[18:19]
	s_mov_b32 s27, s12
	s_mov_b32 s31, s12
	s_wait_alu 0xfffe
	s_fmamk_f32 s13, s20, 0x4f800000, s13
	s_wait_alu 0xfffe
	s_delay_alu instid0(SALU_CYCLE_2) | instskip(NEXT) | instid1(TRANS32_DEP_1)
	v_s_rcp_f32 s13, s13
	s_mul_f32 s13, s13, 0x5f7ffffc
	s_wait_alu 0xfffe
	s_delay_alu instid0(SALU_CYCLE_2) | instskip(NEXT) | instid1(SALU_CYCLE_3)
	s_mul_f32 s20, s13, 0x2f800000
	s_trunc_f32 s20, s20
	s_delay_alu instid0(SALU_CYCLE_3) | instskip(SKIP_2) | instid1(SALU_CYCLE_1)
	s_fmamk_f32 s13, s20, 0xcf800000, s13
	s_cvt_u32_f32 s21, s20
	s_wait_alu 0xfffe
	s_cvt_u32_f32 s20, s13
	s_delay_alu instid0(SALU_CYCLE_3) | instskip(NEXT) | instid1(SALU_CYCLE_1)
	s_mul_u64 s[28:29], s[24:25], s[20:21]
	s_mul_hi_u32 s35, s20, s29
	s_mul_i32 s34, s20, s29
	s_mul_hi_u32 s26, s20, s28
	s_mul_i32 s30, s21, s28
	s_add_nc_u64 s[26:27], s[26:27], s[34:35]
	s_mul_hi_u32 s13, s21, s28
	s_mul_hi_u32 s33, s21, s29
	s_add_co_u32 s26, s26, s30
	s_wait_alu 0xfffe
	s_add_co_ci_u32 s30, s27, s13
	s_mul_i32 s28, s21, s29
	s_add_co_ci_u32 s29, s33, 0
	s_delay_alu instid0(SALU_CYCLE_1)
	s_add_nc_u64 s[26:27], s[30:31], s[28:29]
	s_mov_b32 s29, s12
	s_add_co_u32 s20, s20, s26
	s_cselect_b32 s13, -1, 0
	s_wait_alu 0xfffe
	s_cmp_lg_u32 s13, 0
	s_add_co_ci_u32 s21, s21, s27
	s_mov_b32 s27, s12
	s_mul_u64 s[24:25], s[24:25], s[20:21]
	s_delay_alu instid0(SALU_CYCLE_1)
	s_mul_hi_u32 s31, s20, s25
	s_mul_i32 s30, s20, s25
	s_mul_hi_u32 s26, s20, s24
	s_mul_i32 s28, s21, s24
	s_add_nc_u64 s[26:27], s[26:27], s[30:31]
	s_mul_hi_u32 s13, s21, s24
	s_mul_hi_u32 s33, s21, s25
	s_mul_i32 s24, s21, s25
	s_add_co_u32 s25, s26, s28
	s_wait_alu 0xfffe
	s_add_co_ci_u32 s28, s27, s13
	s_add_co_ci_u32 s25, s33, 0
	s_mov_b32 s27, s12
	s_add_nc_u64 s[24:25], s[28:29], s[24:25]
	s_delay_alu instid0(SALU_CYCLE_1)
	s_add_co_u32 s13, s20, s24
	s_cselect_b32 s20, -1, 0
	s_wait_alu 0xfffe
	s_mul_hi_u32 s26, s2, s13
	s_cmp_lg_u32 s20, 0
	s_mul_hi_u32 s28, s3, s13
	s_add_co_ci_u32 s24, s21, s25
	s_mul_i32 s13, s3, s13
	s_mul_hi_u32 s21, s2, s24
	s_mul_i32 s20, s2, s24
	s_mul_hi_u32 s25, s3, s24
	s_add_nc_u64 s[20:21], s[26:27], s[20:21]
	s_mul_i32 s24, s3, s24
	s_wait_alu 0xfffe
	s_add_co_u32 s13, s20, s13
	s_add_co_ci_u32 s28, s21, s28
	s_add_co_ci_u32 s25, s25, 0
	s_delay_alu instid0(SALU_CYCLE_1) | instskip(NEXT) | instid1(SALU_CYCLE_1)
	s_add_nc_u64 s[20:21], s[28:29], s[24:25]
	s_mul_u64 s[24:25], s[18:19], s[20:21]
	s_delay_alu instid0(SALU_CYCLE_1)
	s_sub_co_u32 s13, s2, s24
	s_cselect_b32 s24, -1, 0
	s_sub_co_i32 s26, s3, s25
	s_cmp_lg_u32 s24, 0
	s_sub_co_ci_u32 s26, s26, s19
	s_wait_alu 0xfffe
	s_sub_co_u32 s27, s13, s18
	s_cselect_b32 s28, -1, 0
	s_delay_alu instid0(SALU_CYCLE_1) | instskip(SKIP_1) | instid1(SALU_CYCLE_1)
	s_cmp_lg_u32 s28, 0
	s_sub_co_ci_u32 s26, s26, 0
	s_cmp_ge_u32 s26, s19
	s_cselect_b32 s28, -1, 0
	s_cmp_ge_u32 s27, s18
	s_cselect_b32 s29, -1, 0
	s_cmp_eq_u32 s26, s19
	s_add_nc_u64 s[26:27], s[20:21], 1
	s_cselect_b32 s30, s29, s28
	s_add_nc_u64 s[28:29], s[20:21], 2
	s_cmp_lg_u32 s30, 0
	s_cselect_b32 s26, s28, s26
	s_cselect_b32 s27, s29, s27
	s_cmp_lg_u32 s24, 0
	s_sub_co_ci_u32 s24, s3, s25
	s_delay_alu instid0(SALU_CYCLE_1)
	s_cmp_ge_u32 s24, s19
	s_cselect_b32 s25, -1, 0
	s_cmp_ge_u32 s13, s18
	s_cselect_b32 s13, -1, 0
	s_cmp_eq_u32 s24, s19
	s_wait_alu 0xfffe
	s_cselect_b32 s13, s13, s25
	s_wait_alu 0xfffe
	s_cmp_lg_u32 s13, 0
	s_mov_b32 s13, 0
	s_cselect_b32 s21, s27, s21
	s_cselect_b32 s20, s26, s20
.LBB238_13:                             ;   in Loop: Header=BB238_11 Depth=1
	s_wait_alu 0xfffe
	s_and_not1_b32 vcc_lo, exec_lo, s13
	s_cbranch_vccnz .LBB238_15
; %bb.14:                               ;   in Loop: Header=BB238_11 Depth=1
	v_cvt_f32_u32_e32 v1, s18
	s_sub_co_i32 s20, 0, s18
	s_delay_alu instid0(VALU_DEP_1) | instskip(NEXT) | instid1(TRANS32_DEP_1)
	v_rcp_iflag_f32_e32 v1, v1
	v_mul_f32_e32 v1, 0x4f7ffffe, v1
	s_delay_alu instid0(VALU_DEP_1) | instskip(NEXT) | instid1(VALU_DEP_1)
	v_cvt_u32_f32_e32 v1, v1
	v_readfirstlane_b32 s13, v1
	s_mul_i32 s20, s20, s13
	s_delay_alu instid0(SALU_CYCLE_1) | instskip(NEXT) | instid1(SALU_CYCLE_1)
	s_mul_hi_u32 s20, s13, s20
	s_add_co_i32 s13, s13, s20
	s_wait_alu 0xfffe
	s_mul_hi_u32 s13, s2, s13
	s_wait_alu 0xfffe
	s_mul_i32 s20, s13, s18
	s_add_co_i32 s21, s13, 1
	s_sub_co_i32 s20, s2, s20
	s_delay_alu instid0(SALU_CYCLE_1)
	s_sub_co_i32 s24, s20, s18
	s_cmp_ge_u32 s20, s18
	s_cselect_b32 s13, s21, s13
	s_cselect_b32 s20, s24, s20
	s_wait_alu 0xfffe
	s_add_co_i32 s21, s13, 1
	s_cmp_ge_u32 s20, s18
	s_cselect_b32 s20, s21, s13
	s_mov_b32 s21, s12
.LBB238_15:                             ;   in Loop: Header=BB238_11 Depth=1
	s_load_b64 s[24:25], s[16:17], 0xc8
	s_mul_u64 s[18:19], s[20:21], s[18:19]
	s_add_co_i32 s7, s7, -1
	s_wait_alu 0xfffe
	s_sub_nc_u64 s[2:3], s[2:3], s[18:19]
	s_cmp_gt_u32 s7, 2
	s_add_nc_u64 s[16:17], s[16:17], -8
	s_wait_kmcnt 0x0
	s_wait_alu 0xfffe
	s_mul_u64 s[2:3], s[24:25], s[2:3]
	s_wait_alu 0xfffe
	s_add_nc_u64 s[8:9], s[2:3], s[8:9]
	s_cbranch_scc0 .LBB238_18
; %bb.16:                               ;   in Loop: Header=BB238_11 Depth=1
	s_mov_b64 s[2:3], s[20:21]
	s_branch .LBB238_11
.LBB238_17:
	s_mov_b64 s[20:21], s[2:3]
.LBB238_18:
	s_clause 0x2
	s_load_b64 s[2:3], s[0:1], 0xd0
	s_load_b32 s7, s[0:1], 0x360
	s_load_b64 s[12:13], s[0:1], 0x0
	v_and_b32_e32 v17, 0x3ff, v0
	s_wait_kmcnt 0x0
	s_mul_u64 s[2:3], s[2:3], s[10:11]
	s_bitcmp1_b32 s7, 0
	s_mov_b32 s10, 0xffff
	s_cselect_b32 s7, -1, 0
	s_delay_alu instid0(SALU_CYCLE_1)
	s_and_b32 s11, s7, exec_lo
	s_cselect_b32 s16, s10, 0x7fff
	s_wait_alu 0xfffe
	s_lshl_b64 s[10:11], s[2:3], 1
	v_cmp_gt_u32_e64 s2, s6, v17
	v_mov_b32_e32 v1, s16
	s_add_nc_u64 s[10:11], s[12:13], s[10:11]
	s_lshl_b64 s[4:5], s[4:5], 1
	s_wait_alu 0xfffe
	s_add_nc_u64 s[18:19], s[10:11], s[4:5]
	s_and_saveexec_b32 s3, s2
	s_cbranch_execz .LBB238_20
; %bb.19:
	v_mad_co_u64_u32 v[1:2], null, s14, v17, 0
	s_delay_alu instid0(VALU_DEP_1) | instskip(NEXT) | instid1(VALU_DEP_1)
	v_mad_co_u64_u32 v[2:3], null, s15, v17, v[2:3]
	v_lshlrev_b64_e32 v[1:2], 1, v[1:2]
	s_wait_alu 0xfffe
	s_delay_alu instid0(VALU_DEP_1) | instskip(NEXT) | instid1(VALU_DEP_1)
	v_add_co_u32 v1, vcc_lo, s18, v1
	v_add_co_ci_u32_e64 v2, null, s19, v2, vcc_lo
	global_load_u16 v1, v[1:2], off
.LBB238_20:
	s_wait_alu 0xfffe
	s_or_b32 exec_lo, exec_lo, s3
	v_dual_mov_b32 v2, s16 :: v_dual_add_nc_u32 v9, 32, v17
	s_delay_alu instid0(VALU_DEP_1)
	v_cmp_gt_u32_e64 s3, s6, v9
	s_and_saveexec_b32 s4, s3
	s_cbranch_execz .LBB238_22
; %bb.21:
	v_mad_co_u64_u32 v[2:3], null, s14, v9, 0
	s_delay_alu instid0(VALU_DEP_1) | instskip(NEXT) | instid1(VALU_DEP_1)
	v_mad_co_u64_u32 v[3:4], null, s15, v9, v[3:4]
	v_lshlrev_b64_e32 v[2:3], 1, v[2:3]
	s_delay_alu instid0(VALU_DEP_1) | instskip(SKIP_1) | instid1(VALU_DEP_2)
	v_add_co_u32 v2, vcc_lo, s18, v2
	s_wait_alu 0xfffd
	v_add_co_ci_u32_e64 v3, null, s19, v3, vcc_lo
	global_load_u16 v2, v[2:3], off
.LBB238_22:
	s_wait_alu 0xfffe
	s_or_b32 exec_lo, exec_lo, s4
	v_dual_mov_b32 v3, s16 :: v_dual_add_nc_u32 v10, 64, v17
	s_delay_alu instid0(VALU_DEP_1)
	v_cmp_gt_u32_e64 s4, s6, v10
	s_and_saveexec_b32 s5, s4
	s_cbranch_execz .LBB238_24
; %bb.23:
	v_mad_co_u64_u32 v[3:4], null, s14, v10, 0
	s_delay_alu instid0(VALU_DEP_1) | instskip(NEXT) | instid1(VALU_DEP_1)
	v_mad_co_u64_u32 v[4:5], null, s15, v10, v[4:5]
	v_lshlrev_b64_e32 v[3:4], 1, v[3:4]
	s_delay_alu instid0(VALU_DEP_1) | instskip(SKIP_1) | instid1(VALU_DEP_2)
	v_add_co_u32 v3, vcc_lo, s18, v3
	s_wait_alu 0xfffd
	v_add_co_ci_u32_e64 v4, null, s19, v4, vcc_lo
	global_load_u16 v3, v[3:4], off
.LBB238_24:
	s_wait_alu 0xfffe
	s_or_b32 exec_lo, exec_lo, s5
	s_clause 0x1
	s_load_b64 s[12:13], s[0:1], 0x288
	s_load_b64 s[10:11], s[0:1], 0x1b8
	v_dual_mov_b32 v4, s16 :: v_dual_add_nc_u32 v11, 0x60, v17
	s_delay_alu instid0(VALU_DEP_1)
	v_cmp_gt_u32_e64 s5, s6, v11
	s_and_saveexec_b32 s6, s5
	s_cbranch_execz .LBB238_26
; %bb.25:
	v_mad_co_u64_u32 v[4:5], null, s14, v11, 0
	s_delay_alu instid0(VALU_DEP_1) | instskip(NEXT) | instid1(VALU_DEP_1)
	v_mad_co_u64_u32 v[5:6], null, s15, v11, v[5:6]
	v_lshlrev_b64_e32 v[4:5], 1, v[4:5]
	s_delay_alu instid0(VALU_DEP_1) | instskip(SKIP_1) | instid1(VALU_DEP_2)
	v_add_co_u32 v4, vcc_lo, s18, v4
	s_wait_alu 0xfffd
	v_add_co_ci_u32_e64 v5, null, s19, v5, vcc_lo
	global_load_u16 v4, v[4:5], off
.LBB238_26:
	s_wait_alu 0xfffe
	s_or_b32 exec_lo, exec_lo, s6
	v_lshrrev_b32_e32 v5, 4, v17
	v_lshrrev_b32_e32 v6, 4, v9
	;; [unrolled: 1-line block ×3, first 2 shown]
	v_lshlrev_b32_e32 v12, 1, v17
	v_lshrrev_b32_e32 v13, 2, v17
	v_and_b32_e32 v5, 60, v5
	v_lshrrev_b32_e32 v8, 4, v11
	v_and_b32_e32 v6, 0x7c, v6
	v_and_b32_e32 v7, 0x7c, v7
	s_load_b64 s[16:17], s[0:1], 0x358
	v_add_nc_u32_e32 v28, v5, v12
	v_and_b32_e32 v5, 0xfc, v13
	v_and_b32_e32 v8, 0x7c, v8
	v_add_nc_u32_e32 v29, v6, v12
	s_wait_kmcnt 0x0
	s_mul_u64 s[0:1], s[12:13], s[20:21]
	s_wait_loadcnt 0x0
	ds_store_b16 v28, v1
	ds_store_b16 v29, v2 offset:64
	v_lshl_add_u32 v32, v17, 3, v5
	v_dual_mov_b32 v1, 0 :: v_dual_add_nc_u32 v30, v7, v12
	v_add_nc_u32_e32 v31, v8, v12
	ds_store_b16 v30, v3 offset:128
	ds_store_b16 v31, v4 offset:192
	s_wait_dscnt 0x0
	; wave barrier
	global_inv scope:SCOPE_SE
	ds_load_2addr_b32 v[18:19], v32 offset1:1
	s_lshl_b64 s[0:1], s[0:1], 3
	v_dual_mov_b32 v3, 0 :: v_dual_mov_b32 v2, 0
	v_mov_b32_e32 v4, 0
	s_add_nc_u64 s[0:1], s[10:11], s[0:1]
	s_lshl_b64 s[8:9], s[8:9], 3
	s_wait_loadcnt_dscnt 0x0
	s_wait_alu 0xfffe
	s_add_nc_u64 s[20:21], s[0:1], s[8:9]
	; wave barrier
	global_inv scope:SCOPE_SE
	s_and_saveexec_b32 s0, s2
	s_cbranch_execz .LBB238_28
; %bb.27:
	v_mad_co_u64_u32 v[3:4], null, s16, v17, 0
	s_delay_alu instid0(VALU_DEP_1) | instskip(NEXT) | instid1(VALU_DEP_1)
	v_mad_co_u64_u32 v[4:5], null, s17, v17, v[4:5]
	v_lshlrev_b64_e32 v[3:4], 3, v[3:4]
	s_delay_alu instid0(VALU_DEP_1) | instskip(SKIP_1) | instid1(VALU_DEP_2)
	v_add_co_u32 v3, vcc_lo, s20, v3
	s_wait_alu 0xfffd
	v_add_co_ci_u32_e64 v4, null, s21, v4, vcc_lo
	global_load_b64 v[3:4], v[3:4], off
.LBB238_28:
	s_or_b32 exec_lo, exec_lo, s0
	s_and_saveexec_b32 s0, s3
	s_cbranch_execz .LBB238_30
; %bb.29:
	v_mad_co_u64_u32 v[1:2], null, s16, v9, 0
	s_wait_loadcnt 0x0
	s_delay_alu instid0(VALU_DEP_1) | instskip(NEXT) | instid1(VALU_DEP_1)
	v_mad_co_u64_u32 v[5:6], null, s17, v9, v[2:3]
	v_mov_b32_e32 v2, v5
	s_delay_alu instid0(VALU_DEP_1) | instskip(NEXT) | instid1(VALU_DEP_1)
	v_lshlrev_b64_e32 v[1:2], 3, v[1:2]
	v_add_co_u32 v1, vcc_lo, s20, v1
	s_wait_alu 0xfffd
	s_delay_alu instid0(VALU_DEP_2)
	v_add_co_ci_u32_e64 v2, null, s21, v2, vcc_lo
	global_load_b64 v[1:2], v[1:2], off
.LBB238_30:
	s_or_b32 exec_lo, exec_lo, s0
	v_mov_b32_e32 v5, 0
	v_dual_mov_b32 v6, 0 :: v_dual_mov_b32 v7, 0
	v_mov_b32_e32 v8, 0
	s_and_saveexec_b32 s0, s4
	s_cbranch_execz .LBB238_32
; %bb.31:
	v_mad_co_u64_u32 v[7:8], null, s16, v10, 0
	s_delay_alu instid0(VALU_DEP_1) | instskip(NEXT) | instid1(VALU_DEP_1)
	v_mad_co_u64_u32 v[12:13], null, s17, v10, v[8:9]
	v_mov_b32_e32 v8, v12
	s_delay_alu instid0(VALU_DEP_1) | instskip(NEXT) | instid1(VALU_DEP_1)
	v_lshlrev_b64_e32 v[7:8], 3, v[7:8]
	v_add_co_u32 v7, vcc_lo, s20, v7
	s_wait_alu 0xfffd
	s_delay_alu instid0(VALU_DEP_2)
	v_add_co_ci_u32_e64 v8, null, s21, v8, vcc_lo
	global_load_b64 v[7:8], v[7:8], off
.LBB238_32:
	s_or_b32 exec_lo, exec_lo, s0
	v_lshrrev_b32_e32 v12, 5, v17
	v_lshrrev_b32_e32 v9, 5, v9
	;; [unrolled: 1-line block ×4, first 2 shown]
	v_lshlrev_b32_e32 v39, 2, v17
	v_lshrrev_b32_e32 v14, 3, v17
	s_xor_b32 s6, s7, -1
	s_and_saveexec_b32 s0, s5
	s_cbranch_execz .LBB238_34
; %bb.33:
	v_mad_co_u64_u32 v[5:6], null, s16, v11, 0
	s_wait_loadcnt 0x0
	s_delay_alu instid0(VALU_DEP_1) | instskip(NEXT) | instid1(VALU_DEP_1)
	v_mad_co_u64_u32 v[15:16], null, s17, v11, v[6:7]
	v_mov_b32_e32 v6, v15
	s_delay_alu instid0(VALU_DEP_1) | instskip(NEXT) | instid1(VALU_DEP_1)
	v_lshlrev_b64_e32 v[5:6], 3, v[5:6]
	v_add_co_u32 v5, vcc_lo, s20, v5
	s_wait_alu 0xfffd
	s_delay_alu instid0(VALU_DEP_2)
	v_add_co_ci_u32_e64 v6, null, s21, v6, vcc_lo
	global_load_b64 v[5:6], v[5:6], off
.LBB238_34:
	s_or_b32 exec_lo, exec_lo, s0
	v_lshlrev_b32_e32 v11, 3, v17
	v_lshlrev_b32_e32 v38, 3, v39
	v_mbcnt_lo_u32_b32 v42, -1, 0
	v_lshrrev_b32_e32 v46, 16, v18
	v_lshrrev_b32_e32 v45, 16, v19
	v_lshl_add_u32 v33, v12, 3, v11
	v_lshl_add_u32 v37, v14, 3, v38
	;; [unrolled: 1-line block ×5, first 2 shown]
	s_wait_loadcnt 0x0
	ds_store_b64 v33, v[3:4]
	ds_store_b64 v34, v[1:2] offset:256
	ds_store_b64 v35, v[7:8] offset:512
	;; [unrolled: 1-line block ×3, first 2 shown]
	s_wait_dscnt 0x0
	; wave barrier
	global_inv scope:SCOPE_SE
	ds_load_2addr_b64 v[5:8], v37 offset1:1
	ds_load_2addr_b64 v[1:4], v37 offset0:2 offset1:3
	v_and_b32_e32 v41, 3, v42
	v_and_b32_e32 v43, 28, v42
	s_wait_alu 0xfffe
	s_and_b32 vcc_lo, exec_lo, s6
	v_bfe_u32 v44, v0, 10, 10
	v_bfe_u32 v0, v0, 20, 10
	v_cmp_eq_u32_e64 s1, 1, v41
	v_cmp_eq_u32_e64 s0, 2, v41
	;; [unrolled: 1-line block ×3, first 2 shown]
	v_lshlrev_b32_e32 v40, 5, v17
	s_mov_b32 s7, -1
	; wave barrier
	s_wait_loadcnt_dscnt 0x0
	global_inv scope:SCOPE_SE
                                        ; implicit-def: $vgpr14
                                        ; implicit-def: $vgpr13
	s_wait_alu 0xfffe
	s_cbranch_vccz .LBB238_56
; %bb.35:
	v_cmp_lt_i16_e32 vcc_lo, -1, v18
	s_getpc_b64 s[8:9]
	s_wait_alu 0xfffe
	s_sext_i32_i16 s9, s9
	s_add_co_u32 s8, s8, _ZN7rocprim17ROCPRIM_400000_NS16block_radix_sortI6__halfLj32ELj4ElLj1ELj1ELj0ELNS0_26block_radix_rank_algorithmE1ELNS0_18block_padding_hintE2ELNS0_4arch9wavefront6targetE0EE19radix_bits_per_passE@rel32@lo+12
	s_wait_alu 0xfffe
	s_add_co_ci_u32 s9, s9, _ZN7rocprim17ROCPRIM_400000_NS16block_radix_sortI6__halfLj32ELj4ElLj1ELj1ELj0ELNS0_26block_radix_rank_algorithmE1ELNS0_18block_padding_hintE2ELNS0_4arch9wavefront6targetE0EE19radix_bits_per_passE@rel32@hi+24
	s_wait_loadcnt 0x0
	s_load_b32 s13, s[8:9], 0x0
	; wave barrier
	global_inv scope:SCOPE_SE
	v_cndmask_b32_e64 v9, -1, 0xffff8000, vcc_lo
	v_cmp_lt_i16_e32 vcc_lo, -1, v46
	s_load_b32 s9, s[22:23], 0xc
	ds_bpermute_b32 v54, v43, v5
	ds_bpermute_b32 v27, v43, v6
	v_xor_b32_e32 v9, v9, v18
	v_cndmask_b32_e64 v10, -1, 0xffff8000, vcc_lo
	v_cmp_lt_i16_e32 vcc_lo, -1, v19
	ds_bpermute_b32 v47, v43, v7
	ds_bpermute_b32 v24, v43, v8
	v_and_b32_e32 v9, 0xffff, v9
	v_xor_b32_e32 v10, v10, v46
	s_wait_alu 0xfffd
	v_cndmask_b32_e64 v11, -1, 0xffff8000, vcc_lo
	v_cmp_lt_i16_e32 vcc_lo, -1, v45
	ds_bpermute_b32 v25, v43, v1
	ds_bpermute_b32 v13, v43, v9
	v_dual_mov_b32 v81, 0 :: v_dual_and_b32 v10, 0xffff, v10
	s_wait_alu 0xfffd
	v_cndmask_b32_e64 v12, -1, 0xffff8000, vcc_lo
	v_xor_b32_e32 v11, v11, v19
	s_wait_kmcnt 0x0
	s_min_u32 s7, s13, 16
	ds_bpermute_b32 v14, v43, v10
	s_wait_alu 0xfffe
	s_lshl_b32 s7, -1, s7
	v_xor_b32_e32 v12, v12, v45
	v_and_b32_e32 v11, 0xffff, v11
	s_wait_alu 0xfffe
	s_not_b32 s8, s7
	ds_bpermute_b32 v21, v43, v2
	ds_bpermute_b32 v22, v43, v3
	v_and_b32_e32 v12, 0xffff, v12
	ds_bpermute_b32 v15, v43, v11
	ds_bpermute_b32 v23, v43, v4
	ds_bpermute_b32 v61, v43, v5 offset:32
	ds_bpermute_b32 v62, v43, v6 offset:32
	ds_bpermute_b32 v16, v43, v12
	ds_bpermute_b32 v53, v43, v7 offset:32
	ds_bpermute_b32 v55, v43, v8 offset:32
	;; [unrolled: 1-line block ×7, first 2 shown]
	s_wait_dscnt 0xe
	v_cndmask_b32_e64 v13, v13, v14, s1
	ds_bpermute_b32 v64, v43, v6 offset:64
	ds_bpermute_b32 v58, v43, v7 offset:64
	;; [unrolled: 1-line block ×7, first 2 shown]
	s_wait_dscnt 0x12
	v_cndmask_b32_e64 v13, v13, v15, s0
	ds_bpermute_b32 v65, v43, v5 offset:96
	ds_bpermute_b32 v66, v43, v9 offset:32
	;; [unrolled: 1-line block ×4, first 2 shown]
	s_wait_dscnt 0x12
	v_cndmask_b32_e64 v60, v13, v16, s6
	ds_bpermute_b32 v78, v43, v12 offset:32
	ds_bpermute_b32 v14, v43, v10 offset:64
	;; [unrolled: 1-line block ×4, first 2 shown]
	v_and_b32_e32 v13, 0xffff, v60
	v_cmp_ne_u16_e32 vcc_lo, 0x7fff, v60
	ds_bpermute_b32 v12, v43, v12 offset:96
	ds_store_2addr_b32 v40, v81, v81 offset0:1 offset1:2
	ds_store_2addr_b32 v40, v81, v81 offset0:3 offset1:4
	;; [unrolled: 1-line block ×4, first 2 shown]
	; wave barrier
	s_wait_loadcnt_dscnt 0x0
	global_inv scope:SCOPE_SE
	s_wait_alu 0xfffd
	v_cndmask_b32_e32 v13, 0x8000, v13, vcc_lo
	; wave barrier
	s_wait_alu 0xfffe
	s_delay_alu instid0(VALU_DEP_1)
	v_and_b32_e32 v76, s8, v13
	ds_bpermute_b32 v13, v43, v9 offset:64
	ds_bpermute_b32 v9, v43, v9 offset:96
	v_and_b32_e32 v15, 1, v76
	v_lshlrev_b32_e32 v20, 30, v76
	v_lshlrev_b32_e32 v70, 28, v76
	s_delay_alu instid0(VALU_DEP_3)
	v_add_co_u32 v67, s7, v15, -1
	s_wait_alu 0xf1ff
	v_cndmask_b32_e64 v68, 0, 1, s7
	v_not_b32_e32 v69, v20
	v_cmp_gt_i32_e64 s7, 0, v20
	ds_bpermute_b32 v15, v43, v11 offset:64
	ds_bpermute_b32 v11, v43, v11 offset:96
	v_cmp_ne_u32_e32 vcc_lo, 0, v68
	v_lshlrev_b32_e32 v68, 29, v76
	v_ashrrev_i32_e32 v20, 31, v69
	s_wait_alu 0xfffd
	v_xor_b32_e32 v67, vcc_lo, v67
	s_delay_alu instid0(VALU_DEP_3)
	v_not_b32_e32 v69, v68
	s_wait_alu 0xf1ff
	v_xor_b32_e32 v20, s7, v20
	v_cmp_gt_i32_e32 vcc_lo, 0, v68
	s_lshr_b32 s7, s9, 16
	v_and_b32_e32 v67, exec_lo, v67
	v_ashrrev_i32_e32 v68, 31, v69
	v_not_b32_e32 v69, v70
	s_wait_alu 0xfffe
	v_mad_u32_u24 v73, v0, s7, v44
	s_and_b32 s9, s9, 0xffff
	v_and_b32_e32 v20, v67, v20
	v_lshlrev_b32_e32 v67, 27, v76
	s_wait_alu 0xfffd
	v_xor_b32_e32 v68, vcc_lo, v68
	v_cmp_gt_i32_e32 vcc_lo, 0, v70
	v_ashrrev_i32_e32 v70, 31, v69
	s_wait_alu 0xfffe
	v_mad_co_u64_u32 v[79:80], null, v73, s9, v[17:18]
	v_not_b32_e32 v71, v67
	v_and_b32_e32 v20, v20, v68
	v_lshlrev_b32_e32 v68, 26, v76
	s_wait_alu 0xfffd
	v_xor_b32_e32 v70, vcc_lo, v70
	v_cmp_gt_i32_e32 vcc_lo, 0, v67
	v_ashrrev_i32_e32 v71, 31, v71
	ds_bpermute_b32 v69, v43, v6 offset:96
	v_not_b32_e32 v72, v68
	v_and_b32_e32 v20, v20, v70
	v_lshlrev_b32_e32 v70, 25, v76
	s_wait_alu 0xfffd
	v_xor_b32_e32 v71, vcc_lo, v71
	v_cmp_gt_i32_e32 vcc_lo, 0, v68
	v_ashrrev_i32_e32 v68, 31, v72
	ds_bpermute_b32 v67, v43, v7 offset:96
	;; [unrolled: 8-line block ×3, first 2 shown]
	v_not_b32_e32 v72, v71
	v_and_b32_e32 v20, v20, v68
	v_lshrrev_b32_e32 v80, 5, v79
	s_wait_alu 0xfffd
	v_xor_b32_e32 v68, vcc_lo, v70
	v_cmp_gt_i32_e32 vcc_lo, 0, v71
	v_ashrrev_i32_e32 v70, 31, v72
	ds_bpermute_b32 v71, v43, v1 offset:96
	ds_bpermute_b32 v72, v43, v2 offset:96
	v_and_b32_e32 v20, v20, v68
	ds_bpermute_b32 v68, v43, v3 offset:96
	s_wait_alu 0xfffd
	v_xor_b32_e32 v74, vcc_lo, v70
	ds_bpermute_b32 v70, v43, v4 offset:96
	v_and_b32_e32 v79, v20, v74
	v_lshlrev_b32_e32 v20, 2, v80
	s_delay_alu instid0(VALU_DEP_2) | instskip(SKIP_1) | instid1(VALU_DEP_3)
	v_mbcnt_lo_u32_b32 v74, v79, 0
	v_cmp_ne_u32_e64 s7, 0, v79
	v_lshl_add_u32 v76, v76, 2, v20
	s_delay_alu instid0(VALU_DEP_3)
	v_cmp_eq_u32_e32 vcc_lo, 0, v74
	s_and_b32 s9, s7, vcc_lo
	s_wait_alu 0xfffe
	s_and_saveexec_b32 s7, s9
; %bb.36:
	v_bcnt_u32_b32 v79, v79, 0
	ds_store_b32 v76, v79 offset:4
; %bb.37:
	s_wait_alu 0xfffe
	s_or_b32 exec_lo, exec_lo, s7
	v_cndmask_b32_e64 v66, v66, v75, s1
	; wave barrier
	s_delay_alu instid0(VALU_DEP_1) | instskip(NEXT) | instid1(VALU_DEP_1)
	v_cndmask_b32_e64 v66, v66, v77, s0
	v_cndmask_b32_e64 v75, v66, v78, s6
	s_delay_alu instid0(VALU_DEP_1) | instskip(SKIP_2) | instid1(VALU_DEP_2)
	v_and_b32_e32 v66, 0xffff, v75
	v_cmp_ne_u16_e32 vcc_lo, 0x7fff, v75
	s_wait_alu 0xfffd
	v_cndmask_b32_e32 v66, 0x8000, v66, vcc_lo
	s_delay_alu instid0(VALU_DEP_1) | instskip(NEXT) | instid1(VALU_DEP_1)
	v_and_b32_e32 v66, s8, v66
	v_and_b32_e32 v77, 1, v66
	v_lshlrev_b32_e32 v78, 30, v66
	v_lshlrev_b32_e32 v79, 29, v66
	;; [unrolled: 1-line block ×4, first 2 shown]
	v_add_co_u32 v77, s7, v77, -1
	s_wait_alu 0xf1ff
	v_cndmask_b32_e64 v81, 0, 1, s7
	v_not_b32_e32 v85, v78
	v_cmp_gt_i32_e64 s7, 0, v78
	v_not_b32_e32 v78, v79
	v_lshlrev_b32_e32 v83, 26, v66
	v_cmp_ne_u32_e32 vcc_lo, 0, v81
	v_ashrrev_i32_e32 v85, 31, v85
	v_lshlrev_b32_e32 v84, 25, v66
	v_ashrrev_i32_e32 v78, 31, v78
	v_lshlrev_b32_e32 v81, 24, v66
	s_wait_alu 0xfffd
	v_xor_b32_e32 v77, vcc_lo, v77
	v_cmp_gt_i32_e32 vcc_lo, 0, v79
	v_not_b32_e32 v79, v80
	s_wait_alu 0xf1ff
	v_xor_b32_e32 v85, s7, v85
	v_cmp_gt_i32_e64 s7, 0, v80
	v_and_b32_e32 v77, exec_lo, v77
	v_not_b32_e32 v80, v82
	v_ashrrev_i32_e32 v79, 31, v79
	s_wait_alu 0xfffd
	v_xor_b32_e32 v78, vcc_lo, v78
	v_cmp_gt_i32_e32 vcc_lo, 0, v82
	v_and_b32_e32 v77, v77, v85
	v_not_b32_e32 v82, v83
	v_ashrrev_i32_e32 v80, 31, v80
	s_wait_alu 0xf1ff
	v_xor_b32_e32 v79, s7, v79
	v_cmp_gt_i32_e64 s7, 0, v83
	v_and_b32_e32 v77, v77, v78
	v_not_b32_e32 v78, v84
	v_ashrrev_i32_e32 v82, 31, v82
	s_wait_alu 0xfffd
	v_xor_b32_e32 v80, vcc_lo, v80
	v_cmp_gt_i32_e32 vcc_lo, 0, v84
	v_and_b32_e32 v77, v77, v79
	v_not_b32_e32 v79, v81
	v_ashrrev_i32_e32 v78, 31, v78
	s_wait_alu 0xf1ff
	v_xor_b32_e32 v82, s7, v82
	v_cmp_gt_i32_e64 s7, 0, v81
	v_and_b32_e32 v77, v77, v80
	v_ashrrev_i32_e32 v79, 31, v79
	s_wait_alu 0xfffd
	v_xor_b32_e32 v78, vcc_lo, v78
	v_lshl_add_u32 v80, v66, 2, v20
	v_and_b32_e32 v77, v77, v82
	s_wait_alu 0xf1ff
	v_xor_b32_e32 v66, s7, v79
	s_delay_alu instid0(VALU_DEP_2) | instskip(SKIP_2) | instid1(VALU_DEP_1)
	v_and_b32_e32 v78, v77, v78
	ds_load_b32 v77, v80 offset:4
	; wave barrier
	v_and_b32_e32 v66, v78, v66
	v_mbcnt_lo_u32_b32 v78, v66, 0
	v_cmp_ne_u32_e64 s7, 0, v66
	s_delay_alu instid0(VALU_DEP_2)
	v_cmp_eq_u32_e32 vcc_lo, 0, v78
	s_and_b32 s9, s7, vcc_lo
	s_wait_alu 0xfffe
	s_and_saveexec_b32 s7, s9
	s_cbranch_execz .LBB238_39
; %bb.38:
	s_wait_dscnt 0x0
	v_bcnt_u32_b32 v66, v66, v77
	ds_store_b32 v80, v66 offset:4
.LBB238_39:
	s_wait_alu 0xfffe
	s_or_b32 exec_lo, exec_lo, s7
	s_wait_dscnt 0xb
	v_cndmask_b32_e64 v13, v13, v14, s1
	; wave barrier
	s_wait_dscnt 0x9
	s_delay_alu instid0(VALU_DEP_1) | instskip(NEXT) | instid1(VALU_DEP_1)
	v_cndmask_b32_e64 v13, v13, v15, s0
	v_cndmask_b32_e64 v79, v13, v16, s6
	s_delay_alu instid0(VALU_DEP_1) | instskip(SKIP_2) | instid1(VALU_DEP_2)
	v_and_b32_e32 v13, 0xffff, v79
	v_cmp_ne_u16_e32 vcc_lo, 0x7fff, v79
	s_wait_alu 0xfffd
	v_cndmask_b32_e32 v13, 0x8000, v13, vcc_lo
	s_delay_alu instid0(VALU_DEP_1) | instskip(NEXT) | instid1(VALU_DEP_1)
	v_and_b32_e32 v13, s8, v13
	v_and_b32_e32 v14, 1, v13
	v_lshlrev_b32_e32 v15, 30, v13
	v_lshlrev_b32_e32 v16, 29, v13
	;; [unrolled: 1-line block ×4, first 2 shown]
	v_add_co_u32 v14, s7, v14, -1
	s_wait_alu 0xf1ff
	v_cndmask_b32_e64 v81, 0, 1, s7
	v_not_b32_e32 v85, v15
	v_cmp_gt_i32_e64 s7, 0, v15
	v_not_b32_e32 v15, v16
	v_lshlrev_b32_e32 v83, 26, v13
	v_cmp_ne_u32_e32 vcc_lo, 0, v81
	v_ashrrev_i32_e32 v85, 31, v85
	v_lshlrev_b32_e32 v84, 25, v13
	v_ashrrev_i32_e32 v15, 31, v15
	v_lshlrev_b32_e32 v81, 24, v13
	s_wait_alu 0xfffd
	v_xor_b32_e32 v14, vcc_lo, v14
	v_cmp_gt_i32_e32 vcc_lo, 0, v16
	v_not_b32_e32 v16, v66
	s_wait_alu 0xf1ff
	v_xor_b32_e32 v85, s7, v85
	v_cmp_gt_i32_e64 s7, 0, v66
	v_and_b32_e32 v14, exec_lo, v14
	v_not_b32_e32 v66, v82
	v_ashrrev_i32_e32 v16, 31, v16
	s_wait_alu 0xfffd
	v_xor_b32_e32 v15, vcc_lo, v15
	v_cmp_gt_i32_e32 vcc_lo, 0, v82
	v_and_b32_e32 v14, v14, v85
	v_not_b32_e32 v82, v83
	v_ashrrev_i32_e32 v66, 31, v66
	s_wait_alu 0xf1ff
	v_xor_b32_e32 v16, s7, v16
	v_cmp_gt_i32_e64 s7, 0, v83
	v_and_b32_e32 v14, v14, v15
	v_not_b32_e32 v15, v84
	v_ashrrev_i32_e32 v82, 31, v82
	s_wait_alu 0xfffd
	v_xor_b32_e32 v66, vcc_lo, v66
	v_cmp_gt_i32_e32 vcc_lo, 0, v84
	v_and_b32_e32 v14, v14, v16
	v_not_b32_e32 v16, v81
	v_ashrrev_i32_e32 v15, 31, v15
	s_wait_alu 0xf1ff
	v_xor_b32_e32 v82, s7, v82
	v_cmp_gt_i32_e64 s7, 0, v81
	v_and_b32_e32 v14, v14, v66
	v_ashrrev_i32_e32 v16, 31, v16
	s_wait_alu 0xfffd
	v_xor_b32_e32 v15, vcc_lo, v15
	v_lshl_add_u32 v84, v13, 2, v20
	v_and_b32_e32 v14, v14, v82
	s_wait_alu 0xf1ff
	v_xor_b32_e32 v13, s7, v16
	ds_load_b32 v81, v84 offset:4
	v_and_b32_e32 v14, v14, v15
	; wave barrier
	s_delay_alu instid0(VALU_DEP_1) | instskip(NEXT) | instid1(VALU_DEP_1)
	v_and_b32_e32 v13, v14, v13
	v_mbcnt_lo_u32_b32 v82, v13, 0
	v_cmp_ne_u32_e64 s7, 0, v13
	s_delay_alu instid0(VALU_DEP_2)
	v_cmp_eq_u32_e32 vcc_lo, 0, v82
	s_and_b32 s9, s7, vcc_lo
	s_wait_alu 0xfffe
	s_and_saveexec_b32 s7, s9
	s_cbranch_execz .LBB238_41
; %bb.40:
	s_wait_dscnt 0x0
	v_bcnt_u32_b32 v13, v13, v81
	ds_store_b32 v84, v13 offset:4
.LBB238_41:
	s_wait_alu 0xfffe
	s_or_b32 exec_lo, exec_lo, s7
	v_cndmask_b32_e64 v9, v9, v10, s1
	; wave barrier
	v_and_or_b32 v88, 0xf80, v39, v42
	s_wait_dscnt 0x9
	s_delay_alu instid0(VALU_DEP_2) | instskip(NEXT) | instid1(VALU_DEP_1)
	v_cndmask_b32_e64 v9, v9, v11, s0
	v_cndmask_b32_e64 v83, v9, v12, s6
	s_delay_alu instid0(VALU_DEP_1) | instskip(SKIP_2) | instid1(VALU_DEP_2)
	v_and_b32_e32 v9, 0xffff, v83
	v_cmp_ne_u16_e32 vcc_lo, 0x7fff, v83
	s_wait_alu 0xfffd
	v_cndmask_b32_e32 v9, 0x8000, v9, vcc_lo
	s_delay_alu instid0(VALU_DEP_1) | instskip(NEXT) | instid1(VALU_DEP_1)
	v_and_b32_e32 v9, s8, v9
	v_and_b32_e32 v10, 1, v9
	v_lshlrev_b32_e32 v11, 30, v9
	v_lshlrev_b32_e32 v12, 29, v9
	;; [unrolled: 1-line block ×4, first 2 shown]
	v_add_co_u32 v10, s7, v10, -1
	s_wait_alu 0xf1ff
	v_cndmask_b32_e64 v14, 0, 1, s7
	v_not_b32_e32 v85, v11
	v_cmp_gt_i32_e64 s7, 0, v11
	v_not_b32_e32 v11, v12
	v_lshlrev_b32_e32 v16, 26, v9
	v_cmp_ne_u32_e32 vcc_lo, 0, v14
	v_ashrrev_i32_e32 v85, 31, v85
	v_lshlrev_b32_e32 v66, 25, v9
	v_ashrrev_i32_e32 v11, 31, v11
	v_lshlrev_b32_e32 v14, 24, v9
	s_wait_alu 0xfffd
	v_xor_b32_e32 v10, vcc_lo, v10
	v_cmp_gt_i32_e32 vcc_lo, 0, v12
	v_not_b32_e32 v12, v13
	s_wait_alu 0xf1ff
	v_xor_b32_e32 v85, s7, v85
	v_cmp_gt_i32_e64 s7, 0, v13
	v_and_b32_e32 v10, exec_lo, v10
	v_not_b32_e32 v13, v15
	v_ashrrev_i32_e32 v12, 31, v12
	s_wait_alu 0xfffd
	v_xor_b32_e32 v11, vcc_lo, v11
	v_cmp_gt_i32_e32 vcc_lo, 0, v15
	v_and_b32_e32 v10, v10, v85
	v_not_b32_e32 v15, v16
	v_ashrrev_i32_e32 v13, 31, v13
	s_wait_alu 0xf1ff
	v_xor_b32_e32 v12, s7, v12
	v_cmp_gt_i32_e64 s7, 0, v16
	v_and_b32_e32 v10, v10, v11
	v_not_b32_e32 v11, v66
	v_ashrrev_i32_e32 v15, 31, v15
	s_wait_alu 0xfffd
	v_xor_b32_e32 v13, vcc_lo, v13
	v_cmp_gt_i32_e32 vcc_lo, 0, v66
	v_and_b32_e32 v10, v10, v12
	v_not_b32_e32 v12, v14
	v_ashrrev_i32_e32 v11, 31, v11
	s_wait_alu 0xf1ff
	v_xor_b32_e32 v15, s7, v15
	v_cmp_gt_i32_e64 s7, 0, v14
	v_and_b32_e32 v10, v10, v13
	v_ashrrev_i32_e32 v12, 31, v12
	s_wait_alu 0xfffd
	v_xor_b32_e32 v11, vcc_lo, v11
	v_lshl_add_u32 v87, v9, 2, v20
	v_and_b32_e32 v10, v10, v15
	s_wait_alu 0xf1ff
	v_xor_b32_e32 v9, s7, v12
	ds_load_b32 v85, v87 offset:4
	v_and_b32_e32 v10, v10, v11
	; wave barrier
	s_delay_alu instid0(VALU_DEP_1) | instskip(NEXT) | instid1(VALU_DEP_1)
	v_and_b32_e32 v9, v10, v9
	v_mbcnt_lo_u32_b32 v86, v9, 0
	v_cmp_ne_u32_e64 s7, 0, v9
	s_delay_alu instid0(VALU_DEP_2)
	v_cmp_eq_u32_e32 vcc_lo, 0, v86
	s_and_b32 s8, s7, vcc_lo
	s_wait_alu 0xfffe
	s_and_saveexec_b32 s7, s8
	s_cbranch_execz .LBB238_43
; %bb.42:
	s_wait_dscnt 0x0
	v_bcnt_u32_b32 v9, v9, v85
	ds_store_b32 v87, v9 offset:4
.LBB238_43:
	s_wait_alu 0xfffe
	s_or_b32 exec_lo, exec_lo, s7
	; wave barrier
	; wave barrier
	s_wait_loadcnt_dscnt 0x0
	global_inv scope:SCOPE_SE
	ds_load_2addr_b32 v[15:16], v40 offset0:1 offset1:2
	ds_load_2addr_b32 v[13:14], v40 offset0:3 offset1:4
	;; [unrolled: 1-line block ×4, first 2 shown]
	v_and_b32_e32 v90, 16, v42
	v_cmp_eq_u32_e64 s10, 31, v17
	s_delay_alu instid0(VALU_DEP_2) | instskip(SKIP_3) | instid1(VALU_DEP_1)
	v_cmp_eq_u32_e64 s11, 0, v90
	s_wait_dscnt 0x3
	v_add_nc_u32_e32 v66, v16, v15
	s_wait_dscnt 0x2
	v_add3_u32 v66, v66, v13, v14
	s_wait_dscnt 0x1
	s_delay_alu instid0(VALU_DEP_1) | instskip(SKIP_1) | instid1(VALU_DEP_1)
	v_add3_u32 v66, v66, v11, v12
	s_wait_dscnt 0x0
	v_add3_u32 v10, v66, v9, v10
	v_and_b32_e32 v66, 15, v42
	s_delay_alu instid0(VALU_DEP_2) | instskip(NEXT) | instid1(VALU_DEP_2)
	v_mov_b32_dpp v89, v10 row_shr:1 row_mask:0xf bank_mask:0xf
	v_cmp_eq_u32_e32 vcc_lo, 0, v66
	v_cmp_lt_u32_e64 s7, 1, v66
	v_cmp_lt_u32_e64 s8, 3, v66
	;; [unrolled: 1-line block ×3, first 2 shown]
	s_wait_alu 0xfffd
	v_cndmask_b32_e64 v89, v89, 0, vcc_lo
	s_delay_alu instid0(VALU_DEP_1) | instskip(NEXT) | instid1(VALU_DEP_1)
	v_add_nc_u32_e32 v10, v89, v10
	v_mov_b32_dpp v89, v10 row_shr:2 row_mask:0xf bank_mask:0xf
	s_wait_alu 0xf1ff
	s_delay_alu instid0(VALU_DEP_1) | instskip(NEXT) | instid1(VALU_DEP_1)
	v_cndmask_b32_e64 v89, 0, v89, s7
	v_add_nc_u32_e32 v10, v10, v89
	s_delay_alu instid0(VALU_DEP_1) | instskip(NEXT) | instid1(VALU_DEP_1)
	v_mov_b32_dpp v89, v10 row_shr:4 row_mask:0xf bank_mask:0xf
	v_cndmask_b32_e64 v89, 0, v89, s8
	s_delay_alu instid0(VALU_DEP_1) | instskip(NEXT) | instid1(VALU_DEP_1)
	v_add_nc_u32_e32 v10, v10, v89
	v_mov_b32_dpp v89, v10 row_shr:8 row_mask:0xf bank_mask:0xf
	s_delay_alu instid0(VALU_DEP_1) | instskip(NEXT) | instid1(VALU_DEP_1)
	v_cndmask_b32_e64 v66, 0, v89, s9
	v_add_nc_u32_e32 v89, v10, v66
	v_bfe_i32 v66, v42, 4, 1
	ds_swizzle_b32 v10, v89 offset:swizzle(BROADCAST,32,15)
	s_wait_dscnt 0x0
	v_and_b32_e32 v91, v66, v10
	v_sub_co_u32 v66, s24, v42, 1
	v_mul_u32_u24_e32 v10, 6, v88
	s_delay_alu instid0(VALU_DEP_3)
	v_add_nc_u32_e32 v89, v89, v91
	s_and_saveexec_b32 s12, s10
; %bb.44:
	v_mov_b32_e32 v90, 0
	ds_store_b32 v90, v89
; %bb.45:
	s_wait_alu 0xfffe
	s_or_b32 exec_lo, exec_lo, s12
	v_cmp_gt_i32_e64 s12, 0, v66
	; wave barrier
	s_wait_loadcnt_dscnt 0x0
	global_inv scope:SCOPE_SE
	s_min_u32 s13, s13, 8
	s_wait_alu 0xfffe
	s_lshl_b32 s13, -1, s13
	v_cndmask_b32_e64 v66, v66, v42, s12
	v_cmp_eq_u32_e64 s12, 0, v17
	s_wait_alu 0xfffe
	s_not_b32 s13, s13
	v_lshlrev_b32_e32 v66, 2, v66
	s_or_b32 s24, s12, s24
	v_cmp_eq_u32_e64 s12, 0, v41
	ds_bpermute_b32 v89, v66, v89
	s_wait_dscnt 0x0
	v_cndmask_b32_e64 v89, v89, 0, s24
	s_delay_alu instid0(VALU_DEP_1) | instskip(NEXT) | instid1(VALU_DEP_1)
	v_add_nc_u32_e32 v15, v89, v15
	v_add_nc_u32_e32 v16, v15, v16
	s_delay_alu instid0(VALU_DEP_1) | instskip(NEXT) | instid1(VALU_DEP_1)
	v_add_nc_u32_e32 v13, v16, v13
	v_add_nc_u32_e32 v14, v13, v14
	;; [unrolled: 3-line block ×3, first 2 shown]
	s_delay_alu instid0(VALU_DEP_1)
	v_add_nc_u32_e32 v9, v12, v9
	ds_store_2addr_b32 v40, v89, v15 offset0:1 offset1:2
	ds_store_2addr_b32 v40, v16, v13 offset0:3 offset1:4
	;; [unrolled: 1-line block ×4, first 2 shown]
	; wave barrier
	s_wait_loadcnt_dscnt 0x0
	global_inv scope:SCOPE_SE
	ds_load_b32 v9, v76 offset:4
	ds_load_b32 v11, v80 offset:4
	;; [unrolled: 1-line block ×4, first 2 shown]
	s_wait_alu 0xf1ff
	v_cndmask_b32_e64 v14, 0, v54, s12
	v_lshlrev_b32_e32 v15, 1, v88
	v_cndmask_b32_e64 v54, 0, v62, s12
	v_cndmask_b32_e64 v62, 0, v64, s12
	;; [unrolled: 1-line block ×9, first 2 shown]
	v_add_nc_u32_e32 v65, v15, v10
	; wave barrier
	s_wait_loadcnt_dscnt 0x0
	global_inv scope:SCOPE_SE
	v_cndmask_b32_e64 v16, v16, v24, s1
	v_cndmask_b32_e64 v24, v54, v55, s1
	v_add_nc_u32_e32 v25, v9, v74
	v_add3_u32 v69, v78, v77, v11
	v_add3_u32 v74, v82, v81, v12
	;; [unrolled: 1-line block ×3, first 2 shown]
	v_cndmask_b32_e64 v27, v27, v53, s1
	v_lshlrev_b32_e32 v9, 1, v25
	v_lshlrev_b32_e32 v10, 1, v69
	;; [unrolled: 1-line block ×4, first 2 shown]
	ds_store_b16 v9, v60
	ds_store_b16 v10, v75
	ds_store_b16 v11, v79
	ds_store_b16 v12, v83
	; wave barrier
	s_wait_loadcnt_dscnt 0x0
	global_inv scope:SCOPE_SE
	ds_load_u16 v47, v15
	v_cndmask_b32_e64 v16, v16, v21, s0
	v_cndmask_b32_e64 v53, v62, v59, s1
	;; [unrolled: 1-line block ×10, first 2 shown]
	ds_load_u16 v48, v15 offset:64
	ds_load_u16 v50, v15 offset:128
	;; [unrolled: 1-line block ×3, first 2 shown]
	v_cndmask_b32_e64 v15, v21, v26, s6
	v_cndmask_b32_e64 v22, v27, v52, s6
	;; [unrolled: 1-line block ×5, first 2 shown]
	; wave barrier
	s_wait_loadcnt_dscnt 0x0
	global_inv scope:SCOPE_SE
	v_cndmask_b32_e64 v53, v58, v71, s0
	v_lshrrev_b16 v23, 8, v47
	v_cmp_ne_u16_e64 s12, 0x7fff, v47
	v_cndmask_b32_e64 v21, v24, v49, s6
	v_cndmask_b32_e64 v24, v54, v70, s6
	s_wait_alu 0xf1ff
	s_delay_alu instid0(VALU_DEP_3) | instskip(SKIP_1) | instid1(VALU_DEP_2)
	v_cndmask_b32_e64 v26, 0x80, v23, s12
	v_cndmask_b32_e64 v23, v53, v68, s6
	v_and_b32_e32 v27, 0xffff, v26
	v_mad_co_u64_u32 v[25:26], null, v25, 6, v[9:10]
	v_mad_co_u64_u32 v[9:10], null, v69, 6, v[10:11]
	s_wait_alu 0xfffe
	s_delay_alu instid0(VALU_DEP_3) | instskip(SKIP_2) | instid1(VALU_DEP_3)
	v_and_b32_e32 v26, s13, v27
	v_mad_co_u64_u32 v[10:11], null, v74, 6, v[11:12]
	v_mad_co_u64_u32 v[11:12], null, v76, 6, v[12:13]
	v_and_b32_e32 v12, 1, v26
	ds_store_b64 v25, v[13:14]
	v_lshlrev_b32_e32 v13, 30, v26
	v_lshlrev_b32_e32 v14, 29, v26
	;; [unrolled: 1-line block ×3, first 2 shown]
	v_add_co_u32 v12, s6, v12, -1
	s_wait_alu 0xf1ff
	v_cndmask_b32_e64 v27, 0, 1, s6
	v_not_b32_e32 v54, v13
	v_cmp_gt_i32_e64 s12, 0, v13
	v_not_b32_e32 v13, v14
	v_lshlrev_b32_e32 v49, 27, v26
	v_cmp_ne_u32_e64 s6, 0, v27
	v_ashrrev_i32_e32 v54, 31, v54
	v_lshlrev_b32_e32 v52, 26, v26
	v_ashrrev_i32_e32 v13, 31, v13
	v_lshlrev_b32_e32 v53, 25, v26
	s_wait_alu 0xf1ff
	v_xor_b32_e32 v12, s6, v12
	v_cmp_gt_i32_e64 s6, 0, v14
	v_not_b32_e32 v14, v25
	v_xor_b32_e32 v54, s12, v54
	v_cmp_gt_i32_e64 s12, 0, v25
	v_and_b32_e32 v12, exec_lo, v12
	v_not_b32_e32 v25, v49
	v_ashrrev_i32_e32 v14, 31, v14
	s_wait_alu 0xf1ff
	v_xor_b32_e32 v13, s6, v13
	v_cmp_gt_i32_e64 s6, 0, v49
	v_and_b32_e32 v12, v12, v54
	v_not_b32_e32 v49, v52
	v_ashrrev_i32_e32 v25, 31, v25
	v_xor_b32_e32 v14, s12, v14
	v_lshlrev_b32_e32 v27, 24, v26
	v_and_b32_e32 v12, v12, v13
	v_cmp_gt_i32_e64 s12, 0, v52
	v_not_b32_e32 v13, v53
	v_ashrrev_i32_e32 v49, 31, v49
	s_wait_alu 0xf1ff
	v_xor_b32_e32 v25, s6, v25
	v_and_b32_e32 v12, v12, v14
	v_cmp_gt_i32_e64 s6, 0, v53
	v_not_b32_e32 v14, v27
	v_ashrrev_i32_e32 v13, 31, v13
	v_xor_b32_e32 v49, s12, v49
	v_and_b32_e32 v12, v12, v25
	ds_store_b64 v9, v[15:16]
	v_cmp_gt_i32_e64 s12, 0, v27
	v_ashrrev_i32_e32 v9, 31, v14
	s_wait_alu 0xf1ff
	v_xor_b32_e32 v13, s6, v13
	v_and_b32_e32 v12, v12, v49
	ds_store_b64 v10, v[21:22]
	ds_store_b64 v11, v[23:24]
	s_wait_loadcnt_dscnt 0x0
	v_xor_b32_e32 v21, s12, v9
	; wave barrier
	global_inv scope:SCOPE_SE
	v_and_b32_e32 v22, v12, v13
	ds_load_2addr_b64 v[13:16], v65 offset1:32
	ds_load_2addr_b64 v[9:12], v65 offset0:64 offset1:96
	v_lshl_add_u32 v52, v26, 2, v20
	; wave barrier
	s_wait_loadcnt_dscnt 0x0
	global_inv scope:SCOPE_SE
	v_dual_mov_b32 v22, 0 :: v_dual_and_b32 v21, v22, v21
	ds_store_2addr_b32 v40, v22, v22 offset0:1 offset1:2
	ds_store_2addr_b32 v40, v22, v22 offset0:3 offset1:4
	;; [unrolled: 1-line block ×4, first 2 shown]
	v_mbcnt_lo_u32_b32 v49, v21, 0
	v_cmp_ne_u32_e64 s12, 0, v21
	; wave barrier
	s_wait_loadcnt_dscnt 0x0
	global_inv scope:SCOPE_SE
	v_cmp_eq_u32_e64 s6, 0, v49
	; wave barrier
	s_and_b32 s12, s12, s6
	s_wait_alu 0xfffe
	s_and_saveexec_b32 s6, s12
; %bb.46:
	v_bcnt_u32_b32 v21, v21, 0
	ds_store_b32 v52, v21 offset:4
; %bb.47:
	s_wait_alu 0xfffe
	s_or_b32 exec_lo, exec_lo, s6
	v_lshrrev_b16 v21, 8, v48
	v_cmp_ne_u16_e64 s6, 0x7fff, v48
	; wave barrier
	s_wait_alu 0xf1ff
	s_delay_alu instid0(VALU_DEP_1) | instskip(NEXT) | instid1(VALU_DEP_1)
	v_cndmask_b32_e64 v21, 0x80, v21, s6
	v_and_b32_e32 v21, s13, v21
	s_delay_alu instid0(VALU_DEP_1)
	v_and_b32_e32 v22, 1, v21
	v_lshlrev_b32_e32 v23, 30, v21
	v_lshlrev_b32_e32 v24, 29, v21
	;; [unrolled: 1-line block ×4, first 2 shown]
	v_add_co_u32 v22, s6, v22, -1
	s_wait_alu 0xf1ff
	v_cndmask_b32_e64 v26, 0, 1, s6
	v_not_b32_e32 v55, v23
	v_cmp_gt_i32_e64 s12, 0, v23
	v_not_b32_e32 v23, v24
	v_lshlrev_b32_e32 v53, 26, v21
	v_cmp_ne_u32_e64 s6, 0, v26
	v_ashrrev_i32_e32 v55, 31, v55
	v_lshlrev_b32_e32 v54, 25, v21
	v_ashrrev_i32_e32 v23, 31, v23
	v_lshlrev_b32_e32 v26, 24, v21
	s_wait_alu 0xf1ff
	v_xor_b32_e32 v22, s6, v22
	v_cmp_gt_i32_e64 s6, 0, v24
	v_not_b32_e32 v24, v25
	v_xor_b32_e32 v55, s12, v55
	v_cmp_gt_i32_e64 s12, 0, v25
	v_and_b32_e32 v22, exec_lo, v22
	v_not_b32_e32 v25, v27
	v_ashrrev_i32_e32 v24, 31, v24
	s_wait_alu 0xf1ff
	v_xor_b32_e32 v23, s6, v23
	v_cmp_gt_i32_e64 s6, 0, v27
	v_and_b32_e32 v22, v22, v55
	v_not_b32_e32 v27, v53
	v_ashrrev_i32_e32 v25, 31, v25
	v_xor_b32_e32 v24, s12, v24
	v_cmp_gt_i32_e64 s12, 0, v53
	v_and_b32_e32 v22, v22, v23
	v_not_b32_e32 v23, v54
	v_ashrrev_i32_e32 v27, 31, v27
	s_wait_alu 0xf1ff
	v_xor_b32_e32 v25, s6, v25
	v_cmp_gt_i32_e64 s6, 0, v54
	v_and_b32_e32 v22, v22, v24
	v_not_b32_e32 v24, v26
	v_ashrrev_i32_e32 v23, 31, v23
	v_xor_b32_e32 v27, s12, v27
	v_cmp_gt_i32_e64 s12, 0, v26
	v_and_b32_e32 v22, v22, v25
	v_ashrrev_i32_e32 v24, 31, v24
	s_wait_alu 0xf1ff
	v_xor_b32_e32 v23, s6, v23
	v_lshl_add_u32 v55, v21, 2, v20
	v_and_b32_e32 v22, v22, v27
	v_xor_b32_e32 v21, s12, v24
	ds_load_b32 v53, v55 offset:4
	v_and_b32_e32 v22, v22, v23
	; wave barrier
	s_delay_alu instid0(VALU_DEP_1) | instskip(NEXT) | instid1(VALU_DEP_1)
	v_and_b32_e32 v21, v22, v21
	v_mbcnt_lo_u32_b32 v54, v21, 0
	v_cmp_ne_u32_e64 s12, 0, v21
	s_delay_alu instid0(VALU_DEP_2)
	v_cmp_eq_u32_e64 s6, 0, v54
	s_and_b32 s12, s12, s6
	s_wait_alu 0xfffe
	s_and_saveexec_b32 s6, s12
	s_cbranch_execz .LBB238_49
; %bb.48:
	s_wait_dscnt 0x0
	v_bcnt_u32_b32 v21, v21, v53
	ds_store_b32 v55, v21 offset:4
.LBB238_49:
	s_wait_alu 0xfffe
	s_or_b32 exec_lo, exec_lo, s6
	v_lshrrev_b16 v21, 8, v50
	v_cmp_ne_u16_e64 s6, 0x7fff, v50
	; wave barrier
	s_wait_alu 0xf1ff
	s_delay_alu instid0(VALU_DEP_1) | instskip(NEXT) | instid1(VALU_DEP_1)
	v_cndmask_b32_e64 v21, 0x80, v21, s6
	v_and_b32_e32 v21, s13, v21
	s_delay_alu instid0(VALU_DEP_1)
	v_and_b32_e32 v22, 1, v21
	v_lshlrev_b32_e32 v23, 30, v21
	v_lshlrev_b32_e32 v24, 29, v21
	;; [unrolled: 1-line block ×4, first 2 shown]
	v_add_co_u32 v22, s6, v22, -1
	s_wait_alu 0xf1ff
	v_cndmask_b32_e64 v26, 0, 1, s6
	v_not_b32_e32 v58, v23
	v_cmp_gt_i32_e64 s12, 0, v23
	v_not_b32_e32 v23, v24
	v_lshlrev_b32_e32 v56, 26, v21
	v_cmp_ne_u32_e64 s6, 0, v26
	v_ashrrev_i32_e32 v58, 31, v58
	v_lshlrev_b32_e32 v57, 25, v21
	v_ashrrev_i32_e32 v23, 31, v23
	v_lshlrev_b32_e32 v26, 24, v21
	s_wait_alu 0xf1ff
	v_xor_b32_e32 v22, s6, v22
	v_cmp_gt_i32_e64 s6, 0, v24
	v_not_b32_e32 v24, v25
	v_xor_b32_e32 v58, s12, v58
	v_cmp_gt_i32_e64 s12, 0, v25
	v_and_b32_e32 v22, exec_lo, v22
	v_not_b32_e32 v25, v27
	v_ashrrev_i32_e32 v24, 31, v24
	s_wait_alu 0xf1ff
	v_xor_b32_e32 v23, s6, v23
	v_cmp_gt_i32_e64 s6, 0, v27
	v_and_b32_e32 v22, v22, v58
	v_not_b32_e32 v27, v56
	v_ashrrev_i32_e32 v25, 31, v25
	v_xor_b32_e32 v24, s12, v24
	v_cmp_gt_i32_e64 s12, 0, v56
	v_and_b32_e32 v22, v22, v23
	v_not_b32_e32 v23, v57
	v_ashrrev_i32_e32 v27, 31, v27
	s_wait_alu 0xf1ff
	v_xor_b32_e32 v25, s6, v25
	v_cmp_gt_i32_e64 s6, 0, v57
	v_and_b32_e32 v22, v22, v24
	v_not_b32_e32 v24, v26
	v_ashrrev_i32_e32 v23, 31, v23
	v_xor_b32_e32 v27, s12, v27
	v_cmp_gt_i32_e64 s12, 0, v26
	v_and_b32_e32 v22, v22, v25
	v_ashrrev_i32_e32 v24, 31, v24
	s_wait_alu 0xf1ff
	v_xor_b32_e32 v23, s6, v23
	v_lshl_add_u32 v58, v21, 2, v20
	v_and_b32_e32 v22, v22, v27
	v_xor_b32_e32 v21, s12, v24
	ds_load_b32 v56, v58 offset:4
	v_and_b32_e32 v22, v22, v23
	; wave barrier
	s_delay_alu instid0(VALU_DEP_1) | instskip(NEXT) | instid1(VALU_DEP_1)
	v_and_b32_e32 v21, v22, v21
	v_mbcnt_lo_u32_b32 v57, v21, 0
	v_cmp_ne_u32_e64 s12, 0, v21
	s_delay_alu instid0(VALU_DEP_2)
	v_cmp_eq_u32_e64 s6, 0, v57
	s_and_b32 s12, s12, s6
	s_wait_alu 0xfffe
	s_and_saveexec_b32 s6, s12
	s_cbranch_execz .LBB238_51
; %bb.50:
	s_wait_dscnt 0x0
	v_bcnt_u32_b32 v21, v21, v56
	ds_store_b32 v58, v21 offset:4
.LBB238_51:
	s_wait_alu 0xfffe
	s_or_b32 exec_lo, exec_lo, s6
	v_lshrrev_b16 v21, 8, v51
	v_cmp_ne_u16_e64 s6, 0x7fff, v51
	; wave barrier
	s_wait_alu 0xf1ff
	s_delay_alu instid0(VALU_DEP_1) | instskip(NEXT) | instid1(VALU_DEP_1)
	v_cndmask_b32_e64 v21, 0x80, v21, s6
	v_and_b32_e32 v21, s13, v21
	s_delay_alu instid0(VALU_DEP_1)
	v_and_b32_e32 v22, 1, v21
	v_lshlrev_b32_e32 v23, 30, v21
	v_lshlrev_b32_e32 v24, 29, v21
	;; [unrolled: 1-line block ×4, first 2 shown]
	v_add_co_u32 v22, s6, v22, -1
	s_wait_alu 0xf1ff
	v_cndmask_b32_e64 v26, 0, 1, s6
	v_not_b32_e32 v61, v23
	v_cmp_gt_i32_e64 s12, 0, v23
	v_not_b32_e32 v23, v24
	v_lshlrev_b32_e32 v59, 26, v21
	v_cmp_ne_u32_e64 s6, 0, v26
	v_ashrrev_i32_e32 v61, 31, v61
	v_lshlrev_b32_e32 v60, 25, v21
	v_ashrrev_i32_e32 v23, 31, v23
	v_lshlrev_b32_e32 v26, 24, v21
	s_wait_alu 0xf1ff
	v_xor_b32_e32 v22, s6, v22
	v_cmp_gt_i32_e64 s6, 0, v24
	v_not_b32_e32 v24, v25
	v_xor_b32_e32 v61, s12, v61
	v_cmp_gt_i32_e64 s12, 0, v25
	v_and_b32_e32 v22, exec_lo, v22
	v_not_b32_e32 v25, v27
	v_ashrrev_i32_e32 v24, 31, v24
	s_wait_alu 0xf1ff
	v_xor_b32_e32 v23, s6, v23
	v_cmp_gt_i32_e64 s6, 0, v27
	v_and_b32_e32 v22, v22, v61
	v_not_b32_e32 v27, v59
	v_ashrrev_i32_e32 v25, 31, v25
	v_xor_b32_e32 v24, s12, v24
	v_cmp_gt_i32_e64 s12, 0, v59
	v_and_b32_e32 v22, v22, v23
	v_not_b32_e32 v23, v60
	v_ashrrev_i32_e32 v27, 31, v27
	s_wait_alu 0xf1ff
	v_xor_b32_e32 v25, s6, v25
	v_cmp_gt_i32_e64 s6, 0, v60
	v_and_b32_e32 v22, v22, v24
	v_not_b32_e32 v24, v26
	v_ashrrev_i32_e32 v23, 31, v23
	v_xor_b32_e32 v27, s12, v27
	v_cmp_gt_i32_e64 s12, 0, v26
	v_and_b32_e32 v22, v22, v25
	v_ashrrev_i32_e32 v24, 31, v24
	s_wait_alu 0xf1ff
	v_xor_b32_e32 v23, s6, v23
	v_lshl_add_u32 v61, v21, 2, v20
	v_and_b32_e32 v22, v22, v27
	v_xor_b32_e32 v20, s12, v24
	ds_load_b32 v59, v61 offset:4
	v_and_b32_e32 v21, v22, v23
	; wave barrier
	s_delay_alu instid0(VALU_DEP_1) | instskip(NEXT) | instid1(VALU_DEP_1)
	v_and_b32_e32 v20, v21, v20
	v_mbcnt_lo_u32_b32 v60, v20, 0
	v_cmp_ne_u32_e64 s12, 0, v20
	s_delay_alu instid0(VALU_DEP_2)
	v_cmp_eq_u32_e64 s6, 0, v60
	s_and_b32 s12, s12, s6
	s_wait_alu 0xfffe
	s_and_saveexec_b32 s6, s12
	s_cbranch_execz .LBB238_53
; %bb.52:
	s_wait_dscnt 0x0
	v_bcnt_u32_b32 v20, v20, v59
	ds_store_b32 v61, v20 offset:4
.LBB238_53:
	s_wait_alu 0xfffe
	s_or_b32 exec_lo, exec_lo, s6
	; wave barrier
	; wave barrier
	s_wait_loadcnt_dscnt 0x0
	global_inv scope:SCOPE_SE
	ds_load_2addr_b32 v[26:27], v40 offset0:1 offset1:2
	ds_load_2addr_b32 v[24:25], v40 offset0:3 offset1:4
	ds_load_2addr_b32 v[22:23], v40 offset0:5 offset1:6
	ds_load_2addr_b32 v[20:21], v40 offset0:7 offset1:8
	s_wait_dscnt 0x3
	v_add_nc_u32_e32 v62, v27, v26
	s_wait_dscnt 0x2
	s_delay_alu instid0(VALU_DEP_1) | instskip(SKIP_1) | instid1(VALU_DEP_1)
	v_add3_u32 v62, v62, v24, v25
	s_wait_dscnt 0x1
	v_add3_u32 v62, v62, v22, v23
	s_wait_dscnt 0x0
	s_delay_alu instid0(VALU_DEP_1) | instskip(NEXT) | instid1(VALU_DEP_1)
	v_add3_u32 v21, v62, v20, v21
	v_mov_b32_dpp v62, v21 row_shr:1 row_mask:0xf bank_mask:0xf
	s_delay_alu instid0(VALU_DEP_1) | instskip(NEXT) | instid1(VALU_DEP_1)
	v_cndmask_b32_e64 v62, v62, 0, vcc_lo
	v_add_nc_u32_e32 v21, v62, v21
	s_delay_alu instid0(VALU_DEP_1) | instskip(NEXT) | instid1(VALU_DEP_1)
	v_mov_b32_dpp v62, v21 row_shr:2 row_mask:0xf bank_mask:0xf
	v_cndmask_b32_e64 v62, 0, v62, s7
	s_mov_b32 s7, 0
	s_delay_alu instid0(VALU_DEP_1) | instskip(NEXT) | instid1(VALU_DEP_1)
	v_add_nc_u32_e32 v21, v21, v62
	v_mov_b32_dpp v62, v21 row_shr:4 row_mask:0xf bank_mask:0xf
	s_delay_alu instid0(VALU_DEP_1) | instskip(NEXT) | instid1(VALU_DEP_1)
	v_cndmask_b32_e64 v62, 0, v62, s8
	v_add_nc_u32_e32 v21, v21, v62
	s_delay_alu instid0(VALU_DEP_1) | instskip(NEXT) | instid1(VALU_DEP_1)
	v_mov_b32_dpp v62, v21 row_shr:8 row_mask:0xf bank_mask:0xf
	v_cndmask_b32_e64 v62, 0, v62, s9
	s_delay_alu instid0(VALU_DEP_1) | instskip(SKIP_3) | instid1(VALU_DEP_1)
	v_add_nc_u32_e32 v21, v21, v62
	ds_swizzle_b32 v62, v21 offset:swizzle(BROADCAST,32,15)
	s_wait_dscnt 0x0
	v_cndmask_b32_e64 v62, v62, 0, s11
	v_add_nc_u32_e32 v21, v21, v62
	s_and_saveexec_b32 s6, s10
; %bb.54:
	v_mov_b32_e32 v62, 0
	ds_store_b32 v62, v21
; %bb.55:
	s_wait_alu 0xfffe
	s_or_b32 exec_lo, exec_lo, s6
	ds_bpermute_b32 v21, v66, v21
	; wave barrier
	s_wait_loadcnt_dscnt 0x0
	global_inv scope:SCOPE_SE
	v_cndmask_b32_e64 v21, v21, 0, s24
	s_delay_alu instid0(VALU_DEP_1) | instskip(NEXT) | instid1(VALU_DEP_1)
	v_add_nc_u32_e32 v26, v21, v26
	v_add_nc_u32_e32 v27, v26, v27
	s_delay_alu instid0(VALU_DEP_1) | instskip(NEXT) | instid1(VALU_DEP_1)
	v_add_nc_u32_e32 v24, v27, v24
	v_add_nc_u32_e32 v25, v24, v25
	;; [unrolled: 3-line block ×3, first 2 shown]
	s_delay_alu instid0(VALU_DEP_1)
	v_add_nc_u32_e32 v20, v23, v20
	ds_store_2addr_b32 v40, v21, v26 offset0:1 offset1:2
	ds_store_2addr_b32 v40, v27, v24 offset0:3 offset1:4
	;; [unrolled: 1-line block ×4, first 2 shown]
	; wave barrier
	s_wait_loadcnt_dscnt 0x0
	global_inv scope:SCOPE_SE
	ds_load_b32 v20, v52 offset:4
	ds_load_b32 v21, v55 offset:4
	;; [unrolled: 1-line block ×4, first 2 shown]
	v_lshlrev_b32_e32 v24, 1, v39
	; wave barrier
	s_wait_loadcnt_dscnt 0x0
	global_inv scope:SCOPE_SE
	v_add_nc_u32_e32 v26, v20, v49
	v_add3_u32 v49, v54, v53, v21
	v_add3_u32 v52, v57, v56, v22
	;; [unrolled: 1-line block ×3, first 2 shown]
	s_delay_alu instid0(VALU_DEP_4) | instskip(NEXT) | instid1(VALU_DEP_4)
	v_lshlrev_b32_e32 v20, 1, v26
	v_lshlrev_b32_e32 v21, 1, v49
	s_delay_alu instid0(VALU_DEP_4) | instskip(NEXT) | instid1(VALU_DEP_4)
	v_lshlrev_b32_e32 v22, 1, v52
	v_lshlrev_b32_e32 v23, 1, v53
	ds_store_b16 v20, v47
	ds_store_b16 v21, v48
	;; [unrolled: 1-line block ×4, first 2 shown]
	; wave barrier
	s_wait_loadcnt_dscnt 0x0
	global_inv scope:SCOPE_SE
	ds_load_b64 v[24:25], v24
	v_mad_co_u64_u32 v[26:27], null, v26, 6, v[20:21]
	v_mad_co_u64_u32 v[20:21], null, v49, 6, v[21:22]
	;; [unrolled: 1-line block ×3, first 2 shown]
	; wave barrier
	s_wait_loadcnt_dscnt 0x0
	global_inv scope:SCOPE_SE
	ds_store_b64 v26, v[13:14]
	ds_store_b64 v20, v[15:16]
	v_cmp_lt_i16_e32 vcc_lo, -1, v24
	v_lshrrev_b32_e32 v22, 16, v24
	v_lshrrev_b32_e32 v47, 16, v25
	s_wait_alu 0xfffd
	v_cndmask_b32_e64 v27, 0xffff8000, -1, vcc_lo
	v_cmp_lt_i16_e32 vcc_lo, -1, v25
	s_wait_alu 0xfffd
	v_cndmask_b32_e64 v48, 0xffff8000, -1, vcc_lo
	v_cmp_lt_i16_e32 vcc_lo, -1, v22
	v_mad_co_u64_u32 v[22:23], null, v53, 6, v[23:24]
	ds_store_b64 v21, v[9:10]
	ds_store_b64 v22, v[11:12]
	s_wait_alu 0xfffd
	v_cndmask_b32_e64 v49, 0xffff8000, -1, vcc_lo
	v_cmp_lt_i16_e32 vcc_lo, -1, v47
	; wave barrier
	s_wait_loadcnt_dscnt 0x0
	global_inv scope:SCOPE_SE
	v_perm_b32 v23, v49, v27, 0x5040100
	s_wait_alu 0xfffd
	v_cndmask_b32_e64 v47, 0xffff8000, -1, vcc_lo
	s_delay_alu instid0(VALU_DEP_2) | instskip(NEXT) | instid1(VALU_DEP_2)
	v_xor_b32_e32 v13, v23, v24
	v_perm_b32 v27, v47, v48, 0x5040100
	s_delay_alu instid0(VALU_DEP_1)
	v_xor_b32_e32 v14, v27, v25
.LBB238_56:
	s_and_b32 vcc_lo, exec_lo, s7
	s_wait_alu 0xfffe
	s_cbranch_vccz .LBB238_78
; %bb.57:
	v_cmp_gt_i16_e32 vcc_lo, 0, v18
	s_getpc_b64 s[6:7]
	s_wait_alu 0xfffe
	s_sext_i32_i16 s7, s7
	s_add_co_u32 s6, s6, _ZN7rocprim17ROCPRIM_400000_NS16block_radix_sortI6__halfLj32ELj4ElLj1ELj1ELj0ELNS0_26block_radix_rank_algorithmE1ELNS0_18block_padding_hintE2ELNS0_4arch9wavefront6targetE0EE19radix_bits_per_passE@rel32@lo+12
	s_wait_alu 0xfffe
	s_add_co_ci_u32 s7, s7, _ZN7rocprim17ROCPRIM_400000_NS16block_radix_sortI6__halfLj32ELj4ElLj1ELj1ELj0ELNS0_26block_radix_rank_algorithmE1ELNS0_18block_padding_hintE2ELNS0_4arch9wavefront6targetE0EE19radix_bits_per_passE@rel32@hi+24
	ds_bpermute_b32 v23, v43, v5
	s_load_b32 s13, s[6:7], 0x0
	ds_bpermute_b32 v48, v43, v5 offset:32
	v_cndmask_b32_e64 v9, 0x7fff, 0, vcc_lo
	v_cmp_gt_i16_e32 vcc_lo, 0, v46
	ds_bpermute_b32 v50, v43, v5 offset:64
	ds_bpermute_b32 v52, v43, v5 offset:96
	ds_bpermute_b32 v15, v43, v6
	v_xor_b32_e32 v9, v9, v18
	s_wait_alu 0xfffd
	v_cndmask_b32_e64 v10, 0x7fff, 0, vcc_lo
	v_cmp_gt_i16_e32 vcc_lo, 0, v19
	ds_bpermute_b32 v49, v43, v6 offset:32
	ds_bpermute_b32 v51, v43, v6 offset:64
	v_and_b32_e32 v53, 0xffff, v9
	v_xor_b32_e32 v10, v10, v46
	s_wait_alu 0xfffd
	v_cndmask_b32_e64 v11, 0x7fff, 0, vcc_lo
	v_cmp_gt_i16_e32 vcc_lo, 0, v45
	s_wait_loadcnt_dscnt 0x0
	ds_bpermute_b32 v14, v43, v53
	ds_bpermute_b32 v59, v43, v53 offset:32
	v_xor_b32_e32 v11, v11, v19
	s_wait_alu 0xfffd
	v_cndmask_b32_e64 v12, 0x7fff, 0, vcc_lo
	v_cmp_eq_u32_e32 vcc_lo, 3, v41
	s_wait_kmcnt 0x0
	s_min_u32 s7, s13, 16
	ds_bpermute_b32 v63, v43, v53 offset:64
	v_and_b32_e32 v55, 0xffff, v11
	v_xor_b32_e32 v9, v12, v45
	; wave barrier
	s_wait_dscnt 0x0
	global_inv scope:SCOPE_SE
	ds_bpermute_b32 v16, v43, v7
	ds_bpermute_b32 v22, v43, v7 offset:32
	ds_bpermute_b32 v19, v43, v55
	v_and_b32_e32 v56, 0xffff, v9
	ds_bpermute_b32 v62, v43, v55 offset:32
	ds_bpermute_b32 v67, v43, v55 offset:64
	ds_bpermute_b32 v68, v43, v55 offset:96
	ds_bpermute_b32 v27, v43, v7 offset:64
	ds_bpermute_b32 v25, v43, v56
	v_and_b32_e32 v54, 0xffff, v10
	ds_bpermute_b32 v64, v43, v56 offset:32
	ds_bpermute_b32 v70, v43, v56 offset:64
	ds_bpermute_b32 v13, v43, v1
	ds_bpermute_b32 v20, v43, v1 offset:32
	ds_bpermute_b32 v18, v43, v54
	ds_bpermute_b32 v12, v43, v8
	;; [unrolled: 1-line block ×5, first 2 shown]
	ds_bpermute_b32 v24, v43, v8 offset:32
	ds_bpermute_b32 v21, v43, v2 offset:32
	ds_bpermute_b32 v45, v43, v8 offset:64
	ds_bpermute_b32 v46, v43, v4 offset:64
	s_wait_dscnt 0x8
	v_cndmask_b32_e64 v26, v14, v18, s1
	ds_bpermute_b32 v18, v43, v4 offset:32
	ds_bpermute_b32 v14, v43, v3 offset:32
	v_cndmask_b32_e64 v19, v26, v19, s0
	ds_bpermute_b32 v26, v43, v2 offset:64
	s_wait_alu 0xfffd
	v_cndmask_b32_e32 v47, v19, v25, vcc_lo
	ds_bpermute_b32 v61, v43, v54 offset:32
	ds_bpermute_b32 v65, v43, v54 offset:64
	;; [unrolled: 1-line block ×4, first 2 shown]
	v_and_b32_e32 v57, 0xffff, v47
	v_cmp_ne_u16_e64 s6, 0x8000, v47
	ds_bpermute_b32 v19, v43, v3 offset:64
	s_wait_alu 0xf1ff
	v_cndmask_b32_e64 v5, 0x7fff, v57, s6
	s_wait_alu 0xfffe
	s_lshl_b32 s6, -1, s7
	s_wait_alu 0xfffe
	s_not_b32 s8, s6
	s_wait_alu 0xfffe
	v_and_b32_e32 v60, s8, v5
	s_delay_alu instid0(VALU_DEP_1) | instskip(SKIP_2) | instid1(VALU_DEP_3)
	v_and_b32_e32 v5, 1, v60
	v_lshlrev_b32_e32 v69, 30, v60
	v_lshlrev_b32_e32 v54, 29, v60
	v_add_co_u32 v57, s6, v5, -1
	s_wait_alu 0xf1ff
	v_cndmask_b32_e64 v58, 0, 1, s6
	ds_bpermute_b32 v5, v43, v53 offset:96
	v_not_b32_e32 v53, v69
	v_cmp_gt_i32_e64 s7, 0, v69
	ds_bpermute_b32 v69, v43, v56 offset:96
	v_cmp_ne_u32_e64 s6, 0, v58
	v_not_b32_e32 v56, v54
	v_ashrrev_i32_e32 v53, 31, v53
	s_wait_alu 0xf1ff
	s_delay_alu instid0(VALU_DEP_3) | instskip(SKIP_1) | instid1(VALU_DEP_3)
	v_xor_b32_e32 v55, s6, v57
	v_lshlrev_b32_e32 v57, 28, v60
	v_xor_b32_e32 v53, s7, v53
	v_cmp_gt_i32_e64 s6, 0, v54
	v_ashrrev_i32_e32 v54, 31, v56
	v_and_b32_e32 v55, exec_lo, v55
	v_not_b32_e32 v56, v57
	s_load_b32 s7, s[22:23], 0xc
	s_delay_alu instid0(VALU_DEP_3) | instskip(NEXT) | instid1(VALU_DEP_3)
	v_xor_b32_e32 v58, s6, v54
	v_and_b32_e32 v53, v55, v53
	v_lshlrev_b32_e32 v55, 27, v60
	v_cmp_gt_i32_e64 s6, 0, v57
	v_ashrrev_i32_e32 v56, 31, v56
	ds_bpermute_b32 v54, v43, v6 offset:96
	v_and_b32_e32 v57, v53, v58
	v_not_b32_e32 v6, v55
	v_lshlrev_b32_e32 v58, 26, v60
	s_wait_alu 0xf1ff
	v_xor_b32_e32 v56, s6, v56
	v_cmp_gt_i32_e64 s6, 0, v55
	ds_bpermute_b32 v53, v43, v7 offset:96
	v_ashrrev_i32_e32 v6, 31, v6
	v_not_b32_e32 v7, v58
	v_and_b32_e32 v55, v57, v56
	v_lshlrev_b32_e32 v56, 25, v60
	s_wait_alu 0xf1ff
	v_xor_b32_e32 v6, s6, v6
	v_cmp_gt_i32_e64 s6, 0, v58
	v_ashrrev_i32_e32 v7, 31, v7
	v_not_b32_e32 v57, v56
	s_wait_kmcnt 0x0
	s_lshr_b32 s9, s7, 16
	v_and_b32_e32 v6, v55, v6
	v_lshlrev_b32_e32 v55, 24, v60
	v_xor_b32_e32 v7, s6, v7
	v_cmp_gt_i32_e64 s6, 0, v56
	v_ashrrev_i32_e32 v56, 31, v57
	s_wait_alu 0xfffe
	v_mad_u32_u24 v0, v0, s9, v44
	v_not_b32_e32 v57, v55
	v_and_b32_e32 v44, v6, v7
	s_and_b32 s7, s7, 0xffff
	v_xor_b32_e32 v56, s6, v56
	v_cmp_gt_i32_e64 s6, 0, v55
	v_ashrrev_i32_e32 v58, 31, v57
	s_wait_dscnt 0xb
	s_wait_alu 0xfffe
	v_mad_co_u64_u32 v[6:7], null, v0, s7, v[17:18]
	ds_bpermute_b32 v55, v43, v1 offset:96
	v_and_b32_e32 v0, v44, v56
	s_wait_alu 0xf1ff
	v_xor_b32_e32 v1, s6, v58
	ds_bpermute_b32 v57, v43, v8 offset:96
	ds_bpermute_b32 v56, v43, v2 offset:96
	;; [unrolled: 1-line block ×4, first 2 shown]
	v_and_b32_e32 v0, v0, v1
	v_lshrrev_b32_e32 v2, 5, v6
	v_mov_b32_e32 v1, 0
	ds_store_2addr_b32 v40, v1, v1 offset0:1 offset1:2
	ds_store_2addr_b32 v40, v1, v1 offset0:3 offset1:4
	;; [unrolled: 1-line block ×4, first 2 shown]
	v_mbcnt_lo_u32_b32 v58, v0, 0
	v_lshlrev_b32_e32 v8, 2, v2
	v_cmp_ne_u32_e64 s7, 0, v0
	; wave barrier
	s_wait_loadcnt_dscnt 0x0
	global_inv scope:SCOPE_SE
	v_cmp_eq_u32_e64 s6, 0, v58
	v_lshl_add_u32 v60, v60, 2, v8
	; wave barrier
	s_and_b32 s7, s7, s6
	s_wait_alu 0xfffe
	s_and_saveexec_b32 s6, s7
; %bb.58:
	v_bcnt_u32_b32 v0, v0, 0
	ds_store_b32 v60, v0 offset:4
; %bb.59:
	s_wait_alu 0xfffe
	s_or_b32 exec_lo, exec_lo, s6
	v_cndmask_b32_e64 v0, v59, v61, s1
	; wave barrier
	s_delay_alu instid0(VALU_DEP_1) | instskip(NEXT) | instid1(VALU_DEP_1)
	v_cndmask_b32_e64 v0, v0, v62, s0
	v_cndmask_b32_e32 v59, v0, v64, vcc_lo
	s_delay_alu instid0(VALU_DEP_1) | instskip(SKIP_2) | instid1(VALU_DEP_1)
	v_and_b32_e32 v0, 0xffff, v59
	v_cmp_ne_u16_e64 s6, 0x8000, v59
	s_wait_alu 0xf1ff
	v_cndmask_b32_e64 v0, 0x7fff, v0, s6
	s_delay_alu instid0(VALU_DEP_1) | instskip(NEXT) | instid1(VALU_DEP_1)
	v_and_b32_e32 v0, s8, v0
	v_and_b32_e32 v1, 1, v0
	v_lshlrev_b32_e32 v2, 30, v0
	v_lshlrev_b32_e32 v3, 29, v0
	;; [unrolled: 1-line block ×4, first 2 shown]
	v_add_co_u32 v1, s6, v1, -1
	s_wait_alu 0xf1ff
	v_cndmask_b32_e64 v6, 0, 1, s6
	v_not_b32_e32 v64, v2
	v_cmp_gt_i32_e64 s7, 0, v2
	v_not_b32_e32 v2, v3
	v_lshlrev_b32_e32 v61, 26, v0
	v_cmp_ne_u32_e64 s6, 0, v6
	v_ashrrev_i32_e32 v64, 31, v64
	v_lshlrev_b32_e32 v62, 25, v0
	v_ashrrev_i32_e32 v2, 31, v2
	v_lshlrev_b32_e32 v6, 24, v0
	s_wait_alu 0xf1ff
	v_xor_b32_e32 v1, s6, v1
	v_cmp_gt_i32_e64 s6, 0, v3
	v_not_b32_e32 v3, v4
	v_xor_b32_e32 v64, s7, v64
	v_cmp_gt_i32_e64 s7, 0, v4
	v_and_b32_e32 v1, exec_lo, v1
	v_not_b32_e32 v4, v7
	v_ashrrev_i32_e32 v3, 31, v3
	s_wait_alu 0xf1ff
	v_xor_b32_e32 v2, s6, v2
	v_cmp_gt_i32_e64 s6, 0, v7
	v_and_b32_e32 v1, v1, v64
	v_not_b32_e32 v7, v61
	v_ashrrev_i32_e32 v4, 31, v4
	v_xor_b32_e32 v3, s7, v3
	v_cmp_gt_i32_e64 s7, 0, v61
	v_and_b32_e32 v1, v1, v2
	v_not_b32_e32 v2, v62
	v_ashrrev_i32_e32 v7, 31, v7
	s_wait_alu 0xf1ff
	v_xor_b32_e32 v4, s6, v4
	v_cmp_gt_i32_e64 s6, 0, v62
	v_and_b32_e32 v1, v1, v3
	v_not_b32_e32 v3, v6
	v_ashrrev_i32_e32 v2, 31, v2
	v_xor_b32_e32 v7, s7, v7
	v_cmp_gt_i32_e64 s7, 0, v6
	v_and_b32_e32 v1, v1, v4
	v_ashrrev_i32_e32 v3, 31, v3
	s_wait_alu 0xf1ff
	v_xor_b32_e32 v2, s6, v2
	v_lshl_add_u32 v64, v0, 2, v8
	v_and_b32_e32 v1, v1, v7
	v_xor_b32_e32 v0, s7, v3
	ds_load_b32 v61, v64 offset:4
	v_and_b32_e32 v1, v1, v2
	; wave barrier
	s_delay_alu instid0(VALU_DEP_1) | instskip(NEXT) | instid1(VALU_DEP_1)
	v_and_b32_e32 v0, v1, v0
	v_mbcnt_lo_u32_b32 v62, v0, 0
	v_cmp_ne_u32_e64 s7, 0, v0
	s_delay_alu instid0(VALU_DEP_2)
	v_cmp_eq_u32_e64 s6, 0, v62
	s_and_b32 s7, s7, s6
	s_wait_alu 0xfffe
	s_and_saveexec_b32 s6, s7
	s_cbranch_execz .LBB238_61
; %bb.60:
	s_wait_dscnt 0x0
	v_bcnt_u32_b32 v0, v0, v61
	ds_store_b32 v64, v0 offset:4
.LBB238_61:
	s_wait_alu 0xfffe
	s_or_b32 exec_lo, exec_lo, s6
	v_cndmask_b32_e64 v0, v63, v65, s1
	; wave barrier
	s_delay_alu instid0(VALU_DEP_1) | instskip(NEXT) | instid1(VALU_DEP_1)
	v_cndmask_b32_e64 v0, v0, v67, s0
	v_cndmask_b32_e32 v63, v0, v70, vcc_lo
	s_delay_alu instid0(VALU_DEP_1) | instskip(SKIP_2) | instid1(VALU_DEP_1)
	v_and_b32_e32 v0, 0xffff, v63
	v_cmp_ne_u16_e64 s6, 0x8000, v63
	s_wait_alu 0xf1ff
	v_cndmask_b32_e64 v0, 0x7fff, v0, s6
	s_delay_alu instid0(VALU_DEP_1) | instskip(NEXT) | instid1(VALU_DEP_1)
	v_and_b32_e32 v0, s8, v0
	v_and_b32_e32 v1, 1, v0
	v_lshlrev_b32_e32 v2, 30, v0
	v_lshlrev_b32_e32 v3, 29, v0
	;; [unrolled: 1-line block ×4, first 2 shown]
	v_add_co_u32 v1, s6, v1, -1
	s_wait_alu 0xf1ff
	v_cndmask_b32_e64 v6, 0, 1, s6
	v_not_b32_e32 v70, v2
	v_cmp_gt_i32_e64 s7, 0, v2
	v_not_b32_e32 v2, v3
	v_lshlrev_b32_e32 v65, 26, v0
	v_cmp_ne_u32_e64 s6, 0, v6
	v_ashrrev_i32_e32 v70, 31, v70
	v_lshlrev_b32_e32 v67, 25, v0
	v_ashrrev_i32_e32 v2, 31, v2
	v_lshlrev_b32_e32 v6, 24, v0
	s_wait_alu 0xf1ff
	v_xor_b32_e32 v1, s6, v1
	v_cmp_gt_i32_e64 s6, 0, v3
	v_not_b32_e32 v3, v4
	v_xor_b32_e32 v70, s7, v70
	v_cmp_gt_i32_e64 s7, 0, v4
	v_and_b32_e32 v1, exec_lo, v1
	v_not_b32_e32 v4, v7
	v_ashrrev_i32_e32 v3, 31, v3
	s_wait_alu 0xf1ff
	v_xor_b32_e32 v2, s6, v2
	v_cmp_gt_i32_e64 s6, 0, v7
	v_and_b32_e32 v1, v1, v70
	v_not_b32_e32 v7, v65
	v_ashrrev_i32_e32 v4, 31, v4
	v_xor_b32_e32 v3, s7, v3
	v_cmp_gt_i32_e64 s7, 0, v65
	v_and_b32_e32 v1, v1, v2
	v_not_b32_e32 v2, v67
	v_ashrrev_i32_e32 v7, 31, v7
	s_wait_alu 0xf1ff
	v_xor_b32_e32 v4, s6, v4
	v_cmp_gt_i32_e64 s6, 0, v67
	v_and_b32_e32 v1, v1, v3
	v_not_b32_e32 v3, v6
	v_ashrrev_i32_e32 v2, 31, v2
	v_xor_b32_e32 v7, s7, v7
	v_cmp_gt_i32_e64 s7, 0, v6
	v_and_b32_e32 v1, v1, v4
	v_ashrrev_i32_e32 v3, 31, v3
	s_wait_alu 0xf1ff
	v_xor_b32_e32 v2, s6, v2
	v_lshl_add_u32 v70, v0, 2, v8
	v_and_b32_e32 v1, v1, v7
	v_xor_b32_e32 v0, s7, v3
	ds_load_b32 v65, v70 offset:4
	v_and_b32_e32 v1, v1, v2
	; wave barrier
	s_delay_alu instid0(VALU_DEP_1) | instskip(NEXT) | instid1(VALU_DEP_1)
	v_and_b32_e32 v0, v1, v0
	v_mbcnt_lo_u32_b32 v67, v0, 0
	v_cmp_ne_u32_e64 s7, 0, v0
	s_delay_alu instid0(VALU_DEP_2)
	v_cmp_eq_u32_e64 s6, 0, v67
	s_and_b32 s7, s7, s6
	s_wait_alu 0xfffe
	s_and_saveexec_b32 s6, s7
	s_cbranch_execz .LBB238_63
; %bb.62:
	s_wait_dscnt 0x0
	v_bcnt_u32_b32 v0, v0, v65
	ds_store_b32 v70, v0 offset:4
.LBB238_63:
	s_wait_alu 0xfffe
	s_or_b32 exec_lo, exec_lo, s6
	v_cndmask_b32_e64 v0, v5, v66, s1
	; wave barrier
	v_and_or_b32 v72, 0xf80, v39, v42
	s_delay_alu instid0(VALU_DEP_2) | instskip(NEXT) | instid1(VALU_DEP_1)
	v_cndmask_b32_e64 v0, v0, v68, s0
	v_cndmask_b32_e32 v66, v0, v69, vcc_lo
	s_delay_alu instid0(VALU_DEP_1) | instskip(SKIP_2) | instid1(VALU_DEP_1)
	v_and_b32_e32 v0, 0xffff, v66
	v_cmp_ne_u16_e64 s6, 0x8000, v66
	s_wait_alu 0xf1ff
	v_cndmask_b32_e64 v0, 0x7fff, v0, s6
	s_delay_alu instid0(VALU_DEP_1) | instskip(NEXT) | instid1(VALU_DEP_1)
	v_and_b32_e32 v0, s8, v0
	v_and_b32_e32 v1, 1, v0
	v_lshlrev_b32_e32 v2, 30, v0
	v_lshlrev_b32_e32 v3, 29, v0
	;; [unrolled: 1-line block ×4, first 2 shown]
	v_add_co_u32 v1, s6, v1, -1
	s_wait_alu 0xf1ff
	v_cndmask_b32_e64 v5, 0, 1, s6
	v_not_b32_e32 v69, v2
	v_cmp_gt_i32_e64 s7, 0, v2
	v_not_b32_e32 v2, v3
	v_lshlrev_b32_e32 v7, 26, v0
	v_cmp_ne_u32_e64 s6, 0, v5
	v_ashrrev_i32_e32 v69, 31, v69
	v_lshlrev_b32_e32 v68, 25, v0
	v_ashrrev_i32_e32 v2, 31, v2
	v_lshlrev_b32_e32 v5, 24, v0
	s_wait_alu 0xf1ff
	v_xor_b32_e32 v1, s6, v1
	v_cmp_gt_i32_e64 s6, 0, v3
	v_not_b32_e32 v3, v4
	v_xor_b32_e32 v69, s7, v69
	v_cmp_gt_i32_e64 s7, 0, v4
	v_and_b32_e32 v1, exec_lo, v1
	v_not_b32_e32 v4, v6
	v_ashrrev_i32_e32 v3, 31, v3
	s_wait_alu 0xf1ff
	v_xor_b32_e32 v2, s6, v2
	v_cmp_gt_i32_e64 s6, 0, v6
	v_and_b32_e32 v1, v1, v69
	v_not_b32_e32 v6, v7
	v_ashrrev_i32_e32 v4, 31, v4
	v_xor_b32_e32 v3, s7, v3
	v_cmp_gt_i32_e64 s7, 0, v7
	v_and_b32_e32 v1, v1, v2
	v_not_b32_e32 v2, v68
	v_ashrrev_i32_e32 v6, 31, v6
	s_wait_alu 0xf1ff
	v_xor_b32_e32 v4, s6, v4
	v_cmp_gt_i32_e64 s6, 0, v68
	v_and_b32_e32 v1, v1, v3
	v_not_b32_e32 v3, v5
	v_ashrrev_i32_e32 v2, 31, v2
	v_xor_b32_e32 v6, s7, v6
	v_cmp_gt_i32_e64 s7, 0, v5
	v_and_b32_e32 v1, v1, v4
	v_ashrrev_i32_e32 v3, 31, v3
	s_wait_alu 0xf1ff
	v_xor_b32_e32 v2, s6, v2
	v_lshl_add_u32 v71, v0, 2, v8
	v_and_b32_e32 v1, v1, v6
	v_xor_b32_e32 v0, s7, v3
	ds_load_b32 v68, v71 offset:4
	v_and_b32_e32 v1, v1, v2
	; wave barrier
	s_delay_alu instid0(VALU_DEP_1) | instskip(NEXT) | instid1(VALU_DEP_1)
	v_and_b32_e32 v0, v1, v0
	v_mbcnt_lo_u32_b32 v69, v0, 0
	v_cmp_ne_u32_e64 s7, 0, v0
	s_delay_alu instid0(VALU_DEP_2)
	v_cmp_eq_u32_e64 s6, 0, v69
	s_and_b32 s7, s7, s6
	s_wait_alu 0xfffe
	s_and_saveexec_b32 s6, s7
	s_cbranch_execz .LBB238_65
; %bb.64:
	s_wait_dscnt 0x0
	v_bcnt_u32_b32 v0, v0, v68
	ds_store_b32 v71, v0 offset:4
.LBB238_65:
	s_wait_alu 0xfffe
	s_or_b32 exec_lo, exec_lo, s6
	; wave barrier
	; wave barrier
	s_wait_loadcnt_dscnt 0x0
	global_inv scope:SCOPE_SE
	ds_load_2addr_b32 v[6:7], v40 offset0:1 offset1:2
	ds_load_2addr_b32 v[4:5], v40 offset0:3 offset1:4
	;; [unrolled: 1-line block ×4, first 2 shown]
	v_and_b32_e32 v75, 16, v42
	v_cmp_eq_u32_e64 s10, 31, v17
	s_delay_alu instid0(VALU_DEP_2) | instskip(SKIP_3) | instid1(VALU_DEP_1)
	v_cmp_eq_u32_e64 s11, 0, v75
	s_wait_dscnt 0x3
	v_add_nc_u32_e32 v73, v7, v6
	s_wait_dscnt 0x2
	v_add3_u32 v73, v73, v4, v5
	s_wait_dscnt 0x1
	s_delay_alu instid0(VALU_DEP_1) | instskip(SKIP_1) | instid1(VALU_DEP_1)
	v_add3_u32 v73, v73, v2, v3
	s_wait_dscnt 0x0
	v_add3_u32 v1, v73, v0, v1
	v_and_b32_e32 v73, 15, v42
	s_delay_alu instid0(VALU_DEP_2) | instskip(NEXT) | instid1(VALU_DEP_2)
	v_mov_b32_dpp v74, v1 row_shr:1 row_mask:0xf bank_mask:0xf
	v_cmp_eq_u32_e64 s6, 0, v73
	v_cmp_lt_u32_e64 s7, 1, v73
	v_cmp_lt_u32_e64 s8, 3, v73
	;; [unrolled: 1-line block ×3, first 2 shown]
	s_wait_alu 0xf1ff
	v_cndmask_b32_e64 v74, v74, 0, s6
	s_delay_alu instid0(VALU_DEP_1) | instskip(NEXT) | instid1(VALU_DEP_1)
	v_add_nc_u32_e32 v1, v74, v1
	v_mov_b32_dpp v74, v1 row_shr:2 row_mask:0xf bank_mask:0xf
	s_delay_alu instid0(VALU_DEP_1) | instskip(NEXT) | instid1(VALU_DEP_1)
	v_cndmask_b32_e64 v74, 0, v74, s7
	v_add_nc_u32_e32 v1, v1, v74
	s_delay_alu instid0(VALU_DEP_1) | instskip(NEXT) | instid1(VALU_DEP_1)
	v_mov_b32_dpp v74, v1 row_shr:4 row_mask:0xf bank_mask:0xf
	v_cndmask_b32_e64 v74, 0, v74, s8
	s_delay_alu instid0(VALU_DEP_1) | instskip(NEXT) | instid1(VALU_DEP_1)
	v_add_nc_u32_e32 v1, v1, v74
	v_mov_b32_dpp v74, v1 row_shr:8 row_mask:0xf bank_mask:0xf
	s_delay_alu instid0(VALU_DEP_1) | instskip(SKIP_1) | instid1(VALU_DEP_2)
	v_cndmask_b32_e64 v73, 0, v74, s9
	v_bfe_i32 v74, v42, 4, 1
	v_add_nc_u32_e32 v73, v1, v73
	ds_swizzle_b32 v1, v73 offset:swizzle(BROADCAST,32,15)
	s_wait_dscnt 0x0
	v_and_b32_e32 v76, v74, v1
	v_sub_co_u32 v74, s22, v42, 1
	v_mul_u32_u24_e32 v1, 6, v72
	s_delay_alu instid0(VALU_DEP_3)
	v_add_nc_u32_e32 v73, v73, v76
	s_and_saveexec_b32 s12, s10
; %bb.66:
	v_mov_b32_e32 v75, 0
	ds_store_b32 v75, v73
; %bb.67:
	s_wait_alu 0xfffe
	s_or_b32 exec_lo, exec_lo, s12
	v_cmp_gt_i32_e64 s12, 0, v74
	; wave barrier
	s_wait_loadcnt_dscnt 0x0
	global_inv scope:SCOPE_SE
	s_min_u32 s13, s13, 8
	s_wait_alu 0xfffe
	s_lshl_b32 s13, -1, s13
	v_cndmask_b32_e64 v42, v74, v42, s12
	v_cmp_eq_u32_e64 s12, 0, v17
	s_wait_alu 0xfffe
	s_not_b32 s13, s13
	v_lshlrev_b32_e32 v42, 2, v42
	s_or_b32 s22, s12, s22
	v_cmp_eq_u32_e64 s12, 0, v41
	ds_bpermute_b32 v73, v42, v73
	s_wait_alu 0xf1ff
	v_cndmask_b32_e64 v41, 0, v50, s12
	v_cndmask_b32_e64 v50, 0, v54, s12
	s_wait_dscnt 0x0
	v_cndmask_b32_e64 v73, v73, 0, s22
	s_delay_alu instid0(VALU_DEP_1) | instskip(NEXT) | instid1(VALU_DEP_1)
	v_add_nc_u32_e32 v6, v73, v6
	v_add_nc_u32_e32 v7, v6, v7
	s_delay_alu instid0(VALU_DEP_1) | instskip(NEXT) | instid1(VALU_DEP_1)
	v_add_nc_u32_e32 v4, v7, v4
	v_add_nc_u32_e32 v5, v4, v5
	;; [unrolled: 3-line block ×3, first 2 shown]
	s_delay_alu instid0(VALU_DEP_1)
	v_add_nc_u32_e32 v0, v3, v0
	ds_store_2addr_b32 v40, v73, v6 offset0:1 offset1:2
	ds_store_2addr_b32 v40, v7, v4 offset0:3 offset1:4
	;; [unrolled: 1-line block ×4, first 2 shown]
	; wave barrier
	s_wait_loadcnt_dscnt 0x0
	global_inv scope:SCOPE_SE
	ds_load_b32 v0, v60 offset:4
	ds_load_b32 v2, v64 offset:4
	;; [unrolled: 1-line block ×4, first 2 shown]
	v_cndmask_b32_e64 v5, 0, v23, s12
	v_cndmask_b32_e64 v7, 0, v15, s12
	;; [unrolled: 1-line block ×3, first 2 shown]
	v_lshlrev_b32_e32 v6, 1, v72
	v_cndmask_b32_e64 v49, 0, v52, s12
	v_cndmask_b32_e64 v5, v5, v16, s1
	;; [unrolled: 1-line block ×9, first 2 shown]
	; wave barrier
	s_wait_loadcnt_dscnt 0x0
	global_inv scope:SCOPE_SE
	v_cndmask_b32_e64 v27, v49, v53, s1
	v_add_nc_u32_e32 v13, v0, v58
	v_add3_u32 v52, v62, v61, v2
	v_add3_u32 v54, v67, v65, v3
	;; [unrolled: 1-line block ×3, first 2 shown]
	v_cndmask_b32_e32 v4, v5, v10, vcc_lo
	v_lshlrev_b32_e32 v0, 1, v13
	v_cndmask_b32_e64 v10, v12, v21, s0
	v_cndmask_b32_e64 v12, v23, v25, s0
	;; [unrolled: 1-line block ×3, first 2 shown]
	v_add_nc_u32_e32 v51, v6, v1
	v_lshlrev_b32_e32 v1, 1, v52
	v_lshlrev_b32_e32 v2, 1, v54
	;; [unrolled: 1-line block ×3, first 2 shown]
	ds_store_b16 v0, v47
	ds_store_b16 v1, v59
	;; [unrolled: 1-line block ×4, first 2 shown]
	; wave barrier
	s_wait_loadcnt_dscnt 0x0
	global_inv scope:SCOPE_SE
	ds_load_u16 v16, v6
	v_cndmask_b32_e64 v15, v15, v22, s1
	v_cndmask_b32_e64 v22, v48, v45, s1
	;; [unrolled: 1-line block ×3, first 2 shown]
	s_delay_alu instid0(VALU_DEP_3) | instskip(NEXT) | instid1(VALU_DEP_3)
	v_cndmask_b32_e64 v9, v15, v20, s0
	v_cndmask_b32_e64 v15, v22, v26, s0
	;; [unrolled: 1-line block ×3, first 2 shown]
	s_delay_alu instid0(VALU_DEP_4)
	v_cndmask_b32_e32 v5, v7, v11, vcc_lo
	v_cndmask_b32_e32 v7, v10, v18, vcc_lo
	ds_load_u16 v18, v6 offset:64
	ds_load_u16 v20, v6 offset:128
	;; [unrolled: 1-line block ×3, first 2 shown]
	v_cndmask_b32_e32 v6, v9, v14, vcc_lo
	v_cndmask_b32_e32 v10, v15, v46, vcc_lo
	; wave barrier
	s_wait_loadcnt_dscnt 0x0
	global_inv scope:SCOPE_SE
	v_cndmask_b32_e32 v9, v12, v19, vcc_lo
	v_cndmask_b32_e32 v12, v23, v43, vcc_lo
	v_lshrrev_b16 v11, 8, v16
	v_cmp_ne_u16_e64 s0, 0x8000, v16
	s_wait_alu 0xf1ff
	s_delay_alu instid0(VALU_DEP_1) | instskip(SKIP_1) | instid1(VALU_DEP_2)
	v_cndmask_b32_e64 v14, 0x7f, v11, s0
	v_cndmask_b32_e32 v11, v22, v44, vcc_lo
	v_and_b32_e32 v15, 0xffff, v14
	v_mad_co_u64_u32 v[13:14], null, v13, 6, v[0:1]
	v_mad_co_u64_u32 v[0:1], null, v52, 6, v[1:2]
	s_wait_alu 0xfffe
	s_delay_alu instid0(VALU_DEP_3) | instskip(SKIP_2) | instid1(VALU_DEP_3)
	v_and_b32_e32 v14, s13, v15
	v_mad_co_u64_u32 v[1:2], null, v54, 6, v[2:3]
	v_mad_co_u64_u32 v[2:3], null, v58, 6, v[3:4]
	v_and_b32_e32 v3, 1, v14
	ds_store_b64 v13, v[4:5]
	v_lshlrev_b32_e32 v4, 30, v14
	v_lshlrev_b32_e32 v5, 29, v14
	;; [unrolled: 1-line block ×3, first 2 shown]
	v_add_co_u32 v3, s0, v3, -1
	s_wait_alu 0xf1ff
	v_cndmask_b32_e64 v15, 0, 1, s0
	v_not_b32_e32 v24, v4
	v_cmp_gt_i32_e64 s0, 0, v4
	v_not_b32_e32 v4, v5
	v_lshlrev_b32_e32 v19, 27, v14
	v_cmp_ne_u32_e32 vcc_lo, 0, v15
	v_ashrrev_i32_e32 v24, 31, v24
	v_lshlrev_b32_e32 v22, 26, v14
	v_ashrrev_i32_e32 v4, 31, v4
	v_lshlrev_b32_e32 v23, 25, v14
	s_wait_alu 0xfffd
	v_xor_b32_e32 v3, vcc_lo, v3
	v_cmp_gt_i32_e32 vcc_lo, 0, v5
	v_not_b32_e32 v5, v13
	s_wait_alu 0xf1ff
	v_xor_b32_e32 v24, s0, v24
	v_cmp_gt_i32_e64 s0, 0, v13
	v_and_b32_e32 v3, exec_lo, v3
	v_not_b32_e32 v13, v19
	v_ashrrev_i32_e32 v5, 31, v5
	s_wait_alu 0xfffd
	v_xor_b32_e32 v4, vcc_lo, v4
	v_cmp_gt_i32_e32 vcc_lo, 0, v19
	v_and_b32_e32 v3, v3, v24
	v_not_b32_e32 v19, v22
	v_ashrrev_i32_e32 v13, 31, v13
	s_wait_alu 0xf1ff
	v_xor_b32_e32 v5, s0, v5
	v_lshlrev_b32_e32 v15, 24, v14
	v_and_b32_e32 v3, v3, v4
	v_cmp_gt_i32_e64 s0, 0, v22
	v_not_b32_e32 v4, v23
	v_ashrrev_i32_e32 v19, 31, v19
	s_wait_alu 0xfffd
	v_xor_b32_e32 v13, vcc_lo, v13
	v_and_b32_e32 v3, v3, v5
	v_cmp_gt_i32_e32 vcc_lo, 0, v23
	v_not_b32_e32 v5, v15
	v_ashrrev_i32_e32 v4, 31, v4
	s_wait_alu 0xf1ff
	v_xor_b32_e32 v19, s0, v19
	v_and_b32_e32 v3, v3, v13
	ds_store_b64 v0, v[6:7]
	v_cmp_gt_i32_e64 s0, 0, v15
	v_ashrrev_i32_e32 v0, 31, v5
	s_wait_alu 0xfffd
	v_xor_b32_e32 v4, vcc_lo, v4
	v_and_b32_e32 v3, v3, v19
	ds_store_b64 v1, v[9:10]
	ds_store_b64 v2, v[11:12]
	s_wait_loadcnt_dscnt 0x0
	s_wait_alu 0xf1ff
	v_xor_b32_e32 v9, s0, v0
	; wave barrier
	global_inv scope:SCOPE_SE
	v_and_b32_e32 v10, v3, v4
	ds_load_2addr_b64 v[4:7], v51 offset1:32
	ds_load_2addr_b64 v[0:3], v51 offset0:64 offset1:96
	v_lshl_add_u32 v22, v14, 2, v8
	; wave barrier
	s_wait_loadcnt_dscnt 0x0
	global_inv scope:SCOPE_SE
	v_dual_mov_b32 v10, 0 :: v_dual_and_b32 v9, v10, v9
	ds_store_2addr_b32 v40, v10, v10 offset0:1 offset1:2
	ds_store_2addr_b32 v40, v10, v10 offset0:3 offset1:4
	ds_store_2addr_b32 v40, v10, v10 offset0:5 offset1:6
	ds_store_2addr_b32 v40, v10, v10 offset0:7 offset1:8
	v_mbcnt_lo_u32_b32 v19, v9, 0
	v_cmp_ne_u32_e64 s0, 0, v9
	; wave barrier
	s_wait_loadcnt_dscnt 0x0
	global_inv scope:SCOPE_SE
	v_cmp_eq_u32_e32 vcc_lo, 0, v19
	; wave barrier
	s_and_b32 s1, s0, vcc_lo
	s_wait_alu 0xfffe
	s_and_saveexec_b32 s0, s1
; %bb.68:
	v_bcnt_u32_b32 v9, v9, 0
	ds_store_b32 v22, v9 offset:4
; %bb.69:
	s_wait_alu 0xfffe
	s_or_b32 exec_lo, exec_lo, s0
	v_lshrrev_b16 v9, 8, v18
	v_cmp_ne_u16_e32 vcc_lo, 0x8000, v18
	; wave barrier
	s_wait_alu 0xfffd
	s_delay_alu instid0(VALU_DEP_2) | instskip(NEXT) | instid1(VALU_DEP_1)
	v_cndmask_b32_e32 v9, 0x7f, v9, vcc_lo
	v_and_b32_e32 v9, s13, v9
	s_delay_alu instid0(VALU_DEP_1)
	v_and_b32_e32 v10, 1, v9
	v_lshlrev_b32_e32 v11, 30, v9
	v_lshlrev_b32_e32 v12, 29, v9
	;; [unrolled: 1-line block ×4, first 2 shown]
	v_add_co_u32 v10, s0, v10, -1
	s_wait_alu 0xf1ff
	v_cndmask_b32_e64 v14, 0, 1, s0
	v_not_b32_e32 v25, v11
	v_cmp_gt_i32_e64 s0, 0, v11
	v_not_b32_e32 v11, v12
	v_lshlrev_b32_e32 v23, 26, v9
	v_cmp_ne_u32_e32 vcc_lo, 0, v14
	v_ashrrev_i32_e32 v25, 31, v25
	v_lshlrev_b32_e32 v24, 25, v9
	v_ashrrev_i32_e32 v11, 31, v11
	v_lshlrev_b32_e32 v14, 24, v9
	s_wait_alu 0xfffd
	v_xor_b32_e32 v10, vcc_lo, v10
	v_cmp_gt_i32_e32 vcc_lo, 0, v12
	v_not_b32_e32 v12, v13
	s_wait_alu 0xf1ff
	v_xor_b32_e32 v25, s0, v25
	v_cmp_gt_i32_e64 s0, 0, v13
	v_and_b32_e32 v10, exec_lo, v10
	v_not_b32_e32 v13, v15
	v_ashrrev_i32_e32 v12, 31, v12
	s_wait_alu 0xfffd
	v_xor_b32_e32 v11, vcc_lo, v11
	v_cmp_gt_i32_e32 vcc_lo, 0, v15
	v_and_b32_e32 v10, v10, v25
	v_not_b32_e32 v15, v23
	v_ashrrev_i32_e32 v13, 31, v13
	s_wait_alu 0xf1ff
	v_xor_b32_e32 v12, s0, v12
	v_cmp_gt_i32_e64 s0, 0, v23
	v_and_b32_e32 v10, v10, v11
	v_not_b32_e32 v11, v24
	v_ashrrev_i32_e32 v15, 31, v15
	s_wait_alu 0xfffd
	v_xor_b32_e32 v13, vcc_lo, v13
	v_cmp_gt_i32_e32 vcc_lo, 0, v24
	v_and_b32_e32 v10, v10, v12
	v_not_b32_e32 v12, v14
	v_ashrrev_i32_e32 v11, 31, v11
	s_wait_alu 0xf1ff
	v_xor_b32_e32 v15, s0, v15
	v_cmp_gt_i32_e64 s0, 0, v14
	v_and_b32_e32 v10, v10, v13
	v_ashrrev_i32_e32 v12, 31, v12
	s_wait_alu 0xfffd
	v_xor_b32_e32 v11, vcc_lo, v11
	v_lshl_add_u32 v25, v9, 2, v8
	v_and_b32_e32 v10, v10, v15
	s_wait_alu 0xf1ff
	v_xor_b32_e32 v9, s0, v12
	ds_load_b32 v23, v25 offset:4
	v_and_b32_e32 v10, v10, v11
	; wave barrier
	s_delay_alu instid0(VALU_DEP_1) | instskip(NEXT) | instid1(VALU_DEP_1)
	v_and_b32_e32 v9, v10, v9
	v_mbcnt_lo_u32_b32 v24, v9, 0
	v_cmp_ne_u32_e64 s0, 0, v9
	s_delay_alu instid0(VALU_DEP_2)
	v_cmp_eq_u32_e32 vcc_lo, 0, v24
	s_and_b32 s1, s0, vcc_lo
	s_wait_alu 0xfffe
	s_and_saveexec_b32 s0, s1
	s_cbranch_execz .LBB238_71
; %bb.70:
	s_wait_dscnt 0x0
	v_bcnt_u32_b32 v9, v9, v23
	ds_store_b32 v25, v9 offset:4
.LBB238_71:
	s_wait_alu 0xfffe
	s_or_b32 exec_lo, exec_lo, s0
	v_lshrrev_b16 v9, 8, v20
	v_cmp_ne_u16_e32 vcc_lo, 0x8000, v20
	; wave barrier
	s_wait_alu 0xfffd
	s_delay_alu instid0(VALU_DEP_2) | instskip(NEXT) | instid1(VALU_DEP_1)
	v_cndmask_b32_e32 v9, 0x7f, v9, vcc_lo
	v_and_b32_e32 v9, s13, v9
	s_delay_alu instid0(VALU_DEP_1)
	v_and_b32_e32 v10, 1, v9
	v_lshlrev_b32_e32 v11, 30, v9
	v_lshlrev_b32_e32 v12, 29, v9
	;; [unrolled: 1-line block ×4, first 2 shown]
	v_add_co_u32 v10, s0, v10, -1
	s_wait_alu 0xf1ff
	v_cndmask_b32_e64 v14, 0, 1, s0
	v_not_b32_e32 v41, v11
	v_cmp_gt_i32_e64 s0, 0, v11
	v_not_b32_e32 v11, v12
	v_lshlrev_b32_e32 v26, 26, v9
	v_cmp_ne_u32_e32 vcc_lo, 0, v14
	v_ashrrev_i32_e32 v41, 31, v41
	v_lshlrev_b32_e32 v27, 25, v9
	v_ashrrev_i32_e32 v11, 31, v11
	v_lshlrev_b32_e32 v14, 24, v9
	s_wait_alu 0xfffd
	v_xor_b32_e32 v10, vcc_lo, v10
	v_cmp_gt_i32_e32 vcc_lo, 0, v12
	v_not_b32_e32 v12, v13
	s_wait_alu 0xf1ff
	v_xor_b32_e32 v41, s0, v41
	v_cmp_gt_i32_e64 s0, 0, v13
	v_and_b32_e32 v10, exec_lo, v10
	v_not_b32_e32 v13, v15
	v_ashrrev_i32_e32 v12, 31, v12
	s_wait_alu 0xfffd
	v_xor_b32_e32 v11, vcc_lo, v11
	v_cmp_gt_i32_e32 vcc_lo, 0, v15
	v_and_b32_e32 v10, v10, v41
	v_not_b32_e32 v15, v26
	v_ashrrev_i32_e32 v13, 31, v13
	s_wait_alu 0xf1ff
	v_xor_b32_e32 v12, s0, v12
	v_cmp_gt_i32_e64 s0, 0, v26
	v_and_b32_e32 v10, v10, v11
	v_not_b32_e32 v11, v27
	v_ashrrev_i32_e32 v15, 31, v15
	s_wait_alu 0xfffd
	v_xor_b32_e32 v13, vcc_lo, v13
	v_cmp_gt_i32_e32 vcc_lo, 0, v27
	v_and_b32_e32 v10, v10, v12
	v_not_b32_e32 v12, v14
	v_ashrrev_i32_e32 v11, 31, v11
	s_wait_alu 0xf1ff
	v_xor_b32_e32 v15, s0, v15
	v_cmp_gt_i32_e64 s0, 0, v14
	v_and_b32_e32 v10, v10, v13
	v_ashrrev_i32_e32 v12, 31, v12
	s_wait_alu 0xfffd
	v_xor_b32_e32 v11, vcc_lo, v11
	v_lshl_add_u32 v41, v9, 2, v8
	v_and_b32_e32 v10, v10, v15
	s_wait_alu 0xf1ff
	v_xor_b32_e32 v9, s0, v12
	ds_load_b32 v26, v41 offset:4
	v_and_b32_e32 v10, v10, v11
	; wave barrier
	s_delay_alu instid0(VALU_DEP_1) | instskip(NEXT) | instid1(VALU_DEP_1)
	v_and_b32_e32 v9, v10, v9
	v_mbcnt_lo_u32_b32 v27, v9, 0
	v_cmp_ne_u32_e64 s0, 0, v9
	s_delay_alu instid0(VALU_DEP_2)
	v_cmp_eq_u32_e32 vcc_lo, 0, v27
	s_and_b32 s1, s0, vcc_lo
	s_wait_alu 0xfffe
	s_and_saveexec_b32 s0, s1
	s_cbranch_execz .LBB238_73
; %bb.72:
	s_wait_dscnt 0x0
	v_bcnt_u32_b32 v9, v9, v26
	ds_store_b32 v41, v9 offset:4
.LBB238_73:
	s_wait_alu 0xfffe
	s_or_b32 exec_lo, exec_lo, s0
	v_lshrrev_b16 v9, 8, v21
	v_cmp_ne_u16_e32 vcc_lo, 0x8000, v21
	; wave barrier
	s_wait_alu 0xfffd
	s_delay_alu instid0(VALU_DEP_2) | instskip(NEXT) | instid1(VALU_DEP_1)
	v_cndmask_b32_e32 v9, 0x7f, v9, vcc_lo
	v_and_b32_e32 v9, s13, v9
	s_delay_alu instid0(VALU_DEP_1)
	v_and_b32_e32 v10, 1, v9
	v_lshlrev_b32_e32 v11, 30, v9
	v_lshlrev_b32_e32 v12, 29, v9
	;; [unrolled: 1-line block ×4, first 2 shown]
	v_add_co_u32 v10, s0, v10, -1
	s_wait_alu 0xf1ff
	v_cndmask_b32_e64 v14, 0, 1, s0
	v_not_b32_e32 v45, v11
	v_cmp_gt_i32_e64 s0, 0, v11
	v_not_b32_e32 v11, v12
	v_lshlrev_b32_e32 v43, 26, v9
	v_cmp_ne_u32_e32 vcc_lo, 0, v14
	v_ashrrev_i32_e32 v45, 31, v45
	v_lshlrev_b32_e32 v44, 25, v9
	v_ashrrev_i32_e32 v11, 31, v11
	v_lshlrev_b32_e32 v14, 24, v9
	s_wait_alu 0xfffd
	v_xor_b32_e32 v10, vcc_lo, v10
	v_cmp_gt_i32_e32 vcc_lo, 0, v12
	v_not_b32_e32 v12, v13
	s_wait_alu 0xf1ff
	v_xor_b32_e32 v45, s0, v45
	v_cmp_gt_i32_e64 s0, 0, v13
	v_and_b32_e32 v10, exec_lo, v10
	v_not_b32_e32 v13, v15
	v_ashrrev_i32_e32 v12, 31, v12
	s_wait_alu 0xfffd
	v_xor_b32_e32 v11, vcc_lo, v11
	v_cmp_gt_i32_e32 vcc_lo, 0, v15
	v_and_b32_e32 v10, v10, v45
	v_not_b32_e32 v15, v43
	v_ashrrev_i32_e32 v13, 31, v13
	s_wait_alu 0xf1ff
	v_xor_b32_e32 v12, s0, v12
	v_cmp_gt_i32_e64 s0, 0, v43
	v_and_b32_e32 v10, v10, v11
	v_not_b32_e32 v11, v44
	v_ashrrev_i32_e32 v15, 31, v15
	s_wait_alu 0xfffd
	v_xor_b32_e32 v13, vcc_lo, v13
	v_cmp_gt_i32_e32 vcc_lo, 0, v44
	v_and_b32_e32 v10, v10, v12
	v_not_b32_e32 v12, v14
	v_ashrrev_i32_e32 v11, 31, v11
	s_wait_alu 0xf1ff
	v_xor_b32_e32 v15, s0, v15
	v_cmp_gt_i32_e64 s0, 0, v14
	v_and_b32_e32 v10, v10, v13
	v_ashrrev_i32_e32 v12, 31, v12
	s_wait_alu 0xfffd
	v_xor_b32_e32 v11, vcc_lo, v11
	v_lshl_add_u32 v45, v9, 2, v8
	v_and_b32_e32 v10, v10, v15
	s_wait_alu 0xf1ff
	v_xor_b32_e32 v8, s0, v12
	ds_load_b32 v43, v45 offset:4
	v_and_b32_e32 v9, v10, v11
	; wave barrier
	s_delay_alu instid0(VALU_DEP_1) | instskip(NEXT) | instid1(VALU_DEP_1)
	v_and_b32_e32 v8, v9, v8
	v_mbcnt_lo_u32_b32 v44, v8, 0
	v_cmp_ne_u32_e64 s0, 0, v8
	s_delay_alu instid0(VALU_DEP_2)
	v_cmp_eq_u32_e32 vcc_lo, 0, v44
	s_and_b32 s1, s0, vcc_lo
	s_wait_alu 0xfffe
	s_and_saveexec_b32 s0, s1
	s_cbranch_execz .LBB238_75
; %bb.74:
	s_wait_dscnt 0x0
	v_bcnt_u32_b32 v8, v8, v43
	ds_store_b32 v45, v8 offset:4
.LBB238_75:
	s_wait_alu 0xfffe
	s_or_b32 exec_lo, exec_lo, s0
	; wave barrier
	; wave barrier
	s_wait_loadcnt_dscnt 0x0
	global_inv scope:SCOPE_SE
	ds_load_2addr_b32 v[14:15], v40 offset0:1 offset1:2
	ds_load_2addr_b32 v[12:13], v40 offset0:3 offset1:4
	;; [unrolled: 1-line block ×4, first 2 shown]
	s_wait_dscnt 0x3
	v_add_nc_u32_e32 v46, v15, v14
	s_wait_dscnt 0x2
	s_delay_alu instid0(VALU_DEP_1) | instskip(SKIP_1) | instid1(VALU_DEP_1)
	v_add3_u32 v46, v46, v12, v13
	s_wait_dscnt 0x1
	v_add3_u32 v46, v46, v10, v11
	s_wait_dscnt 0x0
	s_delay_alu instid0(VALU_DEP_1) | instskip(NEXT) | instid1(VALU_DEP_1)
	v_add3_u32 v9, v46, v8, v9
	v_mov_b32_dpp v46, v9 row_shr:1 row_mask:0xf bank_mask:0xf
	s_delay_alu instid0(VALU_DEP_1) | instskip(NEXT) | instid1(VALU_DEP_1)
	v_cndmask_b32_e64 v46, v46, 0, s6
	v_add_nc_u32_e32 v9, v46, v9
	s_delay_alu instid0(VALU_DEP_1) | instskip(NEXT) | instid1(VALU_DEP_1)
	v_mov_b32_dpp v46, v9 row_shr:2 row_mask:0xf bank_mask:0xf
	v_cndmask_b32_e64 v46, 0, v46, s7
	s_delay_alu instid0(VALU_DEP_1) | instskip(NEXT) | instid1(VALU_DEP_1)
	v_add_nc_u32_e32 v9, v9, v46
	v_mov_b32_dpp v46, v9 row_shr:4 row_mask:0xf bank_mask:0xf
	s_delay_alu instid0(VALU_DEP_1) | instskip(NEXT) | instid1(VALU_DEP_1)
	v_cndmask_b32_e64 v46, 0, v46, s8
	v_add_nc_u32_e32 v9, v9, v46
	s_delay_alu instid0(VALU_DEP_1) | instskip(NEXT) | instid1(VALU_DEP_1)
	v_mov_b32_dpp v46, v9 row_shr:8 row_mask:0xf bank_mask:0xf
	v_cndmask_b32_e64 v46, 0, v46, s9
	s_delay_alu instid0(VALU_DEP_1) | instskip(SKIP_3) | instid1(VALU_DEP_1)
	v_add_nc_u32_e32 v9, v9, v46
	ds_swizzle_b32 v46, v9 offset:swizzle(BROADCAST,32,15)
	s_wait_dscnt 0x0
	v_cndmask_b32_e64 v46, v46, 0, s11
	v_add_nc_u32_e32 v9, v9, v46
	s_and_saveexec_b32 s0, s10
; %bb.76:
	v_mov_b32_e32 v46, 0
	ds_store_b32 v46, v9
; %bb.77:
	s_wait_alu 0xfffe
	s_or_b32 exec_lo, exec_lo, s0
	ds_bpermute_b32 v9, v42, v9
	; wave barrier
	s_wait_loadcnt_dscnt 0x0
	global_inv scope:SCOPE_SE
	v_cndmask_b32_e64 v9, v9, 0, s22
	s_delay_alu instid0(VALU_DEP_1) | instskip(NEXT) | instid1(VALU_DEP_1)
	v_add_nc_u32_e32 v14, v9, v14
	v_add_nc_u32_e32 v15, v14, v15
	s_delay_alu instid0(VALU_DEP_1) | instskip(NEXT) | instid1(VALU_DEP_1)
	v_add_nc_u32_e32 v12, v15, v12
	v_add_nc_u32_e32 v13, v12, v13
	;; [unrolled: 3-line block ×3, first 2 shown]
	s_delay_alu instid0(VALU_DEP_1)
	v_add_nc_u32_e32 v8, v11, v8
	ds_store_2addr_b32 v40, v9, v14 offset0:1 offset1:2
	ds_store_2addr_b32 v40, v15, v12 offset0:3 offset1:4
	;; [unrolled: 1-line block ×4, first 2 shown]
	; wave barrier
	s_wait_loadcnt_dscnt 0x0
	global_inv scope:SCOPE_SE
	ds_load_b32 v8, v22 offset:4
	ds_load_b32 v9, v25 offset:4
	;; [unrolled: 1-line block ×4, first 2 shown]
	v_lshlrev_b32_e32 v12, 1, v39
	; wave barrier
	s_wait_loadcnt_dscnt 0x0
	global_inv scope:SCOPE_SE
	v_add_nc_u32_e32 v15, v8, v19
	v_add3_u32 v19, v24, v23, v9
	v_add3_u32 v22, v27, v26, v10
	;; [unrolled: 1-line block ×3, first 2 shown]
	s_delay_alu instid0(VALU_DEP_4) | instskip(NEXT) | instid1(VALU_DEP_4)
	v_lshlrev_b32_e32 v8, 1, v15
	v_lshlrev_b32_e32 v9, 1, v19
	s_delay_alu instid0(VALU_DEP_4) | instskip(NEXT) | instid1(VALU_DEP_4)
	v_lshlrev_b32_e32 v10, 1, v22
	v_lshlrev_b32_e32 v11, 1, v23
	ds_store_b16 v8, v16
	ds_store_b16 v9, v18
	;; [unrolled: 1-line block ×4, first 2 shown]
	; wave barrier
	s_wait_loadcnt_dscnt 0x0
	global_inv scope:SCOPE_SE
	ds_load_b64 v[13:14], v12
	v_mad_co_u64_u32 v[15:16], null, v15, 6, v[8:9]
	v_mad_co_u64_u32 v[8:9], null, v19, 6, v[9:10]
	;; [unrolled: 1-line block ×3, first 2 shown]
	; wave barrier
	s_wait_loadcnt_dscnt 0x0
	global_inv scope:SCOPE_SE
	ds_store_b64 v15, v[4:5]
	ds_store_b64 v8, v[6:7]
	v_cmp_gt_i16_e32 vcc_lo, 0, v13
	v_lshrrev_b32_e32 v10, 16, v13
	v_lshrrev_b32_e32 v16, 16, v14
	s_wait_alu 0xfffd
	v_cndmask_b32_e64 v12, 0x7fff, 0, vcc_lo
	v_cmp_gt_i16_e32 vcc_lo, 0, v14
	s_wait_alu 0xfffd
	v_cndmask_b32_e64 v18, 0x7fff, 0, vcc_lo
	v_cmp_gt_i16_e32 vcc_lo, 0, v10
	v_mad_co_u64_u32 v[10:11], null, v23, 6, v[11:12]
	ds_store_b64 v9, v[0:1]
	ds_store_b64 v10, v[2:3]
	s_wait_alu 0xfffd
	v_cndmask_b32_e64 v19, 0x7fff, 0, vcc_lo
	v_cmp_gt_i16_e32 vcc_lo, 0, v16
	; wave barrier
	s_wait_loadcnt_dscnt 0x0
	global_inv scope:SCOPE_SE
	v_perm_b32 v11, v19, v12, 0x5040100
	s_wait_alu 0xfffd
	v_cndmask_b32_e64 v16, 0x7fff, 0, vcc_lo
	s_delay_alu instid0(VALU_DEP_2) | instskip(NEXT) | instid1(VALU_DEP_2)
	v_xor_b32_e32 v13, v11, v13
	v_perm_b32 v12, v16, v18, 0x5040100
	s_delay_alu instid0(VALU_DEP_1)
	v_xor_b32_e32 v14, v12, v14
.LBB238_78:
	v_mad_co_u64_u32 v[8:9], null, s14, v17, 0
	ds_load_b128 v[4:7], v38
	ds_load_b128 v[0:3], v38 offset:16
	; wave barrier
	s_wait_loadcnt_dscnt 0x0
	global_inv scope:SCOPE_SE
	ds_store_2addr_b32 v32, v13, v14 offset1:1
	; wave barrier
	s_wait_loadcnt_dscnt 0x0
	global_inv scope:SCOPE_SE
	v_mad_co_u64_u32 v[9:10], null, s15, v17, v[9:10]
	ds_load_u16 v12, v29 offset:64
	ds_load_u16 v11, v30 offset:128
	;; [unrolled: 1-line block ×3, first 2 shown]
	v_lshlrev_b64_e32 v[8:9], 1, v[8:9]
	s_delay_alu instid0(VALU_DEP_1) | instskip(SKIP_1) | instid1(VALU_DEP_2)
	v_add_co_u32 v8, vcc_lo, s18, v8
	s_wait_alu 0xfffd
	v_add_co_ci_u32_e64 v9, null, s19, v9, vcc_lo
	s_and_saveexec_b32 s0, s2
	s_cbranch_execnz .LBB238_89
; %bb.79:
	s_wait_alu 0xfffe
	s_or_b32 exec_lo, exec_lo, s0
	s_and_saveexec_b32 s0, s3
	s_cbranch_execnz .LBB238_90
.LBB238_80:
	s_wait_alu 0xfffe
	s_or_b32 exec_lo, exec_lo, s0
	s_and_saveexec_b32 s0, s4
	s_cbranch_execnz .LBB238_91
.LBB238_81:
	s_wait_alu 0xfffe
	s_or_b32 exec_lo, exec_lo, s0
	s_and_saveexec_b32 s0, s5
	s_cbranch_execz .LBB238_83
.LBB238_82:
	v_mad_co_u64_u32 v[8:9], null, 0xc0, s14, v[8:9]
	s_wait_dscnt 0x0
	s_delay_alu instid0(VALU_DEP_1) | instskip(NEXT) | instid1(VALU_DEP_1)
	v_mad_co_u64_u32 v[11:12], null, 0xc0, s15, v[9:10]
	v_mov_b32_e32 v9, v11
	global_store_b16 v[8:9], v10, off
.LBB238_83:
	s_wait_alu 0xfffe
	s_or_b32 exec_lo, exec_lo, s0
	v_mad_co_u64_u32 v[8:9], null, s16, v17, 0
	s_wait_storecnt 0x0
	; wave barrier
	s_wait_loadcnt_dscnt 0x0
	global_inv scope:SCOPE_SE
	ds_store_2addr_b64 v37, v[4:5], v[6:7] offset1:1
	ds_store_2addr_b64 v37, v[0:1], v[2:3] offset0:2 offset1:3
	; wave barrier
	s_wait_loadcnt_dscnt 0x0
	global_inv scope:SCOPE_SE
	ds_load_b64 v[6:7], v34 offset:256
	ds_load_b64 v[4:5], v35 offset:512
	;; [unrolled: 1-line block ×3, first 2 shown]
	v_mad_co_u64_u32 v[9:10], null, s17, v17, v[9:10]
	s_delay_alu instid0(VALU_DEP_1) | instskip(NEXT) | instid1(VALU_DEP_1)
	v_lshlrev_b64_e32 v[2:3], 3, v[8:9]
	v_add_co_u32 v2, vcc_lo, s20, v2
	s_wait_alu 0xfffd
	s_delay_alu instid0(VALU_DEP_2)
	v_add_co_ci_u32_e64 v3, null, s21, v3, vcc_lo
	s_and_saveexec_b32 s0, s2
	s_cbranch_execnz .LBB238_92
; %bb.84:
	s_wait_alu 0xfffe
	s_or_b32 exec_lo, exec_lo, s0
	s_and_saveexec_b32 s0, s3
	s_cbranch_execnz .LBB238_93
.LBB238_85:
	s_wait_alu 0xfffe
	s_or_b32 exec_lo, exec_lo, s0
	s_and_saveexec_b32 s0, s4
	s_cbranch_execnz .LBB238_94
.LBB238_86:
	s_wait_alu 0xfffe
	s_or_b32 exec_lo, exec_lo, s0
	s_and_saveexec_b32 s0, s5
	s_cbranch_execz .LBB238_88
.LBB238_87:
	v_mad_co_u64_u32 v[2:3], null, 0x300, s16, v[2:3]
	s_wait_dscnt 0x1
	s_delay_alu instid0(VALU_DEP_1)
	v_mad_co_u64_u32 v[3:4], null, 0x300, s17, v[3:4]
	s_wait_dscnt 0x0
	global_store_b64 v[2:3], v[0:1], off
.LBB238_88:
	s_endpgm
.LBB238_89:
	ds_load_u16 v13, v28
	s_wait_dscnt 0x0
	global_store_b16 v[8:9], v13, off
	s_wait_alu 0xfffe
	s_or_b32 exec_lo, exec_lo, s0
	s_and_saveexec_b32 s0, s3
	s_cbranch_execz .LBB238_80
.LBB238_90:
	s_lshl_b64 s[6:7], s[14:15], 6
	s_wait_alu 0xfffe
	v_add_co_u32 v13, vcc_lo, v8, s6
	s_wait_alu 0xfffd
	v_add_co_ci_u32_e64 v14, null, s7, v9, vcc_lo
	s_wait_dscnt 0x2
	global_store_b16 v[13:14], v12, off
	s_or_b32 exec_lo, exec_lo, s0
	s_and_saveexec_b32 s0, s4
	s_cbranch_execz .LBB238_81
.LBB238_91:
	s_lshl_b64 s[6:7], s[14:15], 7
	s_wait_dscnt 0x2
	s_wait_alu 0xfffe
	v_add_co_u32 v12, vcc_lo, v8, s6
	s_wait_alu 0xfffd
	v_add_co_ci_u32_e64 v13, null, s7, v9, vcc_lo
	s_wait_dscnt 0x1
	global_store_b16 v[12:13], v11, off
	s_or_b32 exec_lo, exec_lo, s0
	s_and_saveexec_b32 s0, s5
	s_cbranch_execnz .LBB238_82
	s_branch .LBB238_83
.LBB238_92:
	ds_load_b64 v[8:9], v33
	s_wait_dscnt 0x0
	global_store_b64 v[2:3], v[8:9], off
	s_wait_alu 0xfffe
	s_or_b32 exec_lo, exec_lo, s0
	s_and_saveexec_b32 s0, s3
	s_cbranch_execz .LBB238_85
.LBB238_93:
	s_lshl_b64 s[2:3], s[16:17], 8
	s_wait_alu 0xfffe
	v_add_co_u32 v8, vcc_lo, v2, s2
	s_wait_alu 0xfffd
	v_add_co_ci_u32_e64 v9, null, s3, v3, vcc_lo
	s_wait_dscnt 0x2
	global_store_b64 v[8:9], v[6:7], off
	s_or_b32 exec_lo, exec_lo, s0
	s_and_saveexec_b32 s0, s4
	s_cbranch_execz .LBB238_86
.LBB238_94:
	s_lshl_b64 s[2:3], s[16:17], 9
	s_wait_dscnt 0x2
	s_wait_alu 0xfffe
	v_add_co_u32 v6, vcc_lo, v2, s2
	s_wait_alu 0xfffd
	v_add_co_ci_u32_e64 v7, null, s3, v3, vcc_lo
	s_wait_dscnt 0x1
	global_store_b64 v[6:7], v[4:5], off
	s_or_b32 exec_lo, exec_lo, s0
	s_and_saveexec_b32 s0, s5
	s_cbranch_execnz .LBB238_87
	s_branch .LBB238_88
	.section	.rodata,"a",@progbits
	.p2align	6, 0x0
	.amdhsa_kernel _ZN2at6native18radixSortKVInPlaceILin1ELin1ELi32ELi4EN3c104HalfElmEEvNS_4cuda6detail10TensorInfoIT3_T5_EES8_S8_S8_NS6_IT4_S8_EES8_b
		.amdhsa_group_segment_fixed_size 1056
		.amdhsa_private_segment_fixed_size 0
		.amdhsa_kernarg_size 1128
		.amdhsa_user_sgpr_count 2
		.amdhsa_user_sgpr_dispatch_ptr 0
		.amdhsa_user_sgpr_queue_ptr 0
		.amdhsa_user_sgpr_kernarg_segment_ptr 1
		.amdhsa_user_sgpr_dispatch_id 0
		.amdhsa_user_sgpr_private_segment_size 0
		.amdhsa_wavefront_size32 1
		.amdhsa_uses_dynamic_stack 0
		.amdhsa_enable_private_segment 0
		.amdhsa_system_sgpr_workgroup_id_x 1
		.amdhsa_system_sgpr_workgroup_id_y 1
		.amdhsa_system_sgpr_workgroup_id_z 1
		.amdhsa_system_sgpr_workgroup_info 0
		.amdhsa_system_vgpr_workitem_id 2
		.amdhsa_next_free_vgpr 92
		.amdhsa_next_free_sgpr 36
		.amdhsa_reserve_vcc 1
		.amdhsa_float_round_mode_32 0
		.amdhsa_float_round_mode_16_64 0
		.amdhsa_float_denorm_mode_32 3
		.amdhsa_float_denorm_mode_16_64 3
		.amdhsa_fp16_overflow 0
		.amdhsa_workgroup_processor_mode 1
		.amdhsa_memory_ordered 1
		.amdhsa_forward_progress 1
		.amdhsa_inst_pref_size 120
		.amdhsa_round_robin_scheduling 0
		.amdhsa_exception_fp_ieee_invalid_op 0
		.amdhsa_exception_fp_denorm_src 0
		.amdhsa_exception_fp_ieee_div_zero 0
		.amdhsa_exception_fp_ieee_overflow 0
		.amdhsa_exception_fp_ieee_underflow 0
		.amdhsa_exception_fp_ieee_inexact 0
		.amdhsa_exception_int_div_zero 0
	.end_amdhsa_kernel
	.section	.text._ZN2at6native18radixSortKVInPlaceILin1ELin1ELi32ELi4EN3c104HalfElmEEvNS_4cuda6detail10TensorInfoIT3_T5_EES8_S8_S8_NS6_IT4_S8_EES8_b,"axG",@progbits,_ZN2at6native18radixSortKVInPlaceILin1ELin1ELi32ELi4EN3c104HalfElmEEvNS_4cuda6detail10TensorInfoIT3_T5_EES8_S8_S8_NS6_IT4_S8_EES8_b,comdat
.Lfunc_end238:
	.size	_ZN2at6native18radixSortKVInPlaceILin1ELin1ELi32ELi4EN3c104HalfElmEEvNS_4cuda6detail10TensorInfoIT3_T5_EES8_S8_S8_NS6_IT4_S8_EES8_b, .Lfunc_end238-_ZN2at6native18radixSortKVInPlaceILin1ELin1ELi32ELi4EN3c104HalfElmEEvNS_4cuda6detail10TensorInfoIT3_T5_EES8_S8_S8_NS6_IT4_S8_EES8_b
                                        ; -- End function
	.set _ZN2at6native18radixSortKVInPlaceILin1ELin1ELi32ELi4EN3c104HalfElmEEvNS_4cuda6detail10TensorInfoIT3_T5_EES8_S8_S8_NS6_IT4_S8_EES8_b.num_vgpr, 92
	.set _ZN2at6native18radixSortKVInPlaceILin1ELin1ELi32ELi4EN3c104HalfElmEEvNS_4cuda6detail10TensorInfoIT3_T5_EES8_S8_S8_NS6_IT4_S8_EES8_b.num_agpr, 0
	.set _ZN2at6native18radixSortKVInPlaceILin1ELin1ELi32ELi4EN3c104HalfElmEEvNS_4cuda6detail10TensorInfoIT3_T5_EES8_S8_S8_NS6_IT4_S8_EES8_b.numbered_sgpr, 36
	.set _ZN2at6native18radixSortKVInPlaceILin1ELin1ELi32ELi4EN3c104HalfElmEEvNS_4cuda6detail10TensorInfoIT3_T5_EES8_S8_S8_NS6_IT4_S8_EES8_b.num_named_barrier, 0
	.set _ZN2at6native18radixSortKVInPlaceILin1ELin1ELi32ELi4EN3c104HalfElmEEvNS_4cuda6detail10TensorInfoIT3_T5_EES8_S8_S8_NS6_IT4_S8_EES8_b.private_seg_size, 0
	.set _ZN2at6native18radixSortKVInPlaceILin1ELin1ELi32ELi4EN3c104HalfElmEEvNS_4cuda6detail10TensorInfoIT3_T5_EES8_S8_S8_NS6_IT4_S8_EES8_b.uses_vcc, 1
	.set _ZN2at6native18radixSortKVInPlaceILin1ELin1ELi32ELi4EN3c104HalfElmEEvNS_4cuda6detail10TensorInfoIT3_T5_EES8_S8_S8_NS6_IT4_S8_EES8_b.uses_flat_scratch, 0
	.set _ZN2at6native18radixSortKVInPlaceILin1ELin1ELi32ELi4EN3c104HalfElmEEvNS_4cuda6detail10TensorInfoIT3_T5_EES8_S8_S8_NS6_IT4_S8_EES8_b.has_dyn_sized_stack, 0
	.set _ZN2at6native18radixSortKVInPlaceILin1ELin1ELi32ELi4EN3c104HalfElmEEvNS_4cuda6detail10TensorInfoIT3_T5_EES8_S8_S8_NS6_IT4_S8_EES8_b.has_recursion, 0
	.set _ZN2at6native18radixSortKVInPlaceILin1ELin1ELi32ELi4EN3c104HalfElmEEvNS_4cuda6detail10TensorInfoIT3_T5_EES8_S8_S8_NS6_IT4_S8_EES8_b.has_indirect_call, 0
	.section	.AMDGPU.csdata,"",@progbits
; Kernel info:
; codeLenInByte = 15344
; TotalNumSgprs: 38
; NumVgprs: 92
; ScratchSize: 0
; MemoryBound: 0
; FloatMode: 240
; IeeeMode: 1
; LDSByteSize: 1056 bytes/workgroup (compile time only)
; SGPRBlocks: 0
; VGPRBlocks: 11
; NumSGPRsForWavesPerEU: 38
; NumVGPRsForWavesPerEU: 92
; Occupancy: 16
; WaveLimiterHint : 1
; COMPUTE_PGM_RSRC2:SCRATCH_EN: 0
; COMPUTE_PGM_RSRC2:USER_SGPR: 2
; COMPUTE_PGM_RSRC2:TRAP_HANDLER: 0
; COMPUTE_PGM_RSRC2:TGID_X_EN: 1
; COMPUTE_PGM_RSRC2:TGID_Y_EN: 1
; COMPUTE_PGM_RSRC2:TGID_Z_EN: 1
; COMPUTE_PGM_RSRC2:TIDIG_COMP_CNT: 2
	.section	.text._ZN2at6native18radixSortKVInPlaceILin1ELin1ELi16ELi2EN3c104HalfElmEEvNS_4cuda6detail10TensorInfoIT3_T5_EES8_S8_S8_NS6_IT4_S8_EES8_b,"axG",@progbits,_ZN2at6native18radixSortKVInPlaceILin1ELin1ELi16ELi2EN3c104HalfElmEEvNS_4cuda6detail10TensorInfoIT3_T5_EES8_S8_S8_NS6_IT4_S8_EES8_b,comdat
	.protected	_ZN2at6native18radixSortKVInPlaceILin1ELin1ELi16ELi2EN3c104HalfElmEEvNS_4cuda6detail10TensorInfoIT3_T5_EES8_S8_S8_NS6_IT4_S8_EES8_b ; -- Begin function _ZN2at6native18radixSortKVInPlaceILin1ELin1ELi16ELi2EN3c104HalfElmEEvNS_4cuda6detail10TensorInfoIT3_T5_EES8_S8_S8_NS6_IT4_S8_EES8_b
	.globl	_ZN2at6native18radixSortKVInPlaceILin1ELin1ELi16ELi2EN3c104HalfElmEEvNS_4cuda6detail10TensorInfoIT3_T5_EES8_S8_S8_NS6_IT4_S8_EES8_b
	.p2align	8
	.type	_ZN2at6native18radixSortKVInPlaceILin1ELin1ELi16ELi2EN3c104HalfElmEEvNS_4cuda6detail10TensorInfoIT3_T5_EES8_S8_S8_NS6_IT4_S8_EES8_b,@function
_ZN2at6native18radixSortKVInPlaceILin1ELin1ELi16ELi2EN3c104HalfElmEEvNS_4cuda6detail10TensorInfoIT3_T5_EES8_S8_S8_NS6_IT4_S8_EES8_b: ; @_ZN2at6native18radixSortKVInPlaceILin1ELin1ELi16ELi2EN3c104HalfElmEEvNS_4cuda6detail10TensorInfoIT3_T5_EES8_S8_S8_NS6_IT4_S8_EES8_b
; %bb.0:
	s_clause 0x1
	s_load_b64 s[2:3], s[0:1], 0x368
	s_load_b128 s[4:7], s[0:1], 0x1a0
	s_wait_kmcnt 0x0
	s_lshr_b32 s7, ttmp7, 16
	s_and_b32 s8, ttmp7, 0xffff
	s_mul_i32 s3, s3, s7
	s_delay_alu instid0(SALU_CYCLE_1) | instskip(NEXT) | instid1(SALU_CYCLE_1)
	s_add_co_i32 s3, s3, s8
	s_mul_i32 s2, s3, s2
	s_mov_b32 s3, 0
	s_add_co_i32 s2, s2, ttmp9
	s_delay_alu instid0(SALU_CYCLE_1)
	v_cmp_le_u64_e64 s4, s[4:5], s[2:3]
	s_and_b32 vcc_lo, exec_lo, s4
	s_cbranch_vccnz .LBB239_126
; %bb.1:
	s_clause 0x1
	s_load_b32 s7, s[0:1], 0x198
	s_load_b64 s[8:9], s[0:1], 0x1b0
	s_mov_b64 s[4:5], 0
	s_mov_b64 s[10:11], s[2:3]
	s_wait_kmcnt 0x0
	s_cmp_lt_i32 s7, 2
	s_cbranch_scc1 .LBB239_9
; %bb.2:
	s_mov_b32 s12, 0
	s_add_co_i32 s4, s7, -1
	s_mov_b32 s5, s12
	s_add_co_i32 s7, s7, 1
	s_wait_alu 0xfffe
	s_lshl_b64 s[4:5], s[4:5], 3
	s_mov_b64 s[16:17], s[2:3]
	s_wait_alu 0xfffe
	s_add_nc_u64 s[10:11], s[0:1], s[4:5]
	s_mov_b64 s[4:5], 0
	s_add_nc_u64 s[14:15], s[10:11], 8
.LBB239_3:                              ; =>This Inner Loop Header: Depth=1
	s_load_b64 s[18:19], s[14:15], 0x0
	s_wait_kmcnt 0x0
	s_or_b64 s[10:11], s[16:17], s[18:19]
	s_wait_alu 0xfffe
	s_mov_b32 s13, s11
                                        ; implicit-def: $sgpr10_sgpr11
	s_delay_alu instid0(SALU_CYCLE_1)
	s_cmp_lg_u64 s[12:13], 0
	s_mov_b32 s13, -1
	s_cbranch_scc0 .LBB239_5
; %bb.4:                                ;   in Loop: Header=BB239_3 Depth=1
	s_cvt_f32_u32 s10, s18
	s_cvt_f32_u32 s11, s19
	s_sub_nc_u64 s[20:21], 0, s[18:19]
	s_mov_b32 s23, s12
	s_mov_b32 s27, s12
	s_wait_alu 0xfffe
	s_fmamk_f32 s10, s11, 0x4f800000, s10
	s_wait_alu 0xfffe
	s_delay_alu instid0(SALU_CYCLE_2) | instskip(NEXT) | instid1(TRANS32_DEP_1)
	v_s_rcp_f32 s10, s10
	s_mul_f32 s10, s10, 0x5f7ffffc
	s_wait_alu 0xfffe
	s_delay_alu instid0(SALU_CYCLE_2) | instskip(SKIP_1) | instid1(SALU_CYCLE_2)
	s_mul_f32 s11, s10, 0x2f800000
	s_wait_alu 0xfffe
	s_trunc_f32 s11, s11
	s_wait_alu 0xfffe
	s_delay_alu instid0(SALU_CYCLE_2) | instskip(SKIP_2) | instid1(SALU_CYCLE_1)
	s_fmamk_f32 s10, s11, 0xcf800000, s10
	s_cvt_u32_f32 s11, s11
	s_wait_alu 0xfffe
	s_cvt_u32_f32 s10, s10
	s_wait_alu 0xfffe
	s_delay_alu instid0(SALU_CYCLE_2) | instskip(NEXT) | instid1(SALU_CYCLE_1)
	s_mul_u64 s[24:25], s[20:21], s[10:11]
	s_mul_hi_u32 s29, s10, s25
	s_mul_i32 s28, s10, s25
	s_mul_hi_u32 s22, s10, s24
	s_mul_i32 s26, s11, s24
	s_add_nc_u64 s[22:23], s[22:23], s[28:29]
	s_mul_hi_u32 s13, s11, s24
	s_mul_hi_u32 s30, s11, s25
	s_add_co_u32 s22, s22, s26
	s_add_co_ci_u32 s26, s23, s13
	s_mul_i32 s24, s11, s25
	s_add_co_ci_u32 s25, s30, 0
	s_delay_alu instid0(SALU_CYCLE_1) | instskip(SKIP_3) | instid1(SALU_CYCLE_1)
	s_add_nc_u64 s[22:23], s[26:27], s[24:25]
	s_mov_b32 s25, s12
	s_add_co_u32 s10, s10, s22
	s_cselect_b32 s13, -1, 0
	s_cmp_lg_u32 s13, 0
	s_add_co_ci_u32 s11, s11, s23
	s_mov_b32 s23, s12
	s_wait_alu 0xfffe
	s_mul_u64 s[20:21], s[20:21], s[10:11]
	s_delay_alu instid0(SALU_CYCLE_1)
	s_mul_hi_u32 s27, s10, s21
	s_mul_i32 s26, s10, s21
	s_mul_hi_u32 s22, s10, s20
	s_mul_i32 s24, s11, s20
	s_add_nc_u64 s[22:23], s[22:23], s[26:27]
	s_mul_hi_u32 s13, s11, s20
	s_mul_hi_u32 s28, s11, s21
	s_mul_i32 s20, s11, s21
	s_add_co_u32 s21, s22, s24
	s_add_co_ci_u32 s24, s23, s13
	s_add_co_ci_u32 s21, s28, 0
	s_mov_b32 s23, s12
	s_add_nc_u64 s[20:21], s[24:25], s[20:21]
	s_delay_alu instid0(SALU_CYCLE_1)
	s_add_co_u32 s10, s10, s20
	s_cselect_b32 s13, -1, 0
	s_wait_alu 0xfffe
	s_mul_hi_u32 s22, s16, s10
	s_cmp_lg_u32 s13, 0
	s_mul_hi_u32 s13, s17, s10
	s_add_co_ci_u32 s20, s11, s21
	s_mul_i32 s21, s17, s10
	s_mul_hi_u32 s11, s16, s20
	s_mul_i32 s10, s16, s20
	s_mul_hi_u32 s26, s17, s20
	s_wait_alu 0xfffe
	s_add_nc_u64 s[10:11], s[22:23], s[10:11]
	s_mul_i32 s20, s17, s20
	s_wait_alu 0xfffe
	s_add_co_u32 s10, s10, s21
	s_add_co_ci_u32 s24, s11, s13
	s_add_co_ci_u32 s21, s26, 0
	s_delay_alu instid0(SALU_CYCLE_1) | instskip(SKIP_2) | instid1(SALU_CYCLE_1)
	s_add_nc_u64 s[10:11], s[24:25], s[20:21]
	s_wait_alu 0xfffe
	s_mul_u64 s[20:21], s[18:19], s[10:11]
	s_sub_co_u32 s13, s16, s20
	s_cselect_b32 s20, -1, 0
	s_sub_co_i32 s22, s17, s21
	s_cmp_lg_u32 s20, 0
	s_sub_co_ci_u32 s22, s22, s19
	s_sub_co_u32 s23, s13, s18
	s_cselect_b32 s24, -1, 0
	s_delay_alu instid0(SALU_CYCLE_1) | instskip(SKIP_1) | instid1(SALU_CYCLE_1)
	s_cmp_lg_u32 s24, 0
	s_sub_co_ci_u32 s22, s22, 0
	s_cmp_ge_u32 s22, s19
	s_cselect_b32 s24, -1, 0
	s_cmp_ge_u32 s23, s18
	s_cselect_b32 s25, -1, 0
	s_cmp_eq_u32 s22, s19
	s_add_nc_u64 s[22:23], s[10:11], 1
	s_cselect_b32 s26, s25, s24
	s_add_nc_u64 s[24:25], s[10:11], 2
	s_cmp_lg_u32 s26, 0
	s_cselect_b32 s22, s24, s22
	s_cselect_b32 s23, s25, s23
	s_cmp_lg_u32 s20, 0
	s_sub_co_ci_u32 s20, s17, s21
	s_delay_alu instid0(SALU_CYCLE_1)
	s_cmp_ge_u32 s20, s19
	s_cselect_b32 s21, -1, 0
	s_cmp_ge_u32 s13, s18
	s_cselect_b32 s13, -1, 0
	s_cmp_eq_u32 s20, s19
	s_cselect_b32 s13, s13, s21
	s_delay_alu instid0(SALU_CYCLE_1)
	s_cmp_lg_u32 s13, 0
	s_mov_b32 s13, 0
	s_cselect_b32 s11, s23, s11
	s_cselect_b32 s10, s22, s10
.LBB239_5:                              ;   in Loop: Header=BB239_3 Depth=1
	s_and_not1_b32 vcc_lo, exec_lo, s13
	s_cbranch_vccnz .LBB239_7
; %bb.6:                                ;   in Loop: Header=BB239_3 Depth=1
	v_cvt_f32_u32_e32 v1, s18
	s_sub_co_i32 s11, 0, s18
	s_delay_alu instid0(VALU_DEP_1) | instskip(NEXT) | instid1(TRANS32_DEP_1)
	v_rcp_iflag_f32_e32 v1, v1
	v_mul_f32_e32 v1, 0x4f7ffffe, v1
	s_delay_alu instid0(VALU_DEP_1) | instskip(NEXT) | instid1(VALU_DEP_1)
	v_cvt_u32_f32_e32 v1, v1
	v_readfirstlane_b32 s10, v1
	s_wait_alu 0xfffe
	s_mul_i32 s11, s11, s10
	s_wait_alu 0xfffe
	s_mul_hi_u32 s11, s10, s11
	s_wait_alu 0xfffe
	s_add_co_i32 s10, s10, s11
	s_wait_alu 0xfffe
	s_mul_hi_u32 s10, s16, s10
	s_wait_alu 0xfffe
	s_mul_i32 s11, s10, s18
	s_add_co_i32 s13, s10, 1
	s_wait_alu 0xfffe
	s_sub_co_i32 s11, s16, s11
	s_wait_alu 0xfffe
	s_sub_co_i32 s20, s11, s18
	s_cmp_ge_u32 s11, s18
	s_cselect_b32 s10, s13, s10
	s_cselect_b32 s11, s20, s11
	s_wait_alu 0xfffe
	s_add_co_i32 s13, s10, 1
	s_cmp_ge_u32 s11, s18
	s_mov_b32 s11, s12
	s_cselect_b32 s10, s13, s10
.LBB239_7:                              ;   in Loop: Header=BB239_3 Depth=1
	s_load_b64 s[20:21], s[14:15], 0xc8
	s_mul_u64 s[18:19], s[10:11], s[18:19]
	s_add_co_i32 s7, s7, -1
	s_wait_alu 0xfffe
	s_sub_nc_u64 s[16:17], s[16:17], s[18:19]
	s_cmp_gt_u32 s7, 2
	s_add_nc_u64 s[14:15], s[14:15], -8
	s_wait_kmcnt 0x0
	s_mul_u64 s[16:17], s[20:21], s[16:17]
	s_delay_alu instid0(SALU_CYCLE_1)
	s_add_nc_u64 s[4:5], s[16:17], s[4:5]
	s_cbranch_scc0 .LBB239_9
; %bb.8:                                ;   in Loop: Header=BB239_3 Depth=1
	s_mov_b64 s[16:17], s[10:11]
	s_branch .LBB239_3
.LBB239_9:
	s_load_b32 s7, s[0:1], 0x350
	s_mov_b64 s[14:15], 0
	s_wait_kmcnt 0x0
	s_cmp_lt_i32 s7, 2
	s_cbranch_scc1 .LBB239_17
; %bb.10:
	s_mov_b32 s12, 0
	s_add_co_i32 s14, s7, -1
	s_mov_b32 s15, s12
	s_add_co_i32 s7, s7, 1
	s_lshl_b64 s[14:15], s[14:15], 3
	s_delay_alu instid0(SALU_CYCLE_1) | instskip(NEXT) | instid1(SALU_CYCLE_1)
	s_add_nc_u64 s[14:15], s[0:1], s[14:15]
	s_add_nc_u64 s[16:17], s[14:15], 0x1c0
	s_mov_b64 s[14:15], 0
.LBB239_11:                             ; =>This Inner Loop Header: Depth=1
	s_load_b64 s[18:19], s[16:17], 0x0
	s_wait_kmcnt 0x0
	s_or_b64 s[20:21], s[2:3], s[18:19]
	s_delay_alu instid0(SALU_CYCLE_1)
	s_mov_b32 s13, s21
                                        ; implicit-def: $sgpr20_sgpr21
	s_wait_alu 0xfffe
	s_cmp_lg_u64 s[12:13], 0
	s_mov_b32 s13, -1
	s_cbranch_scc0 .LBB239_13
; %bb.12:                               ;   in Loop: Header=BB239_11 Depth=1
	s_cvt_f32_u32 s13, s18
	s_cvt_f32_u32 s20, s19
	s_sub_nc_u64 s[22:23], 0, s[18:19]
	s_mov_b32 s25, s12
	s_mov_b32 s29, s12
	s_wait_alu 0xfffe
	s_fmamk_f32 s13, s20, 0x4f800000, s13
	s_wait_alu 0xfffe
	s_delay_alu instid0(SALU_CYCLE_2) | instskip(NEXT) | instid1(TRANS32_DEP_1)
	v_s_rcp_f32 s13, s13
	s_mul_f32 s13, s13, 0x5f7ffffc
	s_wait_alu 0xfffe
	s_delay_alu instid0(SALU_CYCLE_2) | instskip(NEXT) | instid1(SALU_CYCLE_3)
	s_mul_f32 s20, s13, 0x2f800000
	s_trunc_f32 s20, s20
	s_delay_alu instid0(SALU_CYCLE_3) | instskip(SKIP_2) | instid1(SALU_CYCLE_1)
	s_fmamk_f32 s13, s20, 0xcf800000, s13
	s_cvt_u32_f32 s21, s20
	s_wait_alu 0xfffe
	s_cvt_u32_f32 s20, s13
	s_delay_alu instid0(SALU_CYCLE_3) | instskip(NEXT) | instid1(SALU_CYCLE_1)
	s_mul_u64 s[26:27], s[22:23], s[20:21]
	s_mul_hi_u32 s31, s20, s27
	s_mul_i32 s30, s20, s27
	s_mul_hi_u32 s24, s20, s26
	s_mul_i32 s28, s21, s26
	s_add_nc_u64 s[24:25], s[24:25], s[30:31]
	s_mul_hi_u32 s13, s21, s26
	s_mul_hi_u32 s33, s21, s27
	s_add_co_u32 s24, s24, s28
	s_wait_alu 0xfffe
	s_add_co_ci_u32 s28, s25, s13
	s_mul_i32 s26, s21, s27
	s_add_co_ci_u32 s27, s33, 0
	s_delay_alu instid0(SALU_CYCLE_1)
	s_add_nc_u64 s[24:25], s[28:29], s[26:27]
	s_mov_b32 s27, s12
	s_add_co_u32 s20, s20, s24
	s_cselect_b32 s13, -1, 0
	s_wait_alu 0xfffe
	s_cmp_lg_u32 s13, 0
	s_add_co_ci_u32 s21, s21, s25
	s_mov_b32 s25, s12
	s_mul_u64 s[22:23], s[22:23], s[20:21]
	s_delay_alu instid0(SALU_CYCLE_1)
	s_mul_hi_u32 s29, s20, s23
	s_mul_i32 s28, s20, s23
	s_mul_hi_u32 s24, s20, s22
	s_mul_i32 s26, s21, s22
	s_add_nc_u64 s[24:25], s[24:25], s[28:29]
	s_mul_hi_u32 s13, s21, s22
	s_mul_hi_u32 s30, s21, s23
	s_mul_i32 s22, s21, s23
	s_add_co_u32 s23, s24, s26
	s_wait_alu 0xfffe
	s_add_co_ci_u32 s26, s25, s13
	s_add_co_ci_u32 s23, s30, 0
	s_mov_b32 s25, s12
	s_add_nc_u64 s[22:23], s[26:27], s[22:23]
	s_delay_alu instid0(SALU_CYCLE_1)
	s_add_co_u32 s13, s20, s22
	s_cselect_b32 s20, -1, 0
	s_wait_alu 0xfffe
	s_mul_hi_u32 s24, s2, s13
	s_cmp_lg_u32 s20, 0
	s_mul_hi_u32 s26, s3, s13
	s_add_co_ci_u32 s22, s21, s23
	s_mul_i32 s13, s3, s13
	s_mul_hi_u32 s21, s2, s22
	s_mul_i32 s20, s2, s22
	s_mul_hi_u32 s23, s3, s22
	s_add_nc_u64 s[20:21], s[24:25], s[20:21]
	s_mul_i32 s22, s3, s22
	s_wait_alu 0xfffe
	s_add_co_u32 s13, s20, s13
	s_add_co_ci_u32 s26, s21, s26
	s_add_co_ci_u32 s23, s23, 0
	s_delay_alu instid0(SALU_CYCLE_1) | instskip(NEXT) | instid1(SALU_CYCLE_1)
	s_add_nc_u64 s[20:21], s[26:27], s[22:23]
	s_mul_u64 s[22:23], s[18:19], s[20:21]
	s_delay_alu instid0(SALU_CYCLE_1)
	s_sub_co_u32 s13, s2, s22
	s_cselect_b32 s22, -1, 0
	s_sub_co_i32 s24, s3, s23
	s_cmp_lg_u32 s22, 0
	s_sub_co_ci_u32 s24, s24, s19
	s_wait_alu 0xfffe
	s_sub_co_u32 s25, s13, s18
	s_cselect_b32 s26, -1, 0
	s_delay_alu instid0(SALU_CYCLE_1) | instskip(SKIP_1) | instid1(SALU_CYCLE_1)
	s_cmp_lg_u32 s26, 0
	s_sub_co_ci_u32 s24, s24, 0
	s_cmp_ge_u32 s24, s19
	s_cselect_b32 s26, -1, 0
	s_cmp_ge_u32 s25, s18
	s_cselect_b32 s27, -1, 0
	s_cmp_eq_u32 s24, s19
	s_add_nc_u64 s[24:25], s[20:21], 1
	s_cselect_b32 s28, s27, s26
	s_add_nc_u64 s[26:27], s[20:21], 2
	s_cmp_lg_u32 s28, 0
	s_cselect_b32 s24, s26, s24
	s_cselect_b32 s25, s27, s25
	s_cmp_lg_u32 s22, 0
	s_sub_co_ci_u32 s22, s3, s23
	s_delay_alu instid0(SALU_CYCLE_1)
	s_cmp_ge_u32 s22, s19
	s_cselect_b32 s23, -1, 0
	s_cmp_ge_u32 s13, s18
	s_cselect_b32 s13, -1, 0
	s_cmp_eq_u32 s22, s19
	s_wait_alu 0xfffe
	s_cselect_b32 s13, s13, s23
	s_wait_alu 0xfffe
	s_cmp_lg_u32 s13, 0
	s_mov_b32 s13, 0
	s_cselect_b32 s21, s25, s21
	s_cselect_b32 s20, s24, s20
.LBB239_13:                             ;   in Loop: Header=BB239_11 Depth=1
	s_wait_alu 0xfffe
	s_and_not1_b32 vcc_lo, exec_lo, s13
	s_cbranch_vccnz .LBB239_15
; %bb.14:                               ;   in Loop: Header=BB239_11 Depth=1
	v_cvt_f32_u32_e32 v1, s18
	s_sub_co_i32 s20, 0, s18
	s_delay_alu instid0(VALU_DEP_1) | instskip(NEXT) | instid1(TRANS32_DEP_1)
	v_rcp_iflag_f32_e32 v1, v1
	v_mul_f32_e32 v1, 0x4f7ffffe, v1
	s_delay_alu instid0(VALU_DEP_1) | instskip(NEXT) | instid1(VALU_DEP_1)
	v_cvt_u32_f32_e32 v1, v1
	v_readfirstlane_b32 s13, v1
	s_mul_i32 s20, s20, s13
	s_delay_alu instid0(SALU_CYCLE_1) | instskip(NEXT) | instid1(SALU_CYCLE_1)
	s_mul_hi_u32 s20, s13, s20
	s_add_co_i32 s13, s13, s20
	s_wait_alu 0xfffe
	s_mul_hi_u32 s13, s2, s13
	s_wait_alu 0xfffe
	s_mul_i32 s20, s13, s18
	s_add_co_i32 s21, s13, 1
	s_sub_co_i32 s20, s2, s20
	s_delay_alu instid0(SALU_CYCLE_1)
	s_sub_co_i32 s22, s20, s18
	s_cmp_ge_u32 s20, s18
	s_cselect_b32 s13, s21, s13
	s_cselect_b32 s20, s22, s20
	s_wait_alu 0xfffe
	s_add_co_i32 s21, s13, 1
	s_cmp_ge_u32 s20, s18
	s_cselect_b32 s20, s21, s13
	s_mov_b32 s21, s12
.LBB239_15:                             ;   in Loop: Header=BB239_11 Depth=1
	s_load_b64 s[22:23], s[16:17], 0xc8
	s_mul_u64 s[18:19], s[20:21], s[18:19]
	s_add_co_i32 s7, s7, -1
	s_wait_alu 0xfffe
	s_sub_nc_u64 s[2:3], s[2:3], s[18:19]
	s_cmp_gt_u32 s7, 2
	s_add_nc_u64 s[16:17], s[16:17], -8
	s_wait_kmcnt 0x0
	s_wait_alu 0xfffe
	s_mul_u64 s[2:3], s[22:23], s[2:3]
	s_wait_alu 0xfffe
	s_add_nc_u64 s[14:15], s[2:3], s[14:15]
	s_cbranch_scc0 .LBB239_18
; %bb.16:                               ;   in Loop: Header=BB239_11 Depth=1
	s_mov_b64 s[2:3], s[20:21]
	s_branch .LBB239_11
.LBB239_17:
	s_mov_b64 s[20:21], s[2:3]
.LBB239_18:
	s_clause 0x2
	s_load_b64 s[2:3], s[0:1], 0xd0
	s_load_b32 s7, s[0:1], 0x360
	s_load_b64 s[12:13], s[0:1], 0x0
	s_wait_kmcnt 0x0
	s_mul_u64 s[2:3], s[2:3], s[10:11]
	s_bitcmp1_b32 s7, 0
	s_mov_b32 s10, 0xffff
	s_cselect_b32 s7, -1, 0
	s_delay_alu instid0(SALU_CYCLE_1)
	s_and_b32 s11, s7, exec_lo
	s_wait_alu 0xfffe
	s_cselect_b32 s10, s10, 0x7fff
	s_lshl_b64 s[16:17], s[2:3], 1
	v_cmp_gt_u32_e64 s2, s6, v0
	s_wait_alu 0xfffe
	v_mov_b32_e32 v1, s10
	s_add_nc_u64 s[12:13], s[12:13], s[16:17]
	s_lshl_b64 s[4:5], s[4:5], 1
	s_wait_alu 0xfffe
	s_add_nc_u64 s[12:13], s[12:13], s[4:5]
	s_and_saveexec_b32 s3, s2
	s_cbranch_execz .LBB239_20
; %bb.19:
	v_mad_co_u64_u32 v[1:2], null, s8, v0, 0
	s_delay_alu instid0(VALU_DEP_1) | instskip(NEXT) | instid1(VALU_DEP_1)
	v_mad_co_u64_u32 v[2:3], null, s9, v0, v[2:3]
	v_lshlrev_b64_e32 v[1:2], 1, v[1:2]
	s_wait_alu 0xfffe
	s_delay_alu instid0(VALU_DEP_1) | instskip(NEXT) | instid1(VALU_DEP_1)
	v_add_co_u32 v1, vcc_lo, s12, v1
	v_add_co_ci_u32_e64 v2, null, s13, v2, vcc_lo
	global_load_u16 v1, v[1:2], off
.LBB239_20:
	s_wait_alu 0xfffe
	s_or_b32 exec_lo, exec_lo, s3
	s_clause 0x1
	s_load_b64 s[16:17], s[0:1], 0x288
	s_load_b64 s[4:5], s[0:1], 0x1b8
	v_or_b32_e32 v5, 16, v0
	v_mov_b32_e32 v2, s10
	s_delay_alu instid0(VALU_DEP_2)
	v_cmp_gt_u32_e64 s3, s6, v5
	s_and_saveexec_b32 s6, s3
	s_cbranch_execz .LBB239_22
; %bb.21:
	v_mad_co_u64_u32 v[2:3], null, s8, v5, 0
	s_delay_alu instid0(VALU_DEP_1) | instskip(NEXT) | instid1(VALU_DEP_1)
	v_mad_co_u64_u32 v[3:4], null, s9, v5, v[3:4]
	v_lshlrev_b64_e32 v[2:3], 1, v[2:3]
	s_delay_alu instid0(VALU_DEP_1) | instskip(SKIP_1) | instid1(VALU_DEP_2)
	v_add_co_u32 v2, vcc_lo, s12, v2
	s_wait_alu 0xfffd
	v_add_co_ci_u32_e64 v3, null, s13, v3, vcc_lo
	global_load_u16 v2, v[2:3], off
.LBB239_22:
	s_wait_alu 0xfffe
	s_or_b32 exec_lo, exec_lo, s6
	v_lshlrev_b32_e32 v17, 1, v0
	v_dual_mov_b32 v3, 0 :: v_dual_lshlrev_b32 v18, 2, v0
	s_load_b64 s[10:11], s[0:1], 0x358
	v_mov_b32_e32 v4, 0
	s_wait_loadcnt 0x0
	ds_store_b16 v17, v1
	ds_store_b16 v17, v2 offset:32
	s_wait_dscnt 0x0
	; wave barrier
	global_inv scope:SCOPE_SE
	v_mov_b32_e32 v1, 0
	ds_load_b32 v25, v18
	s_wait_kmcnt 0x0
	s_mul_u64 s[0:1], s[16:17], s[20:21]
	s_wait_loadcnt_dscnt 0x0
	s_lshl_b64 s[0:1], s[0:1], 3
	v_mov_b32_e32 v2, v1
	s_add_nc_u64 s[0:1], s[4:5], s[0:1]
	s_lshl_b64 s[4:5], s[14:15], 3
	; wave barrier
	global_inv scope:SCOPE_SE
	s_wait_alu 0xfffe
	s_add_nc_u64 s[14:15], s[0:1], s[4:5]
	s_and_saveexec_b32 s0, s2
	s_cbranch_execz .LBB239_24
; %bb.23:
	v_mad_co_u64_u32 v[2:3], null, s10, v0, 0
	s_delay_alu instid0(VALU_DEP_1) | instskip(NEXT) | instid1(VALU_DEP_1)
	v_mad_co_u64_u32 v[3:4], null, s11, v0, v[3:4]
	v_lshlrev_b64_e32 v[2:3], 3, v[2:3]
	s_delay_alu instid0(VALU_DEP_1) | instskip(SKIP_1) | instid1(VALU_DEP_2)
	v_add_co_u32 v2, vcc_lo, s14, v2
	s_wait_alu 0xfffd
	v_add_co_ci_u32_e64 v3, null, s15, v3, vcc_lo
	global_load_b64 v[3:4], v[2:3], off
	v_mov_b32_e32 v2, v1
.LBB239_24:
	s_or_b32 exec_lo, exec_lo, s0
	s_xor_b32 s18, s7, -1
	s_and_saveexec_b32 s0, s3
	s_cbranch_execz .LBB239_26
; %bb.25:
	v_mad_co_u64_u32 v[1:2], null, s10, v5, 0
	s_wait_loadcnt 0x0
	s_delay_alu instid0(VALU_DEP_1) | instskip(NEXT) | instid1(VALU_DEP_1)
	v_mad_co_u64_u32 v[5:6], null, s11, v5, v[2:3]
	v_mov_b32_e32 v2, v5
	s_delay_alu instid0(VALU_DEP_1) | instskip(NEXT) | instid1(VALU_DEP_1)
	v_lshlrev_b64_e32 v[1:2], 3, v[1:2]
	v_add_co_u32 v1, vcc_lo, s14, v1
	s_wait_alu 0xfffd
	s_delay_alu instid0(VALU_DEP_2)
	v_add_co_ci_u32_e64 v2, null, s15, v2, vcc_lo
	global_load_b64 v[1:2], v[1:2], off
.LBB239_26:
	s_or_b32 exec_lo, exec_lo, s0
	v_lshlrev_b32_e32 v19, 3, v0
	v_lshlrev_b32_e32 v20, 3, v17
	v_mbcnt_lo_u32_b32 v5, -1, 0
	s_getpc_b64 s[0:1]
	s_sext_i32_i16 s1, s1
	s_add_co_u32 s0, s0, _ZN7rocprim17ROCPRIM_400000_NS16block_radix_sortI6__halfLj16ELj2ElLj1ELj1ELj0ELNS0_26block_radix_rank_algorithmE1ELNS0_18block_padding_hintE2ELNS0_4arch9wavefront6targetE0EE19radix_bits_per_passE@rel32@lo+8
	s_add_co_ci_u32 s1, s1, _ZN7rocprim17ROCPRIM_400000_NS16block_radix_sortI6__halfLj16ELj2ElLj1ELj1ELj0ELNS0_26block_radix_rank_algorithmE1ELNS0_18block_padding_hintE2ELNS0_4arch9wavefront6targetE0EE19radix_bits_per_passE@rel32@hi+16
	v_lshlrev_b32_e32 v23, 5, v0
	s_wait_loadcnt 0x0
	ds_store_2addr_b64 v19, v[3:4], v[1:2] offset1:16
	s_wait_dscnt 0x0
	; wave barrier
	global_inv scope:SCOPE_SE
	ds_load_2addr_b64 v[1:4], v20 offset1:1
	s_load_b32 s17, s[0:1], 0x0
	v_sub_co_u32 v7, s16, v5, 1
	v_and_b32_e32 v8, 16, v5
	v_and_b32_e32 v6, 15, v5
	v_mad_i32_i24 v22, 0xffffffe4, v0, v23
	v_lshrrev_b32_e32 v26, 16, v25
	v_cmp_gt_u32_e64 s7, 0x80, v0
	v_cmp_lt_i32_e32 vcc_lo, v7, v8
	v_cmp_eq_u32_e64 s5, 0, v6
	v_cmp_lt_u32_e64 s1, 1, v6
	v_cmp_lt_u32_e64 s6, 3, v6
	;; [unrolled: 1-line block ×3, first 2 shown]
	s_wait_alu 0xfffd
	v_cndmask_b32_e32 v5, v7, v5, vcc_lo
	v_cmp_eq_u32_e64 s0, 15, v0
	v_mad_u32_u24 v21, v0, 12, v22
	s_and_b32 vcc_lo, exec_lo, s18
	s_mov_b32 s18, -1
	v_lshlrev_b32_e32 v24, 2, v5
	; wave barrier
	s_wait_loadcnt_dscnt 0x0
	global_inv scope:SCOPE_SE
	s_wait_alu 0xfffe
	s_cbranch_vccz .LBB239_72
; %bb.27:
	s_and_saveexec_b32 s18, s7
	s_cbranch_execz .LBB239_36
; %bb.28:
	v_mov_b32_e32 v5, 0
	v_cmp_gt_u32_e32 vcc_lo, 0x70, v0
	ds_store_b32 v18, v5
	s_and_b32 exec_lo, exec_lo, vcc_lo
	s_cbranch_execz .LBB239_36
; %bb.29:
	v_cmp_gt_u32_e32 vcc_lo, 0x60, v0
	ds_store_b32 v18, v5 offset:64
	s_and_b32 exec_lo, exec_lo, vcc_lo
	s_cbranch_execz .LBB239_36
; %bb.30:
	v_mov_b32_e32 v5, 0
	v_cmp_gt_u32_e32 vcc_lo, 0x50, v0
	ds_store_b32 v18, v5 offset:128
	s_and_b32 exec_lo, exec_lo, vcc_lo
	s_cbranch_execz .LBB239_36
; %bb.31:
	v_cmp_gt_u32_e32 vcc_lo, 64, v0
	ds_store_b32 v18, v5 offset:192
	s_and_b32 exec_lo, exec_lo, vcc_lo
	s_cbranch_execz .LBB239_36
; %bb.32:
	v_mov_b32_e32 v5, 0
	v_cmp_gt_u32_e32 vcc_lo, 48, v0
	ds_store_b32 v18, v5 offset:256
	;; [unrolled: 11-line block ×3, first 2 shown]
	s_and_b32 exec_lo, exec_lo, vcc_lo
; %bb.35:
	ds_store_b32 v18, v5 offset:448
.LBB239_36:
	s_wait_alu 0xfffe
	s_or_b32 exec_lo, exec_lo, s18
	v_cmp_lt_i16_e32 vcc_lo, -1, v25
	s_wait_kmcnt 0x0
	s_min_u32 s18, s17, 16
	s_wait_alu 0xfffe
	s_lshl_b32 s18, -1, s18
	s_wait_alu 0xfffe
	s_not_b32 s18, s18
	s_wait_alu 0xfffd
	v_cndmask_b32_e64 v5, -1, 0xffff8000, vcc_lo
	s_delay_alu instid0(VALU_DEP_1) | instskip(NEXT) | instid1(VALU_DEP_1)
	v_xor_b32_e32 v13, v5, v25
	v_cmp_ne_u16_e32 vcc_lo, 0x7fff, v13
	s_wait_alu 0xfffd
	v_cndmask_b32_e32 v5, 0xffff8000, v13, vcc_lo
	v_cmp_lt_i16_e32 vcc_lo, -1, v26
	s_delay_alu instid0(VALU_DEP_2) | instskip(SKIP_3) | instid1(VALU_DEP_2)
	v_and_b32_e32 v5, 0xffff, v5
	s_wait_alu 0xfffd
	v_cndmask_b32_e64 v7, -1, 0xffff8000, vcc_lo
	s_wait_alu 0xfffe
	v_and_b32_e32 v5, s18, v5
	s_delay_alu instid0(VALU_DEP_2) | instskip(NEXT) | instid1(VALU_DEP_1)
	v_xor_b32_e32 v14, v7, v26
	v_cmp_ne_u16_e32 vcc_lo, 0x7fff, v14
	s_delay_alu instid0(VALU_DEP_3) | instskip(SKIP_1) | instid1(VALU_DEP_2)
	v_lshlrev_b32_e32 v6, 4, v5
	v_lshrrev_b32_e32 v5, 2, v5
	v_and_or_b32 v6, 0x70, v6, v0
	s_delay_alu instid0(VALU_DEP_2) | instskip(NEXT) | instid1(VALU_DEP_1)
	v_and_b32_e32 v5, 0x3ffe, v5
	v_lshl_add_u32 v15, v6, 2, v5
	s_wait_alu 0xfffd
	v_cndmask_b32_e32 v5, 0xffff8000, v14, vcc_lo
	ds_load_u16 v16, v15
	v_and_b32_e32 v5, 0xffff, v5
	s_delay_alu instid0(VALU_DEP_1) | instskip(NEXT) | instid1(VALU_DEP_1)
	v_and_b32_e32 v5, s18, v5
	v_lshlrev_b32_e32 v6, 4, v5
	v_lshrrev_b32_e32 v5, 2, v5
	s_delay_alu instid0(VALU_DEP_2) | instskip(NEXT) | instid1(VALU_DEP_2)
	v_and_or_b32 v6, 0x70, v6, v0
	v_and_b32_e32 v5, 0x3ffe, v5
	s_wait_dscnt 0x0
	v_add_nc_u16 v7, v16, 1
	s_delay_alu instid0(VALU_DEP_2)
	v_lshl_add_u32 v27, v6, 2, v5
	ds_store_b16 v15, v7
	ds_load_u16 v29, v27
	s_wait_dscnt 0x0
	v_add_nc_u16 v5, v29, 1
	ds_store_b16 v27, v5
	; wave barrier
	s_wait_loadcnt_dscnt 0x0
	global_inv scope:SCOPE_SE
	ds_load_b128 v[9:12], v23
	ds_load_b128 v[5:8], v23 offset:16
	s_wait_dscnt 0x1
	v_add_nc_u32_e32 v28, v10, v9
	s_delay_alu instid0(VALU_DEP_1) | instskip(SKIP_1) | instid1(VALU_DEP_1)
	v_add3_u32 v28, v28, v11, v12
	s_wait_dscnt 0x0
	v_add3_u32 v28, v28, v5, v6
	s_delay_alu instid0(VALU_DEP_1) | instskip(NEXT) | instid1(VALU_DEP_1)
	v_add3_u32 v8, v28, v7, v8
	v_mov_b32_dpp v28, v8 row_shr:1 row_mask:0xf bank_mask:0xf
	s_delay_alu instid0(VALU_DEP_1) | instskip(NEXT) | instid1(VALU_DEP_1)
	v_cndmask_b32_e64 v28, v28, 0, s5
	v_add_nc_u32_e32 v8, v28, v8
	s_delay_alu instid0(VALU_DEP_1) | instskip(NEXT) | instid1(VALU_DEP_1)
	v_mov_b32_dpp v28, v8 row_shr:2 row_mask:0xf bank_mask:0xf
	v_cndmask_b32_e64 v28, 0, v28, s1
	s_delay_alu instid0(VALU_DEP_1) | instskip(NEXT) | instid1(VALU_DEP_1)
	v_add_nc_u32_e32 v8, v8, v28
	v_mov_b32_dpp v28, v8 row_shr:4 row_mask:0xf bank_mask:0xf
	s_delay_alu instid0(VALU_DEP_1) | instskip(NEXT) | instid1(VALU_DEP_1)
	v_cndmask_b32_e64 v28, 0, v28, s6
	v_add_nc_u32_e32 v8, v8, v28
	s_delay_alu instid0(VALU_DEP_1) | instskip(NEXT) | instid1(VALU_DEP_1)
	v_mov_b32_dpp v28, v8 row_shr:8 row_mask:0xf bank_mask:0xf
	v_cndmask_b32_e64 v28, 0, v28, s4
	s_delay_alu instid0(VALU_DEP_1)
	v_add_nc_u32_e32 v8, v8, v28
	s_and_saveexec_b32 s18, s0
; %bb.37:
	v_mov_b32_e32 v28, 0
	ds_store_b32 v28, v8 offset:512
; %bb.38:
	s_wait_alu 0xfffe
	s_or_b32 exec_lo, exec_lo, s18
	ds_bpermute_b32 v8, v24, v8
	v_mov_b32_e32 v28, 0
	; wave barrier
	s_wait_loadcnt_dscnt 0x0
	global_inv scope:SCOPE_SE
	ds_load_b32 v30, v28 offset:512
	v_cndmask_b32_e64 v8, v8, 0, s16
	s_wait_dscnt 0x0
	s_delay_alu instid0(VALU_DEP_1) | instskip(NEXT) | instid1(VALU_DEP_1)
	v_lshl_add_u32 v8, v30, 16, v8
	v_add_nc_u32_e32 v9, v8, v9
	s_delay_alu instid0(VALU_DEP_1) | instskip(NEXT) | instid1(VALU_DEP_1)
	v_add_nc_u32_e32 v10, v9, v10
	v_add_nc_u32_e32 v11, v10, v11
	s_delay_alu instid0(VALU_DEP_1) | instskip(NEXT) | instid1(VALU_DEP_1)
	v_add_nc_u32_e32 v30, v11, v12
	;; [unrolled: 3-line block ×3, first 2 shown]
	v_add_nc_u32_e32 v33, v32, v7
	v_and_b32_e32 v7, 0xffff, v16
	ds_store_b128 v23, v[8:11]
	ds_store_b128 v23, v[30:33] offset:16
	; wave barrier
	s_wait_loadcnt_dscnt 0x0
	global_inv scope:SCOPE_SE
	ds_load_u16 v5, v15
	ds_load_u16 v6, v27
	v_and_b32_e32 v8, 0xffff, v29
	; wave barrier
	s_wait_loadcnt_dscnt 0x0
	global_inv scope:SCOPE_SE
	v_add_nc_u32_e32 v5, v5, v7
	v_add_nc_u32_e32 v6, v6, v8
	s_delay_alu instid0(VALU_DEP_2) | instskip(NEXT) | instid1(VALU_DEP_2)
	v_lshlrev_b32_e32 v7, 1, v5
	v_lshlrev_b32_e32 v8, 1, v6
	ds_store_b16 v7, v13
	ds_store_b16 v8, v14
	v_mad_u32_u24 v5, v5, 6, v7
	v_mad_u32_u24 v6, v6, 6, v8
	; wave barrier
	s_wait_loadcnt_dscnt 0x0
	global_inv scope:SCOPE_SE
	ds_load_b32 v27, v22
	; wave barrier
	s_wait_loadcnt_dscnt 0x0
	global_inv scope:SCOPE_SE
	ds_store_b64 v5, v[1:2]
	ds_store_b64 v6, v[3:4]
	; wave barrier
	s_wait_loadcnt_dscnt 0x0
	global_inv scope:SCOPE_SE
	ds_load_b128 v[5:8], v21
	; wave barrier
	s_wait_loadcnt_dscnt 0x0
	global_inv scope:SCOPE_SE
	s_and_saveexec_b32 s18, s7
	s_cbranch_execz .LBB239_47
; %bb.39:
	v_cmp_gt_u32_e32 vcc_lo, 0x70, v0
	ds_store_b32 v18, v28
	s_and_b32 exec_lo, exec_lo, vcc_lo
	s_cbranch_execz .LBB239_47
; %bb.40:
	v_mov_b32_e32 v9, 0
	v_cmp_gt_u32_e32 vcc_lo, 0x60, v0
	ds_store_b32 v18, v9 offset:64
	s_and_b32 exec_lo, exec_lo, vcc_lo
	s_cbranch_execz .LBB239_47
; %bb.41:
	v_cmp_gt_u32_e32 vcc_lo, 0x50, v0
	ds_store_b32 v18, v9 offset:128
	s_and_b32 exec_lo, exec_lo, vcc_lo
	s_cbranch_execz .LBB239_47
; %bb.42:
	v_mov_b32_e32 v9, 0
	v_cmp_gt_u32_e32 vcc_lo, 64, v0
	ds_store_b32 v18, v9 offset:192
	s_and_b32 exec_lo, exec_lo, vcc_lo
	s_cbranch_execz .LBB239_47
; %bb.43:
	v_cmp_gt_u32_e32 vcc_lo, 48, v0
	ds_store_b32 v18, v9 offset:256
	;; [unrolled: 11-line block ×3, first 2 shown]
	s_and_b32 exec_lo, exec_lo, vcc_lo
; %bb.46:
	v_mov_b32_e32 v9, 0
	ds_store_b32 v18, v9 offset:448
.LBB239_47:
	s_wait_alu 0xfffe
	s_or_b32 exec_lo, exec_lo, s18
	v_lshrrev_b16 v9, 4, v27
	v_cmp_ne_u16_e32 vcc_lo, 0x7fff, v27
	s_min_u32 s18, s17, 12
	v_lshrrev_b32_e32 v28, 16, v27
	s_wait_alu 0xfffe
	s_lshl_b32 s18, -1, s18
	v_lshrrev_b32_e32 v11, 20, v27
	s_wait_alu 0xfffd
	v_cndmask_b32_e32 v9, 0x800, v9, vcc_lo
	s_wait_alu 0xfffe
	s_not_b32 s18, s18
	v_cmp_ne_u16_e32 vcc_lo, 0x7fff, v28
	s_delay_alu instid0(VALU_DEP_2) | instskip(SKIP_1) | instid1(VALU_DEP_1)
	v_and_b32_e32 v9, 0xffff, v9
	s_wait_alu 0xfffe
	v_and_b32_e32 v9, s18, v9
	s_delay_alu instid0(VALU_DEP_1) | instskip(SKIP_1) | instid1(VALU_DEP_2)
	v_lshlrev_b32_e32 v10, 4, v9
	v_lshrrev_b32_e32 v9, 2, v9
	v_and_or_b32 v10, 0x70, v10, v0
	s_delay_alu instid0(VALU_DEP_2) | instskip(NEXT) | instid1(VALU_DEP_1)
	v_and_b32_e32 v9, 0x3fe, v9
	v_lshl_add_u32 v29, v10, 2, v9
	s_wait_alu 0xfffd
	v_cndmask_b32_e32 v9, 0x800, v11, vcc_lo
	ds_load_u16 v30, v29
	v_and_b32_e32 v9, 0xffff, v9
	s_delay_alu instid0(VALU_DEP_1) | instskip(NEXT) | instid1(VALU_DEP_1)
	v_and_b32_e32 v9, s18, v9
	v_lshlrev_b32_e32 v10, 4, v9
	v_lshrrev_b32_e32 v9, 2, v9
	s_delay_alu instid0(VALU_DEP_2) | instskip(NEXT) | instid1(VALU_DEP_2)
	v_and_or_b32 v10, 0x70, v10, v0
	v_and_b32_e32 v9, 0x3fe, v9
	s_wait_dscnt 0x0
	v_add_nc_u16 v11, v30, 1
	s_delay_alu instid0(VALU_DEP_2)
	v_lshl_add_u32 v31, v10, 2, v9
	ds_store_b16 v29, v11
	ds_load_u16 v32, v31
	s_wait_dscnt 0x0
	v_add_nc_u16 v9, v32, 1
	ds_store_b16 v31, v9
	; wave barrier
	s_wait_loadcnt_dscnt 0x0
	global_inv scope:SCOPE_SE
	ds_load_b128 v[13:16], v23
	ds_load_b128 v[9:12], v23 offset:16
	s_wait_dscnt 0x1
	v_add_nc_u32_e32 v33, v14, v13
	s_delay_alu instid0(VALU_DEP_1) | instskip(SKIP_1) | instid1(VALU_DEP_1)
	v_add3_u32 v33, v33, v15, v16
	s_wait_dscnt 0x0
	v_add3_u32 v33, v33, v9, v10
	s_delay_alu instid0(VALU_DEP_1) | instskip(NEXT) | instid1(VALU_DEP_1)
	v_add3_u32 v12, v33, v11, v12
	v_mov_b32_dpp v33, v12 row_shr:1 row_mask:0xf bank_mask:0xf
	s_delay_alu instid0(VALU_DEP_1) | instskip(NEXT) | instid1(VALU_DEP_1)
	v_cndmask_b32_e64 v33, v33, 0, s5
	v_add_nc_u32_e32 v12, v33, v12
	s_delay_alu instid0(VALU_DEP_1) | instskip(NEXT) | instid1(VALU_DEP_1)
	v_mov_b32_dpp v33, v12 row_shr:2 row_mask:0xf bank_mask:0xf
	v_cndmask_b32_e64 v33, 0, v33, s1
	s_delay_alu instid0(VALU_DEP_1) | instskip(NEXT) | instid1(VALU_DEP_1)
	v_add_nc_u32_e32 v12, v12, v33
	v_mov_b32_dpp v33, v12 row_shr:4 row_mask:0xf bank_mask:0xf
	s_delay_alu instid0(VALU_DEP_1) | instskip(NEXT) | instid1(VALU_DEP_1)
	v_cndmask_b32_e64 v33, 0, v33, s6
	v_add_nc_u32_e32 v12, v12, v33
	s_delay_alu instid0(VALU_DEP_1) | instskip(NEXT) | instid1(VALU_DEP_1)
	v_mov_b32_dpp v33, v12 row_shr:8 row_mask:0xf bank_mask:0xf
	v_cndmask_b32_e64 v33, 0, v33, s4
	s_delay_alu instid0(VALU_DEP_1)
	v_add_nc_u32_e32 v12, v12, v33
	s_and_saveexec_b32 s18, s0
; %bb.48:
	v_mov_b32_e32 v33, 0
	ds_store_b32 v33, v12 offset:512
; %bb.49:
	s_wait_alu 0xfffe
	s_or_b32 exec_lo, exec_lo, s18
	ds_bpermute_b32 v33, v24, v12
	v_mov_b32_e32 v12, 0
	; wave barrier
	s_wait_loadcnt_dscnt 0x0
	global_inv scope:SCOPE_SE
	ds_load_b32 v34, v12 offset:512
	v_cndmask_b32_e64 v33, v33, 0, s16
	s_wait_dscnt 0x0
	s_delay_alu instid0(VALU_DEP_1) | instskip(NEXT) | instid1(VALU_DEP_1)
	v_lshl_add_u32 v33, v34, 16, v33
	v_add_nc_u32_e32 v34, v33, v13
	s_delay_alu instid0(VALU_DEP_1) | instskip(NEXT) | instid1(VALU_DEP_1)
	v_add_nc_u32_e32 v35, v34, v14
	v_add_nc_u32_e32 v36, v35, v15
	s_delay_alu instid0(VALU_DEP_1) | instskip(NEXT) | instid1(VALU_DEP_1)
	v_add_nc_u32_e32 v13, v36, v16
	;; [unrolled: 3-line block ×3, first 2 shown]
	v_add_nc_u32_e32 v16, v15, v11
	v_and_b32_e32 v11, 0xffff, v30
	ds_store_b128 v23, v[33:36]
	ds_store_b128 v23, v[13:16] offset:16
	; wave barrier
	s_wait_loadcnt_dscnt 0x0
	global_inv scope:SCOPE_SE
	ds_load_u16 v9, v29
	ds_load_u16 v10, v31
	v_and_b32_e32 v13, 0xffff, v32
	; wave barrier
	s_wait_loadcnt_dscnt 0x0
	global_inv scope:SCOPE_SE
	v_add_nc_u32_e32 v9, v9, v11
	v_add_nc_u32_e32 v10, v10, v13
	s_delay_alu instid0(VALU_DEP_2) | instskip(NEXT) | instid1(VALU_DEP_2)
	v_lshlrev_b32_e32 v11, 1, v9
	v_lshlrev_b32_e32 v13, 1, v10
	ds_store_b16 v11, v27
	ds_store_b16 v13, v28
	v_mad_u32_u24 v9, v9, 6, v11
	v_mad_u32_u24 v10, v10, 6, v13
	; wave barrier
	s_wait_loadcnt_dscnt 0x0
	global_inv scope:SCOPE_SE
	ds_load_b32 v27, v22
	; wave barrier
	s_wait_loadcnt_dscnt 0x0
	global_inv scope:SCOPE_SE
	ds_store_b64 v9, v[5:6]
	ds_store_b64 v10, v[7:8]
	; wave barrier
	s_wait_loadcnt_dscnt 0x0
	global_inv scope:SCOPE_SE
	ds_load_b128 v[5:8], v21
	; wave barrier
	s_wait_loadcnt_dscnt 0x0
	global_inv scope:SCOPE_SE
	s_and_saveexec_b32 s18, s7
	s_cbranch_execz .LBB239_58
; %bb.50:
	v_cmp_gt_u32_e32 vcc_lo, 0x70, v0
	ds_store_b32 v18, v12
	s_and_b32 exec_lo, exec_lo, vcc_lo
	s_cbranch_execz .LBB239_58
; %bb.51:
	v_mov_b32_e32 v9, 0
	v_cmp_gt_u32_e32 vcc_lo, 0x60, v0
	ds_store_b32 v18, v9 offset:64
	s_and_b32 exec_lo, exec_lo, vcc_lo
	s_cbranch_execz .LBB239_58
; %bb.52:
	v_cmp_gt_u32_e32 vcc_lo, 0x50, v0
	ds_store_b32 v18, v9 offset:128
	s_and_b32 exec_lo, exec_lo, vcc_lo
	s_cbranch_execz .LBB239_58
; %bb.53:
	v_mov_b32_e32 v9, 0
	v_cmp_gt_u32_e32 vcc_lo, 64, v0
	ds_store_b32 v18, v9 offset:192
	s_and_b32 exec_lo, exec_lo, vcc_lo
	s_cbranch_execz .LBB239_58
; %bb.54:
	v_cmp_gt_u32_e32 vcc_lo, 48, v0
	ds_store_b32 v18, v9 offset:256
	;; [unrolled: 11-line block ×3, first 2 shown]
	s_and_b32 exec_lo, exec_lo, vcc_lo
; %bb.57:
	v_mov_b32_e32 v9, 0
	ds_store_b32 v18, v9 offset:448
.LBB239_58:
	s_wait_alu 0xfffe
	s_or_b32 exec_lo, exec_lo, s18
	v_lshrrev_b16 v9, 8, v27
	v_cmp_ne_u16_e32 vcc_lo, 0x7fff, v27
	s_min_u32 s18, s17, 8
	v_lshrrev_b32_e32 v28, 16, v27
	s_wait_alu 0xfffe
	s_lshl_b32 s18, -1, s18
	v_lshrrev_b32_e32 v11, 24, v27
	s_wait_alu 0xfffd
	v_cndmask_b32_e32 v9, 0x80, v9, vcc_lo
	s_wait_alu 0xfffe
	s_not_b32 s18, s18
	v_cmp_ne_u16_e32 vcc_lo, 0x7fff, v28
	s_delay_alu instid0(VALU_DEP_2) | instskip(SKIP_1) | instid1(VALU_DEP_1)
	v_and_b32_e32 v9, 0xffff, v9
	s_wait_alu 0xfffe
	v_and_b32_e32 v9, s18, v9
	s_delay_alu instid0(VALU_DEP_1) | instskip(SKIP_1) | instid1(VALU_DEP_2)
	v_lshlrev_b32_e32 v10, 4, v9
	v_lshrrev_b32_e32 v9, 2, v9
	v_and_or_b32 v10, 0x70, v10, v0
	s_delay_alu instid0(VALU_DEP_2) | instskip(NEXT) | instid1(VALU_DEP_1)
	v_and_b32_e32 v9, 62, v9
	v_lshl_add_u32 v29, v10, 2, v9
	s_wait_alu 0xfffd
	v_cndmask_b32_e32 v9, 0x80, v11, vcc_lo
	ds_load_u16 v30, v29
	v_and_b32_e32 v9, 0xffff, v9
	s_delay_alu instid0(VALU_DEP_1) | instskip(NEXT) | instid1(VALU_DEP_1)
	v_and_b32_e32 v9, s18, v9
	v_lshlrev_b32_e32 v10, 4, v9
	v_lshrrev_b32_e32 v9, 2, v9
	s_delay_alu instid0(VALU_DEP_2) | instskip(NEXT) | instid1(VALU_DEP_2)
	v_and_or_b32 v10, 0x70, v10, v0
	v_and_b32_e32 v9, 62, v9
	s_wait_dscnt 0x0
	v_add_nc_u16 v11, v30, 1
	s_delay_alu instid0(VALU_DEP_2)
	v_lshl_add_u32 v31, v10, 2, v9
	ds_store_b16 v29, v11
	ds_load_u16 v32, v31
	s_wait_dscnt 0x0
	v_add_nc_u16 v9, v32, 1
	ds_store_b16 v31, v9
	; wave barrier
	s_wait_loadcnt_dscnt 0x0
	global_inv scope:SCOPE_SE
	ds_load_b128 v[13:16], v23
	ds_load_b128 v[9:12], v23 offset:16
	s_wait_dscnt 0x1
	v_add_nc_u32_e32 v33, v14, v13
	s_delay_alu instid0(VALU_DEP_1) | instskip(SKIP_1) | instid1(VALU_DEP_1)
	v_add3_u32 v33, v33, v15, v16
	s_wait_dscnt 0x0
	v_add3_u32 v33, v33, v9, v10
	s_delay_alu instid0(VALU_DEP_1) | instskip(NEXT) | instid1(VALU_DEP_1)
	v_add3_u32 v12, v33, v11, v12
	v_mov_b32_dpp v33, v12 row_shr:1 row_mask:0xf bank_mask:0xf
	s_delay_alu instid0(VALU_DEP_1) | instskip(NEXT) | instid1(VALU_DEP_1)
	v_cndmask_b32_e64 v33, v33, 0, s5
	v_add_nc_u32_e32 v12, v33, v12
	s_delay_alu instid0(VALU_DEP_1) | instskip(NEXT) | instid1(VALU_DEP_1)
	v_mov_b32_dpp v33, v12 row_shr:2 row_mask:0xf bank_mask:0xf
	v_cndmask_b32_e64 v33, 0, v33, s1
	s_delay_alu instid0(VALU_DEP_1) | instskip(NEXT) | instid1(VALU_DEP_1)
	v_add_nc_u32_e32 v12, v12, v33
	v_mov_b32_dpp v33, v12 row_shr:4 row_mask:0xf bank_mask:0xf
	s_delay_alu instid0(VALU_DEP_1) | instskip(NEXT) | instid1(VALU_DEP_1)
	v_cndmask_b32_e64 v33, 0, v33, s6
	v_add_nc_u32_e32 v12, v12, v33
	s_delay_alu instid0(VALU_DEP_1) | instskip(NEXT) | instid1(VALU_DEP_1)
	v_mov_b32_dpp v33, v12 row_shr:8 row_mask:0xf bank_mask:0xf
	v_cndmask_b32_e64 v33, 0, v33, s4
	s_delay_alu instid0(VALU_DEP_1)
	v_add_nc_u32_e32 v12, v12, v33
	s_and_saveexec_b32 s18, s0
; %bb.59:
	v_mov_b32_e32 v33, 0
	ds_store_b32 v33, v12 offset:512
; %bb.60:
	s_wait_alu 0xfffe
	s_or_b32 exec_lo, exec_lo, s18
	ds_bpermute_b32 v33, v24, v12
	v_mov_b32_e32 v12, 0
	; wave barrier
	s_wait_loadcnt_dscnt 0x0
	global_inv scope:SCOPE_SE
	ds_load_b32 v34, v12 offset:512
	v_cndmask_b32_e64 v33, v33, 0, s16
	s_wait_dscnt 0x0
	s_delay_alu instid0(VALU_DEP_1) | instskip(NEXT) | instid1(VALU_DEP_1)
	v_lshl_add_u32 v33, v34, 16, v33
	v_add_nc_u32_e32 v34, v33, v13
	s_delay_alu instid0(VALU_DEP_1) | instskip(NEXT) | instid1(VALU_DEP_1)
	v_add_nc_u32_e32 v35, v34, v14
	v_add_nc_u32_e32 v36, v35, v15
	s_delay_alu instid0(VALU_DEP_1) | instskip(NEXT) | instid1(VALU_DEP_1)
	v_add_nc_u32_e32 v13, v36, v16
	;; [unrolled: 3-line block ×3, first 2 shown]
	v_add_nc_u32_e32 v16, v15, v11
	v_and_b32_e32 v11, 0xffff, v30
	ds_store_b128 v23, v[33:36]
	ds_store_b128 v23, v[13:16] offset:16
	; wave barrier
	s_wait_loadcnt_dscnt 0x0
	global_inv scope:SCOPE_SE
	ds_load_u16 v9, v29
	ds_load_u16 v10, v31
	v_and_b32_e32 v13, 0xffff, v32
	; wave barrier
	s_wait_loadcnt_dscnt 0x0
	global_inv scope:SCOPE_SE
	v_add_nc_u32_e32 v9, v9, v11
	v_add_nc_u32_e32 v10, v10, v13
	s_delay_alu instid0(VALU_DEP_2) | instskip(NEXT) | instid1(VALU_DEP_2)
	v_lshlrev_b32_e32 v11, 1, v9
	v_lshlrev_b32_e32 v13, 1, v10
	ds_store_b16 v11, v27
	ds_store_b16 v13, v28
	v_mad_u32_u24 v9, v9, 6, v11
	v_mad_u32_u24 v10, v10, 6, v13
	; wave barrier
	s_wait_loadcnt_dscnt 0x0
	global_inv scope:SCOPE_SE
	ds_load_b32 v27, v22
	; wave barrier
	s_wait_loadcnt_dscnt 0x0
	global_inv scope:SCOPE_SE
	ds_store_b64 v9, v[5:6]
	ds_store_b64 v10, v[7:8]
	; wave barrier
	s_wait_loadcnt_dscnt 0x0
	global_inv scope:SCOPE_SE
	ds_load_b128 v[5:8], v21
	; wave barrier
	s_wait_loadcnt_dscnt 0x0
	global_inv scope:SCOPE_SE
	s_and_saveexec_b32 s18, s7
	s_cbranch_execz .LBB239_69
; %bb.61:
	v_cmp_gt_u32_e32 vcc_lo, 0x70, v0
	ds_store_b32 v18, v12
	s_and_b32 exec_lo, exec_lo, vcc_lo
	s_cbranch_execz .LBB239_69
; %bb.62:
	v_mov_b32_e32 v9, 0
	v_cmp_gt_u32_e32 vcc_lo, 0x60, v0
	ds_store_b32 v18, v9 offset:64
	s_and_b32 exec_lo, exec_lo, vcc_lo
	s_cbranch_execz .LBB239_69
; %bb.63:
	v_cmp_gt_u32_e32 vcc_lo, 0x50, v0
	ds_store_b32 v18, v9 offset:128
	s_and_b32 exec_lo, exec_lo, vcc_lo
	s_cbranch_execz .LBB239_69
; %bb.64:
	v_mov_b32_e32 v9, 0
	v_cmp_gt_u32_e32 vcc_lo, 64, v0
	ds_store_b32 v18, v9 offset:192
	s_and_b32 exec_lo, exec_lo, vcc_lo
	s_cbranch_execz .LBB239_69
; %bb.65:
	v_cmp_gt_u32_e32 vcc_lo, 48, v0
	ds_store_b32 v18, v9 offset:256
	;; [unrolled: 11-line block ×3, first 2 shown]
	s_and_b32 exec_lo, exec_lo, vcc_lo
; %bb.68:
	v_mov_b32_e32 v9, 0
	ds_store_b32 v18, v9 offset:448
.LBB239_69:
	s_wait_alu 0xfffe
	s_or_b32 exec_lo, exec_lo, s18
	v_lshrrev_b16 v9, 12, v27
	v_cmp_ne_u16_e32 vcc_lo, 0x7fff, v27
	s_min_u32 s18, s17, 4
	v_lshrrev_b32_e32 v28, 16, v27
	s_wait_alu 0xfffe
	s_lshl_b32 s18, -1, s18
	v_lshrrev_b32_e32 v11, 28, v27
	s_wait_alu 0xfffd
	v_cndmask_b32_e32 v9, 8, v9, vcc_lo
	s_wait_alu 0xfffe
	s_not_b32 s18, s18
	v_cmp_ne_u16_e32 vcc_lo, 0x7fff, v28
	s_delay_alu instid0(VALU_DEP_2) | instskip(SKIP_1) | instid1(VALU_DEP_1)
	v_and_b32_e32 v9, 0xffff, v9
	s_wait_alu 0xfffe
	v_and_b32_e32 v9, s18, v9
	s_delay_alu instid0(VALU_DEP_1) | instskip(SKIP_1) | instid1(VALU_DEP_2)
	v_lshlrev_b32_e32 v10, 4, v9
	v_lshrrev_b32_e32 v9, 2, v9
	v_and_or_b32 v10, 0x70, v10, v0
	s_delay_alu instid0(VALU_DEP_2) | instskip(NEXT) | instid1(VALU_DEP_1)
	v_and_b32_e32 v9, 2, v9
	v_lshl_or_b32 v29, v10, 2, v9
	s_wait_alu 0xfffd
	v_cndmask_b32_e32 v9, 8, v11, vcc_lo
	ds_load_u16 v30, v29
	v_and_b32_e32 v9, 0xffff, v9
	s_delay_alu instid0(VALU_DEP_1) | instskip(SKIP_1) | instid1(VALU_DEP_1)
	v_and_b32_e32 v9, s18, v9
	s_mov_b32 s18, 0
	v_lshlrev_b32_e32 v10, 4, v9
	v_lshrrev_b32_e32 v9, 2, v9
	s_delay_alu instid0(VALU_DEP_2) | instskip(NEXT) | instid1(VALU_DEP_2)
	v_and_or_b32 v10, 0x70, v10, v0
	v_and_b32_e32 v9, 2, v9
	s_wait_dscnt 0x0
	v_add_nc_u16 v11, v30, 1
	s_delay_alu instid0(VALU_DEP_2)
	v_lshl_or_b32 v31, v10, 2, v9
	ds_store_b16 v29, v11
	ds_load_u16 v32, v31
	s_wait_dscnt 0x0
	v_add_nc_u16 v9, v32, 1
	ds_store_b16 v31, v9
	; wave barrier
	s_wait_loadcnt_dscnt 0x0
	global_inv scope:SCOPE_SE
	ds_load_b128 v[13:16], v23
	ds_load_b128 v[9:12], v23 offset:16
	s_wait_dscnt 0x1
	v_add_nc_u32_e32 v33, v14, v13
	s_delay_alu instid0(VALU_DEP_1) | instskip(SKIP_1) | instid1(VALU_DEP_1)
	v_add3_u32 v33, v33, v15, v16
	s_wait_dscnt 0x0
	v_add3_u32 v33, v33, v9, v10
	s_delay_alu instid0(VALU_DEP_1) | instskip(NEXT) | instid1(VALU_DEP_1)
	v_add3_u32 v12, v33, v11, v12
	v_mov_b32_dpp v33, v12 row_shr:1 row_mask:0xf bank_mask:0xf
	s_delay_alu instid0(VALU_DEP_1) | instskip(NEXT) | instid1(VALU_DEP_1)
	v_cndmask_b32_e64 v33, v33, 0, s5
	v_add_nc_u32_e32 v12, v33, v12
	s_delay_alu instid0(VALU_DEP_1) | instskip(NEXT) | instid1(VALU_DEP_1)
	v_mov_b32_dpp v33, v12 row_shr:2 row_mask:0xf bank_mask:0xf
	v_cndmask_b32_e64 v33, 0, v33, s1
	s_delay_alu instid0(VALU_DEP_1) | instskip(NEXT) | instid1(VALU_DEP_1)
	v_add_nc_u32_e32 v12, v12, v33
	v_mov_b32_dpp v33, v12 row_shr:4 row_mask:0xf bank_mask:0xf
	s_delay_alu instid0(VALU_DEP_1) | instskip(NEXT) | instid1(VALU_DEP_1)
	v_cndmask_b32_e64 v33, 0, v33, s6
	v_add_nc_u32_e32 v12, v12, v33
	s_delay_alu instid0(VALU_DEP_1) | instskip(NEXT) | instid1(VALU_DEP_1)
	v_mov_b32_dpp v33, v12 row_shr:8 row_mask:0xf bank_mask:0xf
	v_cndmask_b32_e64 v33, 0, v33, s4
	s_delay_alu instid0(VALU_DEP_1)
	v_add_nc_u32_e32 v12, v12, v33
	s_and_saveexec_b32 s19, s0
; %bb.70:
	v_mov_b32_e32 v33, 0
	ds_store_b32 v33, v12 offset:512
; %bb.71:
	s_wait_alu 0xfffe
	s_or_b32 exec_lo, exec_lo, s19
	ds_bpermute_b32 v12, v24, v12
	v_mov_b32_e32 v33, 0
	; wave barrier
	s_wait_loadcnt_dscnt 0x0
	global_inv scope:SCOPE_SE
	ds_load_b32 v33, v33 offset:512
	v_cndmask_b32_e64 v12, v12, 0, s16
	s_wait_dscnt 0x0
	s_delay_alu instid0(VALU_DEP_1) | instskip(NEXT) | instid1(VALU_DEP_1)
	v_lshl_add_u32 v12, v33, 16, v12
	v_add_nc_u32_e32 v13, v12, v13
	s_delay_alu instid0(VALU_DEP_1) | instskip(NEXT) | instid1(VALU_DEP_1)
	v_add_nc_u32_e32 v14, v13, v14
	v_add_nc_u32_e32 v15, v14, v15
	s_delay_alu instid0(VALU_DEP_1) | instskip(NEXT) | instid1(VALU_DEP_1)
	v_add_nc_u32_e32 v33, v15, v16
	v_add_nc_u32_e32 v34, v33, v9
	s_delay_alu instid0(VALU_DEP_1) | instskip(NEXT) | instid1(VALU_DEP_1)
	v_add_nc_u32_e32 v35, v34, v10
	v_add_nc_u32_e32 v36, v35, v11
	v_and_b32_e32 v11, 0xffff, v30
	ds_store_b128 v23, v[12:15]
	ds_store_b128 v23, v[33:36] offset:16
	; wave barrier
	s_wait_loadcnt_dscnt 0x0
	global_inv scope:SCOPE_SE
	ds_load_u16 v9, v29
	ds_load_u16 v10, v31
	v_and_b32_e32 v12, 0xffff, v32
	; wave barrier
	s_wait_loadcnt_dscnt 0x0
	global_inv scope:SCOPE_SE
	v_add_nc_u32_e32 v9, v9, v11
	v_add_nc_u32_e32 v10, v10, v12
	s_delay_alu instid0(VALU_DEP_2) | instskip(NEXT) | instid1(VALU_DEP_2)
	v_lshlrev_b32_e32 v11, 1, v9
	v_lshlrev_b32_e32 v12, 1, v10
	ds_store_b16 v11, v27
	ds_store_b16 v12, v28
	; wave barrier
	s_wait_loadcnt_dscnt 0x0
	global_inv scope:SCOPE_SE
	ds_load_b32 v13, v22
	v_mad_u32_u24 v9, v9, 6, v11
	v_mad_u32_u24 v10, v10, 6, v12
	; wave barrier
	s_wait_loadcnt_dscnt 0x0
	global_inv scope:SCOPE_SE
	ds_store_b64 v9, v[5:6]
	ds_store_b64 v10, v[7:8]
	; wave barrier
	s_wait_loadcnt_dscnt 0x0
	global_inv scope:SCOPE_SE
	ds_load_b128 v[5:8], v21
	v_lshrrev_b32_e32 v9, 16, v13
	v_cmp_lt_i16_e32 vcc_lo, -1, v13
	s_wait_alu 0xfffd
	v_cndmask_b32_e64 v10, 0xffff8000, -1, vcc_lo
	s_delay_alu instid0(VALU_DEP_3) | instskip(SKIP_2) | instid1(VALU_DEP_1)
	v_cmp_lt_i16_e32 vcc_lo, -1, v9
	s_wait_alu 0xfffd
	v_cndmask_b32_e64 v9, 0xffff8000, -1, vcc_lo
	v_perm_b32 v9, v9, v10, 0x5040100
	s_delay_alu instid0(VALU_DEP_1)
	v_xor_b32_e32 v9, v9, v13
	s_and_b32 vcc_lo, exec_lo, s18
	s_wait_alu 0xfffe
	s_cbranch_vccnz .LBB239_73
	s_branch .LBB239_118
.LBB239_72:
                                        ; implicit-def: $vgpr7_vgpr8
                                        ; implicit-def: $vgpr9
	s_and_b32 vcc_lo, exec_lo, s18
	s_wait_alu 0xfffe
	s_cbranch_vccz .LBB239_118
.LBB239_73:
	s_and_saveexec_b32 s18, s7
	s_cbranch_execz .LBB239_82
; %bb.74:
	s_wait_dscnt 0x0
	v_mad_i32_i24 v5, v0, -12, v21
	v_mov_b32_e32 v6, 0
	v_cmp_gt_u32_e32 vcc_lo, 0x70, v0
	ds_store_b32 v5, v6
	s_and_b32 exec_lo, exec_lo, vcc_lo
	s_cbranch_execz .LBB239_82
; %bb.75:
	v_mul_i32_i24_e32 v5, -12, v0
	v_cmp_gt_u32_e32 vcc_lo, 0x60, v0
	s_delay_alu instid0(VALU_DEP_2)
	v_add_nc_u32_e32 v5, v21, v5
	ds_store_b32 v5, v6 offset:64
	s_and_b32 exec_lo, exec_lo, vcc_lo
	s_cbranch_execz .LBB239_82
; %bb.76:
	v_mov_b32_e32 v6, 0
	v_cmp_gt_u32_e32 vcc_lo, 0x50, v0
	ds_store_b32 v5, v6 offset:128
	s_and_b32 exec_lo, exec_lo, vcc_lo
	s_cbranch_execz .LBB239_82
; %bb.77:
	v_cmp_gt_u32_e32 vcc_lo, 64, v0
	ds_store_b32 v5, v6 offset:192
	s_and_b32 exec_lo, exec_lo, vcc_lo
	s_cbranch_execz .LBB239_82
; %bb.78:
	v_mov_b32_e32 v6, 0
	v_cmp_gt_u32_e32 vcc_lo, 48, v0
	ds_store_b32 v5, v6 offset:256
	s_and_b32 exec_lo, exec_lo, vcc_lo
	s_cbranch_execz .LBB239_82
; %bb.79:
	v_cmp_gt_u32_e32 vcc_lo, 32, v0
	ds_store_b32 v5, v6 offset:320
	s_and_b32 exec_lo, exec_lo, vcc_lo
	s_cbranch_execz .LBB239_82
; %bb.80:
	v_mov_b32_e32 v6, 0
	v_cmp_gt_u32_e32 vcc_lo, 16, v0
	ds_store_b32 v5, v6 offset:384
	s_and_b32 exec_lo, exec_lo, vcc_lo
; %bb.81:
	ds_store_b32 v5, v6 offset:448
.LBB239_82:
	s_wait_alu 0xfffe
	s_or_b32 exec_lo, exec_lo, s18
	v_cmp_gt_i16_e32 vcc_lo, 0, v25
	s_wait_kmcnt 0x0
	s_min_u32 s18, s17, 16
	s_wait_alu 0xfffe
	s_lshl_b32 s18, -1, s18
	s_wait_alu 0xfffe
	s_not_b32 s18, s18
	s_wait_dscnt 0x0
	s_wait_alu 0xfffd
	v_cndmask_b32_e64 v5, 0x7fff, 0, vcc_lo
	s_delay_alu instid0(VALU_DEP_1) | instskip(NEXT) | instid1(VALU_DEP_1)
	v_xor_b32_e32 v13, v5, v25
	v_cmp_ne_u16_e32 vcc_lo, 0x8000, v13
	s_wait_alu 0xfffd
	v_cndmask_b32_e32 v5, 0x7fff, v13, vcc_lo
	v_cmp_gt_i16_e32 vcc_lo, 0, v26
	s_delay_alu instid0(VALU_DEP_2) | instskip(SKIP_3) | instid1(VALU_DEP_2)
	v_and_b32_e32 v5, 0xffff, v5
	s_wait_alu 0xfffd
	v_cndmask_b32_e64 v7, 0x7fff, 0, vcc_lo
	s_wait_alu 0xfffe
	v_and_b32_e32 v5, s18, v5
	s_delay_alu instid0(VALU_DEP_2) | instskip(NEXT) | instid1(VALU_DEP_1)
	v_xor_b32_e32 v14, v7, v26
	v_cmp_ne_u16_e32 vcc_lo, 0x8000, v14
	s_delay_alu instid0(VALU_DEP_3) | instskip(SKIP_1) | instid1(VALU_DEP_2)
	v_lshlrev_b32_e32 v6, 4, v5
	v_lshrrev_b32_e32 v5, 2, v5
	v_and_or_b32 v6, 0x70, v6, v0
	s_delay_alu instid0(VALU_DEP_2) | instskip(NEXT) | instid1(VALU_DEP_1)
	v_and_b32_e32 v5, 0x3ffe, v5
	v_lshl_add_u32 v15, v6, 2, v5
	s_wait_alu 0xfffd
	v_cndmask_b32_e32 v5, 0x7fff, v14, vcc_lo
	ds_load_u16 v16, v15
	v_and_b32_e32 v5, 0xffff, v5
	s_delay_alu instid0(VALU_DEP_1) | instskip(NEXT) | instid1(VALU_DEP_1)
	v_and_b32_e32 v5, s18, v5
	v_lshlrev_b32_e32 v6, 4, v5
	v_lshrrev_b32_e32 v5, 2, v5
	s_delay_alu instid0(VALU_DEP_2) | instskip(NEXT) | instid1(VALU_DEP_2)
	v_and_or_b32 v6, 0x70, v6, v0
	v_and_b32_e32 v5, 0x3ffe, v5
	s_wait_dscnt 0x0
	v_add_nc_u16 v7, v16, 1
	s_delay_alu instid0(VALU_DEP_2)
	v_lshl_add_u32 v25, v6, 2, v5
	ds_store_b16 v15, v7
	ds_load_u16 v26, v25
	s_wait_dscnt 0x0
	v_add_nc_u16 v5, v26, 1
	ds_store_b16 v25, v5
	; wave barrier
	s_wait_loadcnt_dscnt 0x0
	global_inv scope:SCOPE_SE
	ds_load_b128 v[9:12], v23
	ds_load_b128 v[5:8], v23 offset:16
	s_wait_dscnt 0x1
	v_add_nc_u32_e32 v27, v10, v9
	s_delay_alu instid0(VALU_DEP_1) | instskip(SKIP_1) | instid1(VALU_DEP_1)
	v_add3_u32 v27, v27, v11, v12
	s_wait_dscnt 0x0
	v_add3_u32 v27, v27, v5, v6
	s_delay_alu instid0(VALU_DEP_1) | instskip(NEXT) | instid1(VALU_DEP_1)
	v_add3_u32 v8, v27, v7, v8
	v_mov_b32_dpp v27, v8 row_shr:1 row_mask:0xf bank_mask:0xf
	s_delay_alu instid0(VALU_DEP_1) | instskip(NEXT) | instid1(VALU_DEP_1)
	v_cndmask_b32_e64 v27, v27, 0, s5
	v_add_nc_u32_e32 v8, v27, v8
	s_delay_alu instid0(VALU_DEP_1) | instskip(NEXT) | instid1(VALU_DEP_1)
	v_mov_b32_dpp v27, v8 row_shr:2 row_mask:0xf bank_mask:0xf
	v_cndmask_b32_e64 v27, 0, v27, s1
	s_delay_alu instid0(VALU_DEP_1) | instskip(NEXT) | instid1(VALU_DEP_1)
	v_add_nc_u32_e32 v8, v8, v27
	v_mov_b32_dpp v27, v8 row_shr:4 row_mask:0xf bank_mask:0xf
	s_delay_alu instid0(VALU_DEP_1) | instskip(NEXT) | instid1(VALU_DEP_1)
	v_cndmask_b32_e64 v27, 0, v27, s6
	v_add_nc_u32_e32 v8, v8, v27
	s_delay_alu instid0(VALU_DEP_1) | instskip(NEXT) | instid1(VALU_DEP_1)
	v_mov_b32_dpp v27, v8 row_shr:8 row_mask:0xf bank_mask:0xf
	v_cndmask_b32_e64 v27, 0, v27, s4
	s_delay_alu instid0(VALU_DEP_1)
	v_add_nc_u32_e32 v8, v8, v27
	s_and_saveexec_b32 s18, s0
; %bb.83:
	v_mov_b32_e32 v27, 0
	ds_store_b32 v27, v8 offset:512
; %bb.84:
	s_wait_alu 0xfffe
	s_or_b32 exec_lo, exec_lo, s18
	ds_bpermute_b32 v27, v24, v8
	v_mov_b32_e32 v8, 0
	; wave barrier
	s_wait_loadcnt_dscnt 0x0
	global_inv scope:SCOPE_SE
	ds_load_b32 v28, v8 offset:512
	v_cndmask_b32_e64 v27, v27, 0, s16
	s_wait_dscnt 0x0
	s_delay_alu instid0(VALU_DEP_1) | instskip(NEXT) | instid1(VALU_DEP_1)
	v_lshl_add_u32 v27, v28, 16, v27
	v_add_nc_u32_e32 v28, v27, v9
	s_delay_alu instid0(VALU_DEP_1) | instskip(NEXT) | instid1(VALU_DEP_1)
	v_add_nc_u32_e32 v29, v28, v10
	v_add_nc_u32_e32 v30, v29, v11
	s_delay_alu instid0(VALU_DEP_1) | instskip(NEXT) | instid1(VALU_DEP_1)
	v_add_nc_u32_e32 v9, v30, v12
	;; [unrolled: 3-line block ×3, first 2 shown]
	v_add_nc_u32_e32 v12, v11, v7
	v_and_b32_e32 v7, 0xffff, v16
	ds_store_b128 v23, v[27:30]
	ds_store_b128 v23, v[9:12] offset:16
	; wave barrier
	s_wait_loadcnt_dscnt 0x0
	global_inv scope:SCOPE_SE
	ds_load_u16 v5, v15
	ds_load_u16 v6, v25
	v_and_b32_e32 v9, 0xffff, v26
	; wave barrier
	s_wait_loadcnt_dscnt 0x0
	global_inv scope:SCOPE_SE
	v_add_nc_u32_e32 v5, v5, v7
	v_add_nc_u32_e32 v6, v6, v9
	s_delay_alu instid0(VALU_DEP_2) | instskip(NEXT) | instid1(VALU_DEP_2)
	v_lshlrev_b32_e32 v7, 1, v5
	v_lshlrev_b32_e32 v9, 1, v6
	ds_store_b16 v7, v13
	ds_store_b16 v9, v14
	v_mad_u32_u24 v5, v5, 6, v7
	v_mad_u32_u24 v6, v6, 6, v9
	; wave barrier
	s_wait_loadcnt_dscnt 0x0
	global_inv scope:SCOPE_SE
	ds_load_b32 v13, v22
	; wave barrier
	s_wait_loadcnt_dscnt 0x0
	global_inv scope:SCOPE_SE
	ds_store_b64 v5, v[1:2]
	ds_store_b64 v6, v[3:4]
	; wave barrier
	s_wait_loadcnt_dscnt 0x0
	global_inv scope:SCOPE_SE
	ds_load_b128 v[1:4], v21
	; wave barrier
	s_wait_loadcnt_dscnt 0x0
	global_inv scope:SCOPE_SE
	s_and_saveexec_b32 s18, s7
	s_cbranch_execz .LBB239_93
; %bb.85:
	v_cmp_gt_u32_e32 vcc_lo, 0x70, v0
	ds_store_b32 v18, v8
	s_and_b32 exec_lo, exec_lo, vcc_lo
	s_cbranch_execz .LBB239_93
; %bb.86:
	v_mov_b32_e32 v5, 0
	v_cmp_gt_u32_e32 vcc_lo, 0x60, v0
	ds_store_b32 v18, v5 offset:64
	s_and_b32 exec_lo, exec_lo, vcc_lo
	s_cbranch_execz .LBB239_93
; %bb.87:
	v_cmp_gt_u32_e32 vcc_lo, 0x50, v0
	ds_store_b32 v18, v5 offset:128
	s_and_b32 exec_lo, exec_lo, vcc_lo
	s_cbranch_execz .LBB239_93
; %bb.88:
	v_mov_b32_e32 v5, 0
	v_cmp_gt_u32_e32 vcc_lo, 64, v0
	ds_store_b32 v18, v5 offset:192
	s_and_b32 exec_lo, exec_lo, vcc_lo
	s_cbranch_execz .LBB239_93
; %bb.89:
	v_cmp_gt_u32_e32 vcc_lo, 48, v0
	ds_store_b32 v18, v5 offset:256
	;; [unrolled: 11-line block ×3, first 2 shown]
	s_and_b32 exec_lo, exec_lo, vcc_lo
; %bb.92:
	v_mov_b32_e32 v5, 0
	ds_store_b32 v18, v5 offset:448
.LBB239_93:
	s_wait_alu 0xfffe
	s_or_b32 exec_lo, exec_lo, s18
	v_lshrrev_b16 v5, 4, v13
	v_cmp_ne_u16_e32 vcc_lo, 0x8000, v13
	s_min_u32 s18, s17, 12
	v_lshrrev_b32_e32 v14, 16, v13
	s_wait_alu 0xfffe
	s_lshl_b32 s18, -1, s18
	v_lshrrev_b32_e32 v7, 20, v13
	s_wait_alu 0xfffd
	v_cndmask_b32_e32 v5, 0x7ff, v5, vcc_lo
	s_wait_alu 0xfffe
	s_not_b32 s18, s18
	v_cmp_ne_u16_e32 vcc_lo, 0x8000, v14
	s_delay_alu instid0(VALU_DEP_2) | instskip(SKIP_1) | instid1(VALU_DEP_1)
	v_and_b32_e32 v5, 0xffff, v5
	s_wait_alu 0xfffe
	v_and_b32_e32 v5, s18, v5
	s_delay_alu instid0(VALU_DEP_1) | instskip(SKIP_1) | instid1(VALU_DEP_2)
	v_lshlrev_b32_e32 v6, 4, v5
	v_lshrrev_b32_e32 v5, 2, v5
	v_and_or_b32 v6, 0x70, v6, v0
	s_delay_alu instid0(VALU_DEP_2) | instskip(NEXT) | instid1(VALU_DEP_1)
	v_and_b32_e32 v5, 0x3fe, v5
	v_lshl_add_u32 v15, v6, 2, v5
	s_wait_alu 0xfffd
	v_cndmask_b32_e32 v5, 0x7ff, v7, vcc_lo
	ds_load_u16 v16, v15
	v_and_b32_e32 v5, 0xffff, v5
	s_delay_alu instid0(VALU_DEP_1) | instskip(NEXT) | instid1(VALU_DEP_1)
	v_and_b32_e32 v5, s18, v5
	v_lshlrev_b32_e32 v6, 4, v5
	v_lshrrev_b32_e32 v5, 2, v5
	s_delay_alu instid0(VALU_DEP_2) | instskip(NEXT) | instid1(VALU_DEP_2)
	v_and_or_b32 v6, 0x70, v6, v0
	v_and_b32_e32 v5, 0x3fe, v5
	s_wait_dscnt 0x0
	v_add_nc_u16 v7, v16, 1
	s_delay_alu instid0(VALU_DEP_2)
	v_lshl_add_u32 v25, v6, 2, v5
	ds_store_b16 v15, v7
	ds_load_u16 v26, v25
	s_wait_dscnt 0x0
	v_add_nc_u16 v5, v26, 1
	ds_store_b16 v25, v5
	; wave barrier
	s_wait_loadcnt_dscnt 0x0
	global_inv scope:SCOPE_SE
	ds_load_b128 v[9:12], v23
	ds_load_b128 v[5:8], v23 offset:16
	s_wait_dscnt 0x1
	v_add_nc_u32_e32 v27, v10, v9
	s_delay_alu instid0(VALU_DEP_1) | instskip(SKIP_1) | instid1(VALU_DEP_1)
	v_add3_u32 v27, v27, v11, v12
	s_wait_dscnt 0x0
	v_add3_u32 v27, v27, v5, v6
	s_delay_alu instid0(VALU_DEP_1) | instskip(NEXT) | instid1(VALU_DEP_1)
	v_add3_u32 v8, v27, v7, v8
	v_mov_b32_dpp v27, v8 row_shr:1 row_mask:0xf bank_mask:0xf
	s_delay_alu instid0(VALU_DEP_1) | instskip(NEXT) | instid1(VALU_DEP_1)
	v_cndmask_b32_e64 v27, v27, 0, s5
	v_add_nc_u32_e32 v8, v27, v8
	s_delay_alu instid0(VALU_DEP_1) | instskip(NEXT) | instid1(VALU_DEP_1)
	v_mov_b32_dpp v27, v8 row_shr:2 row_mask:0xf bank_mask:0xf
	v_cndmask_b32_e64 v27, 0, v27, s1
	s_delay_alu instid0(VALU_DEP_1) | instskip(NEXT) | instid1(VALU_DEP_1)
	v_add_nc_u32_e32 v8, v8, v27
	v_mov_b32_dpp v27, v8 row_shr:4 row_mask:0xf bank_mask:0xf
	s_delay_alu instid0(VALU_DEP_1) | instskip(NEXT) | instid1(VALU_DEP_1)
	v_cndmask_b32_e64 v27, 0, v27, s6
	v_add_nc_u32_e32 v8, v8, v27
	s_delay_alu instid0(VALU_DEP_1) | instskip(NEXT) | instid1(VALU_DEP_1)
	v_mov_b32_dpp v27, v8 row_shr:8 row_mask:0xf bank_mask:0xf
	v_cndmask_b32_e64 v27, 0, v27, s4
	s_delay_alu instid0(VALU_DEP_1)
	v_add_nc_u32_e32 v8, v8, v27
	s_and_saveexec_b32 s18, s0
; %bb.94:
	v_mov_b32_e32 v27, 0
	ds_store_b32 v27, v8 offset:512
; %bb.95:
	s_wait_alu 0xfffe
	s_or_b32 exec_lo, exec_lo, s18
	ds_bpermute_b32 v27, v24, v8
	v_mov_b32_e32 v8, 0
	; wave barrier
	s_wait_loadcnt_dscnt 0x0
	global_inv scope:SCOPE_SE
	ds_load_b32 v28, v8 offset:512
	v_cndmask_b32_e64 v27, v27, 0, s16
	s_wait_dscnt 0x0
	s_delay_alu instid0(VALU_DEP_1) | instskip(NEXT) | instid1(VALU_DEP_1)
	v_lshl_add_u32 v27, v28, 16, v27
	v_add_nc_u32_e32 v28, v27, v9
	s_delay_alu instid0(VALU_DEP_1) | instskip(NEXT) | instid1(VALU_DEP_1)
	v_add_nc_u32_e32 v29, v28, v10
	v_add_nc_u32_e32 v30, v29, v11
	s_delay_alu instid0(VALU_DEP_1) | instskip(NEXT) | instid1(VALU_DEP_1)
	v_add_nc_u32_e32 v9, v30, v12
	;; [unrolled: 3-line block ×3, first 2 shown]
	v_add_nc_u32_e32 v12, v11, v7
	v_and_b32_e32 v7, 0xffff, v16
	ds_store_b128 v23, v[27:30]
	ds_store_b128 v23, v[9:12] offset:16
	; wave barrier
	s_wait_loadcnt_dscnt 0x0
	global_inv scope:SCOPE_SE
	ds_load_u16 v5, v15
	ds_load_u16 v6, v25
	v_and_b32_e32 v9, 0xffff, v26
	; wave barrier
	s_wait_loadcnt_dscnt 0x0
	global_inv scope:SCOPE_SE
	v_add_nc_u32_e32 v5, v5, v7
	v_add_nc_u32_e32 v6, v6, v9
	s_delay_alu instid0(VALU_DEP_2) | instskip(NEXT) | instid1(VALU_DEP_2)
	v_lshlrev_b32_e32 v7, 1, v5
	v_lshlrev_b32_e32 v9, 1, v6
	ds_store_b16 v7, v13
	ds_store_b16 v9, v14
	v_mad_u32_u24 v5, v5, 6, v7
	v_mad_u32_u24 v6, v6, 6, v9
	; wave barrier
	s_wait_loadcnt_dscnt 0x0
	global_inv scope:SCOPE_SE
	ds_load_b32 v13, v22
	; wave barrier
	s_wait_loadcnt_dscnt 0x0
	global_inv scope:SCOPE_SE
	ds_store_b64 v5, v[1:2]
	ds_store_b64 v6, v[3:4]
	; wave barrier
	s_wait_loadcnt_dscnt 0x0
	global_inv scope:SCOPE_SE
	ds_load_b128 v[1:4], v21
	; wave barrier
	s_wait_loadcnt_dscnt 0x0
	global_inv scope:SCOPE_SE
	s_and_saveexec_b32 s18, s7
	s_cbranch_execz .LBB239_104
; %bb.96:
	v_cmp_gt_u32_e32 vcc_lo, 0x70, v0
	ds_store_b32 v18, v8
	s_and_b32 exec_lo, exec_lo, vcc_lo
	s_cbranch_execz .LBB239_104
; %bb.97:
	v_mov_b32_e32 v5, 0
	v_cmp_gt_u32_e32 vcc_lo, 0x60, v0
	ds_store_b32 v18, v5 offset:64
	s_and_b32 exec_lo, exec_lo, vcc_lo
	s_cbranch_execz .LBB239_104
; %bb.98:
	v_cmp_gt_u32_e32 vcc_lo, 0x50, v0
	ds_store_b32 v18, v5 offset:128
	s_and_b32 exec_lo, exec_lo, vcc_lo
	s_cbranch_execz .LBB239_104
; %bb.99:
	v_mov_b32_e32 v5, 0
	v_cmp_gt_u32_e32 vcc_lo, 64, v0
	ds_store_b32 v18, v5 offset:192
	s_and_b32 exec_lo, exec_lo, vcc_lo
	s_cbranch_execz .LBB239_104
; %bb.100:
	v_cmp_gt_u32_e32 vcc_lo, 48, v0
	ds_store_b32 v18, v5 offset:256
	;; [unrolled: 11-line block ×3, first 2 shown]
	s_and_b32 exec_lo, exec_lo, vcc_lo
; %bb.103:
	v_mov_b32_e32 v5, 0
	ds_store_b32 v18, v5 offset:448
.LBB239_104:
	s_wait_alu 0xfffe
	s_or_b32 exec_lo, exec_lo, s18
	v_lshrrev_b16 v5, 8, v13
	v_cmp_ne_u16_e32 vcc_lo, 0x8000, v13
	s_min_u32 s18, s17, 8
	v_lshrrev_b32_e32 v14, 16, v13
	s_wait_alu 0xfffe
	s_lshl_b32 s18, -1, s18
	v_lshrrev_b32_e32 v7, 24, v13
	s_wait_alu 0xfffd
	v_cndmask_b32_e32 v5, 0x7f, v5, vcc_lo
	s_wait_alu 0xfffe
	s_not_b32 s18, s18
	v_cmp_ne_u16_e32 vcc_lo, 0x8000, v14
	s_delay_alu instid0(VALU_DEP_2) | instskip(SKIP_1) | instid1(VALU_DEP_1)
	v_and_b32_e32 v5, 0xffff, v5
	s_wait_alu 0xfffe
	v_and_b32_e32 v5, s18, v5
	s_delay_alu instid0(VALU_DEP_1) | instskip(SKIP_1) | instid1(VALU_DEP_2)
	v_lshlrev_b32_e32 v6, 4, v5
	v_lshrrev_b32_e32 v5, 2, v5
	v_and_or_b32 v6, 0x70, v6, v0
	s_delay_alu instid0(VALU_DEP_2) | instskip(NEXT) | instid1(VALU_DEP_1)
	v_and_b32_e32 v5, 62, v5
	v_lshl_add_u32 v15, v6, 2, v5
	s_wait_alu 0xfffd
	v_cndmask_b32_e32 v5, 0x7f, v7, vcc_lo
	ds_load_u16 v16, v15
	v_and_b32_e32 v5, 0xffff, v5
	s_delay_alu instid0(VALU_DEP_1) | instskip(NEXT) | instid1(VALU_DEP_1)
	v_and_b32_e32 v5, s18, v5
	v_lshlrev_b32_e32 v6, 4, v5
	v_lshrrev_b32_e32 v5, 2, v5
	s_delay_alu instid0(VALU_DEP_2) | instskip(NEXT) | instid1(VALU_DEP_2)
	v_and_or_b32 v6, 0x70, v6, v0
	v_and_b32_e32 v5, 62, v5
	s_wait_dscnt 0x0
	v_add_nc_u16 v7, v16, 1
	s_delay_alu instid0(VALU_DEP_2)
	v_lshl_add_u32 v25, v6, 2, v5
	ds_store_b16 v15, v7
	ds_load_u16 v26, v25
	s_wait_dscnt 0x0
	v_add_nc_u16 v5, v26, 1
	ds_store_b16 v25, v5
	; wave barrier
	s_wait_loadcnt_dscnt 0x0
	global_inv scope:SCOPE_SE
	ds_load_b128 v[9:12], v23
	ds_load_b128 v[5:8], v23 offset:16
	s_wait_dscnt 0x1
	v_add_nc_u32_e32 v27, v10, v9
	s_delay_alu instid0(VALU_DEP_1) | instskip(SKIP_1) | instid1(VALU_DEP_1)
	v_add3_u32 v27, v27, v11, v12
	s_wait_dscnt 0x0
	v_add3_u32 v27, v27, v5, v6
	s_delay_alu instid0(VALU_DEP_1) | instskip(NEXT) | instid1(VALU_DEP_1)
	v_add3_u32 v8, v27, v7, v8
	v_mov_b32_dpp v27, v8 row_shr:1 row_mask:0xf bank_mask:0xf
	s_delay_alu instid0(VALU_DEP_1) | instskip(NEXT) | instid1(VALU_DEP_1)
	v_cndmask_b32_e64 v27, v27, 0, s5
	v_add_nc_u32_e32 v8, v27, v8
	s_delay_alu instid0(VALU_DEP_1) | instskip(NEXT) | instid1(VALU_DEP_1)
	v_mov_b32_dpp v27, v8 row_shr:2 row_mask:0xf bank_mask:0xf
	v_cndmask_b32_e64 v27, 0, v27, s1
	s_delay_alu instid0(VALU_DEP_1) | instskip(NEXT) | instid1(VALU_DEP_1)
	v_add_nc_u32_e32 v8, v8, v27
	v_mov_b32_dpp v27, v8 row_shr:4 row_mask:0xf bank_mask:0xf
	s_delay_alu instid0(VALU_DEP_1) | instskip(NEXT) | instid1(VALU_DEP_1)
	v_cndmask_b32_e64 v27, 0, v27, s6
	v_add_nc_u32_e32 v8, v8, v27
	s_delay_alu instid0(VALU_DEP_1) | instskip(NEXT) | instid1(VALU_DEP_1)
	v_mov_b32_dpp v27, v8 row_shr:8 row_mask:0xf bank_mask:0xf
	v_cndmask_b32_e64 v27, 0, v27, s4
	s_delay_alu instid0(VALU_DEP_1)
	v_add_nc_u32_e32 v8, v8, v27
	s_and_saveexec_b32 s18, s0
; %bb.105:
	v_mov_b32_e32 v27, 0
	ds_store_b32 v27, v8 offset:512
; %bb.106:
	s_wait_alu 0xfffe
	s_or_b32 exec_lo, exec_lo, s18
	ds_bpermute_b32 v27, v24, v8
	v_mov_b32_e32 v8, 0
	; wave barrier
	s_wait_loadcnt_dscnt 0x0
	global_inv scope:SCOPE_SE
	ds_load_b32 v28, v8 offset:512
	v_cndmask_b32_e64 v27, v27, 0, s16
	s_wait_dscnt 0x0
	s_delay_alu instid0(VALU_DEP_1) | instskip(NEXT) | instid1(VALU_DEP_1)
	v_lshl_add_u32 v27, v28, 16, v27
	v_add_nc_u32_e32 v28, v27, v9
	s_delay_alu instid0(VALU_DEP_1) | instskip(NEXT) | instid1(VALU_DEP_1)
	v_add_nc_u32_e32 v29, v28, v10
	v_add_nc_u32_e32 v30, v29, v11
	s_delay_alu instid0(VALU_DEP_1) | instskip(NEXT) | instid1(VALU_DEP_1)
	v_add_nc_u32_e32 v9, v30, v12
	;; [unrolled: 3-line block ×3, first 2 shown]
	v_add_nc_u32_e32 v12, v11, v7
	v_and_b32_e32 v7, 0xffff, v16
	ds_store_b128 v23, v[27:30]
	ds_store_b128 v23, v[9:12] offset:16
	; wave barrier
	s_wait_loadcnt_dscnt 0x0
	global_inv scope:SCOPE_SE
	ds_load_u16 v5, v15
	ds_load_u16 v6, v25
	v_and_b32_e32 v9, 0xffff, v26
	; wave barrier
	s_wait_loadcnt_dscnt 0x0
	global_inv scope:SCOPE_SE
	v_add_nc_u32_e32 v5, v5, v7
	v_add_nc_u32_e32 v6, v6, v9
	s_delay_alu instid0(VALU_DEP_2) | instskip(NEXT) | instid1(VALU_DEP_2)
	v_lshlrev_b32_e32 v7, 1, v5
	v_lshlrev_b32_e32 v9, 1, v6
	ds_store_b16 v7, v13
	ds_store_b16 v9, v14
	v_mad_u32_u24 v5, v5, 6, v7
	v_mad_u32_u24 v6, v6, 6, v9
	; wave barrier
	s_wait_loadcnt_dscnt 0x0
	global_inv scope:SCOPE_SE
	ds_load_b32 v13, v22
	; wave barrier
	s_wait_loadcnt_dscnt 0x0
	global_inv scope:SCOPE_SE
	ds_store_b64 v5, v[1:2]
	ds_store_b64 v6, v[3:4]
	; wave barrier
	s_wait_loadcnt_dscnt 0x0
	global_inv scope:SCOPE_SE
	ds_load_b128 v[1:4], v21
	; wave barrier
	s_wait_loadcnt_dscnt 0x0
	global_inv scope:SCOPE_SE
	s_and_saveexec_b32 s18, s7
	s_cbranch_execz .LBB239_115
; %bb.107:
	v_cmp_gt_u32_e32 vcc_lo, 0x70, v0
	ds_store_b32 v18, v8
	s_and_b32 exec_lo, exec_lo, vcc_lo
	s_cbranch_execz .LBB239_115
; %bb.108:
	v_mov_b32_e32 v5, 0
	v_cmp_gt_u32_e32 vcc_lo, 0x60, v0
	ds_store_b32 v18, v5 offset:64
	s_and_b32 exec_lo, exec_lo, vcc_lo
	s_cbranch_execz .LBB239_115
; %bb.109:
	v_cmp_gt_u32_e32 vcc_lo, 0x50, v0
	ds_store_b32 v18, v5 offset:128
	s_and_b32 exec_lo, exec_lo, vcc_lo
	s_cbranch_execz .LBB239_115
; %bb.110:
	v_mov_b32_e32 v5, 0
	v_cmp_gt_u32_e32 vcc_lo, 64, v0
	ds_store_b32 v18, v5 offset:192
	s_and_b32 exec_lo, exec_lo, vcc_lo
	s_cbranch_execz .LBB239_115
; %bb.111:
	v_cmp_gt_u32_e32 vcc_lo, 48, v0
	ds_store_b32 v18, v5 offset:256
	;; [unrolled: 11-line block ×3, first 2 shown]
	s_and_b32 exec_lo, exec_lo, vcc_lo
; %bb.114:
	v_mov_b32_e32 v5, 0
	ds_store_b32 v18, v5 offset:448
.LBB239_115:
	s_wait_alu 0xfffe
	s_or_b32 exec_lo, exec_lo, s18
	v_lshrrev_b16 v5, 12, v13
	v_cmp_ne_u16_e32 vcc_lo, 0x8000, v13
	s_min_u32 s7, s17, 4
	v_lshrrev_b32_e32 v14, 16, v13
	s_wait_alu 0xfffe
	s_lshl_b32 s7, -1, s7
	v_lshrrev_b32_e32 v7, 28, v13
	s_wait_alu 0xfffd
	v_cndmask_b32_e32 v5, 7, v5, vcc_lo
	s_wait_alu 0xfffe
	s_not_b32 s7, s7
	v_cmp_ne_u16_e32 vcc_lo, 0x8000, v14
	s_delay_alu instid0(VALU_DEP_2) | instskip(SKIP_1) | instid1(VALU_DEP_1)
	v_and_b32_e32 v5, 0xffff, v5
	s_wait_alu 0xfffe
	v_and_b32_e32 v5, s7, v5
	s_delay_alu instid0(VALU_DEP_1) | instskip(SKIP_1) | instid1(VALU_DEP_2)
	v_lshlrev_b32_e32 v6, 4, v5
	v_lshrrev_b32_e32 v5, 2, v5
	v_and_or_b32 v6, 0x70, v6, v0
	s_delay_alu instid0(VALU_DEP_2) | instskip(NEXT) | instid1(VALU_DEP_1)
	v_and_b32_e32 v5, 2, v5
	v_lshl_or_b32 v15, v6, 2, v5
	s_wait_alu 0xfffd
	v_cndmask_b32_e32 v5, 7, v7, vcc_lo
	ds_load_u16 v16, v15
	v_and_b32_e32 v5, 0xffff, v5
	s_delay_alu instid0(VALU_DEP_1) | instskip(NEXT) | instid1(VALU_DEP_1)
	v_and_b32_e32 v5, s7, v5
	v_lshlrev_b32_e32 v6, 4, v5
	v_lshrrev_b32_e32 v5, 2, v5
	s_delay_alu instid0(VALU_DEP_2) | instskip(NEXT) | instid1(VALU_DEP_2)
	v_and_or_b32 v6, 0x70, v6, v0
	v_and_b32_e32 v5, 2, v5
	s_wait_dscnt 0x0
	v_add_nc_u16 v7, v16, 1
	s_delay_alu instid0(VALU_DEP_2)
	v_lshl_or_b32 v25, v6, 2, v5
	ds_store_b16 v15, v7
	ds_load_u16 v26, v25
	s_wait_dscnt 0x0
	v_add_nc_u16 v5, v26, 1
	ds_store_b16 v25, v5
	; wave barrier
	s_wait_loadcnt_dscnt 0x0
	global_inv scope:SCOPE_SE
	ds_load_b128 v[9:12], v23
	ds_load_b128 v[5:8], v23 offset:16
	s_wait_dscnt 0x1
	v_add_nc_u32_e32 v27, v10, v9
	s_delay_alu instid0(VALU_DEP_1) | instskip(SKIP_1) | instid1(VALU_DEP_1)
	v_add3_u32 v27, v27, v11, v12
	s_wait_dscnt 0x0
	v_add3_u32 v27, v27, v5, v6
	s_delay_alu instid0(VALU_DEP_1) | instskip(NEXT) | instid1(VALU_DEP_1)
	v_add3_u32 v8, v27, v7, v8
	v_mov_b32_dpp v27, v8 row_shr:1 row_mask:0xf bank_mask:0xf
	s_delay_alu instid0(VALU_DEP_1) | instskip(NEXT) | instid1(VALU_DEP_1)
	v_cndmask_b32_e64 v27, v27, 0, s5
	v_add_nc_u32_e32 v8, v27, v8
	s_delay_alu instid0(VALU_DEP_1) | instskip(NEXT) | instid1(VALU_DEP_1)
	v_mov_b32_dpp v27, v8 row_shr:2 row_mask:0xf bank_mask:0xf
	v_cndmask_b32_e64 v27, 0, v27, s1
	s_delay_alu instid0(VALU_DEP_1) | instskip(NEXT) | instid1(VALU_DEP_1)
	v_add_nc_u32_e32 v8, v8, v27
	v_mov_b32_dpp v27, v8 row_shr:4 row_mask:0xf bank_mask:0xf
	s_delay_alu instid0(VALU_DEP_1) | instskip(NEXT) | instid1(VALU_DEP_1)
	v_cndmask_b32_e64 v27, 0, v27, s6
	v_add_nc_u32_e32 v8, v8, v27
	s_delay_alu instid0(VALU_DEP_1) | instskip(NEXT) | instid1(VALU_DEP_1)
	v_mov_b32_dpp v27, v8 row_shr:8 row_mask:0xf bank_mask:0xf
	v_cndmask_b32_e64 v27, 0, v27, s4
	s_delay_alu instid0(VALU_DEP_1)
	v_add_nc_u32_e32 v8, v8, v27
	s_and_saveexec_b32 s1, s0
; %bb.116:
	v_mov_b32_e32 v27, 0
	ds_store_b32 v27, v8 offset:512
; %bb.117:
	s_wait_alu 0xfffe
	s_or_b32 exec_lo, exec_lo, s1
	ds_bpermute_b32 v8, v24, v8
	v_mov_b32_e32 v24, 0
	; wave barrier
	s_wait_loadcnt_dscnt 0x0
	global_inv scope:SCOPE_SE
	ds_load_b32 v24, v24 offset:512
	v_cndmask_b32_e64 v8, v8, 0, s16
	s_wait_dscnt 0x0
	s_delay_alu instid0(VALU_DEP_1) | instskip(NEXT) | instid1(VALU_DEP_1)
	v_lshl_add_u32 v8, v24, 16, v8
	v_add_nc_u32_e32 v9, v8, v9
	s_delay_alu instid0(VALU_DEP_1) | instskip(NEXT) | instid1(VALU_DEP_1)
	v_add_nc_u32_e32 v10, v9, v10
	v_add_nc_u32_e32 v11, v10, v11
	s_delay_alu instid0(VALU_DEP_1) | instskip(NEXT) | instid1(VALU_DEP_1)
	v_add_nc_u32_e32 v27, v11, v12
	;; [unrolled: 3-line block ×3, first 2 shown]
	v_add_nc_u32_e32 v30, v29, v7
	v_and_b32_e32 v7, 0xffff, v16
	ds_store_b128 v23, v[8:11]
	ds_store_b128 v23, v[27:30] offset:16
	; wave barrier
	s_wait_loadcnt_dscnt 0x0
	global_inv scope:SCOPE_SE
	ds_load_u16 v5, v15
	ds_load_u16 v6, v25
	v_and_b32_e32 v8, 0xffff, v26
	; wave barrier
	s_wait_loadcnt_dscnt 0x0
	global_inv scope:SCOPE_SE
	v_add_nc_u32_e32 v5, v5, v7
	v_add_nc_u32_e32 v6, v6, v8
	s_delay_alu instid0(VALU_DEP_2) | instskip(NEXT) | instid1(VALU_DEP_2)
	v_lshlrev_b32_e32 v7, 1, v5
	v_lshlrev_b32_e32 v8, 1, v6
	ds_store_b16 v7, v13
	ds_store_b16 v8, v14
	; wave barrier
	s_wait_loadcnt_dscnt 0x0
	global_inv scope:SCOPE_SE
	ds_load_b32 v9, v22
	v_mad_u32_u24 v5, v5, 6, v7
	v_mad_u32_u24 v6, v6, 6, v8
	; wave barrier
	s_wait_loadcnt_dscnt 0x0
	global_inv scope:SCOPE_SE
	ds_store_b64 v5, v[1:2]
	ds_store_b64 v6, v[3:4]
	; wave barrier
	s_wait_loadcnt_dscnt 0x0
	global_inv scope:SCOPE_SE
	ds_load_b128 v[5:8], v21
	v_lshrrev_b32_e32 v1, 16, v9
	v_cmp_gt_i16_e32 vcc_lo, 0, v9
	s_wait_alu 0xfffd
	v_cndmask_b32_e64 v2, 0x7fff, 0, vcc_lo
	s_delay_alu instid0(VALU_DEP_3) | instskip(SKIP_2) | instid1(VALU_DEP_1)
	v_cmp_gt_i16_e32 vcc_lo, 0, v1
	s_wait_alu 0xfffd
	v_cndmask_b32_e64 v1, 0x7fff, 0, vcc_lo
	v_perm_b32 v1, v1, v2, 0x5040100
	s_delay_alu instid0(VALU_DEP_1)
	v_xor_b32_e32 v9, v1, v9
.LBB239_118:
	v_mad_co_u64_u32 v[1:2], null, s8, v0, 0
	; wave barrier
	s_wait_loadcnt_dscnt 0x0
	global_inv scope:SCOPE_SE
	ds_store_b32 v18, v9
	; wave barrier
	s_wait_loadcnt_dscnt 0x0
	global_inv scope:SCOPE_SE
	v_mad_co_u64_u32 v[2:3], null, s9, v0, v[2:3]
	ds_load_u16 v3, v17 offset:32
	v_lshlrev_b64_e32 v[1:2], 1, v[1:2]
	s_delay_alu instid0(VALU_DEP_1) | instskip(SKIP_1) | instid1(VALU_DEP_2)
	v_add_co_u32 v1, vcc_lo, s12, v1
	s_wait_alu 0xfffd
	v_add_co_ci_u32_e64 v2, null, s13, v2, vcc_lo
	s_and_saveexec_b32 s0, s2
	s_cbranch_execz .LBB239_120
; %bb.119:
	ds_load_u16 v4, v17
	s_wait_dscnt 0x0
	global_store_b16 v[1:2], v4, off
.LBB239_120:
	s_wait_alu 0xfffe
	s_or_b32 exec_lo, exec_lo, s0
	s_and_saveexec_b32 s0, s3
	s_cbranch_execz .LBB239_122
; %bb.121:
	s_lshl_b64 s[4:5], s[8:9], 5
	s_wait_alu 0xfffe
	v_add_co_u32 v1, vcc_lo, v1, s4
	s_wait_alu 0xfffd
	v_add_co_ci_u32_e64 v2, null, s5, v2, vcc_lo
	s_wait_dscnt 0x0
	global_store_b16 v[1:2], v3, off
.LBB239_122:
	s_wait_alu 0xfffe
	s_or_b32 exec_lo, exec_lo, s0
	s_wait_dscnt 0x0
	v_mad_co_u64_u32 v[2:3], null, s10, v0, 0
	s_wait_loadcnt 0x0
	s_wait_storecnt 0x0
	; wave barrier
	global_inv scope:SCOPE_SE
	ds_store_2addr_b64 v20, v[5:6], v[7:8] offset1:1
	; wave barrier
	s_wait_loadcnt_dscnt 0x0
	global_inv scope:SCOPE_SE
	v_mov_b32_e32 v1, v3
	s_delay_alu instid0(VALU_DEP_1) | instskip(SKIP_2) | instid1(VALU_DEP_1)
	v_mad_co_u64_u32 v[3:4], null, s11, v0, v[1:2]
	ds_load_b64 v[0:1], v19 offset:128
	v_lshlrev_b64_e32 v[2:3], 3, v[2:3]
	v_add_co_u32 v2, vcc_lo, s14, v2
	s_wait_alu 0xfffd
	s_delay_alu instid0(VALU_DEP_2)
	v_add_co_ci_u32_e64 v3, null, s15, v3, vcc_lo
	s_and_saveexec_b32 s0, s2
	s_cbranch_execz .LBB239_124
; %bb.123:
	ds_load_b64 v[4:5], v19
	s_wait_dscnt 0x0
	global_store_b64 v[2:3], v[4:5], off
.LBB239_124:
	s_wait_alu 0xfffe
	s_or_b32 exec_lo, exec_lo, s0
	s_and_saveexec_b32 s0, s3
	s_cbranch_execz .LBB239_126
; %bb.125:
	s_lshl_b64 s[0:1], s[10:11], 7
	s_wait_alu 0xfffe
	v_add_co_u32 v2, vcc_lo, v2, s0
	s_wait_alu 0xfffd
	v_add_co_ci_u32_e64 v3, null, s1, v3, vcc_lo
	s_wait_dscnt 0x0
	global_store_b64 v[2:3], v[0:1], off
.LBB239_126:
	s_endpgm
	.section	.rodata,"a",@progbits
	.p2align	6, 0x0
	.amdhsa_kernel _ZN2at6native18radixSortKVInPlaceILin1ELin1ELi16ELi2EN3c104HalfElmEEvNS_4cuda6detail10TensorInfoIT3_T5_EES8_S8_S8_NS6_IT4_S8_EES8_b
		.amdhsa_group_segment_fixed_size 528
		.amdhsa_private_segment_fixed_size 0
		.amdhsa_kernarg_size 1128
		.amdhsa_user_sgpr_count 2
		.amdhsa_user_sgpr_dispatch_ptr 0
		.amdhsa_user_sgpr_queue_ptr 0
		.amdhsa_user_sgpr_kernarg_segment_ptr 1
		.amdhsa_user_sgpr_dispatch_id 0
		.amdhsa_user_sgpr_private_segment_size 0
		.amdhsa_wavefront_size32 1
		.amdhsa_uses_dynamic_stack 0
		.amdhsa_enable_private_segment 0
		.amdhsa_system_sgpr_workgroup_id_x 1
		.amdhsa_system_sgpr_workgroup_id_y 1
		.amdhsa_system_sgpr_workgroup_id_z 1
		.amdhsa_system_sgpr_workgroup_info 0
		.amdhsa_system_vgpr_workitem_id 0
		.amdhsa_next_free_vgpr 37
		.amdhsa_next_free_sgpr 34
		.amdhsa_reserve_vcc 1
		.amdhsa_float_round_mode_32 0
		.amdhsa_float_round_mode_16_64 0
		.amdhsa_float_denorm_mode_32 3
		.amdhsa_float_denorm_mode_16_64 3
		.amdhsa_fp16_overflow 0
		.amdhsa_workgroup_processor_mode 1
		.amdhsa_memory_ordered 1
		.amdhsa_forward_progress 1
		.amdhsa_inst_pref_size 86
		.amdhsa_round_robin_scheduling 0
		.amdhsa_exception_fp_ieee_invalid_op 0
		.amdhsa_exception_fp_denorm_src 0
		.amdhsa_exception_fp_ieee_div_zero 0
		.amdhsa_exception_fp_ieee_overflow 0
		.amdhsa_exception_fp_ieee_underflow 0
		.amdhsa_exception_fp_ieee_inexact 0
		.amdhsa_exception_int_div_zero 0
	.end_amdhsa_kernel
	.section	.text._ZN2at6native18radixSortKVInPlaceILin1ELin1ELi16ELi2EN3c104HalfElmEEvNS_4cuda6detail10TensorInfoIT3_T5_EES8_S8_S8_NS6_IT4_S8_EES8_b,"axG",@progbits,_ZN2at6native18radixSortKVInPlaceILin1ELin1ELi16ELi2EN3c104HalfElmEEvNS_4cuda6detail10TensorInfoIT3_T5_EES8_S8_S8_NS6_IT4_S8_EES8_b,comdat
.Lfunc_end239:
	.size	_ZN2at6native18radixSortKVInPlaceILin1ELin1ELi16ELi2EN3c104HalfElmEEvNS_4cuda6detail10TensorInfoIT3_T5_EES8_S8_S8_NS6_IT4_S8_EES8_b, .Lfunc_end239-_ZN2at6native18radixSortKVInPlaceILin1ELin1ELi16ELi2EN3c104HalfElmEEvNS_4cuda6detail10TensorInfoIT3_T5_EES8_S8_S8_NS6_IT4_S8_EES8_b
                                        ; -- End function
	.set _ZN2at6native18radixSortKVInPlaceILin1ELin1ELi16ELi2EN3c104HalfElmEEvNS_4cuda6detail10TensorInfoIT3_T5_EES8_S8_S8_NS6_IT4_S8_EES8_b.num_vgpr, 37
	.set _ZN2at6native18radixSortKVInPlaceILin1ELin1ELi16ELi2EN3c104HalfElmEEvNS_4cuda6detail10TensorInfoIT3_T5_EES8_S8_S8_NS6_IT4_S8_EES8_b.num_agpr, 0
	.set _ZN2at6native18radixSortKVInPlaceILin1ELin1ELi16ELi2EN3c104HalfElmEEvNS_4cuda6detail10TensorInfoIT3_T5_EES8_S8_S8_NS6_IT4_S8_EES8_b.numbered_sgpr, 34
	.set _ZN2at6native18radixSortKVInPlaceILin1ELin1ELi16ELi2EN3c104HalfElmEEvNS_4cuda6detail10TensorInfoIT3_T5_EES8_S8_S8_NS6_IT4_S8_EES8_b.num_named_barrier, 0
	.set _ZN2at6native18radixSortKVInPlaceILin1ELin1ELi16ELi2EN3c104HalfElmEEvNS_4cuda6detail10TensorInfoIT3_T5_EES8_S8_S8_NS6_IT4_S8_EES8_b.private_seg_size, 0
	.set _ZN2at6native18radixSortKVInPlaceILin1ELin1ELi16ELi2EN3c104HalfElmEEvNS_4cuda6detail10TensorInfoIT3_T5_EES8_S8_S8_NS6_IT4_S8_EES8_b.uses_vcc, 1
	.set _ZN2at6native18radixSortKVInPlaceILin1ELin1ELi16ELi2EN3c104HalfElmEEvNS_4cuda6detail10TensorInfoIT3_T5_EES8_S8_S8_NS6_IT4_S8_EES8_b.uses_flat_scratch, 0
	.set _ZN2at6native18radixSortKVInPlaceILin1ELin1ELi16ELi2EN3c104HalfElmEEvNS_4cuda6detail10TensorInfoIT3_T5_EES8_S8_S8_NS6_IT4_S8_EES8_b.has_dyn_sized_stack, 0
	.set _ZN2at6native18radixSortKVInPlaceILin1ELin1ELi16ELi2EN3c104HalfElmEEvNS_4cuda6detail10TensorInfoIT3_T5_EES8_S8_S8_NS6_IT4_S8_EES8_b.has_recursion, 0
	.set _ZN2at6native18radixSortKVInPlaceILin1ELin1ELi16ELi2EN3c104HalfElmEEvNS_4cuda6detail10TensorInfoIT3_T5_EES8_S8_S8_NS6_IT4_S8_EES8_b.has_indirect_call, 0
	.section	.AMDGPU.csdata,"",@progbits
; Kernel info:
; codeLenInByte = 10904
; TotalNumSgprs: 36
; NumVgprs: 37
; ScratchSize: 0
; MemoryBound: 0
; FloatMode: 240
; IeeeMode: 1
; LDSByteSize: 528 bytes/workgroup (compile time only)
; SGPRBlocks: 0
; VGPRBlocks: 4
; NumSGPRsForWavesPerEU: 36
; NumVGPRsForWavesPerEU: 37
; Occupancy: 16
; WaveLimiterHint : 1
; COMPUTE_PGM_RSRC2:SCRATCH_EN: 0
; COMPUTE_PGM_RSRC2:USER_SGPR: 2
; COMPUTE_PGM_RSRC2:TRAP_HANDLER: 0
; COMPUTE_PGM_RSRC2:TGID_X_EN: 1
; COMPUTE_PGM_RSRC2:TGID_Y_EN: 1
; COMPUTE_PGM_RSRC2:TGID_Z_EN: 1
; COMPUTE_PGM_RSRC2:TIDIG_COMP_CNT: 0
	.section	.text._ZN2at6native18radixSortKVInPlaceILin2ELin1ELi512ELi8EN3c108BFloat16EljEEvNS_4cuda6detail10TensorInfoIT3_T5_EES8_S8_S8_NS6_IT4_S8_EES8_b,"axG",@progbits,_ZN2at6native18radixSortKVInPlaceILin2ELin1ELi512ELi8EN3c108BFloat16EljEEvNS_4cuda6detail10TensorInfoIT3_T5_EES8_S8_S8_NS6_IT4_S8_EES8_b,comdat
	.protected	_ZN2at6native18radixSortKVInPlaceILin2ELin1ELi512ELi8EN3c108BFloat16EljEEvNS_4cuda6detail10TensorInfoIT3_T5_EES8_S8_S8_NS6_IT4_S8_EES8_b ; -- Begin function _ZN2at6native18radixSortKVInPlaceILin2ELin1ELi512ELi8EN3c108BFloat16EljEEvNS_4cuda6detail10TensorInfoIT3_T5_EES8_S8_S8_NS6_IT4_S8_EES8_b
	.globl	_ZN2at6native18radixSortKVInPlaceILin2ELin1ELi512ELi8EN3c108BFloat16EljEEvNS_4cuda6detail10TensorInfoIT3_T5_EES8_S8_S8_NS6_IT4_S8_EES8_b
	.p2align	8
	.type	_ZN2at6native18radixSortKVInPlaceILin2ELin1ELi512ELi8EN3c108BFloat16EljEEvNS_4cuda6detail10TensorInfoIT3_T5_EES8_S8_S8_NS6_IT4_S8_EES8_b,@function
_ZN2at6native18radixSortKVInPlaceILin2ELin1ELi512ELi8EN3c108BFloat16EljEEvNS_4cuda6detail10TensorInfoIT3_T5_EES8_S8_S8_NS6_IT4_S8_EES8_b: ; @_ZN2at6native18radixSortKVInPlaceILin2ELin1ELi512ELi8EN3c108BFloat16EljEEvNS_4cuda6detail10TensorInfoIT3_T5_EES8_S8_S8_NS6_IT4_S8_EES8_b
; %bb.0:
	s_clause 0x1
	s_load_b64 s[2:3], s[0:1], 0x1c8
	s_load_b96 s[24:26], s[0:1], 0xd8
	s_lshr_b32 s4, ttmp7, 16
	s_wait_kmcnt 0x0
	s_mul_i32 s3, s3, s4
	s_and_b32 s4, ttmp7, 0xffff
	s_delay_alu instid0(SALU_CYCLE_1) | instskip(NEXT) | instid1(SALU_CYCLE_1)
	s_add_co_i32 s3, s3, s4
	s_mul_i32 s4, s3, s2
	s_delay_alu instid0(SALU_CYCLE_1) | instskip(NEXT) | instid1(SALU_CYCLE_1)
	s_add_co_i32 s4, s4, ttmp9
	s_cmp_ge_u32 s4, s24
	s_cbranch_scc1 .LBB240_146
; %bb.1:
	s_load_b32 s2, s[0:1], 0x1b8
	s_add_nc_u64 s[10:11], s[0:1], 0xe8
	s_mov_b32 s9, 0
	s_mov_b32 s12, s4
	s_wait_kmcnt 0x0
	s_cmp_lt_i32 s2, 2
	s_cbranch_scc1 .LBB240_4
; %bb.2:
	s_add_co_i32 s8, s2, -1
	s_add_co_i32 s5, s2, 1
	s_lshl_b64 s[6:7], s[8:9], 2
	s_mov_b32 s12, s4
	s_add_nc_u64 s[6:7], s[10:11], s[6:7]
	s_delay_alu instid0(SALU_CYCLE_1)
	s_add_nc_u64 s[2:3], s[6:7], 8
.LBB240_3:                              ; =>This Inner Loop Header: Depth=1
	s_clause 0x1
	s_load_b32 s6, s[2:3], 0x0
	s_load_b32 s7, s[2:3], 0x64
	s_mov_b32 s14, s12
	s_add_nc_u64 s[2:3], s[2:3], -4
	s_wait_kmcnt 0x0
	s_cvt_f32_u32 s8, s6
	s_sub_co_i32 s13, 0, s6
	s_wait_alu 0xfffe
	s_delay_alu instid0(SALU_CYCLE_1) | instskip(NEXT) | instid1(TRANS32_DEP_1)
	v_rcp_iflag_f32_e32 v1, s8
	v_readfirstlane_b32 s8, v1
	s_mul_f32 s8, s8, 0x4f7ffffe
	s_wait_alu 0xfffe
	s_delay_alu instid0(SALU_CYCLE_2) | instskip(SKIP_1) | instid1(SALU_CYCLE_2)
	s_cvt_u32_f32 s8, s8
	s_wait_alu 0xfffe
	s_mul_i32 s13, s13, s8
	s_delay_alu instid0(SALU_CYCLE_1) | instskip(NEXT) | instid1(SALU_CYCLE_1)
	s_mul_hi_u32 s13, s8, s13
	s_add_co_i32 s8, s8, s13
	s_wait_alu 0xfffe
	s_mul_hi_u32 s8, s12, s8
	s_wait_alu 0xfffe
	s_mul_i32 s12, s8, s6
	s_add_co_i32 s13, s8, 1
	s_sub_co_i32 s12, s14, s12
	s_delay_alu instid0(SALU_CYCLE_1)
	s_sub_co_i32 s15, s12, s6
	s_cmp_ge_u32 s12, s6
	s_cselect_b32 s8, s13, s8
	s_cselect_b32 s12, s15, s12
	s_wait_alu 0xfffe
	s_add_co_i32 s13, s8, 1
	s_cmp_ge_u32 s12, s6
	s_cselect_b32 s12, s13, s8
	s_add_co_i32 s5, s5, -1
	s_mul_i32 s6, s12, s6
	s_delay_alu instid0(SALU_CYCLE_1) | instskip(NEXT) | instid1(SALU_CYCLE_1)
	s_sub_co_i32 s6, s14, s6
	s_mul_i32 s6, s7, s6
	s_delay_alu instid0(SALU_CYCLE_1)
	s_add_co_i32 s9, s6, s9
	s_cmp_gt_u32 s5, 2
	s_cbranch_scc1 .LBB240_3
.LBB240_4:
	s_clause 0x2
	s_load_b64 s[28:29], s[0:1], 0x1c0
	s_load_b64 s[2:3], s[0:1], 0x0
	s_load_b32 s5, s[0:1], 0x6c
	s_add_nc_u64 s[34:35], s[0:1], 0x1c8
	s_mov_b32 s0, 0xffff
	s_wait_kmcnt 0x0
	s_bitcmp1_b32 s29, 0
	s_mul_i32 s4, s5, s4
	s_cselect_b32 s8, -1, 0
	s_mov_b32 s5, 0
	s_wait_alu 0xfffe
	s_and_b32 s1, s8, exec_lo
	s_cselect_b32 s13, s0, 0x7fff
	s_delay_alu instid0(SALU_CYCLE_1) | instskip(SKIP_1) | instid1(SALU_CYCLE_1)
	v_dual_mov_b32 v1, s13 :: v_dual_and_b32 v46, 0x3ff, v0
	s_lshl_b64 s[4:5], s[4:5], 1
	s_add_nc_u64 s[30:31], s[2:3], s[4:5]
	s_delay_alu instid0(VALU_DEP_1)
	v_mul_lo_u32 v44, s26, v46
	v_cmp_gt_u32_e64 s0, s25, v46
	s_and_saveexec_b32 s1, s0
	s_cbranch_execz .LBB240_6
; %bb.5:
	v_mov_b32_e32 v45, 0
	s_delay_alu instid0(VALU_DEP_1) | instskip(NEXT) | instid1(VALU_DEP_1)
	v_lshlrev_b64_e32 v[1:2], 1, v[44:45]
	v_add_co_u32 v1, vcc_lo, s30, v1
	s_delay_alu instid0(VALU_DEP_1)
	v_add_co_ci_u32_e64 v2, null, s31, v2, vcc_lo
	global_load_u16 v1, v[1:2], off
.LBB240_6:
	s_or_b32 exec_lo, exec_lo, s1
	v_dual_mov_b32 v2, s13 :: v_dual_add_nc_u32 v15, 0x200, v46
	s_delay_alu instid0(VALU_DEP_1)
	v_cmp_gt_u32_e64 s1, s25, v15
	s_and_saveexec_b32 s2, s1
	s_cbranch_execz .LBB240_8
; %bb.7:
	v_mul_lo_u32 v2, s26, v15
	v_mov_b32_e32 v3, 0
	s_delay_alu instid0(VALU_DEP_1) | instskip(NEXT) | instid1(VALU_DEP_1)
	v_lshlrev_b64_e32 v[2:3], 1, v[2:3]
	v_add_co_u32 v2, vcc_lo, s30, v2
	s_wait_alu 0xfffd
	s_delay_alu instid0(VALU_DEP_2)
	v_add_co_ci_u32_e64 v3, null, s31, v3, vcc_lo
	global_load_u16 v2, v[2:3], off
.LBB240_8:
	s_or_b32 exec_lo, exec_lo, s2
	v_or_b32_e32 v16, 0x400, v46
	v_mov_b32_e32 v3, s13
	s_delay_alu instid0(VALU_DEP_2)
	v_cmp_gt_u32_e64 s2, s25, v16
	s_and_saveexec_b32 s3, s2
	s_cbranch_execz .LBB240_10
; %bb.9:
	v_mul_lo_u32 v3, s26, v16
	v_mov_b32_e32 v4, 0
	s_delay_alu instid0(VALU_DEP_1) | instskip(NEXT) | instid1(VALU_DEP_1)
	v_lshlrev_b64_e32 v[3:4], 1, v[3:4]
	v_add_co_u32 v3, vcc_lo, s30, v3
	s_wait_alu 0xfffd
	s_delay_alu instid0(VALU_DEP_2)
	v_add_co_ci_u32_e64 v4, null, s31, v4, vcc_lo
	global_load_u16 v3, v[3:4], off
.LBB240_10:
	s_or_b32 exec_lo, exec_lo, s3
	v_dual_mov_b32 v4, s13 :: v_dual_add_nc_u32 v17, 0x600, v46
	s_delay_alu instid0(VALU_DEP_1)
	v_cmp_gt_u32_e64 s3, s25, v17
	s_and_saveexec_b32 s4, s3
	s_cbranch_execz .LBB240_12
; %bb.11:
	v_mul_lo_u32 v4, s26, v17
	v_mov_b32_e32 v5, 0
	s_delay_alu instid0(VALU_DEP_1) | instskip(NEXT) | instid1(VALU_DEP_1)
	v_lshlrev_b64_e32 v[4:5], 1, v[4:5]
	v_add_co_u32 v4, vcc_lo, s30, v4
	s_wait_alu 0xfffd
	s_delay_alu instid0(VALU_DEP_2)
	v_add_co_ci_u32_e64 v5, null, s31, v5, vcc_lo
	global_load_u16 v4, v[4:5], off
.LBB240_12:
	s_or_b32 exec_lo, exec_lo, s4
	v_or_b32_e32 v18, 0x800, v46
	v_mov_b32_e32 v5, s13
	s_delay_alu instid0(VALU_DEP_2)
	v_cmp_gt_u32_e64 s4, s25, v18
	s_and_saveexec_b32 s5, s4
	s_cbranch_execz .LBB240_14
; %bb.13:
	v_mul_lo_u32 v5, s26, v18
	v_mov_b32_e32 v6, 0
	s_delay_alu instid0(VALU_DEP_1) | instskip(NEXT) | instid1(VALU_DEP_1)
	v_lshlrev_b64_e32 v[5:6], 1, v[5:6]
	v_add_co_u32 v5, vcc_lo, s30, v5
	s_wait_alu 0xfffd
	s_delay_alu instid0(VALU_DEP_2)
	v_add_co_ci_u32_e64 v6, null, s31, v6, vcc_lo
	global_load_u16 v5, v[5:6], off
.LBB240_14:
	;; [unrolled: 35-line block ×3, first 2 shown]
	s_or_b32 exec_lo, exec_lo, s7
	s_clause 0x1
	s_load_b32 s14, s[10:11], 0x6c
	s_load_b64 s[10:11], s[10:11], 0x0
	v_dual_mov_b32 v8, s13 :: v_dual_add_nc_u32 v21, 0xe00, v46
	s_delay_alu instid0(VALU_DEP_1)
	v_cmp_gt_u32_e64 s7, s25, v21
	s_and_saveexec_b32 s13, s7
	s_cbranch_execz .LBB240_20
; %bb.19:
	v_mul_lo_u32 v8, s26, v21
	v_mov_b32_e32 v9, 0
	s_delay_alu instid0(VALU_DEP_1) | instskip(NEXT) | instid1(VALU_DEP_1)
	v_lshlrev_b64_e32 v[8:9], 1, v[8:9]
	v_add_co_u32 v8, vcc_lo, s30, v8
	s_wait_alu 0xfffd
	s_delay_alu instid0(VALU_DEP_2)
	v_add_co_ci_u32_e64 v9, null, s31, v9, vcc_lo
	global_load_u16 v8, v[8:9], off
.LBB240_20:
	s_wait_alu 0xfffe
	s_or_b32 exec_lo, exec_lo, s13
	v_lshrrev_b32_e32 v9, 4, v46
	v_lshrrev_b32_e32 v10, 4, v15
	;; [unrolled: 1-line block ×5, first 2 shown]
	v_dual_mov_b32 v42, 0 :: v_dual_and_b32 v9, 60, v9
	v_lshlrev_b32_e32 v12, 1, v46
	v_and_b32_e32 v10, 0x7c, v10
	v_and_b32_e32 v11, 0x7c, v11
	s_wait_kmcnt 0x0
	s_mul_i32 s12, s14, s12
	v_mov_b32_e32 v43, v42
	v_add_nc_u32_e32 v51, v9, v12
	v_add_nc_u32_e32 v45, v10, v12
	;; [unrolled: 1-line block ×3, first 2 shown]
	v_and_b32_e32 v9, 0xfc, v13
	v_lshrrev_b32_e32 v10, 4, v18
	v_lshrrev_b32_e32 v11, 4, v19
	;; [unrolled: 1-line block ×3, first 2 shown]
	v_mul_lo_u32 v41, s28, v46
	v_add_nc_u32_e32 v53, v9, v12
	v_and_b32_e32 v9, 0xbc, v10
	v_and_b32_e32 v10, 0xfc, v11
	;; [unrolled: 1-line block ×4, first 2 shown]
	v_lshrrev_b32_e32 v14, 1, v46
	v_add_nc_u32_e32 v54, v9, v12
	v_add_nc_u32_e32 v55, v10, v12
	;; [unrolled: 1-line block ×4, first 2 shown]
	v_and_b32_e32 v9, 0x1fc, v14
	v_mov_b32_e32 v13, 0
	v_dual_mov_b32 v11, v42 :: v_dual_mov_b32 v12, v42
	v_mov_b32_e32 v14, 0
	s_delay_alu instid0(VALU_DEP_4)
	v_lshl_add_u32 v58, v46, 4, v9
	s_wait_loadcnt 0x0
	ds_store_b16 v51, v1
	ds_store_b16 v45, v2 offset:1024
	ds_store_b16 v52, v3 offset:2048
	;; [unrolled: 1-line block ×7, first 2 shown]
	s_wait_dscnt 0x0
	s_barrier_signal -1
	s_barrier_wait -1
	global_inv scope:SCOPE_SE
	ds_load_2addr_b32 v[49:50], v58 offset1:1
	ds_load_2addr_b32 v[47:48], v58 offset0:2 offset1:3
	s_wait_alu 0xfffe
	s_add_co_i32 s12, s12, s9
	s_mov_b32 s13, 0
	v_dual_mov_b32 v9, v42 :: v_dual_mov_b32 v10, v42
	v_dual_mov_b32 v1, v42 :: v_dual_mov_b32 v2, v42
	;; [unrolled: 1-line block ×5, first 2 shown]
	s_wait_alu 0xfffe
	s_lshl_b64 s[12:13], s[12:13], 3
	s_wait_loadcnt_dscnt 0x0
	s_wait_alu 0xfffe
	s_add_nc_u64 s[24:25], s[10:11], s[12:13]
	s_barrier_signal -1
	s_barrier_wait -1
	global_inv scope:SCOPE_SE
	s_and_saveexec_b32 s9, s0
	s_cbranch_execnz .LBB240_76
; %bb.21:
	s_wait_alu 0xfffe
	s_or_b32 exec_lo, exec_lo, s9
	s_and_saveexec_b32 s9, s1
	s_cbranch_execnz .LBB240_77
.LBB240_22:
	s_wait_alu 0xfffe
	s_or_b32 exec_lo, exec_lo, s9
	s_and_saveexec_b32 s9, s2
	s_cbranch_execnz .LBB240_78
.LBB240_23:
	s_wait_alu 0xfffe
	s_or_b32 exec_lo, exec_lo, s9
	s_and_saveexec_b32 s9, s3
	s_cbranch_execnz .LBB240_79
.LBB240_24:
	s_wait_alu 0xfffe
	s_or_b32 exec_lo, exec_lo, s9
	s_and_saveexec_b32 s9, s4
	s_cbranch_execnz .LBB240_80
.LBB240_25:
	s_wait_alu 0xfffe
	s_or_b32 exec_lo, exec_lo, s9
	s_and_saveexec_b32 s9, s5
	s_cbranch_execnz .LBB240_81
.LBB240_26:
	s_wait_alu 0xfffe
	s_or_b32 exec_lo, exec_lo, s9
	s_and_saveexec_b32 s9, s6
	s_cbranch_execz .LBB240_28
.LBB240_27:
	v_mul_lo_u32 v5, s28, v20
	v_mov_b32_e32 v6, 0
	s_delay_alu instid0(VALU_DEP_1) | instskip(NEXT) | instid1(VALU_DEP_1)
	v_lshlrev_b64_e32 v[5:6], 3, v[5:6]
	v_add_co_u32 v5, vcc_lo, s24, v5
	s_wait_alu 0xfffd
	s_delay_alu instid0(VALU_DEP_2)
	v_add_co_ci_u32_e64 v6, null, s25, v6, vcc_lo
	global_load_b64 v[5:6], v[5:6], off
.LBB240_28:
	s_wait_alu 0xfffe
	s_or_b32 exec_lo, exec_lo, s9
	v_lshrrev_b32_e32 v68, 5, v46
	v_lshrrev_b32_e32 v25, 5, v15
	;; [unrolled: 1-line block ×8, first 2 shown]
	v_lshlrev_b32_e32 v66, 3, v46
	v_lshrrev_b32_e32 v15, 2, v46
	s_xor_b32 s8, s8, -1
	s_and_saveexec_b32 s9, s7
	s_cbranch_execz .LBB240_30
; %bb.29:
	v_mul_lo_u32 v7, s28, v21
	v_mov_b32_e32 v8, 0
	s_delay_alu instid0(VALU_DEP_1) | instskip(NEXT) | instid1(VALU_DEP_1)
	v_lshlrev_b64_e32 v[7:8], 3, v[7:8]
	v_add_co_u32 v7, vcc_lo, s24, v7
	s_wait_alu 0xfffd
	s_delay_alu instid0(VALU_DEP_2)
	v_add_co_ci_u32_e64 v8, null, s25, v8, vcc_lo
	global_load_b64 v[7:8], v[7:8], off
.LBB240_30:
	s_wait_alu 0xfffe
	s_or_b32 exec_lo, exec_lo, s9
	v_lshl_add_u32 v59, v68, 3, v66
	v_lshl_add_u32 v60, v25, 3, v66
	;; [unrolled: 1-line block ×5, first 2 shown]
	s_wait_loadcnt 0x0
	ds_store_b64 v59, v[13:14]
	ds_store_b64 v60, v[42:43] offset:4096
	ds_store_b64 v61, v[9:10] offset:8192
	;; [unrolled: 1-line block ×3, first 2 shown]
	v_lshlrev_b32_e32 v9, 3, v66
	v_lshl_add_u32 v42, v22, 3, v66
	v_lshl_add_u32 v43, v18, 3, v66
	v_lshl_add_u32 v64, v16, 3, v66
	ds_store_b64 v42, v[1:2] offset:16384
	ds_store_b64 v43, v[3:4] offset:20480
	;; [unrolled: 1-line block ×4, first 2 shown]
	v_lshl_add_u32 v65, v15, 3, v9
	s_wait_dscnt 0x0
	s_barrier_signal -1
	s_barrier_wait -1
	global_inv scope:SCOPE_SE
	ds_load_2addr_b64 v[13:16], v65 offset1:1
	ds_load_2addr_b64 v[9:12], v65 offset0:2 offset1:3
	ds_load_2addr_b64 v[5:8], v65 offset0:4 offset1:5
	;; [unrolled: 1-line block ×3, first 2 shown]
	v_bfe_u32 v71, v0, 10, 10
	v_bfe_u32 v72, v0, 20, 10
	v_mbcnt_lo_u32_b32 v69, -1, 0
	v_and_b32_e32 v70, 0x3e0, v46
	v_lshlrev_b32_e32 v67, 2, v66
	s_and_b32 vcc_lo, exec_lo, s8
	s_wait_loadcnt_dscnt 0x0
	s_barrier_signal -1
	s_barrier_wait -1
	global_inv scope:SCOPE_SE
	s_wait_alu 0xfffe
	s_cbranch_vccz .LBB240_82
; %bb.31:
	v_pk_ashrrev_i16 v0, 15, v49 op_sel_hi:[0,1]
	v_pk_ashrrev_i16 v17, 15, v50 op_sel_hi:[0,1]
	;; [unrolled: 1-line block ×4, first 2 shown]
	v_or_b32_e32 v21, v69, v70
	v_or_b32_e32 v0, 0x80008000, v0
	;; [unrolled: 1-line block ×5, first 2 shown]
	v_and_or_b32 v84, 0x1f00, v66, v69
	s_mov_b32 s12, 0
	v_xor_b32_e32 v17, v0, v49
	v_xor_b32_e32 v18, v20, v50
	;; [unrolled: 1-line block ×4, first 2 shown]
	s_wait_alu 0xfffe
	s_mov_b32 s13, s12
	s_mov_b32 s14, s12
	;; [unrolled: 1-line block ×3, first 2 shown]
	v_lshlrev_b32_e32 v23, 4, v21
	v_lshlrev_b32_e32 v73, 1, v84
	s_getpc_b64 s[8:9]
	s_wait_alu 0xfffe
	s_sext_i32_i16 s9, s9
	s_add_co_u32 s8, s8, _ZN7rocprim17ROCPRIM_400000_NS16block_radix_sortI12hip_bfloat16Lj512ELj8ElLj1ELj1ELj0ELNS0_26block_radix_rank_algorithmE1ELNS0_18block_padding_hintE2ELNS0_4arch9wavefront6targetE0EE19radix_bits_per_passE@rel32@lo+12
	s_wait_alu 0xfffe
	s_add_co_ci_u32 s9, s9, _ZN7rocprim17ROCPRIM_400000_NS16block_radix_sortI12hip_bfloat16Lj512ELj8ElLj1ELj1ELj0ELNS0_26block_radix_rank_algorithmE1ELNS0_18block_padding_hintE2ELNS0_4arch9wavefront6targetE0EE19radix_bits_per_passE@rel32@hi+24
	s_load_b32 s17, s[8:9], 0x0
	ds_store_b128 v23, v[17:20]
	; wave barrier
	ds_load_u16 v74, v73
	v_mad_u32_u24 v0, v21, 48, v23
	ds_load_u16 v75, v73 offset:64
	ds_load_u16 v76, v73 offset:128
	;; [unrolled: 1-line block ×7, first 2 shown]
	s_wait_loadcnt_dscnt 0x0
	s_barrier_signal -1
	s_barrier_wait -1
	global_inv scope:SCOPE_SE
	ds_store_b128 v0, v[13:16]
	ds_store_b128 v0, v[9:12] offset:16
	ds_store_b128 v0, v[5:8] offset:32
	;; [unrolled: 1-line block ×3, first 2 shown]
	v_mad_u32_u24 v29, v84, 6, v73
	; wave barrier
	s_wait_kmcnt 0x0
	s_min_u32 s8, s17, 16
	s_wait_alu 0xfffe
	s_lshl_b32 s8, -1, s8
	v_cmp_ne_u16_e32 vcc_lo, 0x7fff, v74
	s_wait_alu 0xfffe
	s_not_b32 s9, s8
	s_wait_alu 0xfffd
	v_cndmask_b32_e32 v17, 0xffff8000, v74, vcc_lo
	s_delay_alu instid0(VALU_DEP_1) | instskip(SKIP_1) | instid1(VALU_DEP_1)
	v_and_b32_e32 v17, 0xffff, v17
	s_wait_alu 0xfffe
	v_and_b32_e32 v40, s9, v17
	ds_load_2addr_b64 v[17:20], v29 offset1:32
	ds_load_2addr_b64 v[25:28], v29 offset0:64 offset1:96
	ds_load_2addr_b64 v[21:24], v29 offset0:128 offset1:160
	;; [unrolled: 1-line block ×3, first 2 shown]
	s_wait_loadcnt_dscnt 0x0
	v_and_b32_e32 v0, 1, v40
	v_lshlrev_b32_e32 v33, 30, v40
	v_lshlrev_b32_e32 v36, 28, v40
	s_barrier_signal -1
	s_barrier_wait -1
	v_add_co_u32 v0, s8, v0, -1
	s_wait_alu 0xf1ff
	v_cndmask_b32_e64 v34, 0, 1, s8
	v_not_b32_e32 v35, v33
	v_cmp_gt_i32_e64 s8, 0, v33
	global_inv scope:SCOPE_SE
	v_cmp_ne_u32_e32 vcc_lo, 0, v34
	v_lshlrev_b32_e32 v34, 29, v40
	v_ashrrev_i32_e32 v33, 31, v35
	s_wait_alu 0xfffd
	v_xor_b32_e32 v0, vcc_lo, v0
	s_delay_alu instid0(VALU_DEP_3)
	v_not_b32_e32 v35, v34
	s_wait_alu 0xf1ff
	v_xor_b32_e32 v33, s8, v33
	v_cmp_gt_i32_e32 vcc_lo, 0, v34
	s_load_b32 s8, s[34:35], 0xc
	v_and_b32_e32 v0, exec_lo, v0
	v_ashrrev_i32_e32 v34, 31, v35
	v_not_b32_e32 v35, v36
	s_delay_alu instid0(VALU_DEP_3) | instskip(SKIP_1) | instid1(VALU_DEP_4)
	v_and_b32_e32 v0, v0, v33
	v_lshlrev_b32_e32 v33, 27, v40
	v_xor_b32_e32 v34, vcc_lo, v34
	v_cmp_gt_i32_e32 vcc_lo, 0, v36
	v_ashrrev_i32_e32 v35, 31, v35
	s_delay_alu instid0(VALU_DEP_4) | instskip(NEXT) | instid1(VALU_DEP_4)
	v_not_b32_e32 v36, v33
	v_and_b32_e32 v0, v0, v34
	v_lshlrev_b32_e32 v34, 26, v40
	s_wait_alu 0xfffd
	v_xor_b32_e32 v35, vcc_lo, v35
	v_cmp_gt_i32_e32 vcc_lo, 0, v33
	v_ashrrev_i32_e32 v33, 31, v36
	v_not_b32_e32 v36, v34
	s_delay_alu instid0(VALU_DEP_4)
	v_and_b32_e32 v0, v0, v35
	v_lshlrev_b32_e32 v35, 25, v40
	s_wait_alu 0xfffd
	v_xor_b32_e32 v33, vcc_lo, v33
	v_cmp_gt_i32_e32 vcc_lo, 0, v34
	v_ashrrev_i32_e32 v34, 31, v36
	s_wait_kmcnt 0x0
	s_lshr_b32 s10, s8, 16
	v_not_b32_e32 v36, v35
	v_and_b32_e32 v0, v0, v33
	v_lshlrev_b32_e32 v33, 24, v40
	s_wait_alu 0xfffd
	v_xor_b32_e32 v34, vcc_lo, v34
	v_cmp_gt_i32_e32 vcc_lo, 0, v35
	v_ashrrev_i32_e32 v35, 31, v36
	v_mad_u32_u24 v37, v72, s10, v71
	v_not_b32_e32 v36, v33
	v_and_b32_e32 v0, v0, v34
	s_and_b32 s8, s8, 0xffff
	s_wait_alu 0xfffd
	v_xor_b32_e32 v34, vcc_lo, v35
	v_cmp_gt_i32_e32 vcc_lo, 0, v33
	v_ashrrev_i32_e32 v33, 31, v36
	s_wait_alu 0xfffe
	v_mad_co_u64_u32 v[38:39], null, v37, s8, v[46:47]
	v_dual_mov_b32 v37, s15 :: v_dual_and_b32 v0, v0, v34
	s_wait_alu 0xfffd
	v_xor_b32_e32 v33, vcc_lo, v33
	v_dual_mov_b32 v36, s14 :: v_dual_mov_b32 v35, s13
	v_mov_b32_e32 v34, s12
	ds_store_b128 v67, v[34:37] offset:64
	ds_store_b128 v67, v[34:37] offset:80
	v_and_b32_e32 v33, v0, v33
	v_lshrrev_b32_e32 v0, 5, v38
	v_lshlrev_b32_e32 v34, 6, v40
	s_wait_loadcnt_dscnt 0x0
	s_barrier_signal -1
	v_mbcnt_lo_u32_b32 v86, v33, 0
	v_lshlrev_b32_e32 v0, 2, v0
	v_cmp_ne_u32_e64 s8, 0, v33
	s_barrier_wait -1
	global_inv scope:SCOPE_SE
	v_cmp_eq_u32_e32 vcc_lo, 0, v86
	v_add_nc_u32_e32 v87, v0, v34
	; wave barrier
	s_and_b32 s10, s8, vcc_lo
	s_wait_alu 0xfffe
	s_and_saveexec_b32 s8, s10
; %bb.32:
	v_bcnt_u32_b32 v33, v33, 0
	ds_store_b32 v87, v33 offset:64
; %bb.33:
	s_wait_alu 0xfffe
	s_or_b32 exec_lo, exec_lo, s8
	v_cmp_ne_u16_e32 vcc_lo, 0x7fff, v75
	; wave barrier
	s_wait_alu 0xfffd
	v_cndmask_b32_e32 v33, 0xffff8000, v75, vcc_lo
	s_delay_alu instid0(VALU_DEP_1) | instskip(NEXT) | instid1(VALU_DEP_1)
	v_and_b32_e32 v33, 0xffff, v33
	v_and_b32_e32 v33, s9, v33
	s_delay_alu instid0(VALU_DEP_1)
	v_and_b32_e32 v34, 1, v33
	v_lshlrev_b32_e32 v35, 30, v33
	v_lshlrev_b32_e32 v36, 29, v33
	;; [unrolled: 1-line block ×4, first 2 shown]
	v_add_co_u32 v34, s8, v34, -1
	s_wait_alu 0xf1ff
	v_cndmask_b32_e64 v38, 0, 1, s8
	v_not_b32_e32 v83, v35
	v_cmp_gt_i32_e64 s8, 0, v35
	v_not_b32_e32 v35, v36
	v_lshlrev_b32_e32 v40, 26, v33
	v_cmp_ne_u32_e32 vcc_lo, 0, v38
	v_ashrrev_i32_e32 v83, 31, v83
	v_lshlrev_b32_e32 v82, 25, v33
	v_ashrrev_i32_e32 v35, 31, v35
	v_lshlrev_b32_e32 v38, 24, v33
	s_wait_alu 0xfffd
	v_xor_b32_e32 v34, vcc_lo, v34
	v_cmp_gt_i32_e32 vcc_lo, 0, v36
	v_not_b32_e32 v36, v37
	s_wait_alu 0xf1ff
	v_xor_b32_e32 v83, s8, v83
	v_cmp_gt_i32_e64 s8, 0, v37
	v_and_b32_e32 v34, exec_lo, v34
	v_not_b32_e32 v37, v39
	v_ashrrev_i32_e32 v36, 31, v36
	s_wait_alu 0xfffd
	v_xor_b32_e32 v35, vcc_lo, v35
	v_cmp_gt_i32_e32 vcc_lo, 0, v39
	v_and_b32_e32 v34, v34, v83
	v_not_b32_e32 v39, v40
	v_ashrrev_i32_e32 v37, 31, v37
	s_wait_alu 0xf1ff
	v_xor_b32_e32 v36, s8, v36
	v_cmp_gt_i32_e64 s8, 0, v40
	v_and_b32_e32 v34, v34, v35
	v_not_b32_e32 v35, v82
	v_ashrrev_i32_e32 v39, 31, v39
	s_wait_alu 0xfffd
	v_xor_b32_e32 v37, vcc_lo, v37
	v_cmp_gt_i32_e32 vcc_lo, 0, v82
	v_and_b32_e32 v34, v34, v36
	v_not_b32_e32 v36, v38
	v_ashrrev_i32_e32 v35, 31, v35
	s_wait_alu 0xf1ff
	v_xor_b32_e32 v39, s8, v39
	v_lshlrev_b32_e32 v33, 6, v33
	v_and_b32_e32 v34, v34, v37
	v_cmp_gt_i32_e64 s8, 0, v38
	v_ashrrev_i32_e32 v36, 31, v36
	s_wait_alu 0xfffd
	v_xor_b32_e32 v35, vcc_lo, v35
	v_add_nc_u32_e32 v90, v0, v33
	v_and_b32_e32 v34, v34, v39
	s_wait_alu 0xf1ff
	v_xor_b32_e32 v33, s8, v36
	ds_load_b32 v88, v90 offset:64
	v_and_b32_e32 v34, v34, v35
	; wave barrier
	s_delay_alu instid0(VALU_DEP_1) | instskip(NEXT) | instid1(VALU_DEP_1)
	v_and_b32_e32 v33, v34, v33
	v_mbcnt_lo_u32_b32 v89, v33, 0
	v_cmp_ne_u32_e64 s8, 0, v33
	s_delay_alu instid0(VALU_DEP_2)
	v_cmp_eq_u32_e32 vcc_lo, 0, v89
	s_and_b32 s10, s8, vcc_lo
	s_wait_alu 0xfffe
	s_and_saveexec_b32 s8, s10
	s_cbranch_execz .LBB240_35
; %bb.34:
	s_wait_dscnt 0x0
	v_bcnt_u32_b32 v33, v33, v88
	ds_store_b32 v90, v33 offset:64
.LBB240_35:
	s_wait_alu 0xfffe
	s_or_b32 exec_lo, exec_lo, s8
	v_cmp_ne_u16_e32 vcc_lo, 0x7fff, v76
	; wave barrier
	s_wait_alu 0xfffd
	v_cndmask_b32_e32 v33, 0xffff8000, v76, vcc_lo
	s_delay_alu instid0(VALU_DEP_1) | instskip(NEXT) | instid1(VALU_DEP_1)
	v_and_b32_e32 v33, 0xffff, v33
	v_and_b32_e32 v33, s9, v33
	s_delay_alu instid0(VALU_DEP_1)
	v_and_b32_e32 v34, 1, v33
	v_lshlrev_b32_e32 v35, 30, v33
	v_lshlrev_b32_e32 v36, 29, v33
	;; [unrolled: 1-line block ×4, first 2 shown]
	v_add_co_u32 v34, s8, v34, -1
	s_wait_alu 0xf1ff
	v_cndmask_b32_e64 v38, 0, 1, s8
	v_not_b32_e32 v83, v35
	v_cmp_gt_i32_e64 s8, 0, v35
	v_not_b32_e32 v35, v36
	v_lshlrev_b32_e32 v40, 26, v33
	v_cmp_ne_u32_e32 vcc_lo, 0, v38
	v_ashrrev_i32_e32 v83, 31, v83
	v_lshlrev_b32_e32 v82, 25, v33
	v_ashrrev_i32_e32 v35, 31, v35
	v_lshlrev_b32_e32 v38, 24, v33
	s_wait_alu 0xfffd
	v_xor_b32_e32 v34, vcc_lo, v34
	v_cmp_gt_i32_e32 vcc_lo, 0, v36
	v_not_b32_e32 v36, v37
	s_wait_alu 0xf1ff
	v_xor_b32_e32 v83, s8, v83
	v_cmp_gt_i32_e64 s8, 0, v37
	v_and_b32_e32 v34, exec_lo, v34
	v_not_b32_e32 v37, v39
	v_ashrrev_i32_e32 v36, 31, v36
	s_wait_alu 0xfffd
	v_xor_b32_e32 v35, vcc_lo, v35
	v_cmp_gt_i32_e32 vcc_lo, 0, v39
	v_and_b32_e32 v34, v34, v83
	v_not_b32_e32 v39, v40
	v_ashrrev_i32_e32 v37, 31, v37
	s_wait_alu 0xf1ff
	v_xor_b32_e32 v36, s8, v36
	v_cmp_gt_i32_e64 s8, 0, v40
	v_and_b32_e32 v34, v34, v35
	v_not_b32_e32 v35, v82
	v_ashrrev_i32_e32 v39, 31, v39
	s_wait_alu 0xfffd
	v_xor_b32_e32 v37, vcc_lo, v37
	v_cmp_gt_i32_e32 vcc_lo, 0, v82
	v_and_b32_e32 v34, v34, v36
	v_not_b32_e32 v36, v38
	v_ashrrev_i32_e32 v35, 31, v35
	s_wait_alu 0xf1ff
	v_xor_b32_e32 v39, s8, v39
	v_lshlrev_b32_e32 v33, 6, v33
	v_and_b32_e32 v34, v34, v37
	v_cmp_gt_i32_e64 s8, 0, v38
	v_ashrrev_i32_e32 v36, 31, v36
	s_wait_alu 0xfffd
	v_xor_b32_e32 v35, vcc_lo, v35
	v_add_nc_u32_e32 v93, v0, v33
	v_and_b32_e32 v34, v34, v39
	s_wait_alu 0xf1ff
	v_xor_b32_e32 v33, s8, v36
	ds_load_b32 v91, v93 offset:64
	v_and_b32_e32 v34, v34, v35
	; wave barrier
	s_delay_alu instid0(VALU_DEP_1) | instskip(NEXT) | instid1(VALU_DEP_1)
	v_and_b32_e32 v33, v34, v33
	v_mbcnt_lo_u32_b32 v92, v33, 0
	v_cmp_ne_u32_e64 s8, 0, v33
	s_delay_alu instid0(VALU_DEP_2)
	v_cmp_eq_u32_e32 vcc_lo, 0, v92
	s_and_b32 s10, s8, vcc_lo
	s_wait_alu 0xfffe
	s_and_saveexec_b32 s8, s10
	s_cbranch_execz .LBB240_37
; %bb.36:
	s_wait_dscnt 0x0
	v_bcnt_u32_b32 v33, v33, v91
	ds_store_b32 v93, v33 offset:64
.LBB240_37:
	s_wait_alu 0xfffe
	s_or_b32 exec_lo, exec_lo, s8
	v_cmp_ne_u16_e32 vcc_lo, 0x7fff, v77
	; wave barrier
	s_wait_alu 0xfffd
	v_cndmask_b32_e32 v33, 0xffff8000, v77, vcc_lo
	s_delay_alu instid0(VALU_DEP_1) | instskip(NEXT) | instid1(VALU_DEP_1)
	v_and_b32_e32 v33, 0xffff, v33
	v_and_b32_e32 v33, s9, v33
	s_delay_alu instid0(VALU_DEP_1)
	v_and_b32_e32 v34, 1, v33
	v_lshlrev_b32_e32 v35, 30, v33
	v_lshlrev_b32_e32 v36, 29, v33
	;; [unrolled: 1-line block ×4, first 2 shown]
	v_add_co_u32 v34, s8, v34, -1
	s_wait_alu 0xf1ff
	v_cndmask_b32_e64 v38, 0, 1, s8
	v_not_b32_e32 v83, v35
	v_cmp_gt_i32_e64 s8, 0, v35
	v_not_b32_e32 v35, v36
	v_lshlrev_b32_e32 v40, 26, v33
	v_cmp_ne_u32_e32 vcc_lo, 0, v38
	v_ashrrev_i32_e32 v83, 31, v83
	v_lshlrev_b32_e32 v82, 25, v33
	v_ashrrev_i32_e32 v35, 31, v35
	v_lshlrev_b32_e32 v38, 24, v33
	s_wait_alu 0xfffd
	v_xor_b32_e32 v34, vcc_lo, v34
	v_cmp_gt_i32_e32 vcc_lo, 0, v36
	v_not_b32_e32 v36, v37
	s_wait_alu 0xf1ff
	v_xor_b32_e32 v83, s8, v83
	v_cmp_gt_i32_e64 s8, 0, v37
	v_and_b32_e32 v34, exec_lo, v34
	v_not_b32_e32 v37, v39
	v_ashrrev_i32_e32 v36, 31, v36
	s_wait_alu 0xfffd
	v_xor_b32_e32 v35, vcc_lo, v35
	v_cmp_gt_i32_e32 vcc_lo, 0, v39
	v_and_b32_e32 v34, v34, v83
	v_not_b32_e32 v39, v40
	v_ashrrev_i32_e32 v37, 31, v37
	s_wait_alu 0xf1ff
	v_xor_b32_e32 v36, s8, v36
	v_cmp_gt_i32_e64 s8, 0, v40
	v_and_b32_e32 v34, v34, v35
	v_not_b32_e32 v35, v82
	v_ashrrev_i32_e32 v39, 31, v39
	s_wait_alu 0xfffd
	v_xor_b32_e32 v37, vcc_lo, v37
	v_cmp_gt_i32_e32 vcc_lo, 0, v82
	v_and_b32_e32 v34, v34, v36
	v_not_b32_e32 v36, v38
	v_ashrrev_i32_e32 v35, 31, v35
	s_wait_alu 0xf1ff
	v_xor_b32_e32 v39, s8, v39
	v_lshlrev_b32_e32 v33, 6, v33
	v_and_b32_e32 v34, v34, v37
	v_cmp_gt_i32_e64 s8, 0, v38
	v_ashrrev_i32_e32 v36, 31, v36
	s_wait_alu 0xfffd
	v_xor_b32_e32 v35, vcc_lo, v35
	v_add_nc_u32_e32 v96, v0, v33
	v_and_b32_e32 v34, v34, v39
	s_wait_alu 0xf1ff
	v_xor_b32_e32 v33, s8, v36
	ds_load_b32 v94, v96 offset:64
	v_and_b32_e32 v34, v34, v35
	; wave barrier
	s_delay_alu instid0(VALU_DEP_1) | instskip(NEXT) | instid1(VALU_DEP_1)
	v_and_b32_e32 v33, v34, v33
	v_mbcnt_lo_u32_b32 v95, v33, 0
	v_cmp_ne_u32_e64 s8, 0, v33
	s_delay_alu instid0(VALU_DEP_2)
	v_cmp_eq_u32_e32 vcc_lo, 0, v95
	s_and_b32 s10, s8, vcc_lo
	s_wait_alu 0xfffe
	s_and_saveexec_b32 s8, s10
	s_cbranch_execz .LBB240_39
; %bb.38:
	s_wait_dscnt 0x0
	v_bcnt_u32_b32 v33, v33, v94
	ds_store_b32 v96, v33 offset:64
.LBB240_39:
	s_wait_alu 0xfffe
	s_or_b32 exec_lo, exec_lo, s8
	v_cmp_ne_u16_e32 vcc_lo, 0x7fff, v78
	; wave barrier
	s_wait_alu 0xfffd
	v_cndmask_b32_e32 v33, 0xffff8000, v78, vcc_lo
	s_delay_alu instid0(VALU_DEP_1) | instskip(NEXT) | instid1(VALU_DEP_1)
	v_and_b32_e32 v33, 0xffff, v33
	v_and_b32_e32 v33, s9, v33
	s_delay_alu instid0(VALU_DEP_1)
	v_and_b32_e32 v34, 1, v33
	v_lshlrev_b32_e32 v35, 30, v33
	v_lshlrev_b32_e32 v36, 29, v33
	;; [unrolled: 1-line block ×4, first 2 shown]
	v_add_co_u32 v34, s8, v34, -1
	s_wait_alu 0xf1ff
	v_cndmask_b32_e64 v38, 0, 1, s8
	v_not_b32_e32 v83, v35
	v_cmp_gt_i32_e64 s8, 0, v35
	v_not_b32_e32 v35, v36
	v_lshlrev_b32_e32 v40, 26, v33
	v_cmp_ne_u32_e32 vcc_lo, 0, v38
	v_ashrrev_i32_e32 v83, 31, v83
	v_lshlrev_b32_e32 v82, 25, v33
	v_ashrrev_i32_e32 v35, 31, v35
	v_lshlrev_b32_e32 v38, 24, v33
	s_wait_alu 0xfffd
	v_xor_b32_e32 v34, vcc_lo, v34
	v_cmp_gt_i32_e32 vcc_lo, 0, v36
	v_not_b32_e32 v36, v37
	s_wait_alu 0xf1ff
	v_xor_b32_e32 v83, s8, v83
	v_cmp_gt_i32_e64 s8, 0, v37
	v_and_b32_e32 v34, exec_lo, v34
	v_not_b32_e32 v37, v39
	v_ashrrev_i32_e32 v36, 31, v36
	s_wait_alu 0xfffd
	v_xor_b32_e32 v35, vcc_lo, v35
	v_cmp_gt_i32_e32 vcc_lo, 0, v39
	v_and_b32_e32 v34, v34, v83
	v_not_b32_e32 v39, v40
	v_ashrrev_i32_e32 v37, 31, v37
	s_wait_alu 0xf1ff
	v_xor_b32_e32 v36, s8, v36
	v_cmp_gt_i32_e64 s8, 0, v40
	v_and_b32_e32 v34, v34, v35
	v_not_b32_e32 v35, v82
	v_ashrrev_i32_e32 v39, 31, v39
	s_wait_alu 0xfffd
	v_xor_b32_e32 v37, vcc_lo, v37
	v_cmp_gt_i32_e32 vcc_lo, 0, v82
	v_and_b32_e32 v34, v34, v36
	v_not_b32_e32 v36, v38
	v_ashrrev_i32_e32 v35, 31, v35
	s_wait_alu 0xf1ff
	v_xor_b32_e32 v39, s8, v39
	v_lshlrev_b32_e32 v33, 6, v33
	v_and_b32_e32 v34, v34, v37
	v_cmp_gt_i32_e64 s8, 0, v38
	v_ashrrev_i32_e32 v36, 31, v36
	s_wait_alu 0xfffd
	v_xor_b32_e32 v35, vcc_lo, v35
	v_add_nc_u32_e32 v99, v0, v33
	v_and_b32_e32 v34, v34, v39
	s_wait_alu 0xf1ff
	v_xor_b32_e32 v33, s8, v36
	ds_load_b32 v97, v99 offset:64
	v_and_b32_e32 v34, v34, v35
	; wave barrier
	s_delay_alu instid0(VALU_DEP_1) | instskip(NEXT) | instid1(VALU_DEP_1)
	v_and_b32_e32 v33, v34, v33
	v_mbcnt_lo_u32_b32 v98, v33, 0
	v_cmp_ne_u32_e64 s8, 0, v33
	s_delay_alu instid0(VALU_DEP_2)
	v_cmp_eq_u32_e32 vcc_lo, 0, v98
	s_and_b32 s10, s8, vcc_lo
	s_wait_alu 0xfffe
	s_and_saveexec_b32 s8, s10
	s_cbranch_execz .LBB240_41
; %bb.40:
	s_wait_dscnt 0x0
	v_bcnt_u32_b32 v33, v33, v97
	ds_store_b32 v99, v33 offset:64
.LBB240_41:
	s_wait_alu 0xfffe
	s_or_b32 exec_lo, exec_lo, s8
	v_cmp_ne_u16_e32 vcc_lo, 0x7fff, v79
	; wave barrier
	s_wait_alu 0xfffd
	v_cndmask_b32_e32 v33, 0xffff8000, v79, vcc_lo
	s_delay_alu instid0(VALU_DEP_1) | instskip(NEXT) | instid1(VALU_DEP_1)
	v_and_b32_e32 v33, 0xffff, v33
	v_and_b32_e32 v33, s9, v33
	s_delay_alu instid0(VALU_DEP_1)
	v_and_b32_e32 v34, 1, v33
	v_lshlrev_b32_e32 v35, 30, v33
	v_lshlrev_b32_e32 v36, 29, v33
	;; [unrolled: 1-line block ×4, first 2 shown]
	v_add_co_u32 v34, s8, v34, -1
	s_wait_alu 0xf1ff
	v_cndmask_b32_e64 v38, 0, 1, s8
	v_not_b32_e32 v83, v35
	v_cmp_gt_i32_e64 s8, 0, v35
	v_not_b32_e32 v35, v36
	v_lshlrev_b32_e32 v40, 26, v33
	v_cmp_ne_u32_e32 vcc_lo, 0, v38
	v_ashrrev_i32_e32 v83, 31, v83
	v_lshlrev_b32_e32 v82, 25, v33
	v_ashrrev_i32_e32 v35, 31, v35
	v_lshlrev_b32_e32 v38, 24, v33
	s_wait_alu 0xfffd
	v_xor_b32_e32 v34, vcc_lo, v34
	v_cmp_gt_i32_e32 vcc_lo, 0, v36
	v_not_b32_e32 v36, v37
	s_wait_alu 0xf1ff
	v_xor_b32_e32 v83, s8, v83
	v_cmp_gt_i32_e64 s8, 0, v37
	v_and_b32_e32 v34, exec_lo, v34
	v_not_b32_e32 v37, v39
	v_ashrrev_i32_e32 v36, 31, v36
	s_wait_alu 0xfffd
	v_xor_b32_e32 v35, vcc_lo, v35
	v_cmp_gt_i32_e32 vcc_lo, 0, v39
	v_and_b32_e32 v34, v34, v83
	v_not_b32_e32 v39, v40
	v_ashrrev_i32_e32 v37, 31, v37
	s_wait_alu 0xf1ff
	v_xor_b32_e32 v36, s8, v36
	v_cmp_gt_i32_e64 s8, 0, v40
	v_and_b32_e32 v34, v34, v35
	v_not_b32_e32 v35, v82
	v_ashrrev_i32_e32 v39, 31, v39
	s_wait_alu 0xfffd
	v_xor_b32_e32 v37, vcc_lo, v37
	v_cmp_gt_i32_e32 vcc_lo, 0, v82
	v_and_b32_e32 v34, v34, v36
	v_not_b32_e32 v36, v38
	v_ashrrev_i32_e32 v35, 31, v35
	s_wait_alu 0xf1ff
	v_xor_b32_e32 v39, s8, v39
	v_lshlrev_b32_e32 v33, 6, v33
	v_and_b32_e32 v34, v34, v37
	v_cmp_gt_i32_e64 s8, 0, v38
	v_ashrrev_i32_e32 v36, 31, v36
	s_wait_alu 0xfffd
	v_xor_b32_e32 v35, vcc_lo, v35
	v_add_nc_u32_e32 v102, v0, v33
	v_and_b32_e32 v34, v34, v39
	s_wait_alu 0xf1ff
	v_xor_b32_e32 v33, s8, v36
	ds_load_b32 v100, v102 offset:64
	v_and_b32_e32 v34, v34, v35
	; wave barrier
	s_delay_alu instid0(VALU_DEP_1) | instskip(NEXT) | instid1(VALU_DEP_1)
	v_and_b32_e32 v33, v34, v33
	v_mbcnt_lo_u32_b32 v101, v33, 0
	v_cmp_ne_u32_e64 s8, 0, v33
	s_delay_alu instid0(VALU_DEP_2)
	v_cmp_eq_u32_e32 vcc_lo, 0, v101
	s_and_b32 s10, s8, vcc_lo
	s_wait_alu 0xfffe
	s_and_saveexec_b32 s8, s10
	s_cbranch_execz .LBB240_43
; %bb.42:
	s_wait_dscnt 0x0
	v_bcnt_u32_b32 v33, v33, v100
	ds_store_b32 v102, v33 offset:64
.LBB240_43:
	s_wait_alu 0xfffe
	s_or_b32 exec_lo, exec_lo, s8
	v_cmp_ne_u16_e32 vcc_lo, 0x7fff, v80
	; wave barrier
	s_wait_alu 0xfffd
	v_cndmask_b32_e32 v33, 0xffff8000, v80, vcc_lo
	s_delay_alu instid0(VALU_DEP_1) | instskip(NEXT) | instid1(VALU_DEP_1)
	v_and_b32_e32 v33, 0xffff, v33
	v_and_b32_e32 v33, s9, v33
	s_delay_alu instid0(VALU_DEP_1)
	v_and_b32_e32 v34, 1, v33
	v_lshlrev_b32_e32 v35, 30, v33
	v_lshlrev_b32_e32 v36, 29, v33
	;; [unrolled: 1-line block ×4, first 2 shown]
	v_add_co_u32 v34, s8, v34, -1
	s_wait_alu 0xf1ff
	v_cndmask_b32_e64 v38, 0, 1, s8
	v_not_b32_e32 v83, v35
	v_cmp_gt_i32_e64 s8, 0, v35
	v_not_b32_e32 v35, v36
	v_lshlrev_b32_e32 v40, 26, v33
	v_cmp_ne_u32_e32 vcc_lo, 0, v38
	v_ashrrev_i32_e32 v83, 31, v83
	v_lshlrev_b32_e32 v82, 25, v33
	v_ashrrev_i32_e32 v35, 31, v35
	v_lshlrev_b32_e32 v38, 24, v33
	s_wait_alu 0xfffd
	v_xor_b32_e32 v34, vcc_lo, v34
	v_cmp_gt_i32_e32 vcc_lo, 0, v36
	v_not_b32_e32 v36, v37
	s_wait_alu 0xf1ff
	v_xor_b32_e32 v83, s8, v83
	v_cmp_gt_i32_e64 s8, 0, v37
	v_and_b32_e32 v34, exec_lo, v34
	v_not_b32_e32 v37, v39
	v_ashrrev_i32_e32 v36, 31, v36
	s_wait_alu 0xfffd
	v_xor_b32_e32 v35, vcc_lo, v35
	v_cmp_gt_i32_e32 vcc_lo, 0, v39
	v_and_b32_e32 v34, v34, v83
	v_not_b32_e32 v39, v40
	v_ashrrev_i32_e32 v37, 31, v37
	s_wait_alu 0xf1ff
	v_xor_b32_e32 v36, s8, v36
	v_cmp_gt_i32_e64 s8, 0, v40
	v_and_b32_e32 v34, v34, v35
	v_not_b32_e32 v35, v82
	v_ashrrev_i32_e32 v39, 31, v39
	s_wait_alu 0xfffd
	v_xor_b32_e32 v37, vcc_lo, v37
	v_cmp_gt_i32_e32 vcc_lo, 0, v82
	v_and_b32_e32 v34, v34, v36
	v_not_b32_e32 v36, v38
	v_ashrrev_i32_e32 v35, 31, v35
	s_wait_alu 0xf1ff
	v_xor_b32_e32 v39, s8, v39
	v_lshlrev_b32_e32 v33, 6, v33
	v_and_b32_e32 v34, v34, v37
	v_cmp_gt_i32_e64 s8, 0, v38
	v_ashrrev_i32_e32 v36, 31, v36
	s_wait_alu 0xfffd
	v_xor_b32_e32 v35, vcc_lo, v35
	v_add_nc_u32_e32 v105, v0, v33
	v_and_b32_e32 v34, v34, v39
	s_wait_alu 0xf1ff
	v_xor_b32_e32 v33, s8, v36
	ds_load_b32 v103, v105 offset:64
	v_and_b32_e32 v34, v34, v35
	; wave barrier
	s_delay_alu instid0(VALU_DEP_1) | instskip(NEXT) | instid1(VALU_DEP_1)
	v_and_b32_e32 v33, v34, v33
	v_mbcnt_lo_u32_b32 v104, v33, 0
	v_cmp_ne_u32_e64 s8, 0, v33
	s_delay_alu instid0(VALU_DEP_2)
	v_cmp_eq_u32_e32 vcc_lo, 0, v104
	s_and_b32 s10, s8, vcc_lo
	s_wait_alu 0xfffe
	s_and_saveexec_b32 s8, s10
	s_cbranch_execz .LBB240_45
; %bb.44:
	s_wait_dscnt 0x0
	v_bcnt_u32_b32 v33, v33, v103
	ds_store_b32 v105, v33 offset:64
.LBB240_45:
	s_wait_alu 0xfffe
	s_or_b32 exec_lo, exec_lo, s8
	v_cmp_ne_u16_e32 vcc_lo, 0x7fff, v81
	; wave barrier
	s_wait_alu 0xfffd
	v_cndmask_b32_e32 v33, 0xffff8000, v81, vcc_lo
	s_delay_alu instid0(VALU_DEP_1) | instskip(NEXT) | instid1(VALU_DEP_1)
	v_and_b32_e32 v33, 0xffff, v33
	v_and_b32_e32 v33, s9, v33
	s_delay_alu instid0(VALU_DEP_1)
	v_and_b32_e32 v34, 1, v33
	v_lshlrev_b32_e32 v35, 30, v33
	v_lshlrev_b32_e32 v36, 29, v33
	;; [unrolled: 1-line block ×4, first 2 shown]
	v_add_co_u32 v34, s8, v34, -1
	s_wait_alu 0xf1ff
	v_cndmask_b32_e64 v38, 0, 1, s8
	v_not_b32_e32 v83, v35
	v_cmp_gt_i32_e64 s8, 0, v35
	v_not_b32_e32 v35, v36
	v_lshlrev_b32_e32 v40, 26, v33
	v_cmp_ne_u32_e32 vcc_lo, 0, v38
	v_ashrrev_i32_e32 v83, 31, v83
	v_lshlrev_b32_e32 v82, 25, v33
	v_ashrrev_i32_e32 v35, 31, v35
	v_lshlrev_b32_e32 v38, 24, v33
	s_wait_alu 0xfffd
	v_xor_b32_e32 v34, vcc_lo, v34
	v_cmp_gt_i32_e32 vcc_lo, 0, v36
	v_not_b32_e32 v36, v37
	s_wait_alu 0xf1ff
	v_xor_b32_e32 v83, s8, v83
	v_cmp_gt_i32_e64 s8, 0, v37
	v_and_b32_e32 v34, exec_lo, v34
	v_not_b32_e32 v37, v39
	v_ashrrev_i32_e32 v36, 31, v36
	s_wait_alu 0xfffd
	v_xor_b32_e32 v35, vcc_lo, v35
	v_cmp_gt_i32_e32 vcc_lo, 0, v39
	v_and_b32_e32 v34, v34, v83
	v_not_b32_e32 v39, v40
	v_ashrrev_i32_e32 v37, 31, v37
	s_wait_alu 0xf1ff
	v_xor_b32_e32 v36, s8, v36
	v_cmp_gt_i32_e64 s8, 0, v40
	v_and_b32_e32 v34, v34, v35
	v_not_b32_e32 v35, v82
	v_ashrrev_i32_e32 v39, 31, v39
	s_wait_alu 0xfffd
	v_xor_b32_e32 v37, vcc_lo, v37
	v_cmp_gt_i32_e32 vcc_lo, 0, v82
	v_and_b32_e32 v34, v34, v36
	v_not_b32_e32 v36, v38
	v_ashrrev_i32_e32 v35, 31, v35
	s_wait_alu 0xf1ff
	v_xor_b32_e32 v39, s8, v39
	v_lshlrev_b32_e32 v33, 6, v33
	v_and_b32_e32 v34, v34, v37
	v_cmp_gt_i32_e64 s8, 0, v38
	v_ashrrev_i32_e32 v36, 31, v36
	s_wait_alu 0xfffd
	v_xor_b32_e32 v35, vcc_lo, v35
	v_add_nc_u32_e32 v108, v0, v33
	v_and_b32_e32 v34, v34, v39
	v_min_u32_e32 v82, 0x1e0, v70
	s_wait_alu 0xf1ff
	v_xor_b32_e32 v33, s8, v36
	ds_load_b32 v106, v108 offset:64
	v_and_b32_e32 v34, v34, v35
	; wave barrier
	s_delay_alu instid0(VALU_DEP_1) | instskip(NEXT) | instid1(VALU_DEP_1)
	v_and_b32_e32 v33, v34, v33
	v_mbcnt_lo_u32_b32 v107, v33, 0
	v_cmp_ne_u32_e64 s8, 0, v33
	s_delay_alu instid0(VALU_DEP_2)
	v_cmp_eq_u32_e32 vcc_lo, 0, v107
	s_and_b32 s9, s8, vcc_lo
	s_wait_alu 0xfffe
	s_and_saveexec_b32 s8, s9
	s_cbranch_execz .LBB240_47
; %bb.46:
	s_wait_dscnt 0x0
	v_bcnt_u32_b32 v33, v33, v106
	ds_store_b32 v108, v33 offset:64
.LBB240_47:
	s_wait_alu 0xfffe
	s_or_b32 exec_lo, exec_lo, s8
	; wave barrier
	s_wait_loadcnt_dscnt 0x0
	s_barrier_signal -1
	s_barrier_wait -1
	global_inv scope:SCOPE_SE
	ds_load_b128 v[37:40], v67 offset:64
	ds_load_b128 v[33:36], v67 offset:80
	v_and_b32_e32 v109, 16, v69
	v_or_b32_e32 v82, 31, v82
	s_delay_alu instid0(VALU_DEP_2) | instskip(NEXT) | instid1(VALU_DEP_2)
	v_cmp_eq_u32_e64 s15, 0, v109
	v_cmp_eq_u32_e64 s13, v46, v82
	s_wait_dscnt 0x1
	v_add_nc_u32_e32 v83, v38, v37
	s_delay_alu instid0(VALU_DEP_1) | instskip(SKIP_1) | instid1(VALU_DEP_1)
	v_add3_u32 v83, v83, v39, v40
	s_wait_dscnt 0x0
	v_add3_u32 v83, v83, v33, v34
	s_delay_alu instid0(VALU_DEP_1) | instskip(SKIP_1) | instid1(VALU_DEP_2)
	v_add3_u32 v36, v83, v35, v36
	v_and_b32_e32 v83, 15, v69
	v_mov_b32_dpp v85, v36 row_shr:1 row_mask:0xf bank_mask:0xf
	s_delay_alu instid0(VALU_DEP_2)
	v_cmp_eq_u32_e32 vcc_lo, 0, v83
	v_cmp_lt_u32_e64 s8, 1, v83
	v_cmp_lt_u32_e64 s9, 3, v83
	;; [unrolled: 1-line block ×3, first 2 shown]
	s_wait_alu 0xfffd
	v_cndmask_b32_e64 v85, v85, 0, vcc_lo
	s_delay_alu instid0(VALU_DEP_1) | instskip(NEXT) | instid1(VALU_DEP_1)
	v_add_nc_u32_e32 v36, v85, v36
	v_mov_b32_dpp v85, v36 row_shr:2 row_mask:0xf bank_mask:0xf
	s_wait_alu 0xf1ff
	s_delay_alu instid0(VALU_DEP_1) | instskip(NEXT) | instid1(VALU_DEP_1)
	v_cndmask_b32_e64 v85, 0, v85, s8
	v_add_nc_u32_e32 v36, v36, v85
	s_delay_alu instid0(VALU_DEP_1) | instskip(NEXT) | instid1(VALU_DEP_1)
	v_mov_b32_dpp v85, v36 row_shr:4 row_mask:0xf bank_mask:0xf
	v_cndmask_b32_e64 v85, 0, v85, s9
	s_delay_alu instid0(VALU_DEP_1) | instskip(NEXT) | instid1(VALU_DEP_1)
	v_add_nc_u32_e32 v36, v36, v85
	v_mov_b32_dpp v85, v36 row_shr:8 row_mask:0xf bank_mask:0xf
	s_delay_alu instid0(VALU_DEP_1) | instskip(NEXT) | instid1(VALU_DEP_1)
	v_cndmask_b32_e64 v83, 0, v85, s10
	v_add_nc_u32_e32 v85, v36, v83
	v_bfe_i32 v83, v69, 4, 1
	ds_swizzle_b32 v36, v85 offset:swizzle(BROADCAST,32,15)
	s_wait_dscnt 0x0
	v_and_b32_e32 v110, v83, v36
	v_mul_i32_i24_e32 v36, 0xffffffe4, v46
	v_lshlrev_b32_e32 v83, 2, v68
	s_delay_alu instid0(VALU_DEP_3)
	v_add_nc_u32_e32 v85, v85, v110
	s_and_saveexec_b32 s11, s13
; %bb.48:
	ds_store_b32 v83, v85
; %bb.49:
	s_wait_alu 0xfffe
	s_or_b32 exec_lo, exec_lo, s11
	v_cmp_gt_u32_e64 s12, 16, v46
	v_add_nc_u32_e32 v82, v67, v36
	s_wait_loadcnt_dscnt 0x0
	s_barrier_signal -1
	s_barrier_wait -1
	global_inv scope:SCOPE_SE
	s_and_saveexec_b32 s11, s12
	s_cbranch_execz .LBB240_51
; %bb.50:
	ds_load_b32 v36, v82
	s_wait_dscnt 0x0
	v_mov_b32_dpp v109, v36 row_shr:1 row_mask:0xf bank_mask:0xf
	s_delay_alu instid0(VALU_DEP_1) | instskip(NEXT) | instid1(VALU_DEP_1)
	v_cndmask_b32_e64 v109, v109, 0, vcc_lo
	v_add_nc_u32_e32 v36, v109, v36
	s_delay_alu instid0(VALU_DEP_1) | instskip(NEXT) | instid1(VALU_DEP_1)
	v_mov_b32_dpp v109, v36 row_shr:2 row_mask:0xf bank_mask:0xf
	v_cndmask_b32_e64 v109, 0, v109, s8
	s_delay_alu instid0(VALU_DEP_1) | instskip(NEXT) | instid1(VALU_DEP_1)
	v_add_nc_u32_e32 v36, v36, v109
	v_mov_b32_dpp v109, v36 row_shr:4 row_mask:0xf bank_mask:0xf
	s_delay_alu instid0(VALU_DEP_1) | instskip(NEXT) | instid1(VALU_DEP_1)
	v_cndmask_b32_e64 v109, 0, v109, s9
	v_add_nc_u32_e32 v36, v36, v109
	s_delay_alu instid0(VALU_DEP_1) | instskip(NEXT) | instid1(VALU_DEP_1)
	v_mov_b32_dpp v109, v36 row_shr:8 row_mask:0xf bank_mask:0xf
	v_cndmask_b32_e64 v109, 0, v109, s10
	s_delay_alu instid0(VALU_DEP_1)
	v_add_nc_u32_e32 v36, v36, v109
	ds_store_b32 v82, v36
.LBB240_51:
	s_wait_alu 0xfffe
	s_or_b32 exec_lo, exec_lo, s11
	v_mul_u32_u24_e32 v36, 6, v84
	v_sub_co_u32 v109, s11, v69, 1
	v_cmp_lt_u32_e64 s14, 31, v46
	v_add_nc_u32_e32 v84, -4, v83
	v_mov_b32_e32 v110, 0
	s_wait_loadcnt_dscnt 0x0
	s_barrier_signal -1
	s_barrier_wait -1
	global_inv scope:SCOPE_SE
	s_and_saveexec_b32 s16, s14
; %bb.52:
	ds_load_b32 v110, v84
; %bb.53:
	s_or_b32 exec_lo, exec_lo, s16
	v_cmp_gt_i32_e64 s16, 0, v109
	s_mov_b32 s20, 0
	s_min_u32 s17, s17, 8
	s_mov_b32 s21, s20
	s_mov_b32 s22, s20
	v_cndmask_b32_e64 v109, v109, v69, s16
	s_mov_b32 s23, s20
	s_wait_dscnt 0x0
	v_add_nc_u32_e32 v111, v110, v85
	v_cmp_eq_u32_e64 s16, 0, v46
	s_lshl_b32 s17, -1, s17
	v_lshlrev_b32_e32 v85, 2, v109
	s_wait_alu 0xfffe
	s_not_b32 s19, s17
	ds_bpermute_b32 v109, v85, v111
	s_wait_dscnt 0x0
	v_cndmask_b32_e64 v109, v109, v110, s11
	s_delay_alu instid0(VALU_DEP_1) | instskip(NEXT) | instid1(VALU_DEP_1)
	v_cndmask_b32_e64 v109, v109, 0, s16
	v_add_nc_u32_e32 v110, v109, v37
	s_delay_alu instid0(VALU_DEP_1) | instskip(NEXT) | instid1(VALU_DEP_1)
	v_add_nc_u32_e32 v111, v110, v38
	v_add_nc_u32_e32 v112, v111, v39
	s_delay_alu instid0(VALU_DEP_1) | instskip(NEXT) | instid1(VALU_DEP_1)
	v_add_nc_u32_e32 v37, v112, v40
	;; [unrolled: 3-line block ×3, first 2 shown]
	v_add_nc_u32_e32 v40, v39, v35
	ds_store_b128 v67, v[109:112] offset:64
	ds_store_b128 v67, v[37:40] offset:80
	s_wait_loadcnt_dscnt 0x0
	s_barrier_signal -1
	s_barrier_wait -1
	global_inv scope:SCOPE_SE
	ds_load_b32 v33, v87 offset:64
	ds_load_b32 v34, v90 offset:64
	;; [unrolled: 1-line block ×8, first 2 shown]
	v_add_nc_u32_e32 v90, v73, v36
	s_wait_loadcnt_dscnt 0x0
	s_barrier_signal -1
	s_barrier_wait -1
	global_inv scope:SCOPE_SE
	v_add_nc_u32_e32 v86, v33, v86
	v_add3_u32 v88, v89, v88, v34
	v_add3_u32 v89, v92, v91, v35
	;; [unrolled: 1-line block ×7, first 2 shown]
	v_lshlrev_b32_e32 v33, 1, v86
	v_lshlrev_b32_e32 v34, 1, v88
	;; [unrolled: 1-line block ×8, first 2 shown]
	ds_store_b16 v33, v74
	ds_store_b16 v34, v75
	;; [unrolled: 1-line block ×8, first 2 shown]
	s_wait_loadcnt_dscnt 0x0
	s_barrier_signal -1
	s_barrier_wait -1
	global_inv scope:SCOPE_SE
	ds_load_u16 v74, v73
	ds_load_u16 v75, v73 offset:64
	ds_load_u16 v76, v73 offset:128
	;; [unrolled: 1-line block ×7, first 2 shown]
	v_mad_co_u64_u32 v[86:87], null, v86, 6, v[33:34]
	v_mad_co_u64_u32 v[33:34], null, v88, 6, v[34:35]
	;; [unrolled: 1-line block ×3, first 2 shown]
	s_wait_loadcnt_dscnt 0x0
	s_barrier_signal -1
	s_barrier_wait -1
	global_inv scope:SCOPE_SE
	v_mad_co_u64_u32 v[35:36], null, v91, 6, v[36:37]
	v_lshrrev_b16 v81, 8, v74
	v_cmp_ne_u16_e64 s17, 0x7fff, v74
	ds_store_b64 v86, v[17:18]
	v_mad_co_u64_u32 v[36:37], null, v92, 6, v[37:38]
	v_mad_co_u64_u32 v[37:38], null, v93, 6, v[38:39]
	s_wait_alu 0xf1ff
	v_cndmask_b32_e64 v81, 0x80, v81, s17
	v_mad_co_u64_u32 v[38:39], null, v94, 6, v[39:40]
	v_mad_co_u64_u32 v[39:40], null, v95, 6, v[40:41]
	s_delay_alu instid0(VALU_DEP_3)
	v_and_b32_e32 v17, 0xffff, v81
	ds_store_b64 v33, v[19:20]
	ds_store_b64 v34, v[25:26]
	;; [unrolled: 1-line block ×7, first 2 shown]
	v_and_b32_e32 v40, s19, v17
	s_wait_loadcnt_dscnt 0x0
	s_barrier_signal -1
	s_barrier_wait -1
	global_inv scope:SCOPE_SE
	v_and_b32_e32 v17, 1, v40
	v_lshlrev_b32_e32 v18, 30, v40
	v_lshlrev_b32_e32 v19, 29, v40
	;; [unrolled: 1-line block ×4, first 2 shown]
	v_add_co_u32 v17, s17, v17, -1
	s_wait_alu 0xf1ff
	v_cndmask_b32_e64 v21, 0, 1, s17
	v_not_b32_e32 v25, v18
	v_cmp_gt_i32_e64 s18, 0, v18
	v_not_b32_e32 v18, v19
	v_lshlrev_b32_e32 v23, 26, v40
	v_cmp_ne_u32_e64 s17, 0, v21
	v_ashrrev_i32_e32 v25, 31, v25
	v_lshlrev_b32_e32 v24, 25, v40
	v_ashrrev_i32_e32 v18, 31, v18
	v_lshlrev_b32_e32 v21, 24, v40
	s_wait_alu 0xf1ff
	v_xor_b32_e32 v17, s17, v17
	v_cmp_gt_i32_e64 s17, 0, v19
	v_not_b32_e32 v19, v20
	v_xor_b32_e32 v25, s18, v25
	v_cmp_gt_i32_e64 s18, 0, v20
	v_and_b32_e32 v17, exec_lo, v17
	v_not_b32_e32 v20, v22
	v_ashrrev_i32_e32 v19, 31, v19
	s_wait_alu 0xf1ff
	v_xor_b32_e32 v18, s17, v18
	v_cmp_gt_i32_e64 s17, 0, v22
	v_and_b32_e32 v17, v17, v25
	v_not_b32_e32 v22, v23
	v_ashrrev_i32_e32 v20, 31, v20
	v_xor_b32_e32 v19, s18, v19
	v_cmp_gt_i32_e64 s18, 0, v23
	v_and_b32_e32 v17, v17, v18
	v_not_b32_e32 v18, v24
	v_ashrrev_i32_e32 v22, 31, v22
	s_wait_alu 0xf1ff
	v_xor_b32_e32 v20, s17, v20
	v_cmp_gt_i32_e64 s17, 0, v24
	v_and_b32_e32 v17, v17, v19
	v_not_b32_e32 v19, v21
	v_ashrrev_i32_e32 v18, 31, v18
	v_xor_b32_e32 v22, s18, v22
	v_cmp_gt_i32_e64 s18, 0, v21
	v_and_b32_e32 v17, v17, v20
	v_ashrrev_i32_e32 v19, 31, v19
	s_wait_alu 0xf1ff
	v_xor_b32_e32 v18, s17, v18
	v_dual_mov_b32 v37, s23 :: v_dual_mov_b32 v36, s22
	v_and_b32_e32 v17, v17, v22
	v_xor_b32_e32 v33, s18, v19
	ds_load_2addr_b64 v[21:24], v90 offset1:32
	v_dual_mov_b32 v35, s21 :: v_dual_mov_b32 v34, s20
	v_and_b32_e32 v38, v17, v18
	ds_load_2addr_b64 v[29:32], v90 offset0:64 offset1:96
	ds_load_2addr_b64 v[25:28], v90 offset0:128 offset1:160
	;; [unrolled: 1-line block ×3, first 2 shown]
	v_lshl_add_u32 v86, v40, 6, v0
	s_wait_loadcnt_dscnt 0x0
	s_barrier_signal -1
	v_and_b32_e32 v33, v38, v33
	s_barrier_wait -1
	global_inv scope:SCOPE_SE
	ds_store_b128 v67, v[34:37] offset:64
	ds_store_b128 v67, v[34:37] offset:80
	s_wait_loadcnt_dscnt 0x0
	v_mbcnt_lo_u32_b32 v81, v33, 0
	v_cmp_ne_u32_e64 s18, 0, v33
	s_barrier_signal -1
	s_barrier_wait -1
	global_inv scope:SCOPE_SE
	v_cmp_eq_u32_e64 s17, 0, v81
	; wave barrier
	s_and_b32 s18, s18, s17
	s_wait_alu 0xfffe
	s_and_saveexec_b32 s17, s18
; %bb.54:
	v_bcnt_u32_b32 v33, v33, 0
	ds_store_b32 v86, v33 offset:64
; %bb.55:
	s_wait_alu 0xfffe
	s_or_b32 exec_lo, exec_lo, s17
	v_lshrrev_b16 v33, 8, v75
	v_cmp_ne_u16_e64 s17, 0x7fff, v75
	; wave barrier
	s_wait_alu 0xf1ff
	s_delay_alu instid0(VALU_DEP_1) | instskip(NEXT) | instid1(VALU_DEP_1)
	v_cndmask_b32_e64 v33, 0x80, v33, s17
	v_and_b32_e32 v33, s19, v33
	s_delay_alu instid0(VALU_DEP_1)
	v_and_b32_e32 v34, 1, v33
	v_lshlrev_b32_e32 v35, 30, v33
	v_lshlrev_b32_e32 v36, 29, v33
	;; [unrolled: 1-line block ×4, first 2 shown]
	v_add_co_u32 v34, s17, v34, -1
	s_wait_alu 0xf1ff
	v_cndmask_b32_e64 v38, 0, 1, s17
	v_not_b32_e32 v88, v35
	v_cmp_gt_i32_e64 s18, 0, v35
	v_not_b32_e32 v35, v36
	v_lshlrev_b32_e32 v40, 26, v33
	v_cmp_ne_u32_e64 s17, 0, v38
	v_ashrrev_i32_e32 v88, 31, v88
	v_lshlrev_b32_e32 v87, 25, v33
	v_ashrrev_i32_e32 v35, 31, v35
	v_lshlrev_b32_e32 v38, 24, v33
	s_wait_alu 0xf1ff
	v_xor_b32_e32 v34, s17, v34
	v_cmp_gt_i32_e64 s17, 0, v36
	v_not_b32_e32 v36, v37
	v_xor_b32_e32 v88, s18, v88
	v_cmp_gt_i32_e64 s18, 0, v37
	v_and_b32_e32 v34, exec_lo, v34
	v_not_b32_e32 v37, v39
	v_ashrrev_i32_e32 v36, 31, v36
	s_wait_alu 0xf1ff
	v_xor_b32_e32 v35, s17, v35
	v_cmp_gt_i32_e64 s17, 0, v39
	v_and_b32_e32 v34, v34, v88
	v_not_b32_e32 v39, v40
	v_ashrrev_i32_e32 v37, 31, v37
	v_xor_b32_e32 v36, s18, v36
	v_cmp_gt_i32_e64 s18, 0, v40
	v_and_b32_e32 v34, v34, v35
	v_not_b32_e32 v35, v87
	v_ashrrev_i32_e32 v39, 31, v39
	s_wait_alu 0xf1ff
	v_xor_b32_e32 v37, s17, v37
	v_cmp_gt_i32_e64 s17, 0, v87
	v_and_b32_e32 v34, v34, v36
	v_not_b32_e32 v36, v38
	v_ashrrev_i32_e32 v35, 31, v35
	v_xor_b32_e32 v39, s18, v39
	v_cmp_gt_i32_e64 s18, 0, v38
	v_and_b32_e32 v34, v34, v37
	v_ashrrev_i32_e32 v36, 31, v36
	s_wait_alu 0xf1ff
	v_xor_b32_e32 v35, s17, v35
	v_lshl_add_u32 v89, v33, 6, v0
	v_and_b32_e32 v34, v34, v39
	v_xor_b32_e32 v33, s18, v36
	ds_load_b32 v87, v89 offset:64
	v_and_b32_e32 v34, v34, v35
	; wave barrier
	s_delay_alu instid0(VALU_DEP_1) | instskip(NEXT) | instid1(VALU_DEP_1)
	v_and_b32_e32 v33, v34, v33
	v_mbcnt_lo_u32_b32 v88, v33, 0
	v_cmp_ne_u32_e64 s18, 0, v33
	s_delay_alu instid0(VALU_DEP_2)
	v_cmp_eq_u32_e64 s17, 0, v88
	s_and_b32 s18, s18, s17
	s_wait_alu 0xfffe
	s_and_saveexec_b32 s17, s18
	s_cbranch_execz .LBB240_57
; %bb.56:
	s_wait_dscnt 0x0
	v_bcnt_u32_b32 v33, v33, v87
	ds_store_b32 v89, v33 offset:64
.LBB240_57:
	s_wait_alu 0xfffe
	s_or_b32 exec_lo, exec_lo, s17
	v_lshrrev_b16 v33, 8, v76
	v_cmp_ne_u16_e64 s17, 0x7fff, v76
	; wave barrier
	s_wait_alu 0xf1ff
	s_delay_alu instid0(VALU_DEP_1) | instskip(NEXT) | instid1(VALU_DEP_1)
	v_cndmask_b32_e64 v33, 0x80, v33, s17
	v_and_b32_e32 v33, s19, v33
	s_delay_alu instid0(VALU_DEP_1)
	v_and_b32_e32 v34, 1, v33
	v_lshlrev_b32_e32 v35, 30, v33
	v_lshlrev_b32_e32 v36, 29, v33
	;; [unrolled: 1-line block ×4, first 2 shown]
	v_add_co_u32 v34, s17, v34, -1
	s_wait_alu 0xf1ff
	v_cndmask_b32_e64 v38, 0, 1, s17
	v_not_b32_e32 v91, v35
	v_cmp_gt_i32_e64 s18, 0, v35
	v_not_b32_e32 v35, v36
	v_lshlrev_b32_e32 v40, 26, v33
	v_cmp_ne_u32_e64 s17, 0, v38
	v_ashrrev_i32_e32 v91, 31, v91
	v_lshlrev_b32_e32 v90, 25, v33
	v_ashrrev_i32_e32 v35, 31, v35
	v_lshlrev_b32_e32 v38, 24, v33
	s_wait_alu 0xf1ff
	v_xor_b32_e32 v34, s17, v34
	v_cmp_gt_i32_e64 s17, 0, v36
	v_not_b32_e32 v36, v37
	v_xor_b32_e32 v91, s18, v91
	v_cmp_gt_i32_e64 s18, 0, v37
	v_and_b32_e32 v34, exec_lo, v34
	v_not_b32_e32 v37, v39
	v_ashrrev_i32_e32 v36, 31, v36
	s_wait_alu 0xf1ff
	v_xor_b32_e32 v35, s17, v35
	v_cmp_gt_i32_e64 s17, 0, v39
	v_and_b32_e32 v34, v34, v91
	v_not_b32_e32 v39, v40
	v_ashrrev_i32_e32 v37, 31, v37
	v_xor_b32_e32 v36, s18, v36
	v_cmp_gt_i32_e64 s18, 0, v40
	v_and_b32_e32 v34, v34, v35
	v_not_b32_e32 v35, v90
	v_ashrrev_i32_e32 v39, 31, v39
	s_wait_alu 0xf1ff
	v_xor_b32_e32 v37, s17, v37
	v_cmp_gt_i32_e64 s17, 0, v90
	v_and_b32_e32 v34, v34, v36
	v_not_b32_e32 v36, v38
	v_ashrrev_i32_e32 v35, 31, v35
	v_xor_b32_e32 v39, s18, v39
	v_cmp_gt_i32_e64 s18, 0, v38
	v_and_b32_e32 v34, v34, v37
	v_ashrrev_i32_e32 v36, 31, v36
	s_wait_alu 0xf1ff
	v_xor_b32_e32 v35, s17, v35
	v_lshl_add_u32 v92, v33, 6, v0
	v_and_b32_e32 v34, v34, v39
	v_xor_b32_e32 v33, s18, v36
	ds_load_b32 v90, v92 offset:64
	v_and_b32_e32 v34, v34, v35
	; wave barrier
	s_delay_alu instid0(VALU_DEP_1) | instskip(NEXT) | instid1(VALU_DEP_1)
	v_and_b32_e32 v33, v34, v33
	v_mbcnt_lo_u32_b32 v91, v33, 0
	v_cmp_ne_u32_e64 s18, 0, v33
	s_delay_alu instid0(VALU_DEP_2)
	v_cmp_eq_u32_e64 s17, 0, v91
	s_and_b32 s18, s18, s17
	s_wait_alu 0xfffe
	s_and_saveexec_b32 s17, s18
	s_cbranch_execz .LBB240_59
; %bb.58:
	s_wait_dscnt 0x0
	v_bcnt_u32_b32 v33, v33, v90
	ds_store_b32 v92, v33 offset:64
.LBB240_59:
	s_wait_alu 0xfffe
	s_or_b32 exec_lo, exec_lo, s17
	v_lshrrev_b16 v33, 8, v77
	v_cmp_ne_u16_e64 s17, 0x7fff, v77
	; wave barrier
	s_wait_alu 0xf1ff
	s_delay_alu instid0(VALU_DEP_1) | instskip(NEXT) | instid1(VALU_DEP_1)
	v_cndmask_b32_e64 v33, 0x80, v33, s17
	v_and_b32_e32 v33, s19, v33
	s_delay_alu instid0(VALU_DEP_1)
	v_and_b32_e32 v34, 1, v33
	v_lshlrev_b32_e32 v35, 30, v33
	v_lshlrev_b32_e32 v36, 29, v33
	;; [unrolled: 1-line block ×4, first 2 shown]
	v_add_co_u32 v34, s17, v34, -1
	s_wait_alu 0xf1ff
	v_cndmask_b32_e64 v38, 0, 1, s17
	v_not_b32_e32 v94, v35
	v_cmp_gt_i32_e64 s18, 0, v35
	v_not_b32_e32 v35, v36
	v_lshlrev_b32_e32 v40, 26, v33
	v_cmp_ne_u32_e64 s17, 0, v38
	v_ashrrev_i32_e32 v94, 31, v94
	v_lshlrev_b32_e32 v93, 25, v33
	v_ashrrev_i32_e32 v35, 31, v35
	v_lshlrev_b32_e32 v38, 24, v33
	s_wait_alu 0xf1ff
	v_xor_b32_e32 v34, s17, v34
	v_cmp_gt_i32_e64 s17, 0, v36
	v_not_b32_e32 v36, v37
	v_xor_b32_e32 v94, s18, v94
	v_cmp_gt_i32_e64 s18, 0, v37
	v_and_b32_e32 v34, exec_lo, v34
	v_not_b32_e32 v37, v39
	v_ashrrev_i32_e32 v36, 31, v36
	s_wait_alu 0xf1ff
	v_xor_b32_e32 v35, s17, v35
	v_cmp_gt_i32_e64 s17, 0, v39
	v_and_b32_e32 v34, v34, v94
	v_not_b32_e32 v39, v40
	v_ashrrev_i32_e32 v37, 31, v37
	v_xor_b32_e32 v36, s18, v36
	v_cmp_gt_i32_e64 s18, 0, v40
	v_and_b32_e32 v34, v34, v35
	v_not_b32_e32 v35, v93
	v_ashrrev_i32_e32 v39, 31, v39
	s_wait_alu 0xf1ff
	v_xor_b32_e32 v37, s17, v37
	v_cmp_gt_i32_e64 s17, 0, v93
	v_and_b32_e32 v34, v34, v36
	v_not_b32_e32 v36, v38
	v_ashrrev_i32_e32 v35, 31, v35
	v_xor_b32_e32 v39, s18, v39
	v_cmp_gt_i32_e64 s18, 0, v38
	v_and_b32_e32 v34, v34, v37
	v_ashrrev_i32_e32 v36, 31, v36
	s_wait_alu 0xf1ff
	v_xor_b32_e32 v35, s17, v35
	v_lshl_add_u32 v95, v33, 6, v0
	v_and_b32_e32 v34, v34, v39
	v_xor_b32_e32 v33, s18, v36
	ds_load_b32 v93, v95 offset:64
	v_and_b32_e32 v34, v34, v35
	; wave barrier
	s_delay_alu instid0(VALU_DEP_1) | instskip(NEXT) | instid1(VALU_DEP_1)
	v_and_b32_e32 v33, v34, v33
	v_mbcnt_lo_u32_b32 v94, v33, 0
	v_cmp_ne_u32_e64 s18, 0, v33
	s_delay_alu instid0(VALU_DEP_2)
	v_cmp_eq_u32_e64 s17, 0, v94
	s_and_b32 s18, s18, s17
	s_wait_alu 0xfffe
	s_and_saveexec_b32 s17, s18
	s_cbranch_execz .LBB240_61
; %bb.60:
	s_wait_dscnt 0x0
	v_bcnt_u32_b32 v33, v33, v93
	ds_store_b32 v95, v33 offset:64
.LBB240_61:
	s_wait_alu 0xfffe
	s_or_b32 exec_lo, exec_lo, s17
	v_lshrrev_b16 v33, 8, v78
	v_cmp_ne_u16_e64 s17, 0x7fff, v78
	; wave barrier
	s_wait_alu 0xf1ff
	s_delay_alu instid0(VALU_DEP_1) | instskip(NEXT) | instid1(VALU_DEP_1)
	v_cndmask_b32_e64 v33, 0x80, v33, s17
	v_and_b32_e32 v33, s19, v33
	s_delay_alu instid0(VALU_DEP_1)
	v_and_b32_e32 v34, 1, v33
	v_lshlrev_b32_e32 v35, 30, v33
	v_lshlrev_b32_e32 v36, 29, v33
	;; [unrolled: 1-line block ×4, first 2 shown]
	v_add_co_u32 v34, s17, v34, -1
	s_wait_alu 0xf1ff
	v_cndmask_b32_e64 v38, 0, 1, s17
	v_not_b32_e32 v97, v35
	v_cmp_gt_i32_e64 s18, 0, v35
	v_not_b32_e32 v35, v36
	v_lshlrev_b32_e32 v40, 26, v33
	v_cmp_ne_u32_e64 s17, 0, v38
	v_ashrrev_i32_e32 v97, 31, v97
	v_lshlrev_b32_e32 v96, 25, v33
	v_ashrrev_i32_e32 v35, 31, v35
	v_lshlrev_b32_e32 v38, 24, v33
	s_wait_alu 0xf1ff
	v_xor_b32_e32 v34, s17, v34
	v_cmp_gt_i32_e64 s17, 0, v36
	v_not_b32_e32 v36, v37
	v_xor_b32_e32 v97, s18, v97
	v_cmp_gt_i32_e64 s18, 0, v37
	v_and_b32_e32 v34, exec_lo, v34
	v_not_b32_e32 v37, v39
	v_ashrrev_i32_e32 v36, 31, v36
	s_wait_alu 0xf1ff
	v_xor_b32_e32 v35, s17, v35
	v_cmp_gt_i32_e64 s17, 0, v39
	v_and_b32_e32 v34, v34, v97
	v_not_b32_e32 v39, v40
	v_ashrrev_i32_e32 v37, 31, v37
	v_xor_b32_e32 v36, s18, v36
	v_cmp_gt_i32_e64 s18, 0, v40
	v_and_b32_e32 v34, v34, v35
	v_not_b32_e32 v35, v96
	v_ashrrev_i32_e32 v39, 31, v39
	s_wait_alu 0xf1ff
	v_xor_b32_e32 v37, s17, v37
	v_cmp_gt_i32_e64 s17, 0, v96
	v_and_b32_e32 v34, v34, v36
	v_not_b32_e32 v36, v38
	v_ashrrev_i32_e32 v35, 31, v35
	v_xor_b32_e32 v39, s18, v39
	v_cmp_gt_i32_e64 s18, 0, v38
	v_and_b32_e32 v34, v34, v37
	v_ashrrev_i32_e32 v36, 31, v36
	s_wait_alu 0xf1ff
	v_xor_b32_e32 v35, s17, v35
	v_lshl_add_u32 v98, v33, 6, v0
	v_and_b32_e32 v34, v34, v39
	v_xor_b32_e32 v33, s18, v36
	ds_load_b32 v96, v98 offset:64
	v_and_b32_e32 v34, v34, v35
	; wave barrier
	s_delay_alu instid0(VALU_DEP_1) | instskip(NEXT) | instid1(VALU_DEP_1)
	v_and_b32_e32 v33, v34, v33
	v_mbcnt_lo_u32_b32 v97, v33, 0
	v_cmp_ne_u32_e64 s18, 0, v33
	s_delay_alu instid0(VALU_DEP_2)
	v_cmp_eq_u32_e64 s17, 0, v97
	s_and_b32 s18, s18, s17
	s_wait_alu 0xfffe
	s_and_saveexec_b32 s17, s18
	s_cbranch_execz .LBB240_63
; %bb.62:
	s_wait_dscnt 0x0
	v_bcnt_u32_b32 v33, v33, v96
	ds_store_b32 v98, v33 offset:64
.LBB240_63:
	s_wait_alu 0xfffe
	s_or_b32 exec_lo, exec_lo, s17
	v_lshrrev_b16 v33, 8, v79
	v_cmp_ne_u16_e64 s17, 0x7fff, v79
	; wave barrier
	s_wait_alu 0xf1ff
	s_delay_alu instid0(VALU_DEP_1) | instskip(NEXT) | instid1(VALU_DEP_1)
	v_cndmask_b32_e64 v33, 0x80, v33, s17
	v_and_b32_e32 v33, s19, v33
	s_delay_alu instid0(VALU_DEP_1)
	v_and_b32_e32 v34, 1, v33
	v_lshlrev_b32_e32 v35, 30, v33
	v_lshlrev_b32_e32 v36, 29, v33
	;; [unrolled: 1-line block ×4, first 2 shown]
	v_add_co_u32 v34, s17, v34, -1
	s_wait_alu 0xf1ff
	v_cndmask_b32_e64 v38, 0, 1, s17
	v_not_b32_e32 v100, v35
	v_cmp_gt_i32_e64 s18, 0, v35
	v_not_b32_e32 v35, v36
	v_lshlrev_b32_e32 v40, 26, v33
	v_cmp_ne_u32_e64 s17, 0, v38
	v_ashrrev_i32_e32 v100, 31, v100
	v_lshlrev_b32_e32 v99, 25, v33
	v_ashrrev_i32_e32 v35, 31, v35
	v_lshlrev_b32_e32 v38, 24, v33
	s_wait_alu 0xf1ff
	v_xor_b32_e32 v34, s17, v34
	v_cmp_gt_i32_e64 s17, 0, v36
	v_not_b32_e32 v36, v37
	v_xor_b32_e32 v100, s18, v100
	v_cmp_gt_i32_e64 s18, 0, v37
	v_and_b32_e32 v34, exec_lo, v34
	v_not_b32_e32 v37, v39
	v_ashrrev_i32_e32 v36, 31, v36
	s_wait_alu 0xf1ff
	v_xor_b32_e32 v35, s17, v35
	v_cmp_gt_i32_e64 s17, 0, v39
	v_and_b32_e32 v34, v34, v100
	v_not_b32_e32 v39, v40
	v_ashrrev_i32_e32 v37, 31, v37
	v_xor_b32_e32 v36, s18, v36
	v_cmp_gt_i32_e64 s18, 0, v40
	v_and_b32_e32 v34, v34, v35
	v_not_b32_e32 v35, v99
	v_ashrrev_i32_e32 v39, 31, v39
	s_wait_alu 0xf1ff
	v_xor_b32_e32 v37, s17, v37
	v_cmp_gt_i32_e64 s17, 0, v99
	v_and_b32_e32 v34, v34, v36
	v_not_b32_e32 v36, v38
	v_ashrrev_i32_e32 v35, 31, v35
	v_xor_b32_e32 v39, s18, v39
	v_cmp_gt_i32_e64 s18, 0, v38
	v_and_b32_e32 v34, v34, v37
	v_ashrrev_i32_e32 v36, 31, v36
	s_wait_alu 0xf1ff
	v_xor_b32_e32 v35, s17, v35
	v_lshl_add_u32 v101, v33, 6, v0
	v_and_b32_e32 v34, v34, v39
	v_xor_b32_e32 v33, s18, v36
	ds_load_b32 v99, v101 offset:64
	v_and_b32_e32 v34, v34, v35
	; wave barrier
	s_delay_alu instid0(VALU_DEP_1) | instskip(NEXT) | instid1(VALU_DEP_1)
	v_and_b32_e32 v33, v34, v33
	v_mbcnt_lo_u32_b32 v100, v33, 0
	v_cmp_ne_u32_e64 s18, 0, v33
	s_delay_alu instid0(VALU_DEP_2)
	v_cmp_eq_u32_e64 s17, 0, v100
	s_and_b32 s18, s18, s17
	s_wait_alu 0xfffe
	s_and_saveexec_b32 s17, s18
	s_cbranch_execz .LBB240_65
; %bb.64:
	s_wait_dscnt 0x0
	v_bcnt_u32_b32 v33, v33, v99
	ds_store_b32 v101, v33 offset:64
.LBB240_65:
	s_wait_alu 0xfffe
	s_or_b32 exec_lo, exec_lo, s17
	v_lshrrev_b16 v33, 8, v80
	v_cmp_ne_u16_e64 s17, 0x7fff, v80
	; wave barrier
	s_wait_alu 0xf1ff
	s_delay_alu instid0(VALU_DEP_1) | instskip(NEXT) | instid1(VALU_DEP_1)
	v_cndmask_b32_e64 v33, 0x80, v33, s17
	v_and_b32_e32 v33, s19, v33
	s_delay_alu instid0(VALU_DEP_1)
	v_and_b32_e32 v34, 1, v33
	v_lshlrev_b32_e32 v35, 30, v33
	v_lshlrev_b32_e32 v36, 29, v33
	;; [unrolled: 1-line block ×4, first 2 shown]
	v_add_co_u32 v34, s17, v34, -1
	s_wait_alu 0xf1ff
	v_cndmask_b32_e64 v38, 0, 1, s17
	v_not_b32_e32 v103, v35
	v_cmp_gt_i32_e64 s18, 0, v35
	v_not_b32_e32 v35, v36
	v_lshlrev_b32_e32 v40, 26, v33
	v_cmp_ne_u32_e64 s17, 0, v38
	v_ashrrev_i32_e32 v103, 31, v103
	v_lshlrev_b32_e32 v102, 25, v33
	v_ashrrev_i32_e32 v35, 31, v35
	v_lshlrev_b32_e32 v38, 24, v33
	s_wait_alu 0xf1ff
	v_xor_b32_e32 v34, s17, v34
	v_cmp_gt_i32_e64 s17, 0, v36
	v_not_b32_e32 v36, v37
	v_xor_b32_e32 v103, s18, v103
	v_cmp_gt_i32_e64 s18, 0, v37
	v_and_b32_e32 v34, exec_lo, v34
	v_not_b32_e32 v37, v39
	v_ashrrev_i32_e32 v36, 31, v36
	s_wait_alu 0xf1ff
	v_xor_b32_e32 v35, s17, v35
	v_cmp_gt_i32_e64 s17, 0, v39
	v_and_b32_e32 v34, v34, v103
	v_not_b32_e32 v39, v40
	v_ashrrev_i32_e32 v37, 31, v37
	v_xor_b32_e32 v36, s18, v36
	v_cmp_gt_i32_e64 s18, 0, v40
	v_and_b32_e32 v34, v34, v35
	v_not_b32_e32 v35, v102
	v_ashrrev_i32_e32 v39, 31, v39
	s_wait_alu 0xf1ff
	v_xor_b32_e32 v37, s17, v37
	v_cmp_gt_i32_e64 s17, 0, v102
	v_and_b32_e32 v34, v34, v36
	v_not_b32_e32 v36, v38
	v_ashrrev_i32_e32 v35, 31, v35
	v_xor_b32_e32 v39, s18, v39
	v_cmp_gt_i32_e64 s18, 0, v38
	v_and_b32_e32 v34, v34, v37
	v_ashrrev_i32_e32 v36, 31, v36
	s_wait_alu 0xf1ff
	v_xor_b32_e32 v35, s17, v35
	v_lshl_add_u32 v104, v33, 6, v0
	v_and_b32_e32 v34, v34, v39
	v_xor_b32_e32 v33, s18, v36
	ds_load_b32 v102, v104 offset:64
	v_and_b32_e32 v34, v34, v35
	; wave barrier
	s_delay_alu instid0(VALU_DEP_1) | instskip(NEXT) | instid1(VALU_DEP_1)
	v_and_b32_e32 v33, v34, v33
	v_mbcnt_lo_u32_b32 v103, v33, 0
	v_cmp_ne_u32_e64 s18, 0, v33
	s_delay_alu instid0(VALU_DEP_2)
	v_cmp_eq_u32_e64 s17, 0, v103
	s_and_b32 s18, s18, s17
	s_wait_alu 0xfffe
	s_and_saveexec_b32 s17, s18
	s_cbranch_execz .LBB240_67
; %bb.66:
	s_wait_dscnt 0x0
	v_bcnt_u32_b32 v33, v33, v102
	ds_store_b32 v104, v33 offset:64
.LBB240_67:
	s_wait_alu 0xfffe
	s_or_b32 exec_lo, exec_lo, s17
	v_lshrrev_b16 v33, 8, v73
	v_cmp_ne_u16_e64 s17, 0x7fff, v73
	; wave barrier
	s_wait_alu 0xf1ff
	s_delay_alu instid0(VALU_DEP_1) | instskip(NEXT) | instid1(VALU_DEP_1)
	v_cndmask_b32_e64 v33, 0x80, v33, s17
	v_and_b32_e32 v33, s19, v33
	s_delay_alu instid0(VALU_DEP_1)
	v_and_b32_e32 v34, 1, v33
	v_lshlrev_b32_e32 v35, 30, v33
	v_lshlrev_b32_e32 v36, 29, v33
	;; [unrolled: 1-line block ×4, first 2 shown]
	v_add_co_u32 v34, s17, v34, -1
	s_wait_alu 0xf1ff
	v_cndmask_b32_e64 v38, 0, 1, s17
	v_not_b32_e32 v106, v35
	v_cmp_gt_i32_e64 s18, 0, v35
	v_not_b32_e32 v35, v36
	v_lshlrev_b32_e32 v40, 26, v33
	v_cmp_ne_u32_e64 s17, 0, v38
	v_ashrrev_i32_e32 v106, 31, v106
	v_lshlrev_b32_e32 v105, 25, v33
	v_ashrrev_i32_e32 v35, 31, v35
	v_lshlrev_b32_e32 v38, 24, v33
	s_wait_alu 0xf1ff
	v_xor_b32_e32 v34, s17, v34
	v_cmp_gt_i32_e64 s17, 0, v36
	v_not_b32_e32 v36, v37
	v_xor_b32_e32 v106, s18, v106
	v_cmp_gt_i32_e64 s18, 0, v37
	v_and_b32_e32 v34, exec_lo, v34
	v_not_b32_e32 v37, v39
	v_ashrrev_i32_e32 v36, 31, v36
	s_wait_alu 0xf1ff
	v_xor_b32_e32 v35, s17, v35
	v_cmp_gt_i32_e64 s17, 0, v39
	v_and_b32_e32 v34, v34, v106
	v_not_b32_e32 v39, v40
	v_ashrrev_i32_e32 v37, 31, v37
	v_xor_b32_e32 v36, s18, v36
	v_cmp_gt_i32_e64 s18, 0, v40
	v_and_b32_e32 v34, v34, v35
	v_not_b32_e32 v35, v105
	v_ashrrev_i32_e32 v39, 31, v39
	s_wait_alu 0xf1ff
	v_xor_b32_e32 v37, s17, v37
	v_cmp_gt_i32_e64 s17, 0, v105
	v_and_b32_e32 v34, v34, v36
	v_not_b32_e32 v36, v38
	v_ashrrev_i32_e32 v35, 31, v35
	v_xor_b32_e32 v39, s18, v39
	v_cmp_gt_i32_e64 s18, 0, v38
	v_and_b32_e32 v34, v34, v37
	v_ashrrev_i32_e32 v36, 31, v36
	s_wait_alu 0xf1ff
	v_xor_b32_e32 v35, s17, v35
	v_lshl_add_u32 v106, v33, 6, v0
	v_and_b32_e32 v34, v34, v39
	v_xor_b32_e32 v33, s18, v36
	ds_load_b32 v0, v106 offset:64
	v_and_b32_e32 v34, v34, v35
	; wave barrier
	s_delay_alu instid0(VALU_DEP_1) | instskip(NEXT) | instid1(VALU_DEP_1)
	v_and_b32_e32 v33, v34, v33
	v_mbcnt_lo_u32_b32 v105, v33, 0
	v_cmp_ne_u32_e64 s18, 0, v33
	s_delay_alu instid0(VALU_DEP_2)
	v_cmp_eq_u32_e64 s17, 0, v105
	s_and_b32 s18, s18, s17
	s_wait_alu 0xfffe
	s_and_saveexec_b32 s17, s18
	s_cbranch_execz .LBB240_69
; %bb.68:
	s_wait_dscnt 0x0
	v_bcnt_u32_b32 v33, v33, v0
	ds_store_b32 v106, v33 offset:64
.LBB240_69:
	s_wait_alu 0xfffe
	s_or_b32 exec_lo, exec_lo, s17
	; wave barrier
	s_wait_loadcnt_dscnt 0x0
	s_barrier_signal -1
	s_barrier_wait -1
	global_inv scope:SCOPE_SE
	ds_load_b128 v[37:40], v67 offset:64
	ds_load_b128 v[33:36], v67 offset:80
	s_wait_dscnt 0x1
	v_add_nc_u32_e32 v107, v38, v37
	s_delay_alu instid0(VALU_DEP_1) | instskip(SKIP_1) | instid1(VALU_DEP_1)
	v_add3_u32 v107, v107, v39, v40
	s_wait_dscnt 0x0
	v_add3_u32 v107, v107, v33, v34
	s_delay_alu instid0(VALU_DEP_1) | instskip(NEXT) | instid1(VALU_DEP_1)
	v_add3_u32 v36, v107, v35, v36
	v_mov_b32_dpp v107, v36 row_shr:1 row_mask:0xf bank_mask:0xf
	s_delay_alu instid0(VALU_DEP_1) | instskip(NEXT) | instid1(VALU_DEP_1)
	v_cndmask_b32_e64 v107, v107, 0, vcc_lo
	v_add_nc_u32_e32 v36, v107, v36
	s_delay_alu instid0(VALU_DEP_1) | instskip(NEXT) | instid1(VALU_DEP_1)
	v_mov_b32_dpp v107, v36 row_shr:2 row_mask:0xf bank_mask:0xf
	v_cndmask_b32_e64 v107, 0, v107, s8
	s_delay_alu instid0(VALU_DEP_1) | instskip(NEXT) | instid1(VALU_DEP_1)
	v_add_nc_u32_e32 v36, v36, v107
	v_mov_b32_dpp v107, v36 row_shr:4 row_mask:0xf bank_mask:0xf
	s_delay_alu instid0(VALU_DEP_1) | instskip(NEXT) | instid1(VALU_DEP_1)
	v_cndmask_b32_e64 v107, 0, v107, s9
	v_add_nc_u32_e32 v36, v36, v107
	s_delay_alu instid0(VALU_DEP_1) | instskip(NEXT) | instid1(VALU_DEP_1)
	v_mov_b32_dpp v107, v36 row_shr:8 row_mask:0xf bank_mask:0xf
	v_cndmask_b32_e64 v107, 0, v107, s10
	s_delay_alu instid0(VALU_DEP_1) | instskip(SKIP_3) | instid1(VALU_DEP_1)
	v_add_nc_u32_e32 v36, v36, v107
	ds_swizzle_b32 v107, v36 offset:swizzle(BROADCAST,32,15)
	s_wait_dscnt 0x0
	v_cndmask_b32_e64 v107, v107, 0, s15
	v_add_nc_u32_e32 v36, v36, v107
	s_and_saveexec_b32 s15, s13
; %bb.70:
	ds_store_b32 v83, v36
; %bb.71:
	s_wait_alu 0xfffe
	s_or_b32 exec_lo, exec_lo, s15
	s_wait_loadcnt_dscnt 0x0
	s_barrier_signal -1
	s_barrier_wait -1
	global_inv scope:SCOPE_SE
	s_and_saveexec_b32 s13, s12
	s_cbranch_execz .LBB240_73
; %bb.72:
	ds_load_b32 v83, v82
	s_wait_dscnt 0x0
	v_mov_b32_dpp v107, v83 row_shr:1 row_mask:0xf bank_mask:0xf
	s_delay_alu instid0(VALU_DEP_1) | instskip(NEXT) | instid1(VALU_DEP_1)
	v_cndmask_b32_e64 v107, v107, 0, vcc_lo
	v_add_nc_u32_e32 v83, v107, v83
	s_delay_alu instid0(VALU_DEP_1) | instskip(NEXT) | instid1(VALU_DEP_1)
	v_mov_b32_dpp v107, v83 row_shr:2 row_mask:0xf bank_mask:0xf
	v_cndmask_b32_e64 v107, 0, v107, s8
	s_delay_alu instid0(VALU_DEP_1) | instskip(NEXT) | instid1(VALU_DEP_1)
	v_add_nc_u32_e32 v83, v83, v107
	v_mov_b32_dpp v107, v83 row_shr:4 row_mask:0xf bank_mask:0xf
	s_delay_alu instid0(VALU_DEP_1) | instskip(NEXT) | instid1(VALU_DEP_1)
	v_cndmask_b32_e64 v107, 0, v107, s9
	v_add_nc_u32_e32 v83, v83, v107
	s_delay_alu instid0(VALU_DEP_1) | instskip(NEXT) | instid1(VALU_DEP_1)
	v_mov_b32_dpp v107, v83 row_shr:8 row_mask:0xf bank_mask:0xf
	v_cndmask_b32_e64 v107, 0, v107, s10
	s_delay_alu instid0(VALU_DEP_1)
	v_add_nc_u32_e32 v83, v83, v107
	ds_store_b32 v82, v83
.LBB240_73:
	s_wait_alu 0xfffe
	s_or_b32 exec_lo, exec_lo, s13
	v_mov_b32_e32 v82, 0
	s_wait_loadcnt_dscnt 0x0
	s_barrier_signal -1
	s_barrier_wait -1
	global_inv scope:SCOPE_SE
	s_and_saveexec_b32 s8, s14
; %bb.74:
	ds_load_b32 v82, v84
; %bb.75:
	s_wait_alu 0xfffe
	s_or_b32 exec_lo, exec_lo, s8
	s_wait_dscnt 0x0
	v_add_nc_u32_e32 v36, v82, v36
	ds_bpermute_b32 v36, v85, v36
	s_wait_dscnt 0x0
	v_cndmask_b32_e64 v36, v36, v82, s11
	s_delay_alu instid0(VALU_DEP_1) | instskip(NEXT) | instid1(VALU_DEP_1)
	v_cndmask_b32_e64 v36, v36, 0, s16
	v_add_nc_u32_e32 v37, v36, v37
	s_delay_alu instid0(VALU_DEP_1) | instskip(NEXT) | instid1(VALU_DEP_1)
	v_add_nc_u32_e32 v38, v37, v38
	v_add_nc_u32_e32 v39, v38, v39
	s_delay_alu instid0(VALU_DEP_1) | instskip(NEXT) | instid1(VALU_DEP_1)
	v_add_nc_u32_e32 v82, v39, v40
	;; [unrolled: 3-line block ×3, first 2 shown]
	v_add_nc_u32_e32 v85, v84, v35
	ds_store_b128 v67, v[36:39] offset:64
	ds_store_b128 v67, v[82:85] offset:80
	s_wait_loadcnt_dscnt 0x0
	s_barrier_signal -1
	s_barrier_wait -1
	global_inv scope:SCOPE_SE
	ds_load_b32 v33, v106 offset:64
	ds_load_b32 v34, v104 offset:64
	ds_load_b32 v35, v101 offset:64
	ds_load_b32 v36, v86 offset:64
	ds_load_b32 v37, v89 offset:64
	ds_load_b32 v38, v92 offset:64
	ds_load_b32 v39, v95 offset:64
	ds_load_b32 v40, v98 offset:64
	v_lshlrev_b32_e32 v82, 1, v66
	s_wait_loadcnt_dscnt 0x0
	s_barrier_signal -1
	s_barrier_wait -1
	global_inv scope:SCOPE_SE
	v_mad_u32_u24 v83, v46, 48, v82
	v_add3_u32 v84, v105, v0, v33
	v_add3_u32 v85, v103, v102, v34
	;; [unrolled: 1-line block ×3, first 2 shown]
	v_add_nc_u32_e32 v81, v36, v81
	v_add3_u32 v87, v88, v87, v37
	v_add3_u32 v88, v91, v90, v38
	;; [unrolled: 1-line block ×4, first 2 shown]
	v_lshlrev_b32_e32 v0, 1, v81
	v_lshlrev_b32_e32 v33, 1, v87
	;; [unrolled: 1-line block ×8, first 2 shown]
	ds_store_b16 v0, v74
	ds_store_b16 v33, v75
	;; [unrolled: 1-line block ×8, first 2 shown]
	v_mad_co_u64_u32 v[73:74], null, v81, 6, v[0:1]
	v_mad_co_u64_u32 v[74:75], null, v87, 6, v[33:34]
	;; [unrolled: 1-line block ×4, first 2 shown]
	s_wait_loadcnt_dscnt 0x0
	s_barrier_signal -1
	s_barrier_wait -1
	global_inv scope:SCOPE_SE
	v_mad_co_u64_u32 v[77:78], null, v40, 6, v[36:37]
	ds_load_b128 v[33:36], v82
	v_mad_co_u64_u32 v[78:79], null, v86, 6, v[37:38]
	v_mad_co_u64_u32 v[37:38], null, v85, 6, v[38:39]
	;; [unrolled: 1-line block ×3, first 2 shown]
	s_wait_loadcnt_dscnt 0x0
	s_barrier_signal -1
	s_barrier_wait -1
	global_inv scope:SCOPE_SE
	ds_store_b64 v73, v[21:22]
	ds_store_b64 v74, v[23:24]
	;; [unrolled: 1-line block ×8, first 2 shown]
	s_wait_loadcnt_dscnt 0x0
	s_barrier_signal -1
	s_barrier_wait -1
	global_inv scope:SCOPE_SE
	ds_load_b128 v[29:32], v83
	ds_load_b128 v[25:28], v83 offset:16
	ds_load_b128 v[21:24], v83 offset:32
	ds_load_b128 v[17:20], v83 offset:48
	v_cmp_lt_i16_e32 vcc_lo, -1, v33
	v_lshrrev_b32_e32 v0, 16, v33
	v_lshrrev_b32_e32 v38, 16, v34
	;; [unrolled: 1-line block ×4, first 2 shown]
	s_wait_alu 0xfffd
	v_cndmask_b32_e64 v37, 0xffff8000, -1, vcc_lo
	v_cmp_lt_i16_e32 vcc_lo, -1, v34
	s_wait_alu 0xfffd
	v_cndmask_b32_e64 v39, 0xffff8000, -1, vcc_lo
	v_cmp_lt_i16_e32 vcc_lo, -1, v35
	;; [unrolled: 3-line block ×5, first 2 shown]
	s_delay_alu instid0(VALU_DEP_2) | instskip(SKIP_3) | instid1(VALU_DEP_3)
	v_perm_b32 v0, v0, v37, 0x5040100
	s_wait_alu 0xfffd
	v_cndmask_b32_e64 v38, 0xffff8000, -1, vcc_lo
	v_cmp_lt_i16_e32 vcc_lo, -1, v40
	v_xor_b32_e32 v0, v0, v33
	s_delay_alu instid0(VALU_DEP_3) | instskip(SKIP_3) | instid1(VALU_DEP_3)
	v_perm_b32 v37, v38, v39, 0x5040100
	s_wait_alu 0xfffd
	v_cndmask_b32_e64 v40, 0xffff8000, -1, vcc_lo
	v_cmp_lt_i16_e32 vcc_lo, -1, v74
	v_xor_b32_e32 v34, v37, v34
	s_delay_alu instid0(VALU_DEP_3) | instskip(SKIP_2) | instid1(VALU_DEP_2)
	v_perm_b32 v38, v40, v73, 0x5040100
	s_wait_alu 0xfffd
	v_cndmask_b32_e64 v74, 0xffff8000, -1, vcc_lo
	v_xor_b32_e32 v33, v38, v35
	s_delay_alu instid0(VALU_DEP_2) | instskip(NEXT) | instid1(VALU_DEP_1)
	v_perm_b32 v39, v74, v75, 0x5040100
	v_xor_b32_e32 v35, v39, v36
	s_branch .LBB240_128
.LBB240_76:
	v_lshlrev_b64_e32 v[1:2], 3, v[41:42]
	v_dual_mov_b32 v43, v42 :: v_dual_mov_b32 v10, v42
	v_dual_mov_b32 v9, v42 :: v_dual_mov_b32 v12, v42
	v_mov_b32_e32 v11, v42
	s_wait_alu 0xfffe
	s_delay_alu instid0(VALU_DEP_4)
	v_add_co_u32 v1, vcc_lo, s24, v1
	s_wait_alu 0xfffd
	v_add_co_ci_u32_e64 v2, null, s25, v2, vcc_lo
	v_dual_mov_b32 v3, v42 :: v_dual_mov_b32 v6, v42
	v_dual_mov_b32 v5, v42 :: v_dual_mov_b32 v8, v42
	global_load_b64 v[13:14], v[1:2], off
	v_dual_mov_b32 v1, v42 :: v_dual_mov_b32 v4, v42
	v_dual_mov_b32 v2, v42 :: v_dual_mov_b32 v7, v42
	s_or_b32 exec_lo, exec_lo, s9
	s_and_saveexec_b32 s9, s1
	s_cbranch_execz .LBB240_22
.LBB240_77:
	v_mul_lo_u32 v22, s28, v15
	v_mov_b32_e32 v23, 0
	s_delay_alu instid0(VALU_DEP_1) | instskip(NEXT) | instid1(VALU_DEP_1)
	v_lshlrev_b64_e32 v[22:23], 3, v[22:23]
	v_add_co_u32 v22, vcc_lo, s24, v22
	s_wait_alu 0xfffd
	s_delay_alu instid0(VALU_DEP_2)
	v_add_co_ci_u32_e64 v23, null, s25, v23, vcc_lo
	global_load_b64 v[42:43], v[22:23], off
	s_wait_alu 0xfffe
	s_or_b32 exec_lo, exec_lo, s9
	s_and_saveexec_b32 s9, s2
	s_cbranch_execz .LBB240_23
.LBB240_78:
	v_mul_lo_u32 v9, s28, v16
	v_mov_b32_e32 v10, 0
	s_delay_alu instid0(VALU_DEP_1) | instskip(NEXT) | instid1(VALU_DEP_1)
	v_lshlrev_b64_e32 v[9:10], 3, v[9:10]
	v_add_co_u32 v9, vcc_lo, s24, v9
	s_wait_alu 0xfffd
	s_delay_alu instid0(VALU_DEP_2)
	v_add_co_ci_u32_e64 v10, null, s25, v10, vcc_lo
	global_load_b64 v[9:10], v[9:10], off
	s_wait_alu 0xfffe
	s_or_b32 exec_lo, exec_lo, s9
	s_and_saveexec_b32 s9, s3
	s_cbranch_execz .LBB240_24
.LBB240_79:
	v_mul_lo_u32 v11, s28, v17
	v_mov_b32_e32 v12, 0
	s_delay_alu instid0(VALU_DEP_1) | instskip(NEXT) | instid1(VALU_DEP_1)
	v_lshlrev_b64_e32 v[11:12], 3, v[11:12]
	v_add_co_u32 v11, vcc_lo, s24, v11
	s_wait_alu 0xfffd
	s_delay_alu instid0(VALU_DEP_2)
	v_add_co_ci_u32_e64 v12, null, s25, v12, vcc_lo
	global_load_b64 v[11:12], v[11:12], off
	s_wait_alu 0xfffe
	s_or_b32 exec_lo, exec_lo, s9
	s_and_saveexec_b32 s9, s4
	s_cbranch_execz .LBB240_25
.LBB240_80:
	v_mul_lo_u32 v1, s28, v18
	v_mov_b32_e32 v2, 0
	s_delay_alu instid0(VALU_DEP_1) | instskip(NEXT) | instid1(VALU_DEP_1)
	v_lshlrev_b64_e32 v[1:2], 3, v[1:2]
	v_add_co_u32 v1, vcc_lo, s24, v1
	s_wait_alu 0xfffd
	s_delay_alu instid0(VALU_DEP_2)
	v_add_co_ci_u32_e64 v2, null, s25, v2, vcc_lo
	global_load_b64 v[1:2], v[1:2], off
	s_wait_alu 0xfffe
	s_or_b32 exec_lo, exec_lo, s9
	s_and_saveexec_b32 s9, s5
	s_cbranch_execz .LBB240_26
.LBB240_81:
	v_mul_lo_u32 v3, s28, v19
	v_mov_b32_e32 v4, 0
	s_delay_alu instid0(VALU_DEP_1) | instskip(NEXT) | instid1(VALU_DEP_1)
	v_lshlrev_b64_e32 v[3:4], 3, v[3:4]
	v_add_co_u32 v3, vcc_lo, s24, v3
	s_wait_alu 0xfffd
	s_delay_alu instid0(VALU_DEP_2)
	v_add_co_ci_u32_e64 v4, null, s25, v4, vcc_lo
	global_load_b64 v[3:4], v[3:4], off
	s_wait_alu 0xfffe
	s_or_b32 exec_lo, exec_lo, s9
	s_and_saveexec_b32 s9, s6
	s_cbranch_execnz .LBB240_27
	s_branch .LBB240_28
.LBB240_82:
                                        ; implicit-def: $vgpr19_vgpr20
                                        ; implicit-def: $vgpr23_vgpr24
                                        ; implicit-def: $vgpr27_vgpr28
                                        ; implicit-def: $vgpr31_vgpr32
                                        ; implicit-def: $vgpr35
                                        ; implicit-def: $vgpr33
                                        ; implicit-def: $vgpr34
                                        ; implicit-def: $vgpr0
	s_cbranch_execz .LBB240_128
; %bb.83:
	v_lshrrev_b32_e32 v0, 16, v49
	v_cmp_gt_i16_e32 vcc_lo, 0, v49
	s_wait_dscnt 0x0
	v_lshrrev_b32_e32 v17, 16, v50
	v_lshrrev_b32_e32 v18, 16, v47
	;; [unrolled: 1-line block ×3, first 2 shown]
	v_or_b32_e32 v21, v69, v70
	s_wait_alu 0xfffd
	v_cndmask_b32_e64 v20, 0x7fff, 0, vcc_lo
	v_cmp_gt_i16_e32 vcc_lo, 0, v0
	v_and_or_b32 v36, 0x1f00, v66, v69
	s_mov_b32 s12, 0
	s_getpc_b64 s[8:9]
	s_wait_alu 0xfffe
	s_sext_i32_i16 s9, s9
	s_add_co_u32 s8, s8, _ZN7rocprim17ROCPRIM_400000_NS16block_radix_sortI12hip_bfloat16Lj512ELj8ElLj1ELj1ELj0ELNS0_26block_radix_rank_algorithmE1ELNS0_18block_padding_hintE2ELNS0_4arch9wavefront6targetE0EE19radix_bits_per_passE@rel32@lo+12
	s_wait_alu 0xfffe
	s_add_co_ci_u32 s9, s9, _ZN7rocprim17ROCPRIM_400000_NS16block_radix_sortI12hip_bfloat16Lj512ELj8ElLj1ELj1ELj0ELNS0_26block_radix_rank_algorithmE1ELNS0_18block_padding_hintE2ELNS0_4arch9wavefront6targetE0EE19radix_bits_per_passE@rel32@hi+24
	s_mov_b32 s13, s12
	s_wait_alu 0xfffd
	v_cndmask_b32_e64 v0, 0x7fff, 0, vcc_lo
	v_cmp_gt_i16_e32 vcc_lo, 0, v50
	s_mov_b32 s14, s12
	s_mov_b32 s15, s12
	v_lshlrev_b32_e32 v25, 1, v36
	v_perm_b32 v0, v0, v20, 0x5040100
	s_wait_alu 0xfffd
	v_cndmask_b32_e64 v22, 0x7fff, 0, vcc_lo
	v_cmp_gt_i16_e32 vcc_lo, 0, v17
	s_load_b32 s17, s[8:9], 0x0
	v_cndmask_b32_e64 v17, 0x7fff, 0, vcc_lo
	v_cmp_gt_i16_e32 vcc_lo, 0, v47
	s_delay_alu instid0(VALU_DEP_2)
	v_perm_b32 v20, v17, v22, 0x5040100
	s_wait_alu 0xfffd
	v_cndmask_b32_e64 v23, 0x7fff, 0, vcc_lo
	v_cmp_gt_i16_e32 vcc_lo, 0, v18
	v_xor_b32_e32 v17, v0, v49
	s_wait_alu 0xfffd
	v_cndmask_b32_e64 v18, 0x7fff, 0, vcc_lo
	v_cmp_gt_i16_e32 vcc_lo, 0, v48
	s_wait_kmcnt 0x0
	s_min_u32 s8, s17, 16
	s_delay_alu instid0(VALU_DEP_2)
	v_perm_b32 v22, v18, v23, 0x5040100
	s_wait_alu 0xfffd
	v_cndmask_b32_e64 v24, 0x7fff, 0, vcc_lo
	v_cmp_gt_i16_e32 vcc_lo, 0, v19
	v_lshlrev_b32_e32 v23, 4, v21
	v_xor_b32_e32 v18, v20, v50
	s_wait_alu 0xfffe
	s_lshl_b32 s8, -1, s8
	s_wait_alu 0xfffd
	v_cndmask_b32_e64 v19, 0x7fff, 0, vcc_lo
	s_wait_alu 0xfffe
	s_not_b32 s9, s8
	s_delay_alu instid0(VALU_DEP_1) | instskip(SKIP_1) | instid1(VALU_DEP_2)
	v_perm_b32 v24, v19, v24, 0x5040100
	v_xor_b32_e32 v19, v22, v47
	v_xor_b32_e32 v20, v24, v48
	ds_store_b128 v23, v[17:20]
	; wave barrier
	ds_load_u16 v26, v25
	ds_load_u16 v27, v25 offset:64
	ds_load_u16 v28, v25 offset:128
	;; [unrolled: 1-line block ×7, first 2 shown]
	s_wait_loadcnt_dscnt 0x0
	s_barrier_signal -1
	s_barrier_wait -1
	global_inv scope:SCOPE_SE
	v_cmp_ne_u16_e32 vcc_lo, 0x8000, v26
	s_wait_alu 0xfffd
	v_cndmask_b32_e32 v0, 0x7fff, v26, vcc_lo
	v_mad_u32_u24 v17, v21, 48, v23
	ds_store_b128 v17, v[13:16]
	ds_store_b128 v17, v[9:12] offset:16
	v_and_b32_e32 v0, 0xffff, v0
	ds_store_b128 v17, v[5:8] offset:32
	ds_store_b128 v17, v[1:4] offset:48
	v_mad_u32_u24 v12, v36, 6, v25
	; wave barrier
	s_wait_alu 0xfffe
	v_and_b32_e32 v23, s9, v0
	ds_load_2addr_b64 v[8:11], v12 offset1:32
	ds_load_2addr_b64 v[0:3], v12 offset0:64 offset1:96
	v_and_b32_e32 v4, 1, v23
	v_lshlrev_b32_e32 v18, 30, v23
	v_lshlrev_b32_e32 v19, 29, v23
	;; [unrolled: 1-line block ×3, first 2 shown]
	s_delay_alu instid0(VALU_DEP_4)
	v_add_co_u32 v16, s8, v4, -1
	s_wait_alu 0xf1ff
	v_cndmask_b32_e64 v17, 0, 1, s8
	ds_load_2addr_b64 v[4:7], v12 offset0:128 offset1:160
	ds_load_2addr_b64 v[12:15], v12 offset0:192 offset1:224
	s_wait_loadcnt_dscnt 0x0
	s_barrier_signal -1
	v_cmp_ne_u32_e32 vcc_lo, 0, v17
	v_not_b32_e32 v17, v18
	s_barrier_wait -1
	global_inv scope:SCOPE_SE
	s_load_b32 s8, s[34:35], 0xc
	v_xor_b32_e32 v16, vcc_lo, v16
	v_cmp_gt_i32_e32 vcc_lo, 0, v18
	v_ashrrev_i32_e32 v17, 31, v17
	v_not_b32_e32 v18, v19
	s_delay_alu instid0(VALU_DEP_4) | instskip(SKIP_1) | instid1(VALU_DEP_3)
	v_and_b32_e32 v16, exec_lo, v16
	s_wait_alu 0xfffd
	v_xor_b32_e32 v17, vcc_lo, v17
	v_cmp_gt_i32_e32 vcc_lo, 0, v19
	v_ashrrev_i32_e32 v18, 31, v18
	v_not_b32_e32 v19, v20
	s_delay_alu instid0(VALU_DEP_4)
	v_and_b32_e32 v16, v16, v17
	v_lshlrev_b32_e32 v17, 27, v23
	s_wait_alu 0xfffd
	v_xor_b32_e32 v18, vcc_lo, v18
	v_cmp_gt_i32_e32 vcc_lo, 0, v20
	v_ashrrev_i32_e32 v19, 31, v19
	v_not_b32_e32 v20, v17
	s_delay_alu instid0(VALU_DEP_4)
	v_and_b32_e32 v16, v16, v18
	v_lshlrev_b32_e32 v18, 26, v23
	s_wait_alu 0xfffd
	v_xor_b32_e32 v19, vcc_lo, v19
	v_cmp_gt_i32_e32 vcc_lo, 0, v17
	v_ashrrev_i32_e32 v17, 31, v20
	s_wait_kmcnt 0x0
	s_lshr_b32 s10, s8, 16
	v_not_b32_e32 v20, v18
	v_and_b32_e32 v16, v16, v19
	v_lshlrev_b32_e32 v19, 25, v23
	s_wait_alu 0xfffd
	v_xor_b32_e32 v17, vcc_lo, v17
	v_cmp_gt_i32_e32 vcc_lo, 0, v18
	v_ashrrev_i32_e32 v18, 31, v20
	v_mad_u32_u24 v21, v72, s10, v71
	v_not_b32_e32 v20, v19
	v_and_b32_e32 v16, v16, v17
	v_lshlrev_b32_e32 v17, 24, v23
	s_wait_alu 0xfffd
	v_xor_b32_e32 v18, vcc_lo, v18
	v_cmp_gt_i32_e32 vcc_lo, 0, v19
	v_ashrrev_i32_e32 v19, 31, v20
	s_and_b32 s8, s8, 0xffff
	v_not_b32_e32 v20, v17
	v_and_b32_e32 v16, v16, v18
	s_wait_alu 0xfffe
	v_mad_co_u64_u32 v[21:22], null, v21, s8, v[46:47]
	s_wait_alu 0xfffd
	v_xor_b32_e32 v18, vcc_lo, v19
	v_cmp_gt_i32_e32 vcc_lo, 0, v17
	v_ashrrev_i32_e32 v17, 31, v20
	s_delay_alu instid0(VALU_DEP_3) | instskip(SKIP_2) | instid1(VALU_DEP_3)
	v_and_b32_e32 v16, v16, v18
	v_lshrrev_b32_e32 v21, 5, v21
	s_wait_alu 0xfffd
	v_xor_b32_e32 v22, vcc_lo, v17
	v_dual_mov_b32 v20, s15 :: v_dual_mov_b32 v19, s14
	v_dual_mov_b32 v18, s13 :: v_dual_mov_b32 v17, s12
	s_delay_alu instid0(VALU_DEP_3)
	v_and_b32_e32 v16, v16, v22
	ds_store_b128 v67, v[17:20] offset:64
	ds_store_b128 v67, v[17:20] offset:80
	v_mbcnt_lo_u32_b32 v38, v16, 0
	v_lshlrev_b32_e32 v24, 2, v21
	v_lshlrev_b32_e32 v17, 6, v23
	v_cmp_ne_u32_e64 s8, 0, v16
	s_wait_loadcnt_dscnt 0x0
	v_cmp_eq_u32_e32 vcc_lo, 0, v38
	s_barrier_signal -1
	v_add_nc_u32_e32 v39, v24, v17
	s_barrier_wait -1
	global_inv scope:SCOPE_SE
	s_and_b32 s10, s8, vcc_lo
	; wave barrier
	s_wait_alu 0xfffe
	s_and_saveexec_b32 s8, s10
; %bb.84:
	v_bcnt_u32_b32 v16, v16, 0
	ds_store_b32 v39, v16 offset:64
; %bb.85:
	s_wait_alu 0xfffe
	s_or_b32 exec_lo, exec_lo, s8
	v_cmp_ne_u16_e32 vcc_lo, 0x8000, v27
	; wave barrier
	s_wait_alu 0xfffd
	v_cndmask_b32_e32 v16, 0x7fff, v27, vcc_lo
	s_delay_alu instid0(VALU_DEP_1) | instskip(NEXT) | instid1(VALU_DEP_1)
	v_and_b32_e32 v16, 0xffff, v16
	v_and_b32_e32 v16, s9, v16
	s_delay_alu instid0(VALU_DEP_1)
	v_and_b32_e32 v17, 1, v16
	v_lshlrev_b32_e32 v18, 30, v16
	v_lshlrev_b32_e32 v19, 29, v16
	;; [unrolled: 1-line block ×4, first 2 shown]
	v_add_co_u32 v17, s8, v17, -1
	s_wait_alu 0xf1ff
	v_cndmask_b32_e64 v21, 0, 1, s8
	v_not_b32_e32 v35, v18
	v_cmp_gt_i32_e64 s8, 0, v18
	v_not_b32_e32 v18, v19
	v_lshlrev_b32_e32 v23, 26, v16
	v_cmp_ne_u32_e32 vcc_lo, 0, v21
	v_ashrrev_i32_e32 v35, 31, v35
	v_lshlrev_b32_e32 v34, 25, v16
	v_ashrrev_i32_e32 v18, 31, v18
	v_lshlrev_b32_e32 v21, 24, v16
	s_wait_alu 0xfffd
	v_xor_b32_e32 v17, vcc_lo, v17
	v_cmp_gt_i32_e32 vcc_lo, 0, v19
	v_not_b32_e32 v19, v20
	s_wait_alu 0xf1ff
	v_xor_b32_e32 v35, s8, v35
	v_cmp_gt_i32_e64 s8, 0, v20
	v_and_b32_e32 v17, exec_lo, v17
	v_not_b32_e32 v20, v22
	v_ashrrev_i32_e32 v19, 31, v19
	s_wait_alu 0xfffd
	v_xor_b32_e32 v18, vcc_lo, v18
	v_cmp_gt_i32_e32 vcc_lo, 0, v22
	v_and_b32_e32 v17, v17, v35
	v_not_b32_e32 v22, v23
	v_ashrrev_i32_e32 v20, 31, v20
	s_wait_alu 0xf1ff
	v_xor_b32_e32 v19, s8, v19
	v_cmp_gt_i32_e64 s8, 0, v23
	v_and_b32_e32 v17, v17, v18
	v_not_b32_e32 v18, v34
	v_ashrrev_i32_e32 v22, 31, v22
	s_wait_alu 0xfffd
	v_xor_b32_e32 v20, vcc_lo, v20
	v_cmp_gt_i32_e32 vcc_lo, 0, v34
	v_and_b32_e32 v17, v17, v19
	v_not_b32_e32 v19, v21
	v_ashrrev_i32_e32 v18, 31, v18
	s_wait_alu 0xf1ff
	v_xor_b32_e32 v22, s8, v22
	v_lshlrev_b32_e32 v16, 6, v16
	v_and_b32_e32 v17, v17, v20
	v_cmp_gt_i32_e64 s8, 0, v21
	v_ashrrev_i32_e32 v19, 31, v19
	s_wait_alu 0xfffd
	v_xor_b32_e32 v18, vcc_lo, v18
	v_add_nc_u32_e32 v48, v24, v16
	v_and_b32_e32 v17, v17, v22
	s_wait_alu 0xf1ff
	v_xor_b32_e32 v16, s8, v19
	ds_load_b32 v40, v48 offset:64
	v_and_b32_e32 v17, v17, v18
	; wave barrier
	s_delay_alu instid0(VALU_DEP_1) | instskip(NEXT) | instid1(VALU_DEP_1)
	v_and_b32_e32 v16, v17, v16
	v_mbcnt_lo_u32_b32 v47, v16, 0
	v_cmp_ne_u32_e64 s8, 0, v16
	s_delay_alu instid0(VALU_DEP_2)
	v_cmp_eq_u32_e32 vcc_lo, 0, v47
	s_and_b32 s10, s8, vcc_lo
	s_wait_alu 0xfffe
	s_and_saveexec_b32 s8, s10
	s_cbranch_execz .LBB240_87
; %bb.86:
	s_wait_dscnt 0x0
	v_bcnt_u32_b32 v16, v16, v40
	ds_store_b32 v48, v16 offset:64
.LBB240_87:
	s_wait_alu 0xfffe
	s_or_b32 exec_lo, exec_lo, s8
	v_cmp_ne_u16_e32 vcc_lo, 0x8000, v28
	; wave barrier
	s_wait_alu 0xfffd
	v_cndmask_b32_e32 v16, 0x7fff, v28, vcc_lo
	s_delay_alu instid0(VALU_DEP_1) | instskip(NEXT) | instid1(VALU_DEP_1)
	v_and_b32_e32 v16, 0xffff, v16
	v_and_b32_e32 v16, s9, v16
	s_delay_alu instid0(VALU_DEP_1)
	v_and_b32_e32 v17, 1, v16
	v_lshlrev_b32_e32 v18, 30, v16
	v_lshlrev_b32_e32 v19, 29, v16
	;; [unrolled: 1-line block ×4, first 2 shown]
	v_add_co_u32 v17, s8, v17, -1
	s_wait_alu 0xf1ff
	v_cndmask_b32_e64 v21, 0, 1, s8
	v_not_b32_e32 v35, v18
	v_cmp_gt_i32_e64 s8, 0, v18
	v_not_b32_e32 v18, v19
	v_lshlrev_b32_e32 v23, 26, v16
	v_cmp_ne_u32_e32 vcc_lo, 0, v21
	v_ashrrev_i32_e32 v35, 31, v35
	v_lshlrev_b32_e32 v34, 25, v16
	v_ashrrev_i32_e32 v18, 31, v18
	v_lshlrev_b32_e32 v21, 24, v16
	s_wait_alu 0xfffd
	v_xor_b32_e32 v17, vcc_lo, v17
	v_cmp_gt_i32_e32 vcc_lo, 0, v19
	v_not_b32_e32 v19, v20
	s_wait_alu 0xf1ff
	v_xor_b32_e32 v35, s8, v35
	v_cmp_gt_i32_e64 s8, 0, v20
	v_and_b32_e32 v17, exec_lo, v17
	v_not_b32_e32 v20, v22
	v_ashrrev_i32_e32 v19, 31, v19
	s_wait_alu 0xfffd
	v_xor_b32_e32 v18, vcc_lo, v18
	v_cmp_gt_i32_e32 vcc_lo, 0, v22
	v_and_b32_e32 v17, v17, v35
	v_not_b32_e32 v22, v23
	v_ashrrev_i32_e32 v20, 31, v20
	s_wait_alu 0xf1ff
	v_xor_b32_e32 v19, s8, v19
	v_cmp_gt_i32_e64 s8, 0, v23
	v_and_b32_e32 v17, v17, v18
	v_not_b32_e32 v18, v34
	v_ashrrev_i32_e32 v22, 31, v22
	s_wait_alu 0xfffd
	v_xor_b32_e32 v20, vcc_lo, v20
	v_cmp_gt_i32_e32 vcc_lo, 0, v34
	v_and_b32_e32 v17, v17, v19
	v_not_b32_e32 v19, v21
	v_ashrrev_i32_e32 v18, 31, v18
	s_wait_alu 0xf1ff
	v_xor_b32_e32 v22, s8, v22
	v_lshlrev_b32_e32 v16, 6, v16
	v_and_b32_e32 v17, v17, v20
	v_cmp_gt_i32_e64 s8, 0, v21
	v_ashrrev_i32_e32 v19, 31, v19
	s_wait_alu 0xfffd
	v_xor_b32_e32 v18, vcc_lo, v18
	v_add_nc_u32_e32 v71, v24, v16
	v_and_b32_e32 v17, v17, v22
	s_wait_alu 0xf1ff
	v_xor_b32_e32 v16, s8, v19
	ds_load_b32 v49, v71 offset:64
	v_and_b32_e32 v17, v17, v18
	; wave barrier
	s_delay_alu instid0(VALU_DEP_1) | instskip(NEXT) | instid1(VALU_DEP_1)
	v_and_b32_e32 v16, v17, v16
	v_mbcnt_lo_u32_b32 v50, v16, 0
	v_cmp_ne_u32_e64 s8, 0, v16
	s_delay_alu instid0(VALU_DEP_2)
	v_cmp_eq_u32_e32 vcc_lo, 0, v50
	s_and_b32 s10, s8, vcc_lo
	s_wait_alu 0xfffe
	s_and_saveexec_b32 s8, s10
	s_cbranch_execz .LBB240_89
; %bb.88:
	s_wait_dscnt 0x0
	v_bcnt_u32_b32 v16, v16, v49
	ds_store_b32 v71, v16 offset:64
.LBB240_89:
	s_wait_alu 0xfffe
	s_or_b32 exec_lo, exec_lo, s8
	v_cmp_ne_u16_e32 vcc_lo, 0x8000, v29
	; wave barrier
	s_wait_alu 0xfffd
	v_cndmask_b32_e32 v16, 0x7fff, v29, vcc_lo
	s_delay_alu instid0(VALU_DEP_1) | instskip(NEXT) | instid1(VALU_DEP_1)
	v_and_b32_e32 v16, 0xffff, v16
	v_and_b32_e32 v16, s9, v16
	s_delay_alu instid0(VALU_DEP_1)
	v_and_b32_e32 v17, 1, v16
	v_lshlrev_b32_e32 v18, 30, v16
	v_lshlrev_b32_e32 v19, 29, v16
	;; [unrolled: 1-line block ×4, first 2 shown]
	v_add_co_u32 v17, s8, v17, -1
	s_wait_alu 0xf1ff
	v_cndmask_b32_e64 v21, 0, 1, s8
	v_not_b32_e32 v35, v18
	v_cmp_gt_i32_e64 s8, 0, v18
	v_not_b32_e32 v18, v19
	v_lshlrev_b32_e32 v23, 26, v16
	v_cmp_ne_u32_e32 vcc_lo, 0, v21
	v_ashrrev_i32_e32 v35, 31, v35
	v_lshlrev_b32_e32 v34, 25, v16
	v_ashrrev_i32_e32 v18, 31, v18
	v_lshlrev_b32_e32 v21, 24, v16
	s_wait_alu 0xfffd
	v_xor_b32_e32 v17, vcc_lo, v17
	v_cmp_gt_i32_e32 vcc_lo, 0, v19
	v_not_b32_e32 v19, v20
	s_wait_alu 0xf1ff
	v_xor_b32_e32 v35, s8, v35
	v_cmp_gt_i32_e64 s8, 0, v20
	v_and_b32_e32 v17, exec_lo, v17
	v_not_b32_e32 v20, v22
	v_ashrrev_i32_e32 v19, 31, v19
	s_wait_alu 0xfffd
	v_xor_b32_e32 v18, vcc_lo, v18
	v_cmp_gt_i32_e32 vcc_lo, 0, v22
	v_and_b32_e32 v17, v17, v35
	v_not_b32_e32 v22, v23
	v_ashrrev_i32_e32 v20, 31, v20
	s_wait_alu 0xf1ff
	v_xor_b32_e32 v19, s8, v19
	v_cmp_gt_i32_e64 s8, 0, v23
	v_and_b32_e32 v17, v17, v18
	v_not_b32_e32 v18, v34
	v_ashrrev_i32_e32 v22, 31, v22
	s_wait_alu 0xfffd
	v_xor_b32_e32 v20, vcc_lo, v20
	v_cmp_gt_i32_e32 vcc_lo, 0, v34
	v_and_b32_e32 v17, v17, v19
	v_not_b32_e32 v19, v21
	v_ashrrev_i32_e32 v18, 31, v18
	s_wait_alu 0xf1ff
	v_xor_b32_e32 v22, s8, v22
	v_lshlrev_b32_e32 v16, 6, v16
	v_and_b32_e32 v17, v17, v20
	v_cmp_gt_i32_e64 s8, 0, v21
	v_ashrrev_i32_e32 v19, 31, v19
	s_wait_alu 0xfffd
	v_xor_b32_e32 v18, vcc_lo, v18
	v_add_nc_u32_e32 v74, v24, v16
	v_and_b32_e32 v17, v17, v22
	s_wait_alu 0xf1ff
	v_xor_b32_e32 v16, s8, v19
	ds_load_b32 v72, v74 offset:64
	v_and_b32_e32 v17, v17, v18
	; wave barrier
	s_delay_alu instid0(VALU_DEP_1) | instskip(NEXT) | instid1(VALU_DEP_1)
	v_and_b32_e32 v16, v17, v16
	v_mbcnt_lo_u32_b32 v73, v16, 0
	v_cmp_ne_u32_e64 s8, 0, v16
	s_delay_alu instid0(VALU_DEP_2)
	v_cmp_eq_u32_e32 vcc_lo, 0, v73
	s_and_b32 s10, s8, vcc_lo
	s_wait_alu 0xfffe
	s_and_saveexec_b32 s8, s10
	s_cbranch_execz .LBB240_91
; %bb.90:
	s_wait_dscnt 0x0
	v_bcnt_u32_b32 v16, v16, v72
	ds_store_b32 v74, v16 offset:64
.LBB240_91:
	s_wait_alu 0xfffe
	s_or_b32 exec_lo, exec_lo, s8
	v_cmp_ne_u16_e32 vcc_lo, 0x8000, v30
	; wave barrier
	s_wait_alu 0xfffd
	v_cndmask_b32_e32 v16, 0x7fff, v30, vcc_lo
	s_delay_alu instid0(VALU_DEP_1) | instskip(NEXT) | instid1(VALU_DEP_1)
	v_and_b32_e32 v16, 0xffff, v16
	v_and_b32_e32 v16, s9, v16
	s_delay_alu instid0(VALU_DEP_1)
	v_and_b32_e32 v17, 1, v16
	v_lshlrev_b32_e32 v18, 30, v16
	v_lshlrev_b32_e32 v19, 29, v16
	v_lshlrev_b32_e32 v20, 28, v16
	v_lshlrev_b32_e32 v22, 27, v16
	v_add_co_u32 v17, s8, v17, -1
	s_wait_alu 0xf1ff
	v_cndmask_b32_e64 v21, 0, 1, s8
	v_not_b32_e32 v35, v18
	v_cmp_gt_i32_e64 s8, 0, v18
	v_not_b32_e32 v18, v19
	v_lshlrev_b32_e32 v23, 26, v16
	v_cmp_ne_u32_e32 vcc_lo, 0, v21
	v_ashrrev_i32_e32 v35, 31, v35
	v_lshlrev_b32_e32 v34, 25, v16
	v_ashrrev_i32_e32 v18, 31, v18
	v_lshlrev_b32_e32 v21, 24, v16
	s_wait_alu 0xfffd
	v_xor_b32_e32 v17, vcc_lo, v17
	v_cmp_gt_i32_e32 vcc_lo, 0, v19
	v_not_b32_e32 v19, v20
	s_wait_alu 0xf1ff
	v_xor_b32_e32 v35, s8, v35
	v_cmp_gt_i32_e64 s8, 0, v20
	v_and_b32_e32 v17, exec_lo, v17
	v_not_b32_e32 v20, v22
	v_ashrrev_i32_e32 v19, 31, v19
	s_wait_alu 0xfffd
	v_xor_b32_e32 v18, vcc_lo, v18
	v_cmp_gt_i32_e32 vcc_lo, 0, v22
	v_and_b32_e32 v17, v17, v35
	v_not_b32_e32 v22, v23
	v_ashrrev_i32_e32 v20, 31, v20
	s_wait_alu 0xf1ff
	v_xor_b32_e32 v19, s8, v19
	v_cmp_gt_i32_e64 s8, 0, v23
	v_and_b32_e32 v17, v17, v18
	v_not_b32_e32 v18, v34
	v_ashrrev_i32_e32 v22, 31, v22
	s_wait_alu 0xfffd
	v_xor_b32_e32 v20, vcc_lo, v20
	v_cmp_gt_i32_e32 vcc_lo, 0, v34
	v_and_b32_e32 v17, v17, v19
	v_not_b32_e32 v19, v21
	v_ashrrev_i32_e32 v18, 31, v18
	s_wait_alu 0xf1ff
	v_xor_b32_e32 v22, s8, v22
	v_lshlrev_b32_e32 v16, 6, v16
	v_and_b32_e32 v17, v17, v20
	v_cmp_gt_i32_e64 s8, 0, v21
	v_ashrrev_i32_e32 v19, 31, v19
	s_wait_alu 0xfffd
	v_xor_b32_e32 v18, vcc_lo, v18
	v_add_nc_u32_e32 v77, v24, v16
	v_and_b32_e32 v17, v17, v22
	s_wait_alu 0xf1ff
	v_xor_b32_e32 v16, s8, v19
	ds_load_b32 v75, v77 offset:64
	v_and_b32_e32 v17, v17, v18
	; wave barrier
	s_delay_alu instid0(VALU_DEP_1) | instskip(NEXT) | instid1(VALU_DEP_1)
	v_and_b32_e32 v16, v17, v16
	v_mbcnt_lo_u32_b32 v76, v16, 0
	v_cmp_ne_u32_e64 s8, 0, v16
	s_delay_alu instid0(VALU_DEP_2)
	v_cmp_eq_u32_e32 vcc_lo, 0, v76
	s_and_b32 s10, s8, vcc_lo
	s_wait_alu 0xfffe
	s_and_saveexec_b32 s8, s10
	s_cbranch_execz .LBB240_93
; %bb.92:
	s_wait_dscnt 0x0
	v_bcnt_u32_b32 v16, v16, v75
	ds_store_b32 v77, v16 offset:64
.LBB240_93:
	s_wait_alu 0xfffe
	s_or_b32 exec_lo, exec_lo, s8
	v_cmp_ne_u16_e32 vcc_lo, 0x8000, v31
	; wave barrier
	s_wait_alu 0xfffd
	v_cndmask_b32_e32 v16, 0x7fff, v31, vcc_lo
	s_delay_alu instid0(VALU_DEP_1) | instskip(NEXT) | instid1(VALU_DEP_1)
	v_and_b32_e32 v16, 0xffff, v16
	v_and_b32_e32 v16, s9, v16
	s_delay_alu instid0(VALU_DEP_1)
	v_and_b32_e32 v17, 1, v16
	v_lshlrev_b32_e32 v18, 30, v16
	v_lshlrev_b32_e32 v19, 29, v16
	;; [unrolled: 1-line block ×4, first 2 shown]
	v_add_co_u32 v17, s8, v17, -1
	s_wait_alu 0xf1ff
	v_cndmask_b32_e64 v21, 0, 1, s8
	v_not_b32_e32 v35, v18
	v_cmp_gt_i32_e64 s8, 0, v18
	v_not_b32_e32 v18, v19
	v_lshlrev_b32_e32 v23, 26, v16
	v_cmp_ne_u32_e32 vcc_lo, 0, v21
	v_ashrrev_i32_e32 v35, 31, v35
	v_lshlrev_b32_e32 v34, 25, v16
	v_ashrrev_i32_e32 v18, 31, v18
	v_lshlrev_b32_e32 v21, 24, v16
	s_wait_alu 0xfffd
	v_xor_b32_e32 v17, vcc_lo, v17
	v_cmp_gt_i32_e32 vcc_lo, 0, v19
	v_not_b32_e32 v19, v20
	s_wait_alu 0xf1ff
	v_xor_b32_e32 v35, s8, v35
	v_cmp_gt_i32_e64 s8, 0, v20
	v_and_b32_e32 v17, exec_lo, v17
	v_not_b32_e32 v20, v22
	v_ashrrev_i32_e32 v19, 31, v19
	s_wait_alu 0xfffd
	v_xor_b32_e32 v18, vcc_lo, v18
	v_cmp_gt_i32_e32 vcc_lo, 0, v22
	v_and_b32_e32 v17, v17, v35
	v_not_b32_e32 v22, v23
	v_ashrrev_i32_e32 v20, 31, v20
	s_wait_alu 0xf1ff
	v_xor_b32_e32 v19, s8, v19
	v_cmp_gt_i32_e64 s8, 0, v23
	v_and_b32_e32 v17, v17, v18
	v_not_b32_e32 v18, v34
	v_ashrrev_i32_e32 v22, 31, v22
	s_wait_alu 0xfffd
	v_xor_b32_e32 v20, vcc_lo, v20
	v_cmp_gt_i32_e32 vcc_lo, 0, v34
	v_and_b32_e32 v17, v17, v19
	v_not_b32_e32 v19, v21
	v_ashrrev_i32_e32 v18, 31, v18
	s_wait_alu 0xf1ff
	v_xor_b32_e32 v22, s8, v22
	v_lshlrev_b32_e32 v16, 6, v16
	v_and_b32_e32 v17, v17, v20
	v_cmp_gt_i32_e64 s8, 0, v21
	v_ashrrev_i32_e32 v19, 31, v19
	s_wait_alu 0xfffd
	v_xor_b32_e32 v18, vcc_lo, v18
	v_add_nc_u32_e32 v80, v24, v16
	v_and_b32_e32 v17, v17, v22
	s_wait_alu 0xf1ff
	v_xor_b32_e32 v16, s8, v19
	ds_load_b32 v78, v80 offset:64
	v_and_b32_e32 v17, v17, v18
	; wave barrier
	s_delay_alu instid0(VALU_DEP_1) | instskip(NEXT) | instid1(VALU_DEP_1)
	v_and_b32_e32 v16, v17, v16
	v_mbcnt_lo_u32_b32 v79, v16, 0
	v_cmp_ne_u32_e64 s8, 0, v16
	s_delay_alu instid0(VALU_DEP_2)
	v_cmp_eq_u32_e32 vcc_lo, 0, v79
	s_and_b32 s10, s8, vcc_lo
	s_wait_alu 0xfffe
	s_and_saveexec_b32 s8, s10
	s_cbranch_execz .LBB240_95
; %bb.94:
	s_wait_dscnt 0x0
	v_bcnt_u32_b32 v16, v16, v78
	ds_store_b32 v80, v16 offset:64
.LBB240_95:
	s_wait_alu 0xfffe
	s_or_b32 exec_lo, exec_lo, s8
	v_cmp_ne_u16_e32 vcc_lo, 0x8000, v32
	; wave barrier
	s_wait_alu 0xfffd
	v_cndmask_b32_e32 v16, 0x7fff, v32, vcc_lo
	s_delay_alu instid0(VALU_DEP_1) | instskip(NEXT) | instid1(VALU_DEP_1)
	v_and_b32_e32 v16, 0xffff, v16
	v_and_b32_e32 v16, s9, v16
	s_delay_alu instid0(VALU_DEP_1)
	v_and_b32_e32 v17, 1, v16
	v_lshlrev_b32_e32 v18, 30, v16
	v_lshlrev_b32_e32 v19, 29, v16
	;; [unrolled: 1-line block ×4, first 2 shown]
	v_add_co_u32 v17, s8, v17, -1
	s_wait_alu 0xf1ff
	v_cndmask_b32_e64 v21, 0, 1, s8
	v_not_b32_e32 v35, v18
	v_cmp_gt_i32_e64 s8, 0, v18
	v_not_b32_e32 v18, v19
	v_lshlrev_b32_e32 v23, 26, v16
	v_cmp_ne_u32_e32 vcc_lo, 0, v21
	v_ashrrev_i32_e32 v35, 31, v35
	v_lshlrev_b32_e32 v34, 25, v16
	v_ashrrev_i32_e32 v18, 31, v18
	v_lshlrev_b32_e32 v21, 24, v16
	s_wait_alu 0xfffd
	v_xor_b32_e32 v17, vcc_lo, v17
	v_cmp_gt_i32_e32 vcc_lo, 0, v19
	v_not_b32_e32 v19, v20
	s_wait_alu 0xf1ff
	v_xor_b32_e32 v35, s8, v35
	v_cmp_gt_i32_e64 s8, 0, v20
	v_and_b32_e32 v17, exec_lo, v17
	v_not_b32_e32 v20, v22
	v_ashrrev_i32_e32 v19, 31, v19
	s_wait_alu 0xfffd
	v_xor_b32_e32 v18, vcc_lo, v18
	v_cmp_gt_i32_e32 vcc_lo, 0, v22
	v_and_b32_e32 v17, v17, v35
	v_not_b32_e32 v22, v23
	v_ashrrev_i32_e32 v20, 31, v20
	s_wait_alu 0xf1ff
	v_xor_b32_e32 v19, s8, v19
	v_cmp_gt_i32_e64 s8, 0, v23
	v_and_b32_e32 v17, v17, v18
	v_not_b32_e32 v18, v34
	v_ashrrev_i32_e32 v22, 31, v22
	s_wait_alu 0xfffd
	v_xor_b32_e32 v20, vcc_lo, v20
	v_cmp_gt_i32_e32 vcc_lo, 0, v34
	v_and_b32_e32 v17, v17, v19
	v_not_b32_e32 v19, v21
	v_ashrrev_i32_e32 v18, 31, v18
	s_wait_alu 0xf1ff
	v_xor_b32_e32 v22, s8, v22
	v_lshlrev_b32_e32 v16, 6, v16
	v_and_b32_e32 v17, v17, v20
	v_cmp_gt_i32_e64 s8, 0, v21
	v_ashrrev_i32_e32 v19, 31, v19
	s_wait_alu 0xfffd
	v_xor_b32_e32 v18, vcc_lo, v18
	v_add_nc_u32_e32 v83, v24, v16
	v_and_b32_e32 v17, v17, v22
	s_wait_alu 0xf1ff
	v_xor_b32_e32 v16, s8, v19
	ds_load_b32 v81, v83 offset:64
	v_and_b32_e32 v17, v17, v18
	; wave barrier
	s_delay_alu instid0(VALU_DEP_1) | instskip(NEXT) | instid1(VALU_DEP_1)
	v_and_b32_e32 v16, v17, v16
	v_mbcnt_lo_u32_b32 v82, v16, 0
	v_cmp_ne_u32_e64 s8, 0, v16
	s_delay_alu instid0(VALU_DEP_2)
	v_cmp_eq_u32_e32 vcc_lo, 0, v82
	s_and_b32 s10, s8, vcc_lo
	s_wait_alu 0xfffe
	s_and_saveexec_b32 s8, s10
	s_cbranch_execz .LBB240_97
; %bb.96:
	s_wait_dscnt 0x0
	v_bcnt_u32_b32 v16, v16, v81
	ds_store_b32 v83, v16 offset:64
.LBB240_97:
	s_wait_alu 0xfffe
	s_or_b32 exec_lo, exec_lo, s8
	v_cmp_ne_u16_e32 vcc_lo, 0x8000, v33
	; wave barrier
	s_wait_alu 0xfffd
	v_cndmask_b32_e32 v16, 0x7fff, v33, vcc_lo
	s_delay_alu instid0(VALU_DEP_1) | instskip(NEXT) | instid1(VALU_DEP_1)
	v_and_b32_e32 v16, 0xffff, v16
	v_and_b32_e32 v16, s9, v16
	s_delay_alu instid0(VALU_DEP_1)
	v_and_b32_e32 v17, 1, v16
	v_lshlrev_b32_e32 v18, 30, v16
	v_lshlrev_b32_e32 v19, 29, v16
	;; [unrolled: 1-line block ×4, first 2 shown]
	v_add_co_u32 v17, s8, v17, -1
	s_wait_alu 0xf1ff
	v_cndmask_b32_e64 v21, 0, 1, s8
	v_not_b32_e32 v35, v18
	v_cmp_gt_i32_e64 s8, 0, v18
	v_not_b32_e32 v18, v19
	v_lshlrev_b32_e32 v23, 26, v16
	v_cmp_ne_u32_e32 vcc_lo, 0, v21
	v_ashrrev_i32_e32 v35, 31, v35
	v_lshlrev_b32_e32 v34, 25, v16
	v_ashrrev_i32_e32 v18, 31, v18
	v_lshlrev_b32_e32 v21, 24, v16
	s_wait_alu 0xfffd
	v_xor_b32_e32 v17, vcc_lo, v17
	v_cmp_gt_i32_e32 vcc_lo, 0, v19
	v_not_b32_e32 v19, v20
	s_wait_alu 0xf1ff
	v_xor_b32_e32 v35, s8, v35
	v_cmp_gt_i32_e64 s8, 0, v20
	v_and_b32_e32 v17, exec_lo, v17
	v_not_b32_e32 v20, v22
	v_ashrrev_i32_e32 v19, 31, v19
	s_wait_alu 0xfffd
	v_xor_b32_e32 v18, vcc_lo, v18
	v_cmp_gt_i32_e32 vcc_lo, 0, v22
	v_and_b32_e32 v17, v17, v35
	v_not_b32_e32 v22, v23
	v_ashrrev_i32_e32 v20, 31, v20
	s_wait_alu 0xf1ff
	v_xor_b32_e32 v19, s8, v19
	v_cmp_gt_i32_e64 s8, 0, v23
	v_and_b32_e32 v17, v17, v18
	v_not_b32_e32 v18, v34
	v_ashrrev_i32_e32 v22, 31, v22
	s_wait_alu 0xfffd
	v_xor_b32_e32 v20, vcc_lo, v20
	v_cmp_gt_i32_e32 vcc_lo, 0, v34
	v_and_b32_e32 v17, v17, v19
	v_not_b32_e32 v19, v21
	v_ashrrev_i32_e32 v18, 31, v18
	s_wait_alu 0xf1ff
	v_xor_b32_e32 v22, s8, v22
	v_lshlrev_b32_e32 v16, 6, v16
	v_and_b32_e32 v17, v17, v20
	v_cmp_gt_i32_e64 s8, 0, v21
	v_ashrrev_i32_e32 v19, 31, v19
	s_wait_alu 0xfffd
	v_xor_b32_e32 v18, vcc_lo, v18
	v_add_nc_u32_e32 v86, v24, v16
	v_and_b32_e32 v17, v17, v22
	v_min_u32_e32 v34, 0x1e0, v70
	s_wait_alu 0xf1ff
	v_xor_b32_e32 v16, s8, v19
	ds_load_b32 v84, v86 offset:64
	v_and_b32_e32 v17, v17, v18
	; wave barrier
	s_delay_alu instid0(VALU_DEP_1) | instskip(NEXT) | instid1(VALU_DEP_1)
	v_and_b32_e32 v16, v17, v16
	v_mbcnt_lo_u32_b32 v85, v16, 0
	v_cmp_ne_u32_e64 s8, 0, v16
	s_delay_alu instid0(VALU_DEP_2)
	v_cmp_eq_u32_e32 vcc_lo, 0, v85
	s_and_b32 s9, s8, vcc_lo
	s_wait_alu 0xfffe
	s_and_saveexec_b32 s8, s9
	s_cbranch_execz .LBB240_99
; %bb.98:
	s_wait_dscnt 0x0
	v_bcnt_u32_b32 v16, v16, v84
	ds_store_b32 v86, v16 offset:64
.LBB240_99:
	s_wait_alu 0xfffe
	s_or_b32 exec_lo, exec_lo, s8
	; wave barrier
	s_wait_loadcnt_dscnt 0x0
	s_barrier_signal -1
	s_barrier_wait -1
	global_inv scope:SCOPE_SE
	ds_load_b128 v[20:23], v67 offset:64
	ds_load_b128 v[16:19], v67 offset:80
	v_and_b32_e32 v70, 16, v69
	v_or_b32_e32 v34, 31, v34
	s_delay_alu instid0(VALU_DEP_2) | instskip(NEXT) | instid1(VALU_DEP_2)
	v_cmp_eq_u32_e64 s15, 0, v70
	v_cmp_eq_u32_e64 s13, v46, v34
	s_wait_dscnt 0x1
	v_add_nc_u32_e32 v35, v21, v20
	s_delay_alu instid0(VALU_DEP_1) | instskip(SKIP_1) | instid1(VALU_DEP_1)
	v_add3_u32 v35, v35, v22, v23
	s_wait_dscnt 0x0
	v_add3_u32 v35, v35, v16, v17
	s_delay_alu instid0(VALU_DEP_1) | instskip(SKIP_1) | instid1(VALU_DEP_2)
	v_add3_u32 v19, v35, v18, v19
	v_and_b32_e32 v35, 15, v69
	v_mov_b32_dpp v37, v19 row_shr:1 row_mask:0xf bank_mask:0xf
	s_delay_alu instid0(VALU_DEP_2)
	v_cmp_eq_u32_e32 vcc_lo, 0, v35
	v_cmp_lt_u32_e64 s8, 1, v35
	v_cmp_lt_u32_e64 s9, 3, v35
	v_cmp_lt_u32_e64 s10, 7, v35
	s_wait_alu 0xfffd
	v_cndmask_b32_e64 v37, v37, 0, vcc_lo
	s_delay_alu instid0(VALU_DEP_1) | instskip(NEXT) | instid1(VALU_DEP_1)
	v_add_nc_u32_e32 v19, v37, v19
	v_mov_b32_dpp v37, v19 row_shr:2 row_mask:0xf bank_mask:0xf
	s_wait_alu 0xf1ff
	s_delay_alu instid0(VALU_DEP_1) | instskip(NEXT) | instid1(VALU_DEP_1)
	v_cndmask_b32_e64 v37, 0, v37, s8
	v_add_nc_u32_e32 v19, v19, v37
	s_delay_alu instid0(VALU_DEP_1) | instskip(NEXT) | instid1(VALU_DEP_1)
	v_mov_b32_dpp v37, v19 row_shr:4 row_mask:0xf bank_mask:0xf
	v_cndmask_b32_e64 v37, 0, v37, s9
	s_delay_alu instid0(VALU_DEP_1) | instskip(NEXT) | instid1(VALU_DEP_1)
	v_add_nc_u32_e32 v19, v19, v37
	v_mov_b32_dpp v37, v19 row_shr:8 row_mask:0xf bank_mask:0xf
	s_delay_alu instid0(VALU_DEP_1) | instskip(NEXT) | instid1(VALU_DEP_1)
	v_cndmask_b32_e64 v35, 0, v37, s10
	v_add_nc_u32_e32 v37, v19, v35
	v_bfe_i32 v35, v69, 4, 1
	ds_swizzle_b32 v19, v37 offset:swizzle(BROADCAST,32,15)
	s_wait_dscnt 0x0
	v_and_b32_e32 v87, v35, v19
	v_mul_i32_i24_e32 v19, 0xffffffe4, v46
	v_lshlrev_b32_e32 v35, 2, v68
	s_delay_alu instid0(VALU_DEP_3)
	v_add_nc_u32_e32 v37, v37, v87
	s_and_saveexec_b32 s11, s13
; %bb.100:
	ds_store_b32 v35, v37
; %bb.101:
	s_wait_alu 0xfffe
	s_or_b32 exec_lo, exec_lo, s11
	v_cmp_gt_u32_e64 s12, 16, v46
	v_add_nc_u32_e32 v34, v67, v19
	s_wait_loadcnt_dscnt 0x0
	s_barrier_signal -1
	s_barrier_wait -1
	global_inv scope:SCOPE_SE
	s_and_saveexec_b32 s11, s12
	s_cbranch_execz .LBB240_103
; %bb.102:
	ds_load_b32 v19, v34
	s_wait_dscnt 0x0
	v_mov_b32_dpp v68, v19 row_shr:1 row_mask:0xf bank_mask:0xf
	s_delay_alu instid0(VALU_DEP_1) | instskip(NEXT) | instid1(VALU_DEP_1)
	v_cndmask_b32_e64 v68, v68, 0, vcc_lo
	v_add_nc_u32_e32 v19, v68, v19
	s_delay_alu instid0(VALU_DEP_1) | instskip(NEXT) | instid1(VALU_DEP_1)
	v_mov_b32_dpp v68, v19 row_shr:2 row_mask:0xf bank_mask:0xf
	v_cndmask_b32_e64 v68, 0, v68, s8
	s_delay_alu instid0(VALU_DEP_1) | instskip(NEXT) | instid1(VALU_DEP_1)
	v_add_nc_u32_e32 v19, v19, v68
	v_mov_b32_dpp v68, v19 row_shr:4 row_mask:0xf bank_mask:0xf
	s_delay_alu instid0(VALU_DEP_1) | instskip(NEXT) | instid1(VALU_DEP_1)
	v_cndmask_b32_e64 v68, 0, v68, s9
	v_add_nc_u32_e32 v19, v19, v68
	s_delay_alu instid0(VALU_DEP_1) | instskip(NEXT) | instid1(VALU_DEP_1)
	v_mov_b32_dpp v68, v19 row_shr:8 row_mask:0xf bank_mask:0xf
	v_cndmask_b32_e64 v68, 0, v68, s10
	s_delay_alu instid0(VALU_DEP_1)
	v_add_nc_u32_e32 v19, v19, v68
	ds_store_b32 v34, v19
.LBB240_103:
	s_wait_alu 0xfffe
	s_or_b32 exec_lo, exec_lo, s11
	v_mul_u32_u24_e32 v19, 6, v36
	v_sub_co_u32 v68, s11, v69, 1
	v_cmp_lt_u32_e64 s14, 31, v46
	v_add_nc_u32_e32 v36, -4, v35
	v_mov_b32_e32 v70, 0
	s_wait_loadcnt_dscnt 0x0
	s_barrier_signal -1
	s_barrier_wait -1
	global_inv scope:SCOPE_SE
	s_and_saveexec_b32 s16, s14
; %bb.104:
	ds_load_b32 v70, v36
; %bb.105:
	s_or_b32 exec_lo, exec_lo, s16
	v_cmp_gt_i32_e64 s16, 0, v68
	s_mov_b32 s20, 0
	s_min_u32 s17, s17, 8
	s_mov_b32 s21, s20
	s_mov_b32 s22, s20
	v_cndmask_b32_e64 v68, v68, v69, s16
	s_mov_b32 s23, s20
	s_wait_dscnt 0x0
	v_add_nc_u32_e32 v69, v70, v37
	v_cmp_eq_u32_e64 s16, 0, v46
	s_lshl_b32 s17, -1, s17
	v_lshlrev_b32_e32 v37, 2, v68
	s_wait_alu 0xfffe
	s_not_b32 s19, s17
	ds_bpermute_b32 v68, v37, v69
	s_wait_dscnt 0x0
	v_cndmask_b32_e64 v68, v68, v70, s11
	s_delay_alu instid0(VALU_DEP_1) | instskip(NEXT) | instid1(VALU_DEP_1)
	v_cndmask_b32_e64 v87, v68, 0, s16
	v_add_nc_u32_e32 v88, v87, v20
	s_delay_alu instid0(VALU_DEP_1) | instskip(NEXT) | instid1(VALU_DEP_1)
	v_add_nc_u32_e32 v89, v88, v21
	v_add_nc_u32_e32 v90, v89, v22
	s_delay_alu instid0(VALU_DEP_1) | instskip(NEXT) | instid1(VALU_DEP_1)
	v_add_nc_u32_e32 v20, v90, v23
	;; [unrolled: 3-line block ×3, first 2 shown]
	v_add_nc_u32_e32 v23, v22, v18
	ds_store_b128 v67, v[87:90] offset:64
	ds_store_b128 v67, v[20:23] offset:80
	s_wait_loadcnt_dscnt 0x0
	s_barrier_signal -1
	s_barrier_wait -1
	global_inv scope:SCOPE_SE
	ds_load_b32 v16, v39 offset:64
	ds_load_b32 v17, v48 offset:64
	ds_load_b32 v18, v71 offset:64
	ds_load_b32 v20, v74 offset:64
	ds_load_b32 v21, v77 offset:64
	ds_load_b32 v22, v80 offset:64
	ds_load_b32 v23, v83 offset:64
	ds_load_b32 v39, v86 offset:64
	v_add_nc_u32_e32 v48, v25, v19
	s_wait_loadcnt_dscnt 0x0
	s_barrier_signal -1
	s_barrier_wait -1
	global_inv scope:SCOPE_SE
	v_add_nc_u32_e32 v38, v16, v38
	v_add3_u32 v40, v47, v40, v17
	v_add3_u32 v47, v50, v49, v18
	;; [unrolled: 1-line block ×7, first 2 shown]
	v_lshlrev_b32_e32 v16, 1, v38
	v_lshlrev_b32_e32 v17, 1, v40
	;; [unrolled: 1-line block ×8, first 2 shown]
	ds_store_b16 v16, v26
	ds_store_b16 v17, v27
	;; [unrolled: 1-line block ×8, first 2 shown]
	s_wait_loadcnt_dscnt 0x0
	s_barrier_signal -1
	s_barrier_wait -1
	global_inv scope:SCOPE_SE
	ds_load_u16 v26, v25
	ds_load_u16 v27, v25 offset:64
	ds_load_u16 v28, v25 offset:128
	;; [unrolled: 1-line block ×7, first 2 shown]
	v_mad_co_u64_u32 v[38:39], null, v38, 6, v[16:17]
	v_mad_co_u64_u32 v[16:17], null, v40, 6, v[17:18]
	;; [unrolled: 1-line block ×3, first 2 shown]
	s_wait_loadcnt_dscnt 0x0
	s_barrier_signal -1
	s_barrier_wait -1
	global_inv scope:SCOPE_SE
	v_mad_co_u64_u32 v[18:19], null, v49, 6, v[19:20]
	v_lshrrev_b16 v33, 8, v26
	v_cmp_ne_u16_e64 s17, 0x8000, v26
	ds_store_b64 v38, v[8:9]
	v_mad_co_u64_u32 v[19:20], null, v50, 6, v[20:21]
	v_mad_co_u64_u32 v[20:21], null, v68, 6, v[21:22]
	s_wait_alu 0xf1ff
	v_cndmask_b32_e64 v33, 0x7f, v33, s17
	v_mad_co_u64_u32 v[21:22], null, v69, 6, v[22:23]
	v_mad_co_u64_u32 v[22:23], null, v70, 6, v[23:24]
	s_delay_alu instid0(VALU_DEP_3)
	v_and_b32_e32 v8, 0xffff, v33
	ds_store_b64 v16, v[10:11]
	ds_store_b64 v17, v[0:1]
	ds_store_b64 v18, v[2:3]
	ds_store_b64 v19, v[4:5]
	ds_store_b64 v20, v[6:7]
	ds_store_b64 v21, v[12:13]
	ds_store_b64 v22, v[14:15]
	v_and_b32_e32 v23, s19, v8
	s_wait_loadcnt_dscnt 0x0
	s_barrier_signal -1
	s_barrier_wait -1
	global_inv scope:SCOPE_SE
	v_and_b32_e32 v0, 1, v23
	v_lshlrev_b32_e32 v1, 30, v23
	v_lshlrev_b32_e32 v2, 29, v23
	;; [unrolled: 1-line block ×4, first 2 shown]
	v_add_co_u32 v0, s17, v0, -1
	s_wait_alu 0xf1ff
	v_cndmask_b32_e64 v4, 0, 1, s17
	v_not_b32_e32 v8, v1
	v_cmp_gt_i32_e64 s18, 0, v1
	v_not_b32_e32 v1, v2
	v_lshlrev_b32_e32 v6, 26, v23
	v_cmp_ne_u32_e64 s17, 0, v4
	v_ashrrev_i32_e32 v8, 31, v8
	v_lshlrev_b32_e32 v7, 25, v23
	v_ashrrev_i32_e32 v1, 31, v1
	v_lshlrev_b32_e32 v4, 24, v23
	s_wait_alu 0xf1ff
	v_xor_b32_e32 v0, s17, v0
	v_cmp_gt_i32_e64 s17, 0, v2
	v_not_b32_e32 v2, v3
	v_xor_b32_e32 v8, s18, v8
	v_cmp_gt_i32_e64 s18, 0, v3
	v_and_b32_e32 v0, exec_lo, v0
	v_not_b32_e32 v3, v5
	v_ashrrev_i32_e32 v2, 31, v2
	s_wait_alu 0xf1ff
	v_xor_b32_e32 v1, s17, v1
	v_cmp_gt_i32_e64 s17, 0, v5
	v_and_b32_e32 v0, v0, v8
	v_not_b32_e32 v5, v6
	v_ashrrev_i32_e32 v3, 31, v3
	v_xor_b32_e32 v2, s18, v2
	v_cmp_gt_i32_e64 s18, 0, v6
	v_and_b32_e32 v0, v0, v1
	v_not_b32_e32 v1, v7
	v_ashrrev_i32_e32 v5, 31, v5
	s_wait_alu 0xf1ff
	v_xor_b32_e32 v3, s17, v3
	v_cmp_gt_i32_e64 s17, 0, v7
	v_and_b32_e32 v0, v0, v2
	v_not_b32_e32 v2, v4
	v_ashrrev_i32_e32 v1, 31, v1
	v_xor_b32_e32 v5, s18, v5
	v_cmp_gt_i32_e64 s18, 0, v4
	v_and_b32_e32 v0, v0, v3
	v_ashrrev_i32_e32 v2, 31, v2
	s_wait_alu 0xf1ff
	v_xor_b32_e32 v1, s17, v1
	v_dual_mov_b32 v17, s20 :: v_dual_mov_b32 v18, s21
	v_and_b32_e32 v0, v0, v5
	v_xor_b32_e32 v16, s18, v2
	ds_load_2addr_b64 v[4:7], v48 offset1:32
	v_dual_mov_b32 v19, s22 :: v_dual_mov_b32 v20, s23
	v_and_b32_e32 v21, v0, v1
	ds_load_2addr_b64 v[12:15], v48 offset0:64 offset1:96
	ds_load_2addr_b64 v[8:11], v48 offset0:128 offset1:160
	;; [unrolled: 1-line block ×3, first 2 shown]
	v_lshl_add_u32 v38, v23, 6, v24
	s_wait_loadcnt_dscnt 0x0
	s_barrier_signal -1
	v_and_b32_e32 v16, v21, v16
	s_barrier_wait -1
	global_inv scope:SCOPE_SE
	ds_store_b128 v67, v[17:20] offset:64
	ds_store_b128 v67, v[17:20] offset:80
	s_wait_loadcnt_dscnt 0x0
	v_mbcnt_lo_u32_b32 v33, v16, 0
	v_cmp_ne_u32_e64 s18, 0, v16
	s_barrier_signal -1
	s_barrier_wait -1
	global_inv scope:SCOPE_SE
	v_cmp_eq_u32_e64 s17, 0, v33
	; wave barrier
	s_and_b32 s18, s18, s17
	s_wait_alu 0xfffe
	s_and_saveexec_b32 s17, s18
; %bb.106:
	v_bcnt_u32_b32 v16, v16, 0
	ds_store_b32 v38, v16 offset:64
; %bb.107:
	s_wait_alu 0xfffe
	s_or_b32 exec_lo, exec_lo, s17
	v_lshrrev_b16 v16, 8, v27
	v_cmp_ne_u16_e64 s17, 0x8000, v27
	; wave barrier
	s_wait_alu 0xf1ff
	s_delay_alu instid0(VALU_DEP_1) | instskip(NEXT) | instid1(VALU_DEP_1)
	v_cndmask_b32_e64 v16, 0x7f, v16, s17
	v_and_b32_e32 v16, s19, v16
	s_delay_alu instid0(VALU_DEP_1)
	v_and_b32_e32 v17, 1, v16
	v_lshlrev_b32_e32 v18, 30, v16
	v_lshlrev_b32_e32 v19, 29, v16
	v_lshlrev_b32_e32 v20, 28, v16
	v_lshlrev_b32_e32 v22, 27, v16
	v_add_co_u32 v17, s17, v17, -1
	s_wait_alu 0xf1ff
	v_cndmask_b32_e64 v21, 0, 1, s17
	v_not_b32_e32 v40, v18
	v_cmp_gt_i32_e64 s18, 0, v18
	v_not_b32_e32 v18, v19
	v_lshlrev_b32_e32 v23, 26, v16
	v_cmp_ne_u32_e64 s17, 0, v21
	v_ashrrev_i32_e32 v40, 31, v40
	v_lshlrev_b32_e32 v39, 25, v16
	v_ashrrev_i32_e32 v18, 31, v18
	v_lshlrev_b32_e32 v21, 24, v16
	s_wait_alu 0xf1ff
	v_xor_b32_e32 v17, s17, v17
	v_cmp_gt_i32_e64 s17, 0, v19
	v_not_b32_e32 v19, v20
	v_xor_b32_e32 v40, s18, v40
	v_cmp_gt_i32_e64 s18, 0, v20
	v_and_b32_e32 v17, exec_lo, v17
	v_not_b32_e32 v20, v22
	v_ashrrev_i32_e32 v19, 31, v19
	s_wait_alu 0xf1ff
	v_xor_b32_e32 v18, s17, v18
	v_cmp_gt_i32_e64 s17, 0, v22
	v_and_b32_e32 v17, v17, v40
	v_not_b32_e32 v22, v23
	v_ashrrev_i32_e32 v20, 31, v20
	v_xor_b32_e32 v19, s18, v19
	v_cmp_gt_i32_e64 s18, 0, v23
	v_and_b32_e32 v17, v17, v18
	v_not_b32_e32 v18, v39
	v_ashrrev_i32_e32 v22, 31, v22
	s_wait_alu 0xf1ff
	v_xor_b32_e32 v20, s17, v20
	v_cmp_gt_i32_e64 s17, 0, v39
	v_and_b32_e32 v17, v17, v19
	v_not_b32_e32 v19, v21
	v_ashrrev_i32_e32 v18, 31, v18
	v_xor_b32_e32 v22, s18, v22
	v_cmp_gt_i32_e64 s18, 0, v21
	v_and_b32_e32 v17, v17, v20
	v_ashrrev_i32_e32 v19, 31, v19
	s_wait_alu 0xf1ff
	v_xor_b32_e32 v18, s17, v18
	v_lshl_add_u32 v47, v16, 6, v24
	v_and_b32_e32 v17, v17, v22
	v_xor_b32_e32 v16, s18, v19
	ds_load_b32 v39, v47 offset:64
	v_and_b32_e32 v17, v17, v18
	; wave barrier
	s_delay_alu instid0(VALU_DEP_1) | instskip(NEXT) | instid1(VALU_DEP_1)
	v_and_b32_e32 v16, v17, v16
	v_mbcnt_lo_u32_b32 v40, v16, 0
	v_cmp_ne_u32_e64 s18, 0, v16
	s_delay_alu instid0(VALU_DEP_2)
	v_cmp_eq_u32_e64 s17, 0, v40
	s_and_b32 s18, s18, s17
	s_wait_alu 0xfffe
	s_and_saveexec_b32 s17, s18
	s_cbranch_execz .LBB240_109
; %bb.108:
	s_wait_dscnt 0x0
	v_bcnt_u32_b32 v16, v16, v39
	ds_store_b32 v47, v16 offset:64
.LBB240_109:
	s_wait_alu 0xfffe
	s_or_b32 exec_lo, exec_lo, s17
	v_lshrrev_b16 v16, 8, v28
	v_cmp_ne_u16_e64 s17, 0x8000, v28
	; wave barrier
	s_wait_alu 0xf1ff
	s_delay_alu instid0(VALU_DEP_1) | instskip(NEXT) | instid1(VALU_DEP_1)
	v_cndmask_b32_e64 v16, 0x7f, v16, s17
	v_and_b32_e32 v16, s19, v16
	s_delay_alu instid0(VALU_DEP_1)
	v_and_b32_e32 v17, 1, v16
	v_lshlrev_b32_e32 v18, 30, v16
	v_lshlrev_b32_e32 v19, 29, v16
	;; [unrolled: 1-line block ×4, first 2 shown]
	v_add_co_u32 v17, s17, v17, -1
	s_wait_alu 0xf1ff
	v_cndmask_b32_e64 v21, 0, 1, s17
	v_not_b32_e32 v49, v18
	v_cmp_gt_i32_e64 s18, 0, v18
	v_not_b32_e32 v18, v19
	v_lshlrev_b32_e32 v23, 26, v16
	v_cmp_ne_u32_e64 s17, 0, v21
	v_ashrrev_i32_e32 v49, 31, v49
	v_lshlrev_b32_e32 v48, 25, v16
	v_ashrrev_i32_e32 v18, 31, v18
	v_lshlrev_b32_e32 v21, 24, v16
	s_wait_alu 0xf1ff
	v_xor_b32_e32 v17, s17, v17
	v_cmp_gt_i32_e64 s17, 0, v19
	v_not_b32_e32 v19, v20
	v_xor_b32_e32 v49, s18, v49
	v_cmp_gt_i32_e64 s18, 0, v20
	v_and_b32_e32 v17, exec_lo, v17
	v_not_b32_e32 v20, v22
	v_ashrrev_i32_e32 v19, 31, v19
	s_wait_alu 0xf1ff
	v_xor_b32_e32 v18, s17, v18
	v_cmp_gt_i32_e64 s17, 0, v22
	v_and_b32_e32 v17, v17, v49
	v_not_b32_e32 v22, v23
	v_ashrrev_i32_e32 v20, 31, v20
	v_xor_b32_e32 v19, s18, v19
	v_cmp_gt_i32_e64 s18, 0, v23
	v_and_b32_e32 v17, v17, v18
	v_not_b32_e32 v18, v48
	v_ashrrev_i32_e32 v22, 31, v22
	s_wait_alu 0xf1ff
	v_xor_b32_e32 v20, s17, v20
	v_cmp_gt_i32_e64 s17, 0, v48
	v_and_b32_e32 v17, v17, v19
	v_not_b32_e32 v19, v21
	v_ashrrev_i32_e32 v18, 31, v18
	v_xor_b32_e32 v22, s18, v22
	v_cmp_gt_i32_e64 s18, 0, v21
	v_and_b32_e32 v17, v17, v20
	v_ashrrev_i32_e32 v19, 31, v19
	s_wait_alu 0xf1ff
	v_xor_b32_e32 v18, s17, v18
	v_lshl_add_u32 v50, v16, 6, v24
	v_and_b32_e32 v17, v17, v22
	v_xor_b32_e32 v16, s18, v19
	ds_load_b32 v48, v50 offset:64
	v_and_b32_e32 v17, v17, v18
	; wave barrier
	s_delay_alu instid0(VALU_DEP_1) | instskip(NEXT) | instid1(VALU_DEP_1)
	v_and_b32_e32 v16, v17, v16
	v_mbcnt_lo_u32_b32 v49, v16, 0
	v_cmp_ne_u32_e64 s18, 0, v16
	s_delay_alu instid0(VALU_DEP_2)
	v_cmp_eq_u32_e64 s17, 0, v49
	s_and_b32 s18, s18, s17
	s_wait_alu 0xfffe
	s_and_saveexec_b32 s17, s18
	s_cbranch_execz .LBB240_111
; %bb.110:
	s_wait_dscnt 0x0
	v_bcnt_u32_b32 v16, v16, v48
	ds_store_b32 v50, v16 offset:64
.LBB240_111:
	s_wait_alu 0xfffe
	s_or_b32 exec_lo, exec_lo, s17
	v_lshrrev_b16 v16, 8, v29
	v_cmp_ne_u16_e64 s17, 0x8000, v29
	; wave barrier
	s_wait_alu 0xf1ff
	s_delay_alu instid0(VALU_DEP_1) | instskip(NEXT) | instid1(VALU_DEP_1)
	v_cndmask_b32_e64 v16, 0x7f, v16, s17
	v_and_b32_e32 v16, s19, v16
	s_delay_alu instid0(VALU_DEP_1)
	v_and_b32_e32 v17, 1, v16
	v_lshlrev_b32_e32 v18, 30, v16
	v_lshlrev_b32_e32 v19, 29, v16
	;; [unrolled: 1-line block ×4, first 2 shown]
	v_add_co_u32 v17, s17, v17, -1
	s_wait_alu 0xf1ff
	v_cndmask_b32_e64 v21, 0, 1, s17
	v_not_b32_e32 v69, v18
	v_cmp_gt_i32_e64 s18, 0, v18
	v_not_b32_e32 v18, v19
	v_lshlrev_b32_e32 v23, 26, v16
	v_cmp_ne_u32_e64 s17, 0, v21
	v_ashrrev_i32_e32 v69, 31, v69
	v_lshlrev_b32_e32 v68, 25, v16
	v_ashrrev_i32_e32 v18, 31, v18
	v_lshlrev_b32_e32 v21, 24, v16
	s_wait_alu 0xf1ff
	v_xor_b32_e32 v17, s17, v17
	v_cmp_gt_i32_e64 s17, 0, v19
	v_not_b32_e32 v19, v20
	v_xor_b32_e32 v69, s18, v69
	v_cmp_gt_i32_e64 s18, 0, v20
	v_and_b32_e32 v17, exec_lo, v17
	v_not_b32_e32 v20, v22
	v_ashrrev_i32_e32 v19, 31, v19
	s_wait_alu 0xf1ff
	v_xor_b32_e32 v18, s17, v18
	v_cmp_gt_i32_e64 s17, 0, v22
	v_and_b32_e32 v17, v17, v69
	v_not_b32_e32 v22, v23
	v_ashrrev_i32_e32 v20, 31, v20
	v_xor_b32_e32 v19, s18, v19
	v_cmp_gt_i32_e64 s18, 0, v23
	v_and_b32_e32 v17, v17, v18
	v_not_b32_e32 v18, v68
	v_ashrrev_i32_e32 v22, 31, v22
	s_wait_alu 0xf1ff
	v_xor_b32_e32 v20, s17, v20
	v_cmp_gt_i32_e64 s17, 0, v68
	v_and_b32_e32 v17, v17, v19
	v_not_b32_e32 v19, v21
	v_ashrrev_i32_e32 v18, 31, v18
	v_xor_b32_e32 v22, s18, v22
	v_cmp_gt_i32_e64 s18, 0, v21
	v_and_b32_e32 v17, v17, v20
	v_ashrrev_i32_e32 v19, 31, v19
	s_wait_alu 0xf1ff
	v_xor_b32_e32 v18, s17, v18
	v_lshl_add_u32 v70, v16, 6, v24
	v_and_b32_e32 v17, v17, v22
	v_xor_b32_e32 v16, s18, v19
	ds_load_b32 v68, v70 offset:64
	v_and_b32_e32 v17, v17, v18
	; wave barrier
	s_delay_alu instid0(VALU_DEP_1) | instskip(NEXT) | instid1(VALU_DEP_1)
	v_and_b32_e32 v16, v17, v16
	v_mbcnt_lo_u32_b32 v69, v16, 0
	v_cmp_ne_u32_e64 s18, 0, v16
	s_delay_alu instid0(VALU_DEP_2)
	v_cmp_eq_u32_e64 s17, 0, v69
	s_and_b32 s18, s18, s17
	s_wait_alu 0xfffe
	s_and_saveexec_b32 s17, s18
	s_cbranch_execz .LBB240_113
; %bb.112:
	s_wait_dscnt 0x0
	v_bcnt_u32_b32 v16, v16, v68
	ds_store_b32 v70, v16 offset:64
.LBB240_113:
	s_wait_alu 0xfffe
	s_or_b32 exec_lo, exec_lo, s17
	v_lshrrev_b16 v16, 8, v30
	v_cmp_ne_u16_e64 s17, 0x8000, v30
	; wave barrier
	s_wait_alu 0xf1ff
	s_delay_alu instid0(VALU_DEP_1) | instskip(NEXT) | instid1(VALU_DEP_1)
	v_cndmask_b32_e64 v16, 0x7f, v16, s17
	v_and_b32_e32 v16, s19, v16
	s_delay_alu instid0(VALU_DEP_1)
	v_and_b32_e32 v17, 1, v16
	v_lshlrev_b32_e32 v18, 30, v16
	v_lshlrev_b32_e32 v19, 29, v16
	;; [unrolled: 1-line block ×4, first 2 shown]
	v_add_co_u32 v17, s17, v17, -1
	s_wait_alu 0xf1ff
	v_cndmask_b32_e64 v21, 0, 1, s17
	v_not_b32_e32 v72, v18
	v_cmp_gt_i32_e64 s18, 0, v18
	v_not_b32_e32 v18, v19
	v_lshlrev_b32_e32 v23, 26, v16
	v_cmp_ne_u32_e64 s17, 0, v21
	v_ashrrev_i32_e32 v72, 31, v72
	v_lshlrev_b32_e32 v71, 25, v16
	v_ashrrev_i32_e32 v18, 31, v18
	v_lshlrev_b32_e32 v21, 24, v16
	s_wait_alu 0xf1ff
	v_xor_b32_e32 v17, s17, v17
	v_cmp_gt_i32_e64 s17, 0, v19
	v_not_b32_e32 v19, v20
	v_xor_b32_e32 v72, s18, v72
	v_cmp_gt_i32_e64 s18, 0, v20
	v_and_b32_e32 v17, exec_lo, v17
	v_not_b32_e32 v20, v22
	v_ashrrev_i32_e32 v19, 31, v19
	s_wait_alu 0xf1ff
	v_xor_b32_e32 v18, s17, v18
	v_cmp_gt_i32_e64 s17, 0, v22
	v_and_b32_e32 v17, v17, v72
	v_not_b32_e32 v22, v23
	v_ashrrev_i32_e32 v20, 31, v20
	v_xor_b32_e32 v19, s18, v19
	v_cmp_gt_i32_e64 s18, 0, v23
	v_and_b32_e32 v17, v17, v18
	v_not_b32_e32 v18, v71
	v_ashrrev_i32_e32 v22, 31, v22
	s_wait_alu 0xf1ff
	v_xor_b32_e32 v20, s17, v20
	v_cmp_gt_i32_e64 s17, 0, v71
	v_and_b32_e32 v17, v17, v19
	v_not_b32_e32 v19, v21
	v_ashrrev_i32_e32 v18, 31, v18
	v_xor_b32_e32 v22, s18, v22
	v_cmp_gt_i32_e64 s18, 0, v21
	v_and_b32_e32 v17, v17, v20
	v_ashrrev_i32_e32 v19, 31, v19
	s_wait_alu 0xf1ff
	v_xor_b32_e32 v18, s17, v18
	v_lshl_add_u32 v73, v16, 6, v24
	v_and_b32_e32 v17, v17, v22
	v_xor_b32_e32 v16, s18, v19
	ds_load_b32 v71, v73 offset:64
	v_and_b32_e32 v17, v17, v18
	; wave barrier
	s_delay_alu instid0(VALU_DEP_1) | instskip(NEXT) | instid1(VALU_DEP_1)
	v_and_b32_e32 v16, v17, v16
	v_mbcnt_lo_u32_b32 v72, v16, 0
	v_cmp_ne_u32_e64 s18, 0, v16
	s_delay_alu instid0(VALU_DEP_2)
	v_cmp_eq_u32_e64 s17, 0, v72
	s_and_b32 s18, s18, s17
	s_wait_alu 0xfffe
	s_and_saveexec_b32 s17, s18
	s_cbranch_execz .LBB240_115
; %bb.114:
	s_wait_dscnt 0x0
	v_bcnt_u32_b32 v16, v16, v71
	ds_store_b32 v73, v16 offset:64
.LBB240_115:
	s_wait_alu 0xfffe
	s_or_b32 exec_lo, exec_lo, s17
	v_lshrrev_b16 v16, 8, v31
	v_cmp_ne_u16_e64 s17, 0x8000, v31
	; wave barrier
	s_wait_alu 0xf1ff
	s_delay_alu instid0(VALU_DEP_1) | instskip(NEXT) | instid1(VALU_DEP_1)
	v_cndmask_b32_e64 v16, 0x7f, v16, s17
	v_and_b32_e32 v16, s19, v16
	s_delay_alu instid0(VALU_DEP_1)
	v_and_b32_e32 v17, 1, v16
	v_lshlrev_b32_e32 v18, 30, v16
	v_lshlrev_b32_e32 v19, 29, v16
	;; [unrolled: 1-line block ×4, first 2 shown]
	v_add_co_u32 v17, s17, v17, -1
	s_wait_alu 0xf1ff
	v_cndmask_b32_e64 v21, 0, 1, s17
	v_not_b32_e32 v75, v18
	v_cmp_gt_i32_e64 s18, 0, v18
	v_not_b32_e32 v18, v19
	v_lshlrev_b32_e32 v23, 26, v16
	v_cmp_ne_u32_e64 s17, 0, v21
	v_ashrrev_i32_e32 v75, 31, v75
	v_lshlrev_b32_e32 v74, 25, v16
	v_ashrrev_i32_e32 v18, 31, v18
	v_lshlrev_b32_e32 v21, 24, v16
	s_wait_alu 0xf1ff
	v_xor_b32_e32 v17, s17, v17
	v_cmp_gt_i32_e64 s17, 0, v19
	v_not_b32_e32 v19, v20
	v_xor_b32_e32 v75, s18, v75
	v_cmp_gt_i32_e64 s18, 0, v20
	v_and_b32_e32 v17, exec_lo, v17
	v_not_b32_e32 v20, v22
	v_ashrrev_i32_e32 v19, 31, v19
	s_wait_alu 0xf1ff
	v_xor_b32_e32 v18, s17, v18
	v_cmp_gt_i32_e64 s17, 0, v22
	v_and_b32_e32 v17, v17, v75
	v_not_b32_e32 v22, v23
	v_ashrrev_i32_e32 v20, 31, v20
	v_xor_b32_e32 v19, s18, v19
	v_cmp_gt_i32_e64 s18, 0, v23
	v_and_b32_e32 v17, v17, v18
	v_not_b32_e32 v18, v74
	v_ashrrev_i32_e32 v22, 31, v22
	s_wait_alu 0xf1ff
	v_xor_b32_e32 v20, s17, v20
	v_cmp_gt_i32_e64 s17, 0, v74
	v_and_b32_e32 v17, v17, v19
	v_not_b32_e32 v19, v21
	v_ashrrev_i32_e32 v18, 31, v18
	v_xor_b32_e32 v22, s18, v22
	v_cmp_gt_i32_e64 s18, 0, v21
	v_and_b32_e32 v17, v17, v20
	v_ashrrev_i32_e32 v19, 31, v19
	s_wait_alu 0xf1ff
	v_xor_b32_e32 v18, s17, v18
	v_lshl_add_u32 v76, v16, 6, v24
	v_and_b32_e32 v17, v17, v22
	v_xor_b32_e32 v16, s18, v19
	ds_load_b32 v74, v76 offset:64
	v_and_b32_e32 v17, v17, v18
	; wave barrier
	s_delay_alu instid0(VALU_DEP_1) | instskip(NEXT) | instid1(VALU_DEP_1)
	v_and_b32_e32 v16, v17, v16
	v_mbcnt_lo_u32_b32 v75, v16, 0
	v_cmp_ne_u32_e64 s18, 0, v16
	s_delay_alu instid0(VALU_DEP_2)
	v_cmp_eq_u32_e64 s17, 0, v75
	s_and_b32 s18, s18, s17
	s_wait_alu 0xfffe
	s_and_saveexec_b32 s17, s18
	s_cbranch_execz .LBB240_117
; %bb.116:
	s_wait_dscnt 0x0
	v_bcnt_u32_b32 v16, v16, v74
	ds_store_b32 v76, v16 offset:64
.LBB240_117:
	s_wait_alu 0xfffe
	s_or_b32 exec_lo, exec_lo, s17
	v_lshrrev_b16 v16, 8, v32
	v_cmp_ne_u16_e64 s17, 0x8000, v32
	; wave barrier
	s_wait_alu 0xf1ff
	s_delay_alu instid0(VALU_DEP_1) | instskip(NEXT) | instid1(VALU_DEP_1)
	v_cndmask_b32_e64 v16, 0x7f, v16, s17
	v_and_b32_e32 v16, s19, v16
	s_delay_alu instid0(VALU_DEP_1)
	v_and_b32_e32 v17, 1, v16
	v_lshlrev_b32_e32 v18, 30, v16
	v_lshlrev_b32_e32 v19, 29, v16
	;; [unrolled: 1-line block ×4, first 2 shown]
	v_add_co_u32 v17, s17, v17, -1
	s_wait_alu 0xf1ff
	v_cndmask_b32_e64 v21, 0, 1, s17
	v_not_b32_e32 v78, v18
	v_cmp_gt_i32_e64 s18, 0, v18
	v_not_b32_e32 v18, v19
	v_lshlrev_b32_e32 v23, 26, v16
	v_cmp_ne_u32_e64 s17, 0, v21
	v_ashrrev_i32_e32 v78, 31, v78
	v_lshlrev_b32_e32 v77, 25, v16
	v_ashrrev_i32_e32 v18, 31, v18
	v_lshlrev_b32_e32 v21, 24, v16
	s_wait_alu 0xf1ff
	v_xor_b32_e32 v17, s17, v17
	v_cmp_gt_i32_e64 s17, 0, v19
	v_not_b32_e32 v19, v20
	v_xor_b32_e32 v78, s18, v78
	v_cmp_gt_i32_e64 s18, 0, v20
	v_and_b32_e32 v17, exec_lo, v17
	v_not_b32_e32 v20, v22
	v_ashrrev_i32_e32 v19, 31, v19
	s_wait_alu 0xf1ff
	v_xor_b32_e32 v18, s17, v18
	v_cmp_gt_i32_e64 s17, 0, v22
	v_and_b32_e32 v17, v17, v78
	v_not_b32_e32 v22, v23
	v_ashrrev_i32_e32 v20, 31, v20
	v_xor_b32_e32 v19, s18, v19
	v_cmp_gt_i32_e64 s18, 0, v23
	v_and_b32_e32 v17, v17, v18
	v_not_b32_e32 v18, v77
	v_ashrrev_i32_e32 v22, 31, v22
	s_wait_alu 0xf1ff
	v_xor_b32_e32 v20, s17, v20
	v_cmp_gt_i32_e64 s17, 0, v77
	v_and_b32_e32 v17, v17, v19
	v_not_b32_e32 v19, v21
	v_ashrrev_i32_e32 v18, 31, v18
	v_xor_b32_e32 v22, s18, v22
	v_cmp_gt_i32_e64 s18, 0, v21
	v_and_b32_e32 v17, v17, v20
	v_ashrrev_i32_e32 v19, 31, v19
	s_wait_alu 0xf1ff
	v_xor_b32_e32 v18, s17, v18
	v_lshl_add_u32 v79, v16, 6, v24
	v_and_b32_e32 v17, v17, v22
	v_xor_b32_e32 v16, s18, v19
	ds_load_b32 v77, v79 offset:64
	v_and_b32_e32 v17, v17, v18
	; wave barrier
	s_delay_alu instid0(VALU_DEP_1) | instskip(NEXT) | instid1(VALU_DEP_1)
	v_and_b32_e32 v16, v17, v16
	v_mbcnt_lo_u32_b32 v78, v16, 0
	v_cmp_ne_u32_e64 s18, 0, v16
	s_delay_alu instid0(VALU_DEP_2)
	v_cmp_eq_u32_e64 s17, 0, v78
	s_and_b32 s18, s18, s17
	s_wait_alu 0xfffe
	s_and_saveexec_b32 s17, s18
	s_cbranch_execz .LBB240_119
; %bb.118:
	s_wait_dscnt 0x0
	v_bcnt_u32_b32 v16, v16, v77
	ds_store_b32 v79, v16 offset:64
.LBB240_119:
	s_wait_alu 0xfffe
	s_or_b32 exec_lo, exec_lo, s17
	v_lshrrev_b16 v16, 8, v25
	v_cmp_ne_u16_e64 s17, 0x8000, v25
	; wave barrier
	s_wait_alu 0xf1ff
	s_delay_alu instid0(VALU_DEP_1) | instskip(NEXT) | instid1(VALU_DEP_1)
	v_cndmask_b32_e64 v16, 0x7f, v16, s17
	v_and_b32_e32 v16, s19, v16
	s_delay_alu instid0(VALU_DEP_1)
	v_and_b32_e32 v17, 1, v16
	v_lshlrev_b32_e32 v18, 30, v16
	v_lshlrev_b32_e32 v19, 29, v16
	;; [unrolled: 1-line block ×4, first 2 shown]
	v_add_co_u32 v17, s17, v17, -1
	s_wait_alu 0xf1ff
	v_cndmask_b32_e64 v21, 0, 1, s17
	v_not_b32_e32 v81, v18
	v_cmp_gt_i32_e64 s18, 0, v18
	v_not_b32_e32 v18, v19
	v_lshlrev_b32_e32 v23, 26, v16
	v_cmp_ne_u32_e64 s17, 0, v21
	v_ashrrev_i32_e32 v81, 31, v81
	v_lshlrev_b32_e32 v80, 25, v16
	v_ashrrev_i32_e32 v18, 31, v18
	v_lshlrev_b32_e32 v21, 24, v16
	s_wait_alu 0xf1ff
	v_xor_b32_e32 v17, s17, v17
	v_cmp_gt_i32_e64 s17, 0, v19
	v_not_b32_e32 v19, v20
	v_xor_b32_e32 v81, s18, v81
	v_cmp_gt_i32_e64 s18, 0, v20
	v_and_b32_e32 v17, exec_lo, v17
	v_not_b32_e32 v20, v22
	v_ashrrev_i32_e32 v19, 31, v19
	s_wait_alu 0xf1ff
	v_xor_b32_e32 v18, s17, v18
	v_cmp_gt_i32_e64 s17, 0, v22
	v_and_b32_e32 v17, v17, v81
	v_not_b32_e32 v22, v23
	v_ashrrev_i32_e32 v20, 31, v20
	v_xor_b32_e32 v19, s18, v19
	v_cmp_gt_i32_e64 s18, 0, v23
	v_and_b32_e32 v17, v17, v18
	v_not_b32_e32 v18, v80
	v_ashrrev_i32_e32 v22, 31, v22
	s_wait_alu 0xf1ff
	v_xor_b32_e32 v20, s17, v20
	v_cmp_gt_i32_e64 s17, 0, v80
	v_and_b32_e32 v17, v17, v19
	v_not_b32_e32 v19, v21
	v_ashrrev_i32_e32 v18, 31, v18
	v_xor_b32_e32 v22, s18, v22
	v_cmp_gt_i32_e64 s18, 0, v21
	v_and_b32_e32 v17, v17, v20
	v_ashrrev_i32_e32 v19, 31, v19
	s_wait_alu 0xf1ff
	v_xor_b32_e32 v18, s17, v18
	v_lshl_add_u32 v81, v16, 6, v24
	v_and_b32_e32 v17, v17, v22
	v_xor_b32_e32 v16, s18, v19
	ds_load_b32 v24, v81 offset:64
	v_and_b32_e32 v17, v17, v18
	; wave barrier
	s_delay_alu instid0(VALU_DEP_1) | instskip(NEXT) | instid1(VALU_DEP_1)
	v_and_b32_e32 v16, v17, v16
	v_mbcnt_lo_u32_b32 v80, v16, 0
	v_cmp_ne_u32_e64 s18, 0, v16
	s_delay_alu instid0(VALU_DEP_2)
	v_cmp_eq_u32_e64 s17, 0, v80
	s_and_b32 s18, s18, s17
	s_wait_alu 0xfffe
	s_and_saveexec_b32 s17, s18
	s_cbranch_execz .LBB240_121
; %bb.120:
	s_wait_dscnt 0x0
	v_bcnt_u32_b32 v16, v16, v24
	ds_store_b32 v81, v16 offset:64
.LBB240_121:
	s_wait_alu 0xfffe
	s_or_b32 exec_lo, exec_lo, s17
	; wave barrier
	s_wait_loadcnt_dscnt 0x0
	s_barrier_signal -1
	s_barrier_wait -1
	global_inv scope:SCOPE_SE
	ds_load_b128 v[20:23], v67 offset:64
	ds_load_b128 v[16:19], v67 offset:80
	s_wait_dscnt 0x1
	v_add_nc_u32_e32 v82, v21, v20
	s_delay_alu instid0(VALU_DEP_1) | instskip(SKIP_1) | instid1(VALU_DEP_1)
	v_add3_u32 v82, v82, v22, v23
	s_wait_dscnt 0x0
	v_add3_u32 v82, v82, v16, v17
	s_delay_alu instid0(VALU_DEP_1) | instskip(NEXT) | instid1(VALU_DEP_1)
	v_add3_u32 v19, v82, v18, v19
	v_mov_b32_dpp v82, v19 row_shr:1 row_mask:0xf bank_mask:0xf
	s_delay_alu instid0(VALU_DEP_1) | instskip(NEXT) | instid1(VALU_DEP_1)
	v_cndmask_b32_e64 v82, v82, 0, vcc_lo
	v_add_nc_u32_e32 v19, v82, v19
	s_delay_alu instid0(VALU_DEP_1) | instskip(NEXT) | instid1(VALU_DEP_1)
	v_mov_b32_dpp v82, v19 row_shr:2 row_mask:0xf bank_mask:0xf
	v_cndmask_b32_e64 v82, 0, v82, s8
	s_delay_alu instid0(VALU_DEP_1) | instskip(NEXT) | instid1(VALU_DEP_1)
	v_add_nc_u32_e32 v19, v19, v82
	v_mov_b32_dpp v82, v19 row_shr:4 row_mask:0xf bank_mask:0xf
	s_delay_alu instid0(VALU_DEP_1) | instskip(NEXT) | instid1(VALU_DEP_1)
	v_cndmask_b32_e64 v82, 0, v82, s9
	v_add_nc_u32_e32 v19, v19, v82
	s_delay_alu instid0(VALU_DEP_1) | instskip(NEXT) | instid1(VALU_DEP_1)
	v_mov_b32_dpp v82, v19 row_shr:8 row_mask:0xf bank_mask:0xf
	v_cndmask_b32_e64 v82, 0, v82, s10
	s_delay_alu instid0(VALU_DEP_1) | instskip(SKIP_3) | instid1(VALU_DEP_1)
	v_add_nc_u32_e32 v19, v19, v82
	ds_swizzle_b32 v82, v19 offset:swizzle(BROADCAST,32,15)
	s_wait_dscnt 0x0
	v_cndmask_b32_e64 v82, v82, 0, s15
	v_add_nc_u32_e32 v19, v19, v82
	s_and_saveexec_b32 s15, s13
; %bb.122:
	ds_store_b32 v35, v19
; %bb.123:
	s_wait_alu 0xfffe
	s_or_b32 exec_lo, exec_lo, s15
	s_wait_loadcnt_dscnt 0x0
	s_barrier_signal -1
	s_barrier_wait -1
	global_inv scope:SCOPE_SE
	s_and_saveexec_b32 s13, s12
	s_cbranch_execz .LBB240_125
; %bb.124:
	ds_load_b32 v35, v34
	s_wait_dscnt 0x0
	v_mov_b32_dpp v82, v35 row_shr:1 row_mask:0xf bank_mask:0xf
	s_delay_alu instid0(VALU_DEP_1) | instskip(NEXT) | instid1(VALU_DEP_1)
	v_cndmask_b32_e64 v82, v82, 0, vcc_lo
	v_add_nc_u32_e32 v35, v82, v35
	s_delay_alu instid0(VALU_DEP_1) | instskip(NEXT) | instid1(VALU_DEP_1)
	v_mov_b32_dpp v82, v35 row_shr:2 row_mask:0xf bank_mask:0xf
	v_cndmask_b32_e64 v82, 0, v82, s8
	s_delay_alu instid0(VALU_DEP_1) | instskip(NEXT) | instid1(VALU_DEP_1)
	v_add_nc_u32_e32 v35, v35, v82
	v_mov_b32_dpp v82, v35 row_shr:4 row_mask:0xf bank_mask:0xf
	s_delay_alu instid0(VALU_DEP_1) | instskip(NEXT) | instid1(VALU_DEP_1)
	v_cndmask_b32_e64 v82, 0, v82, s9
	v_add_nc_u32_e32 v35, v35, v82
	s_delay_alu instid0(VALU_DEP_1) | instskip(NEXT) | instid1(VALU_DEP_1)
	v_mov_b32_dpp v82, v35 row_shr:8 row_mask:0xf bank_mask:0xf
	v_cndmask_b32_e64 v82, 0, v82, s10
	s_delay_alu instid0(VALU_DEP_1)
	v_add_nc_u32_e32 v35, v35, v82
	ds_store_b32 v34, v35
.LBB240_125:
	s_wait_alu 0xfffe
	s_or_b32 exec_lo, exec_lo, s13
	v_mov_b32_e32 v34, 0
	s_wait_loadcnt_dscnt 0x0
	s_barrier_signal -1
	s_barrier_wait -1
	global_inv scope:SCOPE_SE
	s_and_saveexec_b32 s8, s14
; %bb.126:
	ds_load_b32 v34, v36
; %bb.127:
	s_wait_alu 0xfffe
	s_or_b32 exec_lo, exec_lo, s8
	s_wait_dscnt 0x0
	v_add_nc_u32_e32 v19, v34, v19
	ds_bpermute_b32 v19, v37, v19
	s_wait_dscnt 0x0
	v_cndmask_b32_e64 v19, v19, v34, s11
	s_delay_alu instid0(VALU_DEP_1) | instskip(NEXT) | instid1(VALU_DEP_1)
	v_cndmask_b32_e64 v19, v19, 0, s16
	v_add_nc_u32_e32 v20, v19, v20
	s_delay_alu instid0(VALU_DEP_1) | instskip(NEXT) | instid1(VALU_DEP_1)
	v_add_nc_u32_e32 v21, v20, v21
	v_add_nc_u32_e32 v22, v21, v22
	s_delay_alu instid0(VALU_DEP_1) | instskip(NEXT) | instid1(VALU_DEP_1)
	v_add_nc_u32_e32 v34, v22, v23
	v_add_nc_u32_e32 v35, v34, v16
	s_delay_alu instid0(VALU_DEP_1) | instskip(NEXT) | instid1(VALU_DEP_1)
	v_add_nc_u32_e32 v36, v35, v17
	v_add_nc_u32_e32 v37, v36, v18
	ds_store_b128 v67, v[19:22] offset:64
	ds_store_b128 v67, v[34:37] offset:80
	s_wait_loadcnt_dscnt 0x0
	s_barrier_signal -1
	s_barrier_wait -1
	global_inv scope:SCOPE_SE
	ds_load_b32 v16, v81 offset:64
	ds_load_b32 v17, v79 offset:64
	ds_load_b32 v18, v76 offset:64
	ds_load_b32 v19, v38 offset:64
	ds_load_b32 v20, v47 offset:64
	ds_load_b32 v21, v50 offset:64
	ds_load_b32 v22, v70 offset:64
	ds_load_b32 v23, v73 offset:64
	v_lshlrev_b32_e32 v34, 1, v66
	s_wait_loadcnt_dscnt 0x0
	s_barrier_signal -1
	s_barrier_wait -1
	global_inv scope:SCOPE_SE
	v_mad_u32_u24 v37, v46, 48, v34
	v_add3_u32 v35, v80, v24, v16
	v_add3_u32 v36, v78, v77, v17
	;; [unrolled: 1-line block ×3, first 2 shown]
	v_add_nc_u32_e32 v24, v19, v33
	v_add3_u32 v33, v40, v39, v20
	v_add3_u32 v39, v49, v48, v21
	;; [unrolled: 1-line block ×4, first 2 shown]
	v_lshlrev_b32_e32 v16, 1, v24
	v_lshlrev_b32_e32 v17, 1, v33
	;; [unrolled: 1-line block ×8, first 2 shown]
	ds_store_b16 v16, v26
	ds_store_b16 v17, v27
	;; [unrolled: 1-line block ×8, first 2 shown]
	v_mad_co_u64_u32 v[24:25], null, v24, 6, v[16:17]
	v_mad_co_u64_u32 v[16:17], null, v33, 6, v[17:18]
	v_mad_co_u64_u32 v[17:18], null, v39, 6, v[18:19]
	v_mad_co_u64_u32 v[18:19], null, v40, 6, v[19:20]
	v_mad_co_u64_u32 v[19:20], null, v46, 6, v[20:21]
	v_mad_co_u64_u32 v[20:21], null, v38, 6, v[21:22]
	v_mad_co_u64_u32 v[21:22], null, v36, 6, v[22:23]
	s_wait_loadcnt_dscnt 0x0
	s_barrier_signal -1
	s_barrier_wait -1
	global_inv scope:SCOPE_SE
	v_mad_co_u64_u32 v[22:23], null, v35, 6, v[23:24]
	ds_load_b128 v[33:36], v34
	s_wait_loadcnt_dscnt 0x0
	s_barrier_signal -1
	s_barrier_wait -1
	global_inv scope:SCOPE_SE
	ds_store_b64 v24, v[4:5]
	ds_store_b64 v16, v[6:7]
	;; [unrolled: 1-line block ×8, first 2 shown]
	s_wait_loadcnt_dscnt 0x0
	s_barrier_signal -1
	s_barrier_wait -1
	global_inv scope:SCOPE_SE
	ds_load_b128 v[29:32], v37
	ds_load_b128 v[25:28], v37 offset:16
	ds_load_b128 v[21:24], v37 offset:32
	;; [unrolled: 1-line block ×3, first 2 shown]
	v_cmp_gt_i16_e32 vcc_lo, 0, v33
	v_lshrrev_b32_e32 v0, 16, v33
	v_lshrrev_b32_e32 v2, 16, v34
	;; [unrolled: 1-line block ×4, first 2 shown]
	s_wait_alu 0xfffd
	v_cndmask_b32_e64 v1, 0x7fff, 0, vcc_lo
	v_cmp_gt_i16_e32 vcc_lo, 0, v34
	s_wait_alu 0xfffd
	v_cndmask_b32_e64 v3, 0x7fff, 0, vcc_lo
	v_cmp_gt_i16_e32 vcc_lo, 0, v35
	;; [unrolled: 3-line block ×5, first 2 shown]
	s_delay_alu instid0(VALU_DEP_2) | instskip(SKIP_3) | instid1(VALU_DEP_3)
	v_perm_b32 v0, v0, v1, 0x5040100
	s_wait_alu 0xfffd
	v_cndmask_b32_e64 v2, 0x7fff, 0, vcc_lo
	v_cmp_gt_i16_e32 vcc_lo, 0, v4
	v_xor_b32_e32 v0, v0, v33
	s_delay_alu instid0(VALU_DEP_3) | instskip(SKIP_3) | instid1(VALU_DEP_3)
	v_perm_b32 v1, v2, v3, 0x5040100
	s_wait_alu 0xfffd
	v_cndmask_b32_e64 v4, 0x7fff, 0, vcc_lo
	v_cmp_gt_i16_e32 vcc_lo, 0, v6
	v_xor_b32_e32 v34, v1, v34
	s_delay_alu instid0(VALU_DEP_3) | instskip(SKIP_2) | instid1(VALU_DEP_2)
	v_perm_b32 v2, v4, v5, 0x5040100
	s_wait_alu 0xfffd
	v_cndmask_b32_e64 v6, 0x7fff, 0, vcc_lo
	v_xor_b32_e32 v33, v2, v35
	s_delay_alu instid0(VALU_DEP_2) | instskip(NEXT) | instid1(VALU_DEP_1)
	v_perm_b32 v3, v6, v7, 0x5040100
	v_xor_b32_e32 v35, v3, v36
.LBB240_128:
	s_wait_loadcnt_dscnt 0x0
	s_barrier_signal -1
	s_barrier_wait -1
	global_inv scope:SCOPE_SE
	ds_store_2addr_b32 v58, v0, v34 offset1:1
	ds_store_2addr_b32 v58, v33, v35 offset0:2 offset1:3
	s_wait_loadcnt_dscnt 0x0
	s_barrier_signal -1
	s_barrier_wait -1
	global_inv scope:SCOPE_SE
	ds_load_u16 v8, v45 offset:1024
	ds_load_u16 v7, v52 offset:2048
	;; [unrolled: 1-line block ×7, first 2 shown]
	v_mov_b32_e32 v45, 0
	s_delay_alu instid0(VALU_DEP_1) | instskip(NEXT) | instid1(VALU_DEP_1)
	v_lshlrev_b64_e32 v[0:1], 1, v[44:45]
	v_add_co_u32 v0, vcc_lo, s30, v0
	s_wait_alu 0xfffd
	s_delay_alu instid0(VALU_DEP_2)
	v_add_co_ci_u32_e64 v1, null, s31, v1, vcc_lo
	s_and_saveexec_b32 s8, s0
	s_cbranch_execnz .LBB240_147
; %bb.129:
	s_wait_alu 0xfffe
	s_or_b32 exec_lo, exec_lo, s8
	s_and_saveexec_b32 s8, s1
	s_cbranch_execnz .LBB240_148
.LBB240_130:
	s_wait_alu 0xfffe
	s_or_b32 exec_lo, exec_lo, s8
	s_and_saveexec_b32 s8, s2
	s_cbranch_execnz .LBB240_149
.LBB240_131:
	s_wait_alu 0xfffe
	s_or_b32 exec_lo, exec_lo, s8
	s_and_saveexec_b32 s8, s3
	s_cbranch_execnz .LBB240_150
.LBB240_132:
	s_wait_alu 0xfffe
	s_or_b32 exec_lo, exec_lo, s8
	s_and_saveexec_b32 s8, s4
	s_cbranch_execnz .LBB240_151
.LBB240_133:
	s_wait_alu 0xfffe
	s_or_b32 exec_lo, exec_lo, s8
	s_and_saveexec_b32 s8, s5
	s_cbranch_execnz .LBB240_152
.LBB240_134:
	s_wait_alu 0xfffe
	s_or_b32 exec_lo, exec_lo, s8
	s_and_saveexec_b32 s8, s6
	s_cbranch_execnz .LBB240_153
.LBB240_135:
	s_wait_alu 0xfffe
	s_or_b32 exec_lo, exec_lo, s8
	s_and_saveexec_b32 s8, s7
	s_cbranch_execz .LBB240_137
.LBB240_136:
	s_mul_i32 s10, s26, 0xe00
	s_mov_b32 s11, 0
	s_wait_alu 0xfffe
	s_lshl_b64 s[10:11], s[10:11], 1
	s_wait_alu 0xfffe
	v_add_co_u32 v0, vcc_lo, v0, s10
	s_wait_alu 0xfffd
	v_add_co_ci_u32_e64 v1, null, s11, v1, vcc_lo
	s_wait_dscnt 0x0
	global_store_b16 v[0:1], v2, off
.LBB240_137:
	s_wait_alu 0xfffe
	s_or_b32 exec_lo, exec_lo, s8
	s_wait_storecnt 0x0
	s_wait_loadcnt_dscnt 0x0
	s_barrier_signal -1
	s_barrier_wait -1
	global_inv scope:SCOPE_SE
	ds_store_2addr_b64 v65, v[29:30], v[31:32] offset1:1
	ds_store_2addr_b64 v65, v[25:26], v[27:28] offset0:2 offset1:3
	ds_store_2addr_b64 v65, v[21:22], v[23:24] offset0:4 offset1:5
	ds_store_2addr_b64 v65, v[17:18], v[19:20] offset0:6 offset1:7
	s_wait_loadcnt_dscnt 0x0
	s_barrier_signal -1
	s_barrier_wait -1
	global_inv scope:SCOPE_SE
	ds_load_b64 v[14:15], v60 offset:4096
	ds_load_b64 v[12:13], v61 offset:8192
	;; [unrolled: 1-line block ×7, first 2 shown]
	v_mov_b32_e32 v42, 0
	s_delay_alu instid0(VALU_DEP_1) | instskip(NEXT) | instid1(VALU_DEP_1)
	v_lshlrev_b64_e32 v[2:3], 3, v[41:42]
	v_add_co_u32 v2, vcc_lo, s24, v2
	s_wait_alu 0xfffd
	s_delay_alu instid0(VALU_DEP_2)
	v_add_co_ci_u32_e64 v3, null, s25, v3, vcc_lo
	s_and_saveexec_b32 s8, s0
	s_cbranch_execnz .LBB240_154
; %bb.138:
	s_wait_alu 0xfffe
	s_or_b32 exec_lo, exec_lo, s8
	s_and_saveexec_b32 s0, s1
	s_cbranch_execnz .LBB240_155
.LBB240_139:
	s_or_b32 exec_lo, exec_lo, s0
	s_and_saveexec_b32 s0, s2
	s_cbranch_execnz .LBB240_156
.LBB240_140:
	s_or_b32 exec_lo, exec_lo, s0
	s_and_saveexec_b32 s0, s3
	s_cbranch_execnz .LBB240_157
.LBB240_141:
	s_or_b32 exec_lo, exec_lo, s0
	s_and_saveexec_b32 s0, s4
	s_cbranch_execnz .LBB240_158
.LBB240_142:
	s_or_b32 exec_lo, exec_lo, s0
	s_and_saveexec_b32 s0, s5
	s_cbranch_execnz .LBB240_159
.LBB240_143:
	s_or_b32 exec_lo, exec_lo, s0
	s_and_saveexec_b32 s0, s6
	s_cbranch_execnz .LBB240_160
.LBB240_144:
	s_or_b32 exec_lo, exec_lo, s0
	s_and_saveexec_b32 s0, s7
	s_cbranch_execz .LBB240_146
.LBB240_145:
	s_mul_i32 s0, s28, 0xe00
	s_mov_b32 s1, 0
	s_delay_alu instid0(SALU_CYCLE_1) | instskip(NEXT) | instid1(SALU_CYCLE_1)
	s_lshl_b64 s[0:1], s[0:1], 3
	v_add_co_u32 v2, vcc_lo, v2, s0
	s_wait_alu 0xfffd
	v_add_co_ci_u32_e64 v3, null, s1, v3, vcc_lo
	s_wait_dscnt 0x0
	global_store_b64 v[2:3], v[0:1], off
.LBB240_146:
	s_nop 0
	s_sendmsg sendmsg(MSG_DEALLOC_VGPRS)
	s_endpgm
.LBB240_147:
	ds_load_u16 v9, v51
	s_wait_dscnt 0x0
	global_store_b16 v[0:1], v9, off
	s_wait_alu 0xfffe
	s_or_b32 exec_lo, exec_lo, s8
	s_and_saveexec_b32 s8, s1
	s_cbranch_execz .LBB240_130
.LBB240_148:
	s_lshl_b32 s10, s26, 9
	s_mov_b32 s11, 0
	s_wait_alu 0xfffe
	s_lshl_b64 s[10:11], s[10:11], 1
	s_wait_alu 0xfffe
	v_add_co_u32 v9, vcc_lo, v0, s10
	s_wait_alu 0xfffd
	v_add_co_ci_u32_e64 v10, null, s11, v1, vcc_lo
	s_wait_dscnt 0x6
	global_store_b16 v[9:10], v8, off
	s_or_b32 exec_lo, exec_lo, s8
	s_and_saveexec_b32 s8, s2
	s_cbranch_execz .LBB240_131
.LBB240_149:
	s_lshl_b32 s10, s26, 10
	s_mov_b32 s11, 0
	s_wait_alu 0xfffe
	s_lshl_b64 s[10:11], s[10:11], 1
	s_wait_dscnt 0x6
	s_wait_alu 0xfffe
	v_add_co_u32 v8, vcc_lo, v0, s10
	s_wait_alu 0xfffd
	v_add_co_ci_u32_e64 v9, null, s11, v1, vcc_lo
	s_wait_dscnt 0x5
	global_store_b16 v[8:9], v7, off
	s_or_b32 exec_lo, exec_lo, s8
	s_and_saveexec_b32 s8, s3
	s_cbranch_execz .LBB240_132
.LBB240_150:
	s_mul_i32 s10, s26, 0x600
	s_mov_b32 s11, 0
	s_wait_alu 0xfffe
	s_lshl_b64 s[10:11], s[10:11], 1
	s_wait_dscnt 0x5
	s_wait_alu 0xfffe
	v_add_co_u32 v7, vcc_lo, v0, s10
	s_wait_alu 0xfffd
	v_add_co_ci_u32_e64 v8, null, s11, v1, vcc_lo
	s_wait_dscnt 0x4
	global_store_b16 v[7:8], v6, off
	s_or_b32 exec_lo, exec_lo, s8
	s_and_saveexec_b32 s8, s4
	s_cbranch_execz .LBB240_133
.LBB240_151:
	s_lshl_b32 s10, s26, 11
	s_mov_b32 s11, 0
	s_wait_alu 0xfffe
	s_lshl_b64 s[10:11], s[10:11], 1
	s_wait_dscnt 0x4
	s_wait_alu 0xfffe
	v_add_co_u32 v6, vcc_lo, v0, s10
	s_wait_alu 0xfffd
	v_add_co_ci_u32_e64 v7, null, s11, v1, vcc_lo
	s_wait_dscnt 0x3
	global_store_b16 v[6:7], v5, off
	s_or_b32 exec_lo, exec_lo, s8
	s_and_saveexec_b32 s8, s5
	s_cbranch_execz .LBB240_134
.LBB240_152:
	s_mul_i32 s10, s26, 0xa00
	s_mov_b32 s11, 0
	s_wait_alu 0xfffe
	s_lshl_b64 s[10:11], s[10:11], 1
	s_wait_dscnt 0x3
	s_wait_alu 0xfffe
	v_add_co_u32 v5, vcc_lo, v0, s10
	s_wait_alu 0xfffd
	v_add_co_ci_u32_e64 v6, null, s11, v1, vcc_lo
	s_wait_dscnt 0x2
	global_store_b16 v[5:6], v4, off
	s_or_b32 exec_lo, exec_lo, s8
	s_and_saveexec_b32 s8, s6
	s_cbranch_execz .LBB240_135
.LBB240_153:
	s_mul_i32 s10, s26, 0xc00
	s_mov_b32 s11, 0
	s_wait_alu 0xfffe
	s_lshl_b64 s[10:11], s[10:11], 1
	s_wait_dscnt 0x2
	s_wait_alu 0xfffe
	v_add_co_u32 v4, vcc_lo, v0, s10
	s_wait_alu 0xfffd
	v_add_co_ci_u32_e64 v5, null, s11, v1, vcc_lo
	s_wait_dscnt 0x1
	global_store_b16 v[4:5], v3, off
	s_or_b32 exec_lo, exec_lo, s8
	s_and_saveexec_b32 s8, s7
	s_cbranch_execnz .LBB240_136
	s_branch .LBB240_137
.LBB240_154:
	ds_load_b64 v[16:17], v59
	s_wait_dscnt 0x0
	global_store_b64 v[2:3], v[16:17], off
	s_wait_alu 0xfffe
	s_or_b32 exec_lo, exec_lo, s8
	s_and_saveexec_b32 s0, s1
	s_cbranch_execz .LBB240_139
.LBB240_155:
	s_lshl_b32 s8, s28, 9
	s_mov_b32 s9, 0
	s_wait_alu 0xfffe
	s_lshl_b64 s[8:9], s[8:9], 3
	s_wait_alu 0xfffe
	v_add_co_u32 v16, vcc_lo, v2, s8
	s_wait_alu 0xfffd
	v_add_co_ci_u32_e64 v17, null, s9, v3, vcc_lo
	s_wait_dscnt 0x6
	global_store_b64 v[16:17], v[14:15], off
	s_or_b32 exec_lo, exec_lo, s0
	s_and_saveexec_b32 s0, s2
	s_cbranch_execz .LBB240_140
.LBB240_156:
	s_lshl_b32 s8, s28, 10
	s_mov_b32 s9, 0
	s_wait_alu 0xfffe
	s_lshl_b64 s[8:9], s[8:9], 3
	s_wait_dscnt 0x6
	s_wait_alu 0xfffe
	v_add_co_u32 v14, vcc_lo, v2, s8
	s_wait_alu 0xfffd
	v_add_co_ci_u32_e64 v15, null, s9, v3, vcc_lo
	s_wait_dscnt 0x5
	global_store_b64 v[14:15], v[12:13], off
	s_or_b32 exec_lo, exec_lo, s0
	s_and_saveexec_b32 s0, s3
	s_cbranch_execz .LBB240_141
.LBB240_157:
	s_mul_i32 s2, s28, 0x600
	s_mov_b32 s3, 0
	s_delay_alu instid0(SALU_CYCLE_1)
	s_lshl_b64 s[2:3], s[2:3], 3
	s_wait_dscnt 0x5
	v_add_co_u32 v12, vcc_lo, v2, s2
	s_wait_alu 0xfffd
	v_add_co_ci_u32_e64 v13, null, s3, v3, vcc_lo
	s_wait_dscnt 0x4
	global_store_b64 v[12:13], v[10:11], off
	s_or_b32 exec_lo, exec_lo, s0
	s_and_saveexec_b32 s0, s4
	s_cbranch_execz .LBB240_142
.LBB240_158:
	s_lshl_b32 s2, s28, 11
	s_mov_b32 s3, 0
	s_wait_alu 0xfffe
	s_lshl_b64 s[2:3], s[2:3], 3
	s_wait_dscnt 0x4
	s_wait_alu 0xfffe
	v_add_co_u32 v10, vcc_lo, v2, s2
	s_wait_alu 0xfffd
	v_add_co_ci_u32_e64 v11, null, s3, v3, vcc_lo
	s_wait_dscnt 0x3
	global_store_b64 v[10:11], v[8:9], off
	s_or_b32 exec_lo, exec_lo, s0
	s_and_saveexec_b32 s0, s5
	s_cbranch_execz .LBB240_143
.LBB240_159:
	s_mul_i32 s2, s28, 0xa00
	s_mov_b32 s3, 0
	s_wait_alu 0xfffe
	s_lshl_b64 s[2:3], s[2:3], 3
	s_wait_dscnt 0x3
	s_wait_alu 0xfffe
	v_add_co_u32 v8, vcc_lo, v2, s2
	s_wait_alu 0xfffd
	v_add_co_ci_u32_e64 v9, null, s3, v3, vcc_lo
	s_wait_dscnt 0x2
	global_store_b64 v[8:9], v[6:7], off
	s_or_b32 exec_lo, exec_lo, s0
	s_and_saveexec_b32 s0, s6
	s_cbranch_execz .LBB240_144
.LBB240_160:
	s_mul_i32 s2, s28, 0xc00
	s_mov_b32 s3, 0
	s_wait_alu 0xfffe
	s_lshl_b64 s[2:3], s[2:3], 3
	s_wait_dscnt 0x2
	s_wait_alu 0xfffe
	v_add_co_u32 v6, vcc_lo, v2, s2
	s_wait_alu 0xfffd
	v_add_co_ci_u32_e64 v7, null, s3, v3, vcc_lo
	s_wait_dscnt 0x1
	global_store_b64 v[6:7], v[4:5], off
	s_or_b32 exec_lo, exec_lo, s0
	s_and_saveexec_b32 s0, s7
	s_cbranch_execnz .LBB240_145
	s_branch .LBB240_146
	.section	.rodata,"a",@progbits
	.p2align	6, 0x0
	.amdhsa_kernel _ZN2at6native18radixSortKVInPlaceILin2ELin1ELi512ELi8EN3c108BFloat16EljEEvNS_4cuda6detail10TensorInfoIT3_T5_EES8_S8_S8_NS6_IT4_S8_EES8_b
		.amdhsa_group_segment_fixed_size 33792
		.amdhsa_private_segment_fixed_size 0
		.amdhsa_kernarg_size 712
		.amdhsa_user_sgpr_count 2
		.amdhsa_user_sgpr_dispatch_ptr 0
		.amdhsa_user_sgpr_queue_ptr 0
		.amdhsa_user_sgpr_kernarg_segment_ptr 1
		.amdhsa_user_sgpr_dispatch_id 0
		.amdhsa_user_sgpr_private_segment_size 0
		.amdhsa_wavefront_size32 1
		.amdhsa_uses_dynamic_stack 0
		.amdhsa_enable_private_segment 0
		.amdhsa_system_sgpr_workgroup_id_x 1
		.amdhsa_system_sgpr_workgroup_id_y 1
		.amdhsa_system_sgpr_workgroup_id_z 1
		.amdhsa_system_sgpr_workgroup_info 0
		.amdhsa_system_vgpr_workitem_id 2
		.amdhsa_next_free_vgpr 113
		.amdhsa_next_free_sgpr 36
		.amdhsa_reserve_vcc 1
		.amdhsa_float_round_mode_32 0
		.amdhsa_float_round_mode_16_64 0
		.amdhsa_float_denorm_mode_32 3
		.amdhsa_float_denorm_mode_16_64 3
		.amdhsa_fp16_overflow 0
		.amdhsa_workgroup_processor_mode 1
		.amdhsa_memory_ordered 1
		.amdhsa_forward_progress 1
		.amdhsa_inst_pref_size 181
		.amdhsa_round_robin_scheduling 0
		.amdhsa_exception_fp_ieee_invalid_op 0
		.amdhsa_exception_fp_denorm_src 0
		.amdhsa_exception_fp_ieee_div_zero 0
		.amdhsa_exception_fp_ieee_overflow 0
		.amdhsa_exception_fp_ieee_underflow 0
		.amdhsa_exception_fp_ieee_inexact 0
		.amdhsa_exception_int_div_zero 0
	.end_amdhsa_kernel
	.section	.text._ZN2at6native18radixSortKVInPlaceILin2ELin1ELi512ELi8EN3c108BFloat16EljEEvNS_4cuda6detail10TensorInfoIT3_T5_EES8_S8_S8_NS6_IT4_S8_EES8_b,"axG",@progbits,_ZN2at6native18radixSortKVInPlaceILin2ELin1ELi512ELi8EN3c108BFloat16EljEEvNS_4cuda6detail10TensorInfoIT3_T5_EES8_S8_S8_NS6_IT4_S8_EES8_b,comdat
.Lfunc_end240:
	.size	_ZN2at6native18radixSortKVInPlaceILin2ELin1ELi512ELi8EN3c108BFloat16EljEEvNS_4cuda6detail10TensorInfoIT3_T5_EES8_S8_S8_NS6_IT4_S8_EES8_b, .Lfunc_end240-_ZN2at6native18radixSortKVInPlaceILin2ELin1ELi512ELi8EN3c108BFloat16EljEEvNS_4cuda6detail10TensorInfoIT3_T5_EES8_S8_S8_NS6_IT4_S8_EES8_b
                                        ; -- End function
	.set _ZN2at6native18radixSortKVInPlaceILin2ELin1ELi512ELi8EN3c108BFloat16EljEEvNS_4cuda6detail10TensorInfoIT3_T5_EES8_S8_S8_NS6_IT4_S8_EES8_b.num_vgpr, 113
	.set _ZN2at6native18radixSortKVInPlaceILin2ELin1ELi512ELi8EN3c108BFloat16EljEEvNS_4cuda6detail10TensorInfoIT3_T5_EES8_S8_S8_NS6_IT4_S8_EES8_b.num_agpr, 0
	.set _ZN2at6native18radixSortKVInPlaceILin2ELin1ELi512ELi8EN3c108BFloat16EljEEvNS_4cuda6detail10TensorInfoIT3_T5_EES8_S8_S8_NS6_IT4_S8_EES8_b.numbered_sgpr, 36
	.set _ZN2at6native18radixSortKVInPlaceILin2ELin1ELi512ELi8EN3c108BFloat16EljEEvNS_4cuda6detail10TensorInfoIT3_T5_EES8_S8_S8_NS6_IT4_S8_EES8_b.num_named_barrier, 0
	.set _ZN2at6native18radixSortKVInPlaceILin2ELin1ELi512ELi8EN3c108BFloat16EljEEvNS_4cuda6detail10TensorInfoIT3_T5_EES8_S8_S8_NS6_IT4_S8_EES8_b.private_seg_size, 0
	.set _ZN2at6native18radixSortKVInPlaceILin2ELin1ELi512ELi8EN3c108BFloat16EljEEvNS_4cuda6detail10TensorInfoIT3_T5_EES8_S8_S8_NS6_IT4_S8_EES8_b.uses_vcc, 1
	.set _ZN2at6native18radixSortKVInPlaceILin2ELin1ELi512ELi8EN3c108BFloat16EljEEvNS_4cuda6detail10TensorInfoIT3_T5_EES8_S8_S8_NS6_IT4_S8_EES8_b.uses_flat_scratch, 0
	.set _ZN2at6native18radixSortKVInPlaceILin2ELin1ELi512ELi8EN3c108BFloat16EljEEvNS_4cuda6detail10TensorInfoIT3_T5_EES8_S8_S8_NS6_IT4_S8_EES8_b.has_dyn_sized_stack, 0
	.set _ZN2at6native18radixSortKVInPlaceILin2ELin1ELi512ELi8EN3c108BFloat16EljEEvNS_4cuda6detail10TensorInfoIT3_T5_EES8_S8_S8_NS6_IT4_S8_EES8_b.has_recursion, 0
	.set _ZN2at6native18radixSortKVInPlaceILin2ELin1ELi512ELi8EN3c108BFloat16EljEEvNS_4cuda6detail10TensorInfoIT3_T5_EES8_S8_S8_NS6_IT4_S8_EES8_b.has_indirect_call, 0
	.section	.AMDGPU.csdata,"",@progbits
; Kernel info:
; codeLenInByte = 23056
; TotalNumSgprs: 38
; NumVgprs: 113
; ScratchSize: 0
; MemoryBound: 0
; FloatMode: 240
; IeeeMode: 1
; LDSByteSize: 33792 bytes/workgroup (compile time only)
; SGPRBlocks: 0
; VGPRBlocks: 14
; NumSGPRsForWavesPerEU: 38
; NumVGPRsForWavesPerEU: 113
; Occupancy: 12
; WaveLimiterHint : 1
; COMPUTE_PGM_RSRC2:SCRATCH_EN: 0
; COMPUTE_PGM_RSRC2:USER_SGPR: 2
; COMPUTE_PGM_RSRC2:TRAP_HANDLER: 0
; COMPUTE_PGM_RSRC2:TGID_X_EN: 1
; COMPUTE_PGM_RSRC2:TGID_Y_EN: 1
; COMPUTE_PGM_RSRC2:TGID_Z_EN: 1
; COMPUTE_PGM_RSRC2:TIDIG_COMP_CNT: 2
	.section	.text._ZN2at6native18radixSortKVInPlaceILin2ELin1ELi256ELi8EN3c108BFloat16EljEEvNS_4cuda6detail10TensorInfoIT3_T5_EES8_S8_S8_NS6_IT4_S8_EES8_b,"axG",@progbits,_ZN2at6native18radixSortKVInPlaceILin2ELin1ELi256ELi8EN3c108BFloat16EljEEvNS_4cuda6detail10TensorInfoIT3_T5_EES8_S8_S8_NS6_IT4_S8_EES8_b,comdat
	.protected	_ZN2at6native18radixSortKVInPlaceILin2ELin1ELi256ELi8EN3c108BFloat16EljEEvNS_4cuda6detail10TensorInfoIT3_T5_EES8_S8_S8_NS6_IT4_S8_EES8_b ; -- Begin function _ZN2at6native18radixSortKVInPlaceILin2ELin1ELi256ELi8EN3c108BFloat16EljEEvNS_4cuda6detail10TensorInfoIT3_T5_EES8_S8_S8_NS6_IT4_S8_EES8_b
	.globl	_ZN2at6native18radixSortKVInPlaceILin2ELin1ELi256ELi8EN3c108BFloat16EljEEvNS_4cuda6detail10TensorInfoIT3_T5_EES8_S8_S8_NS6_IT4_S8_EES8_b
	.p2align	8
	.type	_ZN2at6native18radixSortKVInPlaceILin2ELin1ELi256ELi8EN3c108BFloat16EljEEvNS_4cuda6detail10TensorInfoIT3_T5_EES8_S8_S8_NS6_IT4_S8_EES8_b,@function
_ZN2at6native18radixSortKVInPlaceILin2ELin1ELi256ELi8EN3c108BFloat16EljEEvNS_4cuda6detail10TensorInfoIT3_T5_EES8_S8_S8_NS6_IT4_S8_EES8_b: ; @_ZN2at6native18radixSortKVInPlaceILin2ELin1ELi256ELi8EN3c108BFloat16EljEEvNS_4cuda6detail10TensorInfoIT3_T5_EES8_S8_S8_NS6_IT4_S8_EES8_b
; %bb.0:
	s_clause 0x1
	s_load_b64 s[2:3], s[0:1], 0x1c8
	s_load_b96 s[20:22], s[0:1], 0xd8
	s_lshr_b32 s4, ttmp7, 16
	s_wait_kmcnt 0x0
	s_mul_i32 s3, s3, s4
	s_and_b32 s4, ttmp7, 0xffff
	s_delay_alu instid0(SALU_CYCLE_1) | instskip(NEXT) | instid1(SALU_CYCLE_1)
	s_add_co_i32 s3, s3, s4
	s_mul_i32 s4, s3, s2
	s_delay_alu instid0(SALU_CYCLE_1) | instskip(NEXT) | instid1(SALU_CYCLE_1)
	s_add_co_i32 s4, s4, ttmp9
	s_cmp_ge_u32 s4, s20
	s_cbranch_scc1 .LBB241_146
; %bb.1:
	s_load_b32 s2, s[0:1], 0x1b8
	s_add_nc_u64 s[10:11], s[0:1], 0xe8
	s_mov_b32 s9, 0
	s_mov_b32 s12, s4
	s_wait_kmcnt 0x0
	s_cmp_lt_i32 s2, 2
	s_cbranch_scc1 .LBB241_4
; %bb.2:
	s_add_co_i32 s8, s2, -1
	s_add_co_i32 s5, s2, 1
	s_lshl_b64 s[6:7], s[8:9], 2
	s_mov_b32 s12, s4
	s_add_nc_u64 s[6:7], s[10:11], s[6:7]
	s_delay_alu instid0(SALU_CYCLE_1)
	s_add_nc_u64 s[2:3], s[6:7], 8
.LBB241_3:                              ; =>This Inner Loop Header: Depth=1
	s_clause 0x1
	s_load_b32 s6, s[2:3], 0x0
	s_load_b32 s7, s[2:3], 0x64
	s_mov_b32 s14, s12
	s_add_nc_u64 s[2:3], s[2:3], -4
	s_wait_kmcnt 0x0
	s_cvt_f32_u32 s8, s6
	s_sub_co_i32 s13, 0, s6
	s_wait_alu 0xfffe
	s_delay_alu instid0(SALU_CYCLE_1) | instskip(NEXT) | instid1(TRANS32_DEP_1)
	v_rcp_iflag_f32_e32 v1, s8
	v_readfirstlane_b32 s8, v1
	s_mul_f32 s8, s8, 0x4f7ffffe
	s_wait_alu 0xfffe
	s_delay_alu instid0(SALU_CYCLE_2) | instskip(SKIP_1) | instid1(SALU_CYCLE_2)
	s_cvt_u32_f32 s8, s8
	s_wait_alu 0xfffe
	s_mul_i32 s13, s13, s8
	s_delay_alu instid0(SALU_CYCLE_1) | instskip(NEXT) | instid1(SALU_CYCLE_1)
	s_mul_hi_u32 s13, s8, s13
	s_add_co_i32 s8, s8, s13
	s_wait_alu 0xfffe
	s_mul_hi_u32 s8, s12, s8
	s_wait_alu 0xfffe
	s_mul_i32 s12, s8, s6
	s_add_co_i32 s13, s8, 1
	s_sub_co_i32 s12, s14, s12
	s_delay_alu instid0(SALU_CYCLE_1)
	s_sub_co_i32 s15, s12, s6
	s_cmp_ge_u32 s12, s6
	s_cselect_b32 s8, s13, s8
	s_cselect_b32 s12, s15, s12
	s_wait_alu 0xfffe
	s_add_co_i32 s13, s8, 1
	s_cmp_ge_u32 s12, s6
	s_cselect_b32 s12, s13, s8
	s_add_co_i32 s5, s5, -1
	s_mul_i32 s6, s12, s6
	s_delay_alu instid0(SALU_CYCLE_1) | instskip(NEXT) | instid1(SALU_CYCLE_1)
	s_sub_co_i32 s6, s14, s6
	s_mul_i32 s6, s7, s6
	s_delay_alu instid0(SALU_CYCLE_1)
	s_add_co_i32 s9, s6, s9
	s_cmp_gt_u32 s5, 2
	s_cbranch_scc1 .LBB241_3
.LBB241_4:
	s_clause 0x2
	s_load_b64 s[28:29], s[0:1], 0x1c0
	s_load_b64 s[2:3], s[0:1], 0x0
	s_load_b32 s5, s[0:1], 0x6c
	s_add_nc_u64 s[36:37], s[0:1], 0x1c8
	s_mov_b32 s0, 0xffff
	s_wait_kmcnt 0x0
	s_bitcmp1_b32 s29, 0
	s_mul_i32 s4, s5, s4
	s_cselect_b32 s8, -1, 0
	s_mov_b32 s5, 0
	s_wait_alu 0xfffe
	s_and_b32 s1, s8, exec_lo
	s_cselect_b32 s13, s0, 0x7fff
	s_delay_alu instid0(SALU_CYCLE_1) | instskip(SKIP_1) | instid1(SALU_CYCLE_1)
	v_dual_mov_b32 v1, s13 :: v_dual_and_b32 v46, 0x3ff, v0
	s_lshl_b64 s[4:5], s[4:5], 1
	s_add_nc_u64 s[30:31], s[2:3], s[4:5]
	s_delay_alu instid0(VALU_DEP_1)
	v_mul_lo_u32 v44, s22, v46
	v_cmp_gt_u32_e64 s0, s21, v46
	s_and_saveexec_b32 s1, s0
	s_cbranch_execz .LBB241_6
; %bb.5:
	v_mov_b32_e32 v45, 0
	s_delay_alu instid0(VALU_DEP_1) | instskip(NEXT) | instid1(VALU_DEP_1)
	v_lshlrev_b64_e32 v[1:2], 1, v[44:45]
	v_add_co_u32 v1, vcc_lo, s30, v1
	s_delay_alu instid0(VALU_DEP_1)
	v_add_co_ci_u32_e64 v2, null, s31, v2, vcc_lo
	global_load_u16 v1, v[1:2], off
.LBB241_6:
	s_or_b32 exec_lo, exec_lo, s1
	v_dual_mov_b32 v2, s13 :: v_dual_add_nc_u32 v15, 0x100, v46
	s_delay_alu instid0(VALU_DEP_1)
	v_cmp_gt_u32_e64 s1, s21, v15
	s_and_saveexec_b32 s2, s1
	s_cbranch_execz .LBB241_8
; %bb.7:
	v_mul_lo_u32 v2, s22, v15
	v_mov_b32_e32 v3, 0
	s_delay_alu instid0(VALU_DEP_1) | instskip(NEXT) | instid1(VALU_DEP_1)
	v_lshlrev_b64_e32 v[2:3], 1, v[2:3]
	v_add_co_u32 v2, vcc_lo, s30, v2
	s_wait_alu 0xfffd
	s_delay_alu instid0(VALU_DEP_2)
	v_add_co_ci_u32_e64 v3, null, s31, v3, vcc_lo
	global_load_u16 v2, v[2:3], off
.LBB241_8:
	s_or_b32 exec_lo, exec_lo, s2
	v_dual_mov_b32 v3, s13 :: v_dual_add_nc_u32 v16, 0x200, v46
	s_delay_alu instid0(VALU_DEP_1)
	v_cmp_gt_u32_e64 s2, s21, v16
	s_and_saveexec_b32 s3, s2
	s_cbranch_execz .LBB241_10
; %bb.9:
	v_mul_lo_u32 v3, s22, v16
	v_mov_b32_e32 v4, 0
	s_delay_alu instid0(VALU_DEP_1) | instskip(NEXT) | instid1(VALU_DEP_1)
	v_lshlrev_b64_e32 v[3:4], 1, v[3:4]
	v_add_co_u32 v3, vcc_lo, s30, v3
	s_wait_alu 0xfffd
	s_delay_alu instid0(VALU_DEP_2)
	v_add_co_ci_u32_e64 v4, null, s31, v4, vcc_lo
	global_load_u16 v3, v[3:4], off
.LBB241_10:
	;; [unrolled: 17-line block ×3, first 2 shown]
	s_or_b32 exec_lo, exec_lo, s4
	v_or_b32_e32 v18, 0x400, v46
	v_mov_b32_e32 v5, s13
	s_delay_alu instid0(VALU_DEP_2)
	v_cmp_gt_u32_e64 s4, s21, v18
	s_and_saveexec_b32 s5, s4
	s_cbranch_execz .LBB241_14
; %bb.13:
	v_mul_lo_u32 v5, s22, v18
	v_mov_b32_e32 v6, 0
	s_delay_alu instid0(VALU_DEP_1) | instskip(NEXT) | instid1(VALU_DEP_1)
	v_lshlrev_b64_e32 v[5:6], 1, v[5:6]
	v_add_co_u32 v5, vcc_lo, s30, v5
	s_wait_alu 0xfffd
	s_delay_alu instid0(VALU_DEP_2)
	v_add_co_ci_u32_e64 v6, null, s31, v6, vcc_lo
	global_load_u16 v5, v[5:6], off
.LBB241_14:
	s_or_b32 exec_lo, exec_lo, s5
	v_dual_mov_b32 v6, s13 :: v_dual_add_nc_u32 v19, 0x500, v46
	s_delay_alu instid0(VALU_DEP_1)
	v_cmp_gt_u32_e64 s5, s21, v19
	s_and_saveexec_b32 s6, s5
	s_cbranch_execz .LBB241_16
; %bb.15:
	v_mul_lo_u32 v6, s22, v19
	v_mov_b32_e32 v7, 0
	s_delay_alu instid0(VALU_DEP_1) | instskip(NEXT) | instid1(VALU_DEP_1)
	v_lshlrev_b64_e32 v[6:7], 1, v[6:7]
	v_add_co_u32 v6, vcc_lo, s30, v6
	s_wait_alu 0xfffd
	s_delay_alu instid0(VALU_DEP_2)
	v_add_co_ci_u32_e64 v7, null, s31, v7, vcc_lo
	global_load_u16 v6, v[6:7], off
.LBB241_16:
	s_or_b32 exec_lo, exec_lo, s6
	v_dual_mov_b32 v7, s13 :: v_dual_add_nc_u32 v20, 0x600, v46
	s_delay_alu instid0(VALU_DEP_1)
	v_cmp_gt_u32_e64 s6, s21, v20
	s_and_saveexec_b32 s7, s6
	s_cbranch_execz .LBB241_18
; %bb.17:
	v_mul_lo_u32 v7, s22, v20
	v_mov_b32_e32 v8, 0
	s_delay_alu instid0(VALU_DEP_1) | instskip(NEXT) | instid1(VALU_DEP_1)
	v_lshlrev_b64_e32 v[7:8], 1, v[7:8]
	v_add_co_u32 v7, vcc_lo, s30, v7
	s_wait_alu 0xfffd
	s_delay_alu instid0(VALU_DEP_2)
	v_add_co_ci_u32_e64 v8, null, s31, v8, vcc_lo
	global_load_u16 v7, v[7:8], off
.LBB241_18:
	s_or_b32 exec_lo, exec_lo, s7
	s_clause 0x1
	s_load_b32 s14, s[10:11], 0x6c
	s_load_b64 s[10:11], s[10:11], 0x0
	v_dual_mov_b32 v8, s13 :: v_dual_add_nc_u32 v21, 0x700, v46
	s_delay_alu instid0(VALU_DEP_1)
	v_cmp_gt_u32_e64 s7, s21, v21
	s_and_saveexec_b32 s13, s7
	s_cbranch_execz .LBB241_20
; %bb.19:
	v_mul_lo_u32 v8, s22, v21
	v_mov_b32_e32 v9, 0
	s_delay_alu instid0(VALU_DEP_1) | instskip(NEXT) | instid1(VALU_DEP_1)
	v_lshlrev_b64_e32 v[8:9], 1, v[8:9]
	v_add_co_u32 v8, vcc_lo, s30, v8
	s_wait_alu 0xfffd
	s_delay_alu instid0(VALU_DEP_2)
	v_add_co_ci_u32_e64 v9, null, s31, v9, vcc_lo
	global_load_u16 v8, v[8:9], off
.LBB241_20:
	s_wait_alu 0xfffe
	s_or_b32 exec_lo, exec_lo, s13
	v_lshrrev_b32_e32 v9, 4, v46
	v_lshrrev_b32_e32 v10, 4, v15
	;; [unrolled: 1-line block ×5, first 2 shown]
	v_dual_mov_b32 v42, 0 :: v_dual_and_b32 v9, 60, v9
	v_lshlrev_b32_e32 v12, 1, v46
	v_and_b32_e32 v10, 0x7c, v10
	v_and_b32_e32 v11, 0x7c, v11
	s_wait_kmcnt 0x0
	s_mul_i32 s12, s14, s12
	v_mov_b32_e32 v43, v42
	v_add_nc_u32_e32 v51, v9, v12
	v_add_nc_u32_e32 v45, v10, v12
	;; [unrolled: 1-line block ×3, first 2 shown]
	v_and_b32_e32 v9, 0x7c, v13
	v_lshrrev_b32_e32 v10, 4, v18
	v_lshrrev_b32_e32 v11, 4, v19
	;; [unrolled: 1-line block ×3, first 2 shown]
	v_mul_lo_u32 v41, s28, v46
	v_add_nc_u32_e32 v53, v9, v12
	v_and_b32_e32 v9, 0x7c, v10
	v_and_b32_e32 v10, 0xfc, v11
	;; [unrolled: 1-line block ×4, first 2 shown]
	v_lshrrev_b32_e32 v14, 1, v46
	v_add_nc_u32_e32 v54, v9, v12
	v_add_nc_u32_e32 v55, v10, v12
	;; [unrolled: 1-line block ×4, first 2 shown]
	v_and_b32_e32 v9, 0x1fc, v14
	v_mov_b32_e32 v13, 0
	v_dual_mov_b32 v11, v42 :: v_dual_mov_b32 v12, v42
	v_mov_b32_e32 v14, 0
	s_delay_alu instid0(VALU_DEP_4)
	v_lshl_add_u32 v58, v46, 4, v9
	s_wait_loadcnt 0x0
	ds_store_b16 v51, v1
	ds_store_b16 v45, v2 offset:512
	ds_store_b16 v52, v3 offset:1024
	;; [unrolled: 1-line block ×7, first 2 shown]
	s_wait_dscnt 0x0
	s_barrier_signal -1
	s_barrier_wait -1
	global_inv scope:SCOPE_SE
	ds_load_2addr_b32 v[49:50], v58 offset1:1
	ds_load_2addr_b32 v[47:48], v58 offset0:2 offset1:3
	s_wait_alu 0xfffe
	s_add_co_i32 s12, s12, s9
	s_mov_b32 s13, 0
	v_dual_mov_b32 v9, v42 :: v_dual_mov_b32 v10, v42
	v_dual_mov_b32 v1, v42 :: v_dual_mov_b32 v2, v42
	v_dual_mov_b32 v3, v42 :: v_dual_mov_b32 v4, v42
	v_dual_mov_b32 v5, v42 :: v_dual_mov_b32 v6, v42
	v_dual_mov_b32 v7, v42 :: v_dual_mov_b32 v8, v42
	s_wait_alu 0xfffe
	s_lshl_b64 s[12:13], s[12:13], 3
	s_wait_loadcnt_dscnt 0x0
	s_wait_alu 0xfffe
	s_add_nc_u64 s[34:35], s[10:11], s[12:13]
	s_barrier_signal -1
	s_barrier_wait -1
	global_inv scope:SCOPE_SE
	s_and_saveexec_b32 s9, s0
	s_cbranch_execnz .LBB241_76
; %bb.21:
	s_wait_alu 0xfffe
	s_or_b32 exec_lo, exec_lo, s9
	s_and_saveexec_b32 s9, s1
	s_cbranch_execnz .LBB241_77
.LBB241_22:
	s_wait_alu 0xfffe
	s_or_b32 exec_lo, exec_lo, s9
	s_and_saveexec_b32 s9, s2
	s_cbranch_execnz .LBB241_78
.LBB241_23:
	s_wait_alu 0xfffe
	s_or_b32 exec_lo, exec_lo, s9
	s_and_saveexec_b32 s9, s3
	s_cbranch_execnz .LBB241_79
.LBB241_24:
	s_wait_alu 0xfffe
	s_or_b32 exec_lo, exec_lo, s9
	s_and_saveexec_b32 s9, s4
	s_cbranch_execnz .LBB241_80
.LBB241_25:
	s_wait_alu 0xfffe
	s_or_b32 exec_lo, exec_lo, s9
	s_and_saveexec_b32 s9, s5
	s_cbranch_execnz .LBB241_81
.LBB241_26:
	s_wait_alu 0xfffe
	s_or_b32 exec_lo, exec_lo, s9
	s_and_saveexec_b32 s9, s6
	s_cbranch_execz .LBB241_28
.LBB241_27:
	v_mul_lo_u32 v5, s28, v20
	v_mov_b32_e32 v6, 0
	s_delay_alu instid0(VALU_DEP_1) | instskip(NEXT) | instid1(VALU_DEP_1)
	v_lshlrev_b64_e32 v[5:6], 3, v[5:6]
	v_add_co_u32 v5, vcc_lo, s34, v5
	s_wait_alu 0xfffd
	s_delay_alu instid0(VALU_DEP_2)
	v_add_co_ci_u32_e64 v6, null, s35, v6, vcc_lo
	global_load_b64 v[5:6], v[5:6], off
.LBB241_28:
	s_wait_alu 0xfffe
	s_or_b32 exec_lo, exec_lo, s9
	v_lshrrev_b32_e32 v68, 5, v46
	v_lshrrev_b32_e32 v25, 5, v15
	v_lshrrev_b32_e32 v24, 5, v16
	v_lshrrev_b32_e32 v23, 5, v17
	v_lshrrev_b32_e32 v22, 5, v18
	v_lshrrev_b32_e32 v18, 5, v19
	v_lshrrev_b32_e32 v17, 5, v20
	v_lshrrev_b32_e32 v16, 5, v21
	v_lshlrev_b32_e32 v66, 3, v46
	v_lshrrev_b32_e32 v15, 2, v46
	s_xor_b32 s8, s8, -1
	s_and_saveexec_b32 s9, s7
	s_cbranch_execz .LBB241_30
; %bb.29:
	v_mul_lo_u32 v7, s28, v21
	v_mov_b32_e32 v8, 0
	s_delay_alu instid0(VALU_DEP_1) | instskip(NEXT) | instid1(VALU_DEP_1)
	v_lshlrev_b64_e32 v[7:8], 3, v[7:8]
	v_add_co_u32 v7, vcc_lo, s34, v7
	s_wait_alu 0xfffd
	s_delay_alu instid0(VALU_DEP_2)
	v_add_co_ci_u32_e64 v8, null, s35, v8, vcc_lo
	global_load_b64 v[7:8], v[7:8], off
.LBB241_30:
	s_wait_alu 0xfffe
	s_or_b32 exec_lo, exec_lo, s9
	v_lshl_add_u32 v59, v68, 3, v66
	v_lshl_add_u32 v60, v25, 3, v66
	;; [unrolled: 1-line block ×5, first 2 shown]
	s_wait_loadcnt 0x0
	ds_store_b64 v59, v[13:14]
	ds_store_b64 v60, v[42:43] offset:2048
	ds_store_b64 v61, v[9:10] offset:4096
	;; [unrolled: 1-line block ×3, first 2 shown]
	v_lshlrev_b32_e32 v9, 3, v66
	v_lshl_add_u32 v42, v22, 3, v66
	v_lshl_add_u32 v43, v18, 3, v66
	;; [unrolled: 1-line block ×3, first 2 shown]
	ds_store_b64 v42, v[1:2] offset:8192
	ds_store_b64 v43, v[3:4] offset:10240
	;; [unrolled: 1-line block ×4, first 2 shown]
	v_lshl_add_u32 v65, v15, 3, v9
	s_wait_dscnt 0x0
	s_barrier_signal -1
	s_barrier_wait -1
	global_inv scope:SCOPE_SE
	ds_load_2addr_b64 v[13:16], v65 offset1:1
	ds_load_2addr_b64 v[9:12], v65 offset0:2 offset1:3
	ds_load_2addr_b64 v[5:8], v65 offset0:4 offset1:5
	;; [unrolled: 1-line block ×3, first 2 shown]
	v_bfe_u32 v71, v0, 10, 10
	v_bfe_u32 v72, v0, 20, 10
	v_mbcnt_lo_u32_b32 v69, -1, 0
	v_and_b32_e32 v70, 0x3e0, v46
	v_lshlrev_b32_e32 v67, 2, v66
	s_and_b32 vcc_lo, exec_lo, s8
	s_wait_loadcnt_dscnt 0x0
	s_barrier_signal -1
	s_barrier_wait -1
	global_inv scope:SCOPE_SE
	s_wait_alu 0xfffe
	s_cbranch_vccz .LBB241_82
; %bb.31:
	v_pk_ashrrev_i16 v0, 15, v49 op_sel_hi:[0,1]
	v_pk_ashrrev_i16 v17, 15, v50 op_sel_hi:[0,1]
	;; [unrolled: 1-line block ×4, first 2 shown]
	v_or_b32_e32 v21, v69, v70
	v_or_b32_e32 v0, 0x80008000, v0
	;; [unrolled: 1-line block ×5, first 2 shown]
	v_and_or_b32 v84, 0x1f00, v66, v69
	s_mov_b32 s12, 0
	v_xor_b32_e32 v17, v0, v49
	v_xor_b32_e32 v18, v20, v50
	;; [unrolled: 1-line block ×4, first 2 shown]
	s_wait_alu 0xfffe
	s_mov_b32 s13, s12
	s_mov_b32 s14, s12
	;; [unrolled: 1-line block ×3, first 2 shown]
	v_lshlrev_b32_e32 v23, 4, v21
	v_lshlrev_b32_e32 v73, 1, v84
	s_getpc_b64 s[8:9]
	s_wait_alu 0xfffe
	s_sext_i32_i16 s9, s9
	s_add_co_u32 s8, s8, _ZN7rocprim17ROCPRIM_400000_NS16block_radix_sortI12hip_bfloat16Lj256ELj8ElLj1ELj1ELj0ELNS0_26block_radix_rank_algorithmE1ELNS0_18block_padding_hintE2ELNS0_4arch9wavefront6targetE0EE19radix_bits_per_passE@rel32@lo+12
	s_wait_alu 0xfffe
	s_add_co_ci_u32 s9, s9, _ZN7rocprim17ROCPRIM_400000_NS16block_radix_sortI12hip_bfloat16Lj256ELj8ElLj1ELj1ELj0ELNS0_26block_radix_rank_algorithmE1ELNS0_18block_padding_hintE2ELNS0_4arch9wavefront6targetE0EE19radix_bits_per_passE@rel32@hi+24
	s_load_b32 s20, s[8:9], 0x0
	ds_store_b128 v23, v[17:20]
	; wave barrier
	ds_load_u16 v74, v73
	v_mad_u32_u24 v0, v21, 48, v23
	ds_load_u16 v75, v73 offset:64
	ds_load_u16 v76, v73 offset:128
	;; [unrolled: 1-line block ×7, first 2 shown]
	s_wait_loadcnt_dscnt 0x0
	s_barrier_signal -1
	s_barrier_wait -1
	global_inv scope:SCOPE_SE
	ds_store_b128 v0, v[13:16]
	ds_store_b128 v0, v[9:12] offset:16
	ds_store_b128 v0, v[5:8] offset:32
	;; [unrolled: 1-line block ×3, first 2 shown]
	v_mad_u32_u24 v29, v84, 6, v73
	; wave barrier
	s_wait_kmcnt 0x0
	s_min_u32 s8, s20, 16
	s_wait_alu 0xfffe
	s_lshl_b32 s8, -1, s8
	v_cmp_ne_u16_e32 vcc_lo, 0x7fff, v74
	s_wait_alu 0xfffe
	s_not_b32 s9, s8
	s_wait_alu 0xfffd
	v_cndmask_b32_e32 v17, 0xffff8000, v74, vcc_lo
	s_delay_alu instid0(VALU_DEP_1) | instskip(SKIP_1) | instid1(VALU_DEP_1)
	v_and_b32_e32 v17, 0xffff, v17
	s_wait_alu 0xfffe
	v_and_b32_e32 v40, s9, v17
	ds_load_2addr_b64 v[17:20], v29 offset1:32
	ds_load_2addr_b64 v[25:28], v29 offset0:64 offset1:96
	ds_load_2addr_b64 v[21:24], v29 offset0:128 offset1:160
	;; [unrolled: 1-line block ×3, first 2 shown]
	s_wait_loadcnt_dscnt 0x0
	v_and_b32_e32 v0, 1, v40
	v_lshlrev_b32_e32 v33, 30, v40
	v_lshlrev_b32_e32 v36, 28, v40
	s_barrier_signal -1
	s_barrier_wait -1
	v_add_co_u32 v0, s8, v0, -1
	s_wait_alu 0xf1ff
	v_cndmask_b32_e64 v34, 0, 1, s8
	v_not_b32_e32 v35, v33
	v_cmp_gt_i32_e64 s8, 0, v33
	global_inv scope:SCOPE_SE
	v_cmp_ne_u32_e32 vcc_lo, 0, v34
	v_lshlrev_b32_e32 v34, 29, v40
	v_ashrrev_i32_e32 v33, 31, v35
	s_wait_alu 0xfffd
	v_xor_b32_e32 v0, vcc_lo, v0
	s_delay_alu instid0(VALU_DEP_3)
	v_not_b32_e32 v35, v34
	s_wait_alu 0xf1ff
	v_xor_b32_e32 v33, s8, v33
	v_cmp_gt_i32_e32 vcc_lo, 0, v34
	s_load_b32 s8, s[36:37], 0xc
	v_and_b32_e32 v0, exec_lo, v0
	v_ashrrev_i32_e32 v34, 31, v35
	v_not_b32_e32 v35, v36
	s_delay_alu instid0(VALU_DEP_3) | instskip(SKIP_1) | instid1(VALU_DEP_4)
	v_and_b32_e32 v0, v0, v33
	v_lshlrev_b32_e32 v33, 27, v40
	v_xor_b32_e32 v34, vcc_lo, v34
	v_cmp_gt_i32_e32 vcc_lo, 0, v36
	v_ashrrev_i32_e32 v35, 31, v35
	s_delay_alu instid0(VALU_DEP_4) | instskip(NEXT) | instid1(VALU_DEP_4)
	v_not_b32_e32 v36, v33
	v_and_b32_e32 v0, v0, v34
	v_lshlrev_b32_e32 v34, 26, v40
	s_wait_alu 0xfffd
	v_xor_b32_e32 v35, vcc_lo, v35
	v_cmp_gt_i32_e32 vcc_lo, 0, v33
	v_ashrrev_i32_e32 v33, 31, v36
	v_not_b32_e32 v36, v34
	s_delay_alu instid0(VALU_DEP_4)
	v_and_b32_e32 v0, v0, v35
	v_lshlrev_b32_e32 v35, 25, v40
	s_wait_alu 0xfffd
	v_xor_b32_e32 v33, vcc_lo, v33
	v_cmp_gt_i32_e32 vcc_lo, 0, v34
	v_ashrrev_i32_e32 v34, 31, v36
	s_wait_kmcnt 0x0
	s_lshr_b32 s10, s8, 16
	v_not_b32_e32 v36, v35
	v_and_b32_e32 v0, v0, v33
	v_lshlrev_b32_e32 v33, 24, v40
	s_wait_alu 0xfffd
	v_xor_b32_e32 v34, vcc_lo, v34
	v_cmp_gt_i32_e32 vcc_lo, 0, v35
	v_ashrrev_i32_e32 v35, 31, v36
	v_mad_u32_u24 v37, v72, s10, v71
	v_not_b32_e32 v36, v33
	v_and_b32_e32 v0, v0, v34
	s_and_b32 s8, s8, 0xffff
	s_wait_alu 0xfffd
	v_xor_b32_e32 v34, vcc_lo, v35
	v_cmp_gt_i32_e32 vcc_lo, 0, v33
	v_ashrrev_i32_e32 v33, 31, v36
	s_wait_alu 0xfffe
	v_mad_co_u64_u32 v[38:39], null, v37, s8, v[46:47]
	v_dual_mov_b32 v37, s15 :: v_dual_and_b32 v0, v0, v34
	s_wait_alu 0xfffd
	v_xor_b32_e32 v33, vcc_lo, v33
	v_dual_mov_b32 v36, s14 :: v_dual_mov_b32 v35, s13
	v_mov_b32_e32 v34, s12
	ds_store_b128 v67, v[34:37] offset:32
	ds_store_b128 v67, v[34:37] offset:48
	v_and_b32_e32 v33, v0, v33
	v_lshrrev_b32_e32 v0, 5, v38
	v_lshlrev_b32_e32 v34, 5, v40
	s_wait_loadcnt_dscnt 0x0
	s_barrier_signal -1
	v_mbcnt_lo_u32_b32 v86, v33, 0
	v_lshlrev_b32_e32 v0, 2, v0
	v_cmp_ne_u32_e64 s8, 0, v33
	s_barrier_wait -1
	global_inv scope:SCOPE_SE
	v_cmp_eq_u32_e32 vcc_lo, 0, v86
	v_add_nc_u32_e32 v87, v0, v34
	; wave barrier
	s_and_b32 s10, s8, vcc_lo
	s_wait_alu 0xfffe
	s_and_saveexec_b32 s8, s10
; %bb.32:
	v_bcnt_u32_b32 v33, v33, 0
	ds_store_b32 v87, v33 offset:32
; %bb.33:
	s_wait_alu 0xfffe
	s_or_b32 exec_lo, exec_lo, s8
	v_cmp_ne_u16_e32 vcc_lo, 0x7fff, v75
	; wave barrier
	s_wait_alu 0xfffd
	v_cndmask_b32_e32 v33, 0xffff8000, v75, vcc_lo
	s_delay_alu instid0(VALU_DEP_1) | instskip(NEXT) | instid1(VALU_DEP_1)
	v_and_b32_e32 v33, 0xffff, v33
	v_and_b32_e32 v33, s9, v33
	s_delay_alu instid0(VALU_DEP_1)
	v_and_b32_e32 v34, 1, v33
	v_lshlrev_b32_e32 v35, 30, v33
	v_lshlrev_b32_e32 v36, 29, v33
	;; [unrolled: 1-line block ×4, first 2 shown]
	v_add_co_u32 v34, s8, v34, -1
	s_wait_alu 0xf1ff
	v_cndmask_b32_e64 v38, 0, 1, s8
	v_not_b32_e32 v83, v35
	v_cmp_gt_i32_e64 s8, 0, v35
	v_not_b32_e32 v35, v36
	v_lshlrev_b32_e32 v40, 26, v33
	v_cmp_ne_u32_e32 vcc_lo, 0, v38
	v_ashrrev_i32_e32 v83, 31, v83
	v_lshlrev_b32_e32 v82, 25, v33
	v_ashrrev_i32_e32 v35, 31, v35
	v_lshlrev_b32_e32 v38, 24, v33
	s_wait_alu 0xfffd
	v_xor_b32_e32 v34, vcc_lo, v34
	v_cmp_gt_i32_e32 vcc_lo, 0, v36
	v_not_b32_e32 v36, v37
	s_wait_alu 0xf1ff
	v_xor_b32_e32 v83, s8, v83
	v_cmp_gt_i32_e64 s8, 0, v37
	v_and_b32_e32 v34, exec_lo, v34
	v_not_b32_e32 v37, v39
	v_ashrrev_i32_e32 v36, 31, v36
	s_wait_alu 0xfffd
	v_xor_b32_e32 v35, vcc_lo, v35
	v_cmp_gt_i32_e32 vcc_lo, 0, v39
	v_and_b32_e32 v34, v34, v83
	v_not_b32_e32 v39, v40
	v_ashrrev_i32_e32 v37, 31, v37
	s_wait_alu 0xf1ff
	v_xor_b32_e32 v36, s8, v36
	v_cmp_gt_i32_e64 s8, 0, v40
	v_and_b32_e32 v34, v34, v35
	v_not_b32_e32 v35, v82
	v_ashrrev_i32_e32 v39, 31, v39
	s_wait_alu 0xfffd
	v_xor_b32_e32 v37, vcc_lo, v37
	v_cmp_gt_i32_e32 vcc_lo, 0, v82
	v_and_b32_e32 v34, v34, v36
	v_not_b32_e32 v36, v38
	v_ashrrev_i32_e32 v35, 31, v35
	s_wait_alu 0xf1ff
	v_xor_b32_e32 v39, s8, v39
	v_lshlrev_b32_e32 v33, 5, v33
	v_and_b32_e32 v34, v34, v37
	v_cmp_gt_i32_e64 s8, 0, v38
	v_ashrrev_i32_e32 v36, 31, v36
	s_wait_alu 0xfffd
	v_xor_b32_e32 v35, vcc_lo, v35
	v_add_nc_u32_e32 v90, v0, v33
	v_and_b32_e32 v34, v34, v39
	s_wait_alu 0xf1ff
	v_xor_b32_e32 v33, s8, v36
	ds_load_b32 v88, v90 offset:32
	v_and_b32_e32 v34, v34, v35
	; wave barrier
	s_delay_alu instid0(VALU_DEP_1) | instskip(NEXT) | instid1(VALU_DEP_1)
	v_and_b32_e32 v33, v34, v33
	v_mbcnt_lo_u32_b32 v89, v33, 0
	v_cmp_ne_u32_e64 s8, 0, v33
	s_delay_alu instid0(VALU_DEP_2)
	v_cmp_eq_u32_e32 vcc_lo, 0, v89
	s_and_b32 s10, s8, vcc_lo
	s_wait_alu 0xfffe
	s_and_saveexec_b32 s8, s10
	s_cbranch_execz .LBB241_35
; %bb.34:
	s_wait_dscnt 0x0
	v_bcnt_u32_b32 v33, v33, v88
	ds_store_b32 v90, v33 offset:32
.LBB241_35:
	s_wait_alu 0xfffe
	s_or_b32 exec_lo, exec_lo, s8
	v_cmp_ne_u16_e32 vcc_lo, 0x7fff, v76
	; wave barrier
	s_wait_alu 0xfffd
	v_cndmask_b32_e32 v33, 0xffff8000, v76, vcc_lo
	s_delay_alu instid0(VALU_DEP_1) | instskip(NEXT) | instid1(VALU_DEP_1)
	v_and_b32_e32 v33, 0xffff, v33
	v_and_b32_e32 v33, s9, v33
	s_delay_alu instid0(VALU_DEP_1)
	v_and_b32_e32 v34, 1, v33
	v_lshlrev_b32_e32 v35, 30, v33
	v_lshlrev_b32_e32 v36, 29, v33
	;; [unrolled: 1-line block ×4, first 2 shown]
	v_add_co_u32 v34, s8, v34, -1
	s_wait_alu 0xf1ff
	v_cndmask_b32_e64 v38, 0, 1, s8
	v_not_b32_e32 v83, v35
	v_cmp_gt_i32_e64 s8, 0, v35
	v_not_b32_e32 v35, v36
	v_lshlrev_b32_e32 v40, 26, v33
	v_cmp_ne_u32_e32 vcc_lo, 0, v38
	v_ashrrev_i32_e32 v83, 31, v83
	v_lshlrev_b32_e32 v82, 25, v33
	v_ashrrev_i32_e32 v35, 31, v35
	v_lshlrev_b32_e32 v38, 24, v33
	s_wait_alu 0xfffd
	v_xor_b32_e32 v34, vcc_lo, v34
	v_cmp_gt_i32_e32 vcc_lo, 0, v36
	v_not_b32_e32 v36, v37
	s_wait_alu 0xf1ff
	v_xor_b32_e32 v83, s8, v83
	v_cmp_gt_i32_e64 s8, 0, v37
	v_and_b32_e32 v34, exec_lo, v34
	v_not_b32_e32 v37, v39
	v_ashrrev_i32_e32 v36, 31, v36
	s_wait_alu 0xfffd
	v_xor_b32_e32 v35, vcc_lo, v35
	v_cmp_gt_i32_e32 vcc_lo, 0, v39
	v_and_b32_e32 v34, v34, v83
	v_not_b32_e32 v39, v40
	v_ashrrev_i32_e32 v37, 31, v37
	s_wait_alu 0xf1ff
	v_xor_b32_e32 v36, s8, v36
	v_cmp_gt_i32_e64 s8, 0, v40
	v_and_b32_e32 v34, v34, v35
	v_not_b32_e32 v35, v82
	v_ashrrev_i32_e32 v39, 31, v39
	s_wait_alu 0xfffd
	v_xor_b32_e32 v37, vcc_lo, v37
	v_cmp_gt_i32_e32 vcc_lo, 0, v82
	v_and_b32_e32 v34, v34, v36
	v_not_b32_e32 v36, v38
	v_ashrrev_i32_e32 v35, 31, v35
	s_wait_alu 0xf1ff
	v_xor_b32_e32 v39, s8, v39
	v_lshlrev_b32_e32 v33, 5, v33
	v_and_b32_e32 v34, v34, v37
	v_cmp_gt_i32_e64 s8, 0, v38
	v_ashrrev_i32_e32 v36, 31, v36
	s_wait_alu 0xfffd
	v_xor_b32_e32 v35, vcc_lo, v35
	v_add_nc_u32_e32 v93, v0, v33
	v_and_b32_e32 v34, v34, v39
	s_wait_alu 0xf1ff
	v_xor_b32_e32 v33, s8, v36
	ds_load_b32 v91, v93 offset:32
	v_and_b32_e32 v34, v34, v35
	; wave barrier
	s_delay_alu instid0(VALU_DEP_1) | instskip(NEXT) | instid1(VALU_DEP_1)
	v_and_b32_e32 v33, v34, v33
	v_mbcnt_lo_u32_b32 v92, v33, 0
	v_cmp_ne_u32_e64 s8, 0, v33
	s_delay_alu instid0(VALU_DEP_2)
	v_cmp_eq_u32_e32 vcc_lo, 0, v92
	s_and_b32 s10, s8, vcc_lo
	s_wait_alu 0xfffe
	s_and_saveexec_b32 s8, s10
	s_cbranch_execz .LBB241_37
; %bb.36:
	s_wait_dscnt 0x0
	v_bcnt_u32_b32 v33, v33, v91
	ds_store_b32 v93, v33 offset:32
.LBB241_37:
	s_wait_alu 0xfffe
	s_or_b32 exec_lo, exec_lo, s8
	v_cmp_ne_u16_e32 vcc_lo, 0x7fff, v77
	; wave barrier
	s_wait_alu 0xfffd
	v_cndmask_b32_e32 v33, 0xffff8000, v77, vcc_lo
	s_delay_alu instid0(VALU_DEP_1) | instskip(NEXT) | instid1(VALU_DEP_1)
	v_and_b32_e32 v33, 0xffff, v33
	v_and_b32_e32 v33, s9, v33
	s_delay_alu instid0(VALU_DEP_1)
	v_and_b32_e32 v34, 1, v33
	v_lshlrev_b32_e32 v35, 30, v33
	v_lshlrev_b32_e32 v36, 29, v33
	;; [unrolled: 1-line block ×4, first 2 shown]
	v_add_co_u32 v34, s8, v34, -1
	s_wait_alu 0xf1ff
	v_cndmask_b32_e64 v38, 0, 1, s8
	v_not_b32_e32 v83, v35
	v_cmp_gt_i32_e64 s8, 0, v35
	v_not_b32_e32 v35, v36
	v_lshlrev_b32_e32 v40, 26, v33
	v_cmp_ne_u32_e32 vcc_lo, 0, v38
	v_ashrrev_i32_e32 v83, 31, v83
	v_lshlrev_b32_e32 v82, 25, v33
	v_ashrrev_i32_e32 v35, 31, v35
	v_lshlrev_b32_e32 v38, 24, v33
	s_wait_alu 0xfffd
	v_xor_b32_e32 v34, vcc_lo, v34
	v_cmp_gt_i32_e32 vcc_lo, 0, v36
	v_not_b32_e32 v36, v37
	s_wait_alu 0xf1ff
	v_xor_b32_e32 v83, s8, v83
	v_cmp_gt_i32_e64 s8, 0, v37
	v_and_b32_e32 v34, exec_lo, v34
	v_not_b32_e32 v37, v39
	v_ashrrev_i32_e32 v36, 31, v36
	s_wait_alu 0xfffd
	v_xor_b32_e32 v35, vcc_lo, v35
	v_cmp_gt_i32_e32 vcc_lo, 0, v39
	v_and_b32_e32 v34, v34, v83
	v_not_b32_e32 v39, v40
	v_ashrrev_i32_e32 v37, 31, v37
	s_wait_alu 0xf1ff
	v_xor_b32_e32 v36, s8, v36
	v_cmp_gt_i32_e64 s8, 0, v40
	v_and_b32_e32 v34, v34, v35
	v_not_b32_e32 v35, v82
	v_ashrrev_i32_e32 v39, 31, v39
	s_wait_alu 0xfffd
	v_xor_b32_e32 v37, vcc_lo, v37
	v_cmp_gt_i32_e32 vcc_lo, 0, v82
	v_and_b32_e32 v34, v34, v36
	v_not_b32_e32 v36, v38
	v_ashrrev_i32_e32 v35, 31, v35
	s_wait_alu 0xf1ff
	v_xor_b32_e32 v39, s8, v39
	v_lshlrev_b32_e32 v33, 5, v33
	v_and_b32_e32 v34, v34, v37
	v_cmp_gt_i32_e64 s8, 0, v38
	v_ashrrev_i32_e32 v36, 31, v36
	s_wait_alu 0xfffd
	v_xor_b32_e32 v35, vcc_lo, v35
	v_add_nc_u32_e32 v96, v0, v33
	v_and_b32_e32 v34, v34, v39
	s_wait_alu 0xf1ff
	v_xor_b32_e32 v33, s8, v36
	ds_load_b32 v94, v96 offset:32
	v_and_b32_e32 v34, v34, v35
	; wave barrier
	s_delay_alu instid0(VALU_DEP_1) | instskip(NEXT) | instid1(VALU_DEP_1)
	v_and_b32_e32 v33, v34, v33
	v_mbcnt_lo_u32_b32 v95, v33, 0
	v_cmp_ne_u32_e64 s8, 0, v33
	s_delay_alu instid0(VALU_DEP_2)
	v_cmp_eq_u32_e32 vcc_lo, 0, v95
	s_and_b32 s10, s8, vcc_lo
	s_wait_alu 0xfffe
	s_and_saveexec_b32 s8, s10
	s_cbranch_execz .LBB241_39
; %bb.38:
	s_wait_dscnt 0x0
	v_bcnt_u32_b32 v33, v33, v94
	ds_store_b32 v96, v33 offset:32
.LBB241_39:
	s_wait_alu 0xfffe
	s_or_b32 exec_lo, exec_lo, s8
	v_cmp_ne_u16_e32 vcc_lo, 0x7fff, v78
	; wave barrier
	s_wait_alu 0xfffd
	v_cndmask_b32_e32 v33, 0xffff8000, v78, vcc_lo
	s_delay_alu instid0(VALU_DEP_1) | instskip(NEXT) | instid1(VALU_DEP_1)
	v_and_b32_e32 v33, 0xffff, v33
	v_and_b32_e32 v33, s9, v33
	s_delay_alu instid0(VALU_DEP_1)
	v_and_b32_e32 v34, 1, v33
	v_lshlrev_b32_e32 v35, 30, v33
	v_lshlrev_b32_e32 v36, 29, v33
	;; [unrolled: 1-line block ×4, first 2 shown]
	v_add_co_u32 v34, s8, v34, -1
	s_wait_alu 0xf1ff
	v_cndmask_b32_e64 v38, 0, 1, s8
	v_not_b32_e32 v83, v35
	v_cmp_gt_i32_e64 s8, 0, v35
	v_not_b32_e32 v35, v36
	v_lshlrev_b32_e32 v40, 26, v33
	v_cmp_ne_u32_e32 vcc_lo, 0, v38
	v_ashrrev_i32_e32 v83, 31, v83
	v_lshlrev_b32_e32 v82, 25, v33
	v_ashrrev_i32_e32 v35, 31, v35
	v_lshlrev_b32_e32 v38, 24, v33
	s_wait_alu 0xfffd
	v_xor_b32_e32 v34, vcc_lo, v34
	v_cmp_gt_i32_e32 vcc_lo, 0, v36
	v_not_b32_e32 v36, v37
	s_wait_alu 0xf1ff
	v_xor_b32_e32 v83, s8, v83
	v_cmp_gt_i32_e64 s8, 0, v37
	v_and_b32_e32 v34, exec_lo, v34
	v_not_b32_e32 v37, v39
	v_ashrrev_i32_e32 v36, 31, v36
	s_wait_alu 0xfffd
	v_xor_b32_e32 v35, vcc_lo, v35
	v_cmp_gt_i32_e32 vcc_lo, 0, v39
	v_and_b32_e32 v34, v34, v83
	v_not_b32_e32 v39, v40
	v_ashrrev_i32_e32 v37, 31, v37
	s_wait_alu 0xf1ff
	v_xor_b32_e32 v36, s8, v36
	v_cmp_gt_i32_e64 s8, 0, v40
	v_and_b32_e32 v34, v34, v35
	v_not_b32_e32 v35, v82
	v_ashrrev_i32_e32 v39, 31, v39
	s_wait_alu 0xfffd
	v_xor_b32_e32 v37, vcc_lo, v37
	v_cmp_gt_i32_e32 vcc_lo, 0, v82
	v_and_b32_e32 v34, v34, v36
	v_not_b32_e32 v36, v38
	v_ashrrev_i32_e32 v35, 31, v35
	s_wait_alu 0xf1ff
	v_xor_b32_e32 v39, s8, v39
	v_lshlrev_b32_e32 v33, 5, v33
	v_and_b32_e32 v34, v34, v37
	v_cmp_gt_i32_e64 s8, 0, v38
	v_ashrrev_i32_e32 v36, 31, v36
	s_wait_alu 0xfffd
	v_xor_b32_e32 v35, vcc_lo, v35
	v_add_nc_u32_e32 v99, v0, v33
	v_and_b32_e32 v34, v34, v39
	s_wait_alu 0xf1ff
	v_xor_b32_e32 v33, s8, v36
	ds_load_b32 v97, v99 offset:32
	v_and_b32_e32 v34, v34, v35
	; wave barrier
	s_delay_alu instid0(VALU_DEP_1) | instskip(NEXT) | instid1(VALU_DEP_1)
	v_and_b32_e32 v33, v34, v33
	v_mbcnt_lo_u32_b32 v98, v33, 0
	v_cmp_ne_u32_e64 s8, 0, v33
	s_delay_alu instid0(VALU_DEP_2)
	v_cmp_eq_u32_e32 vcc_lo, 0, v98
	s_and_b32 s10, s8, vcc_lo
	s_wait_alu 0xfffe
	s_and_saveexec_b32 s8, s10
	s_cbranch_execz .LBB241_41
; %bb.40:
	s_wait_dscnt 0x0
	v_bcnt_u32_b32 v33, v33, v97
	ds_store_b32 v99, v33 offset:32
.LBB241_41:
	s_wait_alu 0xfffe
	s_or_b32 exec_lo, exec_lo, s8
	v_cmp_ne_u16_e32 vcc_lo, 0x7fff, v79
	; wave barrier
	s_wait_alu 0xfffd
	v_cndmask_b32_e32 v33, 0xffff8000, v79, vcc_lo
	s_delay_alu instid0(VALU_DEP_1) | instskip(NEXT) | instid1(VALU_DEP_1)
	v_and_b32_e32 v33, 0xffff, v33
	v_and_b32_e32 v33, s9, v33
	s_delay_alu instid0(VALU_DEP_1)
	v_and_b32_e32 v34, 1, v33
	v_lshlrev_b32_e32 v35, 30, v33
	v_lshlrev_b32_e32 v36, 29, v33
	;; [unrolled: 1-line block ×4, first 2 shown]
	v_add_co_u32 v34, s8, v34, -1
	s_wait_alu 0xf1ff
	v_cndmask_b32_e64 v38, 0, 1, s8
	v_not_b32_e32 v83, v35
	v_cmp_gt_i32_e64 s8, 0, v35
	v_not_b32_e32 v35, v36
	v_lshlrev_b32_e32 v40, 26, v33
	v_cmp_ne_u32_e32 vcc_lo, 0, v38
	v_ashrrev_i32_e32 v83, 31, v83
	v_lshlrev_b32_e32 v82, 25, v33
	v_ashrrev_i32_e32 v35, 31, v35
	v_lshlrev_b32_e32 v38, 24, v33
	s_wait_alu 0xfffd
	v_xor_b32_e32 v34, vcc_lo, v34
	v_cmp_gt_i32_e32 vcc_lo, 0, v36
	v_not_b32_e32 v36, v37
	s_wait_alu 0xf1ff
	v_xor_b32_e32 v83, s8, v83
	v_cmp_gt_i32_e64 s8, 0, v37
	v_and_b32_e32 v34, exec_lo, v34
	v_not_b32_e32 v37, v39
	v_ashrrev_i32_e32 v36, 31, v36
	s_wait_alu 0xfffd
	v_xor_b32_e32 v35, vcc_lo, v35
	v_cmp_gt_i32_e32 vcc_lo, 0, v39
	v_and_b32_e32 v34, v34, v83
	v_not_b32_e32 v39, v40
	v_ashrrev_i32_e32 v37, 31, v37
	s_wait_alu 0xf1ff
	v_xor_b32_e32 v36, s8, v36
	v_cmp_gt_i32_e64 s8, 0, v40
	v_and_b32_e32 v34, v34, v35
	v_not_b32_e32 v35, v82
	v_ashrrev_i32_e32 v39, 31, v39
	s_wait_alu 0xfffd
	v_xor_b32_e32 v37, vcc_lo, v37
	v_cmp_gt_i32_e32 vcc_lo, 0, v82
	v_and_b32_e32 v34, v34, v36
	v_not_b32_e32 v36, v38
	v_ashrrev_i32_e32 v35, 31, v35
	s_wait_alu 0xf1ff
	v_xor_b32_e32 v39, s8, v39
	v_lshlrev_b32_e32 v33, 5, v33
	v_and_b32_e32 v34, v34, v37
	v_cmp_gt_i32_e64 s8, 0, v38
	v_ashrrev_i32_e32 v36, 31, v36
	s_wait_alu 0xfffd
	v_xor_b32_e32 v35, vcc_lo, v35
	v_add_nc_u32_e32 v102, v0, v33
	v_and_b32_e32 v34, v34, v39
	s_wait_alu 0xf1ff
	v_xor_b32_e32 v33, s8, v36
	ds_load_b32 v100, v102 offset:32
	v_and_b32_e32 v34, v34, v35
	; wave barrier
	s_delay_alu instid0(VALU_DEP_1) | instskip(NEXT) | instid1(VALU_DEP_1)
	v_and_b32_e32 v33, v34, v33
	v_mbcnt_lo_u32_b32 v101, v33, 0
	v_cmp_ne_u32_e64 s8, 0, v33
	s_delay_alu instid0(VALU_DEP_2)
	v_cmp_eq_u32_e32 vcc_lo, 0, v101
	s_and_b32 s10, s8, vcc_lo
	s_wait_alu 0xfffe
	s_and_saveexec_b32 s8, s10
	s_cbranch_execz .LBB241_43
; %bb.42:
	s_wait_dscnt 0x0
	v_bcnt_u32_b32 v33, v33, v100
	ds_store_b32 v102, v33 offset:32
.LBB241_43:
	s_wait_alu 0xfffe
	s_or_b32 exec_lo, exec_lo, s8
	v_cmp_ne_u16_e32 vcc_lo, 0x7fff, v80
	; wave barrier
	s_wait_alu 0xfffd
	v_cndmask_b32_e32 v33, 0xffff8000, v80, vcc_lo
	s_delay_alu instid0(VALU_DEP_1) | instskip(NEXT) | instid1(VALU_DEP_1)
	v_and_b32_e32 v33, 0xffff, v33
	v_and_b32_e32 v33, s9, v33
	s_delay_alu instid0(VALU_DEP_1)
	v_and_b32_e32 v34, 1, v33
	v_lshlrev_b32_e32 v35, 30, v33
	v_lshlrev_b32_e32 v36, 29, v33
	;; [unrolled: 1-line block ×4, first 2 shown]
	v_add_co_u32 v34, s8, v34, -1
	s_wait_alu 0xf1ff
	v_cndmask_b32_e64 v38, 0, 1, s8
	v_not_b32_e32 v83, v35
	v_cmp_gt_i32_e64 s8, 0, v35
	v_not_b32_e32 v35, v36
	v_lshlrev_b32_e32 v40, 26, v33
	v_cmp_ne_u32_e32 vcc_lo, 0, v38
	v_ashrrev_i32_e32 v83, 31, v83
	v_lshlrev_b32_e32 v82, 25, v33
	v_ashrrev_i32_e32 v35, 31, v35
	v_lshlrev_b32_e32 v38, 24, v33
	s_wait_alu 0xfffd
	v_xor_b32_e32 v34, vcc_lo, v34
	v_cmp_gt_i32_e32 vcc_lo, 0, v36
	v_not_b32_e32 v36, v37
	s_wait_alu 0xf1ff
	v_xor_b32_e32 v83, s8, v83
	v_cmp_gt_i32_e64 s8, 0, v37
	v_and_b32_e32 v34, exec_lo, v34
	v_not_b32_e32 v37, v39
	v_ashrrev_i32_e32 v36, 31, v36
	s_wait_alu 0xfffd
	v_xor_b32_e32 v35, vcc_lo, v35
	v_cmp_gt_i32_e32 vcc_lo, 0, v39
	v_and_b32_e32 v34, v34, v83
	v_not_b32_e32 v39, v40
	v_ashrrev_i32_e32 v37, 31, v37
	s_wait_alu 0xf1ff
	v_xor_b32_e32 v36, s8, v36
	v_cmp_gt_i32_e64 s8, 0, v40
	v_and_b32_e32 v34, v34, v35
	v_not_b32_e32 v35, v82
	v_ashrrev_i32_e32 v39, 31, v39
	s_wait_alu 0xfffd
	v_xor_b32_e32 v37, vcc_lo, v37
	v_cmp_gt_i32_e32 vcc_lo, 0, v82
	v_and_b32_e32 v34, v34, v36
	v_not_b32_e32 v36, v38
	v_ashrrev_i32_e32 v35, 31, v35
	s_wait_alu 0xf1ff
	v_xor_b32_e32 v39, s8, v39
	v_lshlrev_b32_e32 v33, 5, v33
	v_and_b32_e32 v34, v34, v37
	v_cmp_gt_i32_e64 s8, 0, v38
	v_ashrrev_i32_e32 v36, 31, v36
	s_wait_alu 0xfffd
	v_xor_b32_e32 v35, vcc_lo, v35
	v_add_nc_u32_e32 v105, v0, v33
	v_and_b32_e32 v34, v34, v39
	s_wait_alu 0xf1ff
	v_xor_b32_e32 v33, s8, v36
	ds_load_b32 v103, v105 offset:32
	v_and_b32_e32 v34, v34, v35
	; wave barrier
	s_delay_alu instid0(VALU_DEP_1) | instskip(NEXT) | instid1(VALU_DEP_1)
	v_and_b32_e32 v33, v34, v33
	v_mbcnt_lo_u32_b32 v104, v33, 0
	v_cmp_ne_u32_e64 s8, 0, v33
	s_delay_alu instid0(VALU_DEP_2)
	v_cmp_eq_u32_e32 vcc_lo, 0, v104
	s_and_b32 s10, s8, vcc_lo
	s_wait_alu 0xfffe
	s_and_saveexec_b32 s8, s10
	s_cbranch_execz .LBB241_45
; %bb.44:
	s_wait_dscnt 0x0
	v_bcnt_u32_b32 v33, v33, v103
	ds_store_b32 v105, v33 offset:32
.LBB241_45:
	s_wait_alu 0xfffe
	s_or_b32 exec_lo, exec_lo, s8
	v_cmp_ne_u16_e32 vcc_lo, 0x7fff, v81
	; wave barrier
	s_wait_alu 0xfffd
	v_cndmask_b32_e32 v33, 0xffff8000, v81, vcc_lo
	s_delay_alu instid0(VALU_DEP_1) | instskip(NEXT) | instid1(VALU_DEP_1)
	v_and_b32_e32 v33, 0xffff, v33
	v_and_b32_e32 v33, s9, v33
	s_delay_alu instid0(VALU_DEP_1)
	v_and_b32_e32 v34, 1, v33
	v_lshlrev_b32_e32 v35, 30, v33
	v_lshlrev_b32_e32 v36, 29, v33
	;; [unrolled: 1-line block ×4, first 2 shown]
	v_add_co_u32 v34, s8, v34, -1
	s_wait_alu 0xf1ff
	v_cndmask_b32_e64 v38, 0, 1, s8
	v_not_b32_e32 v83, v35
	v_cmp_gt_i32_e64 s8, 0, v35
	v_not_b32_e32 v35, v36
	v_lshlrev_b32_e32 v40, 26, v33
	v_cmp_ne_u32_e32 vcc_lo, 0, v38
	v_ashrrev_i32_e32 v83, 31, v83
	v_lshlrev_b32_e32 v82, 25, v33
	v_ashrrev_i32_e32 v35, 31, v35
	v_lshlrev_b32_e32 v38, 24, v33
	s_wait_alu 0xfffd
	v_xor_b32_e32 v34, vcc_lo, v34
	v_cmp_gt_i32_e32 vcc_lo, 0, v36
	v_not_b32_e32 v36, v37
	s_wait_alu 0xf1ff
	v_xor_b32_e32 v83, s8, v83
	v_cmp_gt_i32_e64 s8, 0, v37
	v_and_b32_e32 v34, exec_lo, v34
	v_not_b32_e32 v37, v39
	v_ashrrev_i32_e32 v36, 31, v36
	s_wait_alu 0xfffd
	v_xor_b32_e32 v35, vcc_lo, v35
	v_cmp_gt_i32_e32 vcc_lo, 0, v39
	v_and_b32_e32 v34, v34, v83
	v_not_b32_e32 v39, v40
	v_ashrrev_i32_e32 v37, 31, v37
	s_wait_alu 0xf1ff
	v_xor_b32_e32 v36, s8, v36
	v_cmp_gt_i32_e64 s8, 0, v40
	v_and_b32_e32 v34, v34, v35
	v_not_b32_e32 v35, v82
	v_ashrrev_i32_e32 v39, 31, v39
	s_wait_alu 0xfffd
	v_xor_b32_e32 v37, vcc_lo, v37
	v_cmp_gt_i32_e32 vcc_lo, 0, v82
	v_and_b32_e32 v34, v34, v36
	v_not_b32_e32 v36, v38
	v_ashrrev_i32_e32 v35, 31, v35
	s_wait_alu 0xf1ff
	v_xor_b32_e32 v39, s8, v39
	v_lshlrev_b32_e32 v33, 5, v33
	v_and_b32_e32 v34, v34, v37
	v_cmp_gt_i32_e64 s8, 0, v38
	v_ashrrev_i32_e32 v36, 31, v36
	s_wait_alu 0xfffd
	v_xor_b32_e32 v35, vcc_lo, v35
	v_add_nc_u32_e32 v108, v0, v33
	v_and_b32_e32 v34, v34, v39
	v_min_u32_e32 v82, 0xe0, v70
	s_wait_alu 0xf1ff
	v_xor_b32_e32 v33, s8, v36
	ds_load_b32 v106, v108 offset:32
	v_and_b32_e32 v34, v34, v35
	; wave barrier
	s_delay_alu instid0(VALU_DEP_1) | instskip(NEXT) | instid1(VALU_DEP_1)
	v_and_b32_e32 v33, v34, v33
	v_mbcnt_lo_u32_b32 v107, v33, 0
	v_cmp_ne_u32_e64 s8, 0, v33
	s_delay_alu instid0(VALU_DEP_2)
	v_cmp_eq_u32_e32 vcc_lo, 0, v107
	s_and_b32 s9, s8, vcc_lo
	s_wait_alu 0xfffe
	s_and_saveexec_b32 s8, s9
	s_cbranch_execz .LBB241_47
; %bb.46:
	s_wait_dscnt 0x0
	v_bcnt_u32_b32 v33, v33, v106
	ds_store_b32 v108, v33 offset:32
.LBB241_47:
	s_wait_alu 0xfffe
	s_or_b32 exec_lo, exec_lo, s8
	; wave barrier
	s_wait_loadcnt_dscnt 0x0
	s_barrier_signal -1
	s_barrier_wait -1
	global_inv scope:SCOPE_SE
	ds_load_b128 v[37:40], v67 offset:32
	ds_load_b128 v[33:36], v67 offset:48
	v_and_b32_e32 v109, 16, v69
	v_or_b32_e32 v82, 31, v82
	s_delay_alu instid0(VALU_DEP_2) | instskip(NEXT) | instid1(VALU_DEP_2)
	v_cmp_eq_u32_e64 s17, 0, v109
	v_cmp_eq_u32_e64 s15, v46, v82
	s_wait_dscnt 0x1
	v_add_nc_u32_e32 v83, v38, v37
	s_delay_alu instid0(VALU_DEP_1) | instskip(SKIP_1) | instid1(VALU_DEP_1)
	v_add3_u32 v83, v83, v39, v40
	s_wait_dscnt 0x0
	v_add3_u32 v83, v83, v33, v34
	s_delay_alu instid0(VALU_DEP_1) | instskip(SKIP_1) | instid1(VALU_DEP_2)
	v_add3_u32 v36, v83, v35, v36
	v_and_b32_e32 v83, 15, v69
	v_mov_b32_dpp v85, v36 row_shr:1 row_mask:0xf bank_mask:0xf
	s_delay_alu instid0(VALU_DEP_2)
	v_cmp_eq_u32_e64 s9, 0, v83
	v_cmp_lt_u32_e64 s11, 1, v83
	v_cmp_lt_u32_e64 s12, 3, v83
	;; [unrolled: 1-line block ×3, first 2 shown]
	s_wait_alu 0xf1ff
	v_cndmask_b32_e64 v85, v85, 0, s9
	s_delay_alu instid0(VALU_DEP_1) | instskip(NEXT) | instid1(VALU_DEP_1)
	v_add_nc_u32_e32 v36, v85, v36
	v_mov_b32_dpp v85, v36 row_shr:2 row_mask:0xf bank_mask:0xf
	s_delay_alu instid0(VALU_DEP_1) | instskip(NEXT) | instid1(VALU_DEP_1)
	v_cndmask_b32_e64 v85, 0, v85, s11
	v_add_nc_u32_e32 v36, v36, v85
	s_delay_alu instid0(VALU_DEP_1) | instskip(NEXT) | instid1(VALU_DEP_1)
	v_mov_b32_dpp v85, v36 row_shr:4 row_mask:0xf bank_mask:0xf
	v_cndmask_b32_e64 v85, 0, v85, s12
	s_delay_alu instid0(VALU_DEP_1) | instskip(NEXT) | instid1(VALU_DEP_1)
	v_add_nc_u32_e32 v36, v36, v85
	v_mov_b32_dpp v85, v36 row_shr:8 row_mask:0xf bank_mask:0xf
	s_delay_alu instid0(VALU_DEP_1) | instskip(NEXT) | instid1(VALU_DEP_1)
	v_cndmask_b32_e64 v83, 0, v85, s14
	v_add_nc_u32_e32 v85, v36, v83
	v_bfe_i32 v83, v69, 4, 1
	ds_swizzle_b32 v36, v85 offset:swizzle(BROADCAST,32,15)
	s_wait_dscnt 0x0
	v_and_b32_e32 v110, v83, v36
	v_mul_i32_i24_e32 v36, 0xffffffe4, v46
	v_lshlrev_b32_e32 v83, 2, v68
	s_delay_alu instid0(VALU_DEP_3)
	v_add_nc_u32_e32 v85, v85, v110
	s_and_saveexec_b32 s8, s15
; %bb.48:
	ds_store_b32 v83, v85
; %bb.49:
	s_wait_alu 0xfffe
	s_or_b32 exec_lo, exec_lo, s8
	v_and_b32_e32 v82, 7, v69
	v_cmp_gt_u32_e64 s16, 8, v46
	s_wait_loadcnt_dscnt 0x0
	s_barrier_signal -1
	s_barrier_wait -1
	v_cmp_eq_u32_e64 s13, 0, v82
	v_cmp_lt_u32_e64 s10, 1, v82
	v_cmp_lt_u32_e32 vcc_lo, 3, v82
	v_add_nc_u32_e32 v82, v67, v36
	global_inv scope:SCOPE_SE
	s_and_saveexec_b32 s8, s16
	s_cbranch_execz .LBB241_51
; %bb.50:
	ds_load_b32 v36, v82
	s_wait_dscnt 0x0
	v_mov_b32_dpp v109, v36 row_shr:1 row_mask:0xf bank_mask:0xf
	s_wait_alu 0xf1ff
	s_delay_alu instid0(VALU_DEP_1) | instskip(NEXT) | instid1(VALU_DEP_1)
	v_cndmask_b32_e64 v109, v109, 0, s13
	v_add_nc_u32_e32 v36, v109, v36
	s_delay_alu instid0(VALU_DEP_1) | instskip(NEXT) | instid1(VALU_DEP_1)
	v_mov_b32_dpp v109, v36 row_shr:2 row_mask:0xf bank_mask:0xf
	v_cndmask_b32_e64 v109, 0, v109, s10
	s_delay_alu instid0(VALU_DEP_1) | instskip(NEXT) | instid1(VALU_DEP_1)
	v_add_nc_u32_e32 v36, v36, v109
	v_mov_b32_dpp v109, v36 row_shr:4 row_mask:0xf bank_mask:0xf
	s_wait_alu 0xfffd
	s_delay_alu instid0(VALU_DEP_1) | instskip(NEXT) | instid1(VALU_DEP_1)
	v_cndmask_b32_e32 v109, 0, v109, vcc_lo
	v_add_nc_u32_e32 v36, v36, v109
	ds_store_b32 v82, v36
.LBB241_51:
	s_wait_alu 0xfffe
	s_or_b32 exec_lo, exec_lo, s8
	v_mul_u32_u24_e32 v36, 6, v84
	v_sub_co_u32 v109, s8, v69, 1
	v_cmp_lt_u32_e64 s18, 31, v46
	v_add_nc_u32_e32 v84, -4, v83
	v_mov_b32_e32 v110, 0
	s_wait_loadcnt_dscnt 0x0
	s_barrier_signal -1
	s_barrier_wait -1
	global_inv scope:SCOPE_SE
	s_and_saveexec_b32 s19, s18
; %bb.52:
	ds_load_b32 v110, v84
; %bb.53:
	s_or_b32 exec_lo, exec_lo, s19
	v_cmp_gt_i32_e64 s19, 0, v109
	s_mov_b32 s24, 0
	s_min_u32 s20, s20, 8
	s_mov_b32 s25, s24
	s_mov_b32 s26, s24
	v_cndmask_b32_e64 v109, v109, v69, s19
	s_mov_b32 s27, s24
	s_wait_dscnt 0x0
	v_add_nc_u32_e32 v111, v110, v85
	v_cmp_eq_u32_e64 s19, 0, v46
	s_wait_alu 0xfffe
	s_lshl_b32 s20, -1, s20
	v_lshlrev_b32_e32 v85, 2, v109
	s_wait_alu 0xfffe
	s_not_b32 s23, s20
	ds_bpermute_b32 v109, v85, v111
	s_wait_dscnt 0x0
	v_cndmask_b32_e64 v109, v109, v110, s8
	s_delay_alu instid0(VALU_DEP_1) | instskip(NEXT) | instid1(VALU_DEP_1)
	v_cndmask_b32_e64 v109, v109, 0, s19
	v_add_nc_u32_e32 v110, v109, v37
	s_delay_alu instid0(VALU_DEP_1) | instskip(NEXT) | instid1(VALU_DEP_1)
	v_add_nc_u32_e32 v111, v110, v38
	v_add_nc_u32_e32 v112, v111, v39
	s_delay_alu instid0(VALU_DEP_1) | instskip(NEXT) | instid1(VALU_DEP_1)
	v_add_nc_u32_e32 v37, v112, v40
	;; [unrolled: 3-line block ×3, first 2 shown]
	v_add_nc_u32_e32 v40, v39, v35
	ds_store_b128 v67, v[109:112] offset:32
	ds_store_b128 v67, v[37:40] offset:48
	s_wait_loadcnt_dscnt 0x0
	s_barrier_signal -1
	s_barrier_wait -1
	global_inv scope:SCOPE_SE
	ds_load_b32 v33, v87 offset:32
	ds_load_b32 v34, v90 offset:32
	;; [unrolled: 1-line block ×8, first 2 shown]
	v_add_nc_u32_e32 v90, v73, v36
	s_wait_loadcnt_dscnt 0x0
	s_barrier_signal -1
	s_barrier_wait -1
	global_inv scope:SCOPE_SE
	v_add_nc_u32_e32 v86, v33, v86
	v_add3_u32 v88, v89, v88, v34
	v_add3_u32 v89, v92, v91, v35
	v_add3_u32 v91, v95, v94, v37
	v_add3_u32 v92, v98, v97, v38
	v_add3_u32 v93, v101, v100, v39
	v_add3_u32 v94, v104, v103, v40
	v_add3_u32 v95, v107, v106, v87
	v_lshlrev_b32_e32 v33, 1, v86
	v_lshlrev_b32_e32 v34, 1, v88
	;; [unrolled: 1-line block ×8, first 2 shown]
	ds_store_b16 v33, v74
	ds_store_b16 v34, v75
	ds_store_b16 v35, v76
	ds_store_b16 v36, v77
	ds_store_b16 v37, v78
	ds_store_b16 v38, v79
	ds_store_b16 v39, v80
	ds_store_b16 v40, v81
	s_wait_loadcnt_dscnt 0x0
	s_barrier_signal -1
	s_barrier_wait -1
	global_inv scope:SCOPE_SE
	ds_load_u16 v74, v73
	ds_load_u16 v75, v73 offset:64
	ds_load_u16 v76, v73 offset:128
	;; [unrolled: 1-line block ×7, first 2 shown]
	v_mad_co_u64_u32 v[86:87], null, v86, 6, v[33:34]
	v_mad_co_u64_u32 v[33:34], null, v88, 6, v[34:35]
	;; [unrolled: 1-line block ×3, first 2 shown]
	s_wait_loadcnt_dscnt 0x0
	s_barrier_signal -1
	s_barrier_wait -1
	global_inv scope:SCOPE_SE
	v_mad_co_u64_u32 v[35:36], null, v91, 6, v[36:37]
	v_lshrrev_b16 v81, 8, v74
	v_cmp_ne_u16_e64 s20, 0x7fff, v74
	ds_store_b64 v86, v[17:18]
	v_mad_co_u64_u32 v[36:37], null, v92, 6, v[37:38]
	v_mad_co_u64_u32 v[37:38], null, v93, 6, v[38:39]
	s_wait_alu 0xf1ff
	v_cndmask_b32_e64 v81, 0x80, v81, s20
	v_mad_co_u64_u32 v[38:39], null, v94, 6, v[39:40]
	v_mad_co_u64_u32 v[39:40], null, v95, 6, v[40:41]
	s_delay_alu instid0(VALU_DEP_3)
	v_and_b32_e32 v17, 0xffff, v81
	ds_store_b64 v33, v[19:20]
	ds_store_b64 v34, v[25:26]
	;; [unrolled: 1-line block ×7, first 2 shown]
	s_wait_alu 0xfffe
	v_and_b32_e32 v40, s23, v17
	s_wait_loadcnt_dscnt 0x0
	s_barrier_signal -1
	s_barrier_wait -1
	global_inv scope:SCOPE_SE
	v_and_b32_e32 v17, 1, v40
	v_lshlrev_b32_e32 v18, 30, v40
	v_lshlrev_b32_e32 v19, 29, v40
	;; [unrolled: 1-line block ×4, first 2 shown]
	v_add_co_u32 v17, s20, v17, -1
	s_wait_alu 0xf1ff
	v_cndmask_b32_e64 v21, 0, 1, s20
	v_not_b32_e32 v25, v18
	v_cmp_gt_i32_e64 s21, 0, v18
	v_not_b32_e32 v18, v19
	v_lshlrev_b32_e32 v23, 26, v40
	v_cmp_ne_u32_e64 s20, 0, v21
	v_ashrrev_i32_e32 v25, 31, v25
	v_lshlrev_b32_e32 v24, 25, v40
	v_ashrrev_i32_e32 v18, 31, v18
	v_lshlrev_b32_e32 v21, 24, v40
	s_wait_alu 0xf1ff
	v_xor_b32_e32 v17, s20, v17
	v_cmp_gt_i32_e64 s20, 0, v19
	v_not_b32_e32 v19, v20
	v_xor_b32_e32 v25, s21, v25
	v_cmp_gt_i32_e64 s21, 0, v20
	v_and_b32_e32 v17, exec_lo, v17
	v_not_b32_e32 v20, v22
	v_ashrrev_i32_e32 v19, 31, v19
	s_wait_alu 0xf1ff
	v_xor_b32_e32 v18, s20, v18
	v_cmp_gt_i32_e64 s20, 0, v22
	v_and_b32_e32 v17, v17, v25
	v_not_b32_e32 v22, v23
	v_ashrrev_i32_e32 v20, 31, v20
	v_xor_b32_e32 v19, s21, v19
	v_cmp_gt_i32_e64 s21, 0, v23
	v_and_b32_e32 v17, v17, v18
	v_not_b32_e32 v18, v24
	v_ashrrev_i32_e32 v22, 31, v22
	s_wait_alu 0xf1ff
	v_xor_b32_e32 v20, s20, v20
	v_cmp_gt_i32_e64 s20, 0, v24
	v_and_b32_e32 v17, v17, v19
	v_not_b32_e32 v19, v21
	v_ashrrev_i32_e32 v18, 31, v18
	v_xor_b32_e32 v22, s21, v22
	v_cmp_gt_i32_e64 s21, 0, v21
	v_and_b32_e32 v17, v17, v20
	v_ashrrev_i32_e32 v19, 31, v19
	s_wait_alu 0xf1ff
	v_xor_b32_e32 v18, s20, v18
	v_dual_mov_b32 v37, s27 :: v_dual_mov_b32 v36, s26
	v_and_b32_e32 v17, v17, v22
	v_xor_b32_e32 v33, s21, v19
	ds_load_2addr_b64 v[21:24], v90 offset1:32
	v_dual_mov_b32 v35, s25 :: v_dual_mov_b32 v34, s24
	v_and_b32_e32 v38, v17, v18
	ds_load_2addr_b64 v[29:32], v90 offset0:64 offset1:96
	ds_load_2addr_b64 v[25:28], v90 offset0:128 offset1:160
	ds_load_2addr_b64 v[17:20], v90 offset0:192 offset1:224
	v_lshl_add_u32 v86, v40, 5, v0
	s_wait_loadcnt_dscnt 0x0
	s_barrier_signal -1
	v_and_b32_e32 v33, v38, v33
	s_barrier_wait -1
	global_inv scope:SCOPE_SE
	ds_store_b128 v67, v[34:37] offset:32
	ds_store_b128 v67, v[34:37] offset:48
	s_wait_loadcnt_dscnt 0x0
	v_mbcnt_lo_u32_b32 v81, v33, 0
	v_cmp_ne_u32_e64 s21, 0, v33
	s_barrier_signal -1
	s_barrier_wait -1
	global_inv scope:SCOPE_SE
	v_cmp_eq_u32_e64 s20, 0, v81
	; wave barrier
	s_and_b32 s21, s21, s20
	s_wait_alu 0xfffe
	s_and_saveexec_b32 s20, s21
; %bb.54:
	v_bcnt_u32_b32 v33, v33, 0
	ds_store_b32 v86, v33 offset:32
; %bb.55:
	s_wait_alu 0xfffe
	s_or_b32 exec_lo, exec_lo, s20
	v_lshrrev_b16 v33, 8, v75
	v_cmp_ne_u16_e64 s20, 0x7fff, v75
	; wave barrier
	s_wait_alu 0xf1ff
	s_delay_alu instid0(VALU_DEP_1) | instskip(NEXT) | instid1(VALU_DEP_1)
	v_cndmask_b32_e64 v33, 0x80, v33, s20
	v_and_b32_e32 v33, s23, v33
	s_delay_alu instid0(VALU_DEP_1)
	v_and_b32_e32 v34, 1, v33
	v_lshlrev_b32_e32 v35, 30, v33
	v_lshlrev_b32_e32 v36, 29, v33
	;; [unrolled: 1-line block ×4, first 2 shown]
	v_add_co_u32 v34, s20, v34, -1
	s_wait_alu 0xf1ff
	v_cndmask_b32_e64 v38, 0, 1, s20
	v_not_b32_e32 v88, v35
	v_cmp_gt_i32_e64 s21, 0, v35
	v_not_b32_e32 v35, v36
	v_lshlrev_b32_e32 v40, 26, v33
	v_cmp_ne_u32_e64 s20, 0, v38
	v_ashrrev_i32_e32 v88, 31, v88
	v_lshlrev_b32_e32 v87, 25, v33
	v_ashrrev_i32_e32 v35, 31, v35
	v_lshlrev_b32_e32 v38, 24, v33
	s_wait_alu 0xf1ff
	v_xor_b32_e32 v34, s20, v34
	v_cmp_gt_i32_e64 s20, 0, v36
	v_not_b32_e32 v36, v37
	v_xor_b32_e32 v88, s21, v88
	v_cmp_gt_i32_e64 s21, 0, v37
	v_and_b32_e32 v34, exec_lo, v34
	v_not_b32_e32 v37, v39
	v_ashrrev_i32_e32 v36, 31, v36
	s_wait_alu 0xf1ff
	v_xor_b32_e32 v35, s20, v35
	v_cmp_gt_i32_e64 s20, 0, v39
	v_and_b32_e32 v34, v34, v88
	v_not_b32_e32 v39, v40
	v_ashrrev_i32_e32 v37, 31, v37
	v_xor_b32_e32 v36, s21, v36
	v_cmp_gt_i32_e64 s21, 0, v40
	v_and_b32_e32 v34, v34, v35
	v_not_b32_e32 v35, v87
	v_ashrrev_i32_e32 v39, 31, v39
	s_wait_alu 0xf1ff
	v_xor_b32_e32 v37, s20, v37
	v_cmp_gt_i32_e64 s20, 0, v87
	v_and_b32_e32 v34, v34, v36
	v_not_b32_e32 v36, v38
	v_ashrrev_i32_e32 v35, 31, v35
	v_xor_b32_e32 v39, s21, v39
	v_cmp_gt_i32_e64 s21, 0, v38
	v_and_b32_e32 v34, v34, v37
	v_ashrrev_i32_e32 v36, 31, v36
	s_wait_alu 0xf1ff
	v_xor_b32_e32 v35, s20, v35
	v_lshl_add_u32 v89, v33, 5, v0
	v_and_b32_e32 v34, v34, v39
	v_xor_b32_e32 v33, s21, v36
	ds_load_b32 v87, v89 offset:32
	v_and_b32_e32 v34, v34, v35
	; wave barrier
	s_delay_alu instid0(VALU_DEP_1) | instskip(NEXT) | instid1(VALU_DEP_1)
	v_and_b32_e32 v33, v34, v33
	v_mbcnt_lo_u32_b32 v88, v33, 0
	v_cmp_ne_u32_e64 s21, 0, v33
	s_delay_alu instid0(VALU_DEP_2)
	v_cmp_eq_u32_e64 s20, 0, v88
	s_and_b32 s21, s21, s20
	s_wait_alu 0xfffe
	s_and_saveexec_b32 s20, s21
	s_cbranch_execz .LBB241_57
; %bb.56:
	s_wait_dscnt 0x0
	v_bcnt_u32_b32 v33, v33, v87
	ds_store_b32 v89, v33 offset:32
.LBB241_57:
	s_wait_alu 0xfffe
	s_or_b32 exec_lo, exec_lo, s20
	v_lshrrev_b16 v33, 8, v76
	v_cmp_ne_u16_e64 s20, 0x7fff, v76
	; wave barrier
	s_wait_alu 0xf1ff
	s_delay_alu instid0(VALU_DEP_1) | instskip(NEXT) | instid1(VALU_DEP_1)
	v_cndmask_b32_e64 v33, 0x80, v33, s20
	v_and_b32_e32 v33, s23, v33
	s_delay_alu instid0(VALU_DEP_1)
	v_and_b32_e32 v34, 1, v33
	v_lshlrev_b32_e32 v35, 30, v33
	v_lshlrev_b32_e32 v36, 29, v33
	;; [unrolled: 1-line block ×4, first 2 shown]
	v_add_co_u32 v34, s20, v34, -1
	s_wait_alu 0xf1ff
	v_cndmask_b32_e64 v38, 0, 1, s20
	v_not_b32_e32 v91, v35
	v_cmp_gt_i32_e64 s21, 0, v35
	v_not_b32_e32 v35, v36
	v_lshlrev_b32_e32 v40, 26, v33
	v_cmp_ne_u32_e64 s20, 0, v38
	v_ashrrev_i32_e32 v91, 31, v91
	v_lshlrev_b32_e32 v90, 25, v33
	v_ashrrev_i32_e32 v35, 31, v35
	v_lshlrev_b32_e32 v38, 24, v33
	s_wait_alu 0xf1ff
	v_xor_b32_e32 v34, s20, v34
	v_cmp_gt_i32_e64 s20, 0, v36
	v_not_b32_e32 v36, v37
	v_xor_b32_e32 v91, s21, v91
	v_cmp_gt_i32_e64 s21, 0, v37
	v_and_b32_e32 v34, exec_lo, v34
	v_not_b32_e32 v37, v39
	v_ashrrev_i32_e32 v36, 31, v36
	s_wait_alu 0xf1ff
	v_xor_b32_e32 v35, s20, v35
	v_cmp_gt_i32_e64 s20, 0, v39
	v_and_b32_e32 v34, v34, v91
	v_not_b32_e32 v39, v40
	v_ashrrev_i32_e32 v37, 31, v37
	v_xor_b32_e32 v36, s21, v36
	v_cmp_gt_i32_e64 s21, 0, v40
	v_and_b32_e32 v34, v34, v35
	v_not_b32_e32 v35, v90
	v_ashrrev_i32_e32 v39, 31, v39
	s_wait_alu 0xf1ff
	v_xor_b32_e32 v37, s20, v37
	v_cmp_gt_i32_e64 s20, 0, v90
	v_and_b32_e32 v34, v34, v36
	v_not_b32_e32 v36, v38
	v_ashrrev_i32_e32 v35, 31, v35
	v_xor_b32_e32 v39, s21, v39
	v_cmp_gt_i32_e64 s21, 0, v38
	v_and_b32_e32 v34, v34, v37
	v_ashrrev_i32_e32 v36, 31, v36
	s_wait_alu 0xf1ff
	v_xor_b32_e32 v35, s20, v35
	v_lshl_add_u32 v92, v33, 5, v0
	v_and_b32_e32 v34, v34, v39
	v_xor_b32_e32 v33, s21, v36
	ds_load_b32 v90, v92 offset:32
	v_and_b32_e32 v34, v34, v35
	; wave barrier
	s_delay_alu instid0(VALU_DEP_1) | instskip(NEXT) | instid1(VALU_DEP_1)
	v_and_b32_e32 v33, v34, v33
	v_mbcnt_lo_u32_b32 v91, v33, 0
	v_cmp_ne_u32_e64 s21, 0, v33
	s_delay_alu instid0(VALU_DEP_2)
	v_cmp_eq_u32_e64 s20, 0, v91
	s_and_b32 s21, s21, s20
	s_wait_alu 0xfffe
	s_and_saveexec_b32 s20, s21
	s_cbranch_execz .LBB241_59
; %bb.58:
	s_wait_dscnt 0x0
	v_bcnt_u32_b32 v33, v33, v90
	ds_store_b32 v92, v33 offset:32
.LBB241_59:
	s_wait_alu 0xfffe
	s_or_b32 exec_lo, exec_lo, s20
	v_lshrrev_b16 v33, 8, v77
	v_cmp_ne_u16_e64 s20, 0x7fff, v77
	; wave barrier
	s_wait_alu 0xf1ff
	s_delay_alu instid0(VALU_DEP_1) | instskip(NEXT) | instid1(VALU_DEP_1)
	v_cndmask_b32_e64 v33, 0x80, v33, s20
	v_and_b32_e32 v33, s23, v33
	s_delay_alu instid0(VALU_DEP_1)
	v_and_b32_e32 v34, 1, v33
	v_lshlrev_b32_e32 v35, 30, v33
	v_lshlrev_b32_e32 v36, 29, v33
	;; [unrolled: 1-line block ×4, first 2 shown]
	v_add_co_u32 v34, s20, v34, -1
	s_wait_alu 0xf1ff
	v_cndmask_b32_e64 v38, 0, 1, s20
	v_not_b32_e32 v94, v35
	v_cmp_gt_i32_e64 s21, 0, v35
	v_not_b32_e32 v35, v36
	v_lshlrev_b32_e32 v40, 26, v33
	v_cmp_ne_u32_e64 s20, 0, v38
	v_ashrrev_i32_e32 v94, 31, v94
	v_lshlrev_b32_e32 v93, 25, v33
	v_ashrrev_i32_e32 v35, 31, v35
	v_lshlrev_b32_e32 v38, 24, v33
	s_wait_alu 0xf1ff
	v_xor_b32_e32 v34, s20, v34
	v_cmp_gt_i32_e64 s20, 0, v36
	v_not_b32_e32 v36, v37
	v_xor_b32_e32 v94, s21, v94
	v_cmp_gt_i32_e64 s21, 0, v37
	v_and_b32_e32 v34, exec_lo, v34
	v_not_b32_e32 v37, v39
	v_ashrrev_i32_e32 v36, 31, v36
	s_wait_alu 0xf1ff
	v_xor_b32_e32 v35, s20, v35
	v_cmp_gt_i32_e64 s20, 0, v39
	v_and_b32_e32 v34, v34, v94
	v_not_b32_e32 v39, v40
	v_ashrrev_i32_e32 v37, 31, v37
	v_xor_b32_e32 v36, s21, v36
	v_cmp_gt_i32_e64 s21, 0, v40
	v_and_b32_e32 v34, v34, v35
	v_not_b32_e32 v35, v93
	v_ashrrev_i32_e32 v39, 31, v39
	s_wait_alu 0xf1ff
	v_xor_b32_e32 v37, s20, v37
	v_cmp_gt_i32_e64 s20, 0, v93
	v_and_b32_e32 v34, v34, v36
	v_not_b32_e32 v36, v38
	v_ashrrev_i32_e32 v35, 31, v35
	v_xor_b32_e32 v39, s21, v39
	v_cmp_gt_i32_e64 s21, 0, v38
	v_and_b32_e32 v34, v34, v37
	v_ashrrev_i32_e32 v36, 31, v36
	s_wait_alu 0xf1ff
	v_xor_b32_e32 v35, s20, v35
	v_lshl_add_u32 v95, v33, 5, v0
	v_and_b32_e32 v34, v34, v39
	v_xor_b32_e32 v33, s21, v36
	ds_load_b32 v93, v95 offset:32
	v_and_b32_e32 v34, v34, v35
	; wave barrier
	s_delay_alu instid0(VALU_DEP_1) | instskip(NEXT) | instid1(VALU_DEP_1)
	v_and_b32_e32 v33, v34, v33
	v_mbcnt_lo_u32_b32 v94, v33, 0
	v_cmp_ne_u32_e64 s21, 0, v33
	s_delay_alu instid0(VALU_DEP_2)
	v_cmp_eq_u32_e64 s20, 0, v94
	s_and_b32 s21, s21, s20
	s_wait_alu 0xfffe
	s_and_saveexec_b32 s20, s21
	s_cbranch_execz .LBB241_61
; %bb.60:
	s_wait_dscnt 0x0
	v_bcnt_u32_b32 v33, v33, v93
	ds_store_b32 v95, v33 offset:32
.LBB241_61:
	s_wait_alu 0xfffe
	s_or_b32 exec_lo, exec_lo, s20
	v_lshrrev_b16 v33, 8, v78
	v_cmp_ne_u16_e64 s20, 0x7fff, v78
	; wave barrier
	s_wait_alu 0xf1ff
	s_delay_alu instid0(VALU_DEP_1) | instskip(NEXT) | instid1(VALU_DEP_1)
	v_cndmask_b32_e64 v33, 0x80, v33, s20
	v_and_b32_e32 v33, s23, v33
	s_delay_alu instid0(VALU_DEP_1)
	v_and_b32_e32 v34, 1, v33
	v_lshlrev_b32_e32 v35, 30, v33
	v_lshlrev_b32_e32 v36, 29, v33
	;; [unrolled: 1-line block ×4, first 2 shown]
	v_add_co_u32 v34, s20, v34, -1
	s_wait_alu 0xf1ff
	v_cndmask_b32_e64 v38, 0, 1, s20
	v_not_b32_e32 v97, v35
	v_cmp_gt_i32_e64 s21, 0, v35
	v_not_b32_e32 v35, v36
	v_lshlrev_b32_e32 v40, 26, v33
	v_cmp_ne_u32_e64 s20, 0, v38
	v_ashrrev_i32_e32 v97, 31, v97
	v_lshlrev_b32_e32 v96, 25, v33
	v_ashrrev_i32_e32 v35, 31, v35
	v_lshlrev_b32_e32 v38, 24, v33
	s_wait_alu 0xf1ff
	v_xor_b32_e32 v34, s20, v34
	v_cmp_gt_i32_e64 s20, 0, v36
	v_not_b32_e32 v36, v37
	v_xor_b32_e32 v97, s21, v97
	v_cmp_gt_i32_e64 s21, 0, v37
	v_and_b32_e32 v34, exec_lo, v34
	v_not_b32_e32 v37, v39
	v_ashrrev_i32_e32 v36, 31, v36
	s_wait_alu 0xf1ff
	v_xor_b32_e32 v35, s20, v35
	v_cmp_gt_i32_e64 s20, 0, v39
	v_and_b32_e32 v34, v34, v97
	v_not_b32_e32 v39, v40
	v_ashrrev_i32_e32 v37, 31, v37
	v_xor_b32_e32 v36, s21, v36
	v_cmp_gt_i32_e64 s21, 0, v40
	v_and_b32_e32 v34, v34, v35
	v_not_b32_e32 v35, v96
	v_ashrrev_i32_e32 v39, 31, v39
	s_wait_alu 0xf1ff
	v_xor_b32_e32 v37, s20, v37
	v_cmp_gt_i32_e64 s20, 0, v96
	v_and_b32_e32 v34, v34, v36
	v_not_b32_e32 v36, v38
	v_ashrrev_i32_e32 v35, 31, v35
	v_xor_b32_e32 v39, s21, v39
	v_cmp_gt_i32_e64 s21, 0, v38
	v_and_b32_e32 v34, v34, v37
	v_ashrrev_i32_e32 v36, 31, v36
	s_wait_alu 0xf1ff
	v_xor_b32_e32 v35, s20, v35
	v_lshl_add_u32 v98, v33, 5, v0
	v_and_b32_e32 v34, v34, v39
	v_xor_b32_e32 v33, s21, v36
	ds_load_b32 v96, v98 offset:32
	v_and_b32_e32 v34, v34, v35
	; wave barrier
	s_delay_alu instid0(VALU_DEP_1) | instskip(NEXT) | instid1(VALU_DEP_1)
	v_and_b32_e32 v33, v34, v33
	v_mbcnt_lo_u32_b32 v97, v33, 0
	v_cmp_ne_u32_e64 s21, 0, v33
	s_delay_alu instid0(VALU_DEP_2)
	v_cmp_eq_u32_e64 s20, 0, v97
	s_and_b32 s21, s21, s20
	s_wait_alu 0xfffe
	s_and_saveexec_b32 s20, s21
	s_cbranch_execz .LBB241_63
; %bb.62:
	s_wait_dscnt 0x0
	v_bcnt_u32_b32 v33, v33, v96
	ds_store_b32 v98, v33 offset:32
.LBB241_63:
	s_wait_alu 0xfffe
	s_or_b32 exec_lo, exec_lo, s20
	v_lshrrev_b16 v33, 8, v79
	v_cmp_ne_u16_e64 s20, 0x7fff, v79
	; wave barrier
	s_wait_alu 0xf1ff
	s_delay_alu instid0(VALU_DEP_1) | instskip(NEXT) | instid1(VALU_DEP_1)
	v_cndmask_b32_e64 v33, 0x80, v33, s20
	v_and_b32_e32 v33, s23, v33
	s_delay_alu instid0(VALU_DEP_1)
	v_and_b32_e32 v34, 1, v33
	v_lshlrev_b32_e32 v35, 30, v33
	v_lshlrev_b32_e32 v36, 29, v33
	v_lshlrev_b32_e32 v37, 28, v33
	v_lshlrev_b32_e32 v39, 27, v33
	v_add_co_u32 v34, s20, v34, -1
	s_wait_alu 0xf1ff
	v_cndmask_b32_e64 v38, 0, 1, s20
	v_not_b32_e32 v100, v35
	v_cmp_gt_i32_e64 s21, 0, v35
	v_not_b32_e32 v35, v36
	v_lshlrev_b32_e32 v40, 26, v33
	v_cmp_ne_u32_e64 s20, 0, v38
	v_ashrrev_i32_e32 v100, 31, v100
	v_lshlrev_b32_e32 v99, 25, v33
	v_ashrrev_i32_e32 v35, 31, v35
	v_lshlrev_b32_e32 v38, 24, v33
	s_wait_alu 0xf1ff
	v_xor_b32_e32 v34, s20, v34
	v_cmp_gt_i32_e64 s20, 0, v36
	v_not_b32_e32 v36, v37
	v_xor_b32_e32 v100, s21, v100
	v_cmp_gt_i32_e64 s21, 0, v37
	v_and_b32_e32 v34, exec_lo, v34
	v_not_b32_e32 v37, v39
	v_ashrrev_i32_e32 v36, 31, v36
	s_wait_alu 0xf1ff
	v_xor_b32_e32 v35, s20, v35
	v_cmp_gt_i32_e64 s20, 0, v39
	v_and_b32_e32 v34, v34, v100
	v_not_b32_e32 v39, v40
	v_ashrrev_i32_e32 v37, 31, v37
	v_xor_b32_e32 v36, s21, v36
	v_cmp_gt_i32_e64 s21, 0, v40
	v_and_b32_e32 v34, v34, v35
	v_not_b32_e32 v35, v99
	v_ashrrev_i32_e32 v39, 31, v39
	s_wait_alu 0xf1ff
	v_xor_b32_e32 v37, s20, v37
	v_cmp_gt_i32_e64 s20, 0, v99
	v_and_b32_e32 v34, v34, v36
	v_not_b32_e32 v36, v38
	v_ashrrev_i32_e32 v35, 31, v35
	v_xor_b32_e32 v39, s21, v39
	v_cmp_gt_i32_e64 s21, 0, v38
	v_and_b32_e32 v34, v34, v37
	v_ashrrev_i32_e32 v36, 31, v36
	s_wait_alu 0xf1ff
	v_xor_b32_e32 v35, s20, v35
	v_lshl_add_u32 v101, v33, 5, v0
	v_and_b32_e32 v34, v34, v39
	v_xor_b32_e32 v33, s21, v36
	ds_load_b32 v99, v101 offset:32
	v_and_b32_e32 v34, v34, v35
	; wave barrier
	s_delay_alu instid0(VALU_DEP_1) | instskip(NEXT) | instid1(VALU_DEP_1)
	v_and_b32_e32 v33, v34, v33
	v_mbcnt_lo_u32_b32 v100, v33, 0
	v_cmp_ne_u32_e64 s21, 0, v33
	s_delay_alu instid0(VALU_DEP_2)
	v_cmp_eq_u32_e64 s20, 0, v100
	s_and_b32 s21, s21, s20
	s_wait_alu 0xfffe
	s_and_saveexec_b32 s20, s21
	s_cbranch_execz .LBB241_65
; %bb.64:
	s_wait_dscnt 0x0
	v_bcnt_u32_b32 v33, v33, v99
	ds_store_b32 v101, v33 offset:32
.LBB241_65:
	s_wait_alu 0xfffe
	s_or_b32 exec_lo, exec_lo, s20
	v_lshrrev_b16 v33, 8, v80
	v_cmp_ne_u16_e64 s20, 0x7fff, v80
	; wave barrier
	s_wait_alu 0xf1ff
	s_delay_alu instid0(VALU_DEP_1) | instskip(NEXT) | instid1(VALU_DEP_1)
	v_cndmask_b32_e64 v33, 0x80, v33, s20
	v_and_b32_e32 v33, s23, v33
	s_delay_alu instid0(VALU_DEP_1)
	v_and_b32_e32 v34, 1, v33
	v_lshlrev_b32_e32 v35, 30, v33
	v_lshlrev_b32_e32 v36, 29, v33
	;; [unrolled: 1-line block ×4, first 2 shown]
	v_add_co_u32 v34, s20, v34, -1
	s_wait_alu 0xf1ff
	v_cndmask_b32_e64 v38, 0, 1, s20
	v_not_b32_e32 v103, v35
	v_cmp_gt_i32_e64 s21, 0, v35
	v_not_b32_e32 v35, v36
	v_lshlrev_b32_e32 v40, 26, v33
	v_cmp_ne_u32_e64 s20, 0, v38
	v_ashrrev_i32_e32 v103, 31, v103
	v_lshlrev_b32_e32 v102, 25, v33
	v_ashrrev_i32_e32 v35, 31, v35
	v_lshlrev_b32_e32 v38, 24, v33
	s_wait_alu 0xf1ff
	v_xor_b32_e32 v34, s20, v34
	v_cmp_gt_i32_e64 s20, 0, v36
	v_not_b32_e32 v36, v37
	v_xor_b32_e32 v103, s21, v103
	v_cmp_gt_i32_e64 s21, 0, v37
	v_and_b32_e32 v34, exec_lo, v34
	v_not_b32_e32 v37, v39
	v_ashrrev_i32_e32 v36, 31, v36
	s_wait_alu 0xf1ff
	v_xor_b32_e32 v35, s20, v35
	v_cmp_gt_i32_e64 s20, 0, v39
	v_and_b32_e32 v34, v34, v103
	v_not_b32_e32 v39, v40
	v_ashrrev_i32_e32 v37, 31, v37
	v_xor_b32_e32 v36, s21, v36
	v_cmp_gt_i32_e64 s21, 0, v40
	v_and_b32_e32 v34, v34, v35
	v_not_b32_e32 v35, v102
	v_ashrrev_i32_e32 v39, 31, v39
	s_wait_alu 0xf1ff
	v_xor_b32_e32 v37, s20, v37
	v_cmp_gt_i32_e64 s20, 0, v102
	v_and_b32_e32 v34, v34, v36
	v_not_b32_e32 v36, v38
	v_ashrrev_i32_e32 v35, 31, v35
	v_xor_b32_e32 v39, s21, v39
	v_cmp_gt_i32_e64 s21, 0, v38
	v_and_b32_e32 v34, v34, v37
	v_ashrrev_i32_e32 v36, 31, v36
	s_wait_alu 0xf1ff
	v_xor_b32_e32 v35, s20, v35
	v_lshl_add_u32 v104, v33, 5, v0
	v_and_b32_e32 v34, v34, v39
	v_xor_b32_e32 v33, s21, v36
	ds_load_b32 v102, v104 offset:32
	v_and_b32_e32 v34, v34, v35
	; wave barrier
	s_delay_alu instid0(VALU_DEP_1) | instskip(NEXT) | instid1(VALU_DEP_1)
	v_and_b32_e32 v33, v34, v33
	v_mbcnt_lo_u32_b32 v103, v33, 0
	v_cmp_ne_u32_e64 s21, 0, v33
	s_delay_alu instid0(VALU_DEP_2)
	v_cmp_eq_u32_e64 s20, 0, v103
	s_and_b32 s21, s21, s20
	s_wait_alu 0xfffe
	s_and_saveexec_b32 s20, s21
	s_cbranch_execz .LBB241_67
; %bb.66:
	s_wait_dscnt 0x0
	v_bcnt_u32_b32 v33, v33, v102
	ds_store_b32 v104, v33 offset:32
.LBB241_67:
	s_wait_alu 0xfffe
	s_or_b32 exec_lo, exec_lo, s20
	v_lshrrev_b16 v33, 8, v73
	v_cmp_ne_u16_e64 s20, 0x7fff, v73
	; wave barrier
	s_wait_alu 0xf1ff
	s_delay_alu instid0(VALU_DEP_1) | instskip(NEXT) | instid1(VALU_DEP_1)
	v_cndmask_b32_e64 v33, 0x80, v33, s20
	v_and_b32_e32 v33, s23, v33
	s_delay_alu instid0(VALU_DEP_1)
	v_and_b32_e32 v34, 1, v33
	v_lshlrev_b32_e32 v35, 30, v33
	v_lshlrev_b32_e32 v36, 29, v33
	;; [unrolled: 1-line block ×4, first 2 shown]
	v_add_co_u32 v34, s20, v34, -1
	s_wait_alu 0xf1ff
	v_cndmask_b32_e64 v38, 0, 1, s20
	v_not_b32_e32 v106, v35
	v_cmp_gt_i32_e64 s21, 0, v35
	v_not_b32_e32 v35, v36
	v_lshlrev_b32_e32 v40, 26, v33
	v_cmp_ne_u32_e64 s20, 0, v38
	v_ashrrev_i32_e32 v106, 31, v106
	v_lshlrev_b32_e32 v105, 25, v33
	v_ashrrev_i32_e32 v35, 31, v35
	v_lshlrev_b32_e32 v38, 24, v33
	s_wait_alu 0xf1ff
	v_xor_b32_e32 v34, s20, v34
	v_cmp_gt_i32_e64 s20, 0, v36
	v_not_b32_e32 v36, v37
	v_xor_b32_e32 v106, s21, v106
	v_cmp_gt_i32_e64 s21, 0, v37
	v_and_b32_e32 v34, exec_lo, v34
	v_not_b32_e32 v37, v39
	v_ashrrev_i32_e32 v36, 31, v36
	s_wait_alu 0xf1ff
	v_xor_b32_e32 v35, s20, v35
	v_cmp_gt_i32_e64 s20, 0, v39
	v_and_b32_e32 v34, v34, v106
	v_not_b32_e32 v39, v40
	v_ashrrev_i32_e32 v37, 31, v37
	v_xor_b32_e32 v36, s21, v36
	v_cmp_gt_i32_e64 s21, 0, v40
	v_and_b32_e32 v34, v34, v35
	v_not_b32_e32 v35, v105
	v_ashrrev_i32_e32 v39, 31, v39
	s_wait_alu 0xf1ff
	v_xor_b32_e32 v37, s20, v37
	v_cmp_gt_i32_e64 s20, 0, v105
	v_and_b32_e32 v34, v34, v36
	v_not_b32_e32 v36, v38
	v_ashrrev_i32_e32 v35, 31, v35
	v_xor_b32_e32 v39, s21, v39
	v_cmp_gt_i32_e64 s21, 0, v38
	v_and_b32_e32 v34, v34, v37
	v_ashrrev_i32_e32 v36, 31, v36
	s_wait_alu 0xf1ff
	v_xor_b32_e32 v35, s20, v35
	v_lshl_add_u32 v106, v33, 5, v0
	v_and_b32_e32 v34, v34, v39
	v_xor_b32_e32 v33, s21, v36
	ds_load_b32 v0, v106 offset:32
	v_and_b32_e32 v34, v34, v35
	; wave barrier
	s_delay_alu instid0(VALU_DEP_1) | instskip(NEXT) | instid1(VALU_DEP_1)
	v_and_b32_e32 v33, v34, v33
	v_mbcnt_lo_u32_b32 v105, v33, 0
	v_cmp_ne_u32_e64 s21, 0, v33
	s_delay_alu instid0(VALU_DEP_2)
	v_cmp_eq_u32_e64 s20, 0, v105
	s_and_b32 s21, s21, s20
	s_wait_alu 0xfffe
	s_and_saveexec_b32 s20, s21
	s_cbranch_execz .LBB241_69
; %bb.68:
	s_wait_dscnt 0x0
	v_bcnt_u32_b32 v33, v33, v0
	ds_store_b32 v106, v33 offset:32
.LBB241_69:
	s_wait_alu 0xfffe
	s_or_b32 exec_lo, exec_lo, s20
	; wave barrier
	s_wait_loadcnt_dscnt 0x0
	s_barrier_signal -1
	s_barrier_wait -1
	global_inv scope:SCOPE_SE
	ds_load_b128 v[37:40], v67 offset:32
	ds_load_b128 v[33:36], v67 offset:48
	s_wait_dscnt 0x1
	v_add_nc_u32_e32 v107, v38, v37
	s_delay_alu instid0(VALU_DEP_1) | instskip(SKIP_1) | instid1(VALU_DEP_1)
	v_add3_u32 v107, v107, v39, v40
	s_wait_dscnt 0x0
	v_add3_u32 v107, v107, v33, v34
	s_delay_alu instid0(VALU_DEP_1) | instskip(NEXT) | instid1(VALU_DEP_1)
	v_add3_u32 v36, v107, v35, v36
	v_mov_b32_dpp v107, v36 row_shr:1 row_mask:0xf bank_mask:0xf
	s_delay_alu instid0(VALU_DEP_1) | instskip(NEXT) | instid1(VALU_DEP_1)
	v_cndmask_b32_e64 v107, v107, 0, s9
	v_add_nc_u32_e32 v36, v107, v36
	s_delay_alu instid0(VALU_DEP_1) | instskip(NEXT) | instid1(VALU_DEP_1)
	v_mov_b32_dpp v107, v36 row_shr:2 row_mask:0xf bank_mask:0xf
	v_cndmask_b32_e64 v107, 0, v107, s11
	s_delay_alu instid0(VALU_DEP_1) | instskip(NEXT) | instid1(VALU_DEP_1)
	v_add_nc_u32_e32 v36, v36, v107
	v_mov_b32_dpp v107, v36 row_shr:4 row_mask:0xf bank_mask:0xf
	s_delay_alu instid0(VALU_DEP_1) | instskip(NEXT) | instid1(VALU_DEP_1)
	v_cndmask_b32_e64 v107, 0, v107, s12
	v_add_nc_u32_e32 v36, v36, v107
	s_delay_alu instid0(VALU_DEP_1) | instskip(NEXT) | instid1(VALU_DEP_1)
	v_mov_b32_dpp v107, v36 row_shr:8 row_mask:0xf bank_mask:0xf
	v_cndmask_b32_e64 v107, 0, v107, s14
	s_delay_alu instid0(VALU_DEP_1) | instskip(SKIP_3) | instid1(VALU_DEP_1)
	v_add_nc_u32_e32 v36, v36, v107
	ds_swizzle_b32 v107, v36 offset:swizzle(BROADCAST,32,15)
	s_wait_dscnt 0x0
	v_cndmask_b32_e64 v107, v107, 0, s17
	v_add_nc_u32_e32 v36, v36, v107
	s_and_saveexec_b32 s9, s15
; %bb.70:
	ds_store_b32 v83, v36
; %bb.71:
	s_wait_alu 0xfffe
	s_or_b32 exec_lo, exec_lo, s9
	s_wait_loadcnt_dscnt 0x0
	s_barrier_signal -1
	s_barrier_wait -1
	global_inv scope:SCOPE_SE
	s_and_saveexec_b32 s9, s16
	s_cbranch_execz .LBB241_73
; %bb.72:
	ds_load_b32 v83, v82
	s_wait_dscnt 0x0
	v_mov_b32_dpp v107, v83 row_shr:1 row_mask:0xf bank_mask:0xf
	s_delay_alu instid0(VALU_DEP_1) | instskip(NEXT) | instid1(VALU_DEP_1)
	v_cndmask_b32_e64 v107, v107, 0, s13
	v_add_nc_u32_e32 v83, v107, v83
	s_delay_alu instid0(VALU_DEP_1) | instskip(NEXT) | instid1(VALU_DEP_1)
	v_mov_b32_dpp v107, v83 row_shr:2 row_mask:0xf bank_mask:0xf
	v_cndmask_b32_e64 v107, 0, v107, s10
	s_delay_alu instid0(VALU_DEP_1) | instskip(NEXT) | instid1(VALU_DEP_1)
	v_add_nc_u32_e32 v83, v83, v107
	v_mov_b32_dpp v107, v83 row_shr:4 row_mask:0xf bank_mask:0xf
	s_wait_alu 0xfffd
	s_delay_alu instid0(VALU_DEP_1) | instskip(NEXT) | instid1(VALU_DEP_1)
	v_cndmask_b32_e32 v107, 0, v107, vcc_lo
	v_add_nc_u32_e32 v83, v83, v107
	ds_store_b32 v82, v83
.LBB241_73:
	s_wait_alu 0xfffe
	s_or_b32 exec_lo, exec_lo, s9
	v_mov_b32_e32 v82, 0
	s_wait_loadcnt_dscnt 0x0
	s_barrier_signal -1
	s_barrier_wait -1
	global_inv scope:SCOPE_SE
	s_and_saveexec_b32 s9, s18
; %bb.74:
	ds_load_b32 v82, v84
; %bb.75:
	s_wait_alu 0xfffe
	s_or_b32 exec_lo, exec_lo, s9
	s_wait_dscnt 0x0
	v_add_nc_u32_e32 v36, v82, v36
	ds_bpermute_b32 v36, v85, v36
	s_wait_dscnt 0x0
	v_cndmask_b32_e64 v36, v36, v82, s8
	s_delay_alu instid0(VALU_DEP_1) | instskip(NEXT) | instid1(VALU_DEP_1)
	v_cndmask_b32_e64 v36, v36, 0, s19
	v_add_nc_u32_e32 v37, v36, v37
	s_delay_alu instid0(VALU_DEP_1) | instskip(NEXT) | instid1(VALU_DEP_1)
	v_add_nc_u32_e32 v38, v37, v38
	v_add_nc_u32_e32 v39, v38, v39
	s_delay_alu instid0(VALU_DEP_1) | instskip(NEXT) | instid1(VALU_DEP_1)
	v_add_nc_u32_e32 v82, v39, v40
	;; [unrolled: 3-line block ×3, first 2 shown]
	v_add_nc_u32_e32 v85, v84, v35
	ds_store_b128 v67, v[36:39] offset:32
	ds_store_b128 v67, v[82:85] offset:48
	s_wait_loadcnt_dscnt 0x0
	s_barrier_signal -1
	s_barrier_wait -1
	global_inv scope:SCOPE_SE
	ds_load_b32 v33, v106 offset:32
	ds_load_b32 v34, v104 offset:32
	;; [unrolled: 1-line block ×8, first 2 shown]
	v_lshlrev_b32_e32 v82, 1, v66
	s_wait_loadcnt_dscnt 0x0
	s_barrier_signal -1
	s_barrier_wait -1
	global_inv scope:SCOPE_SE
	v_mad_u32_u24 v83, v46, 48, v82
	v_add3_u32 v84, v105, v0, v33
	v_add3_u32 v85, v103, v102, v34
	;; [unrolled: 1-line block ×3, first 2 shown]
	v_add_nc_u32_e32 v81, v36, v81
	v_add3_u32 v87, v88, v87, v37
	v_add3_u32 v88, v91, v90, v38
	;; [unrolled: 1-line block ×4, first 2 shown]
	v_lshlrev_b32_e32 v0, 1, v81
	v_lshlrev_b32_e32 v33, 1, v87
	;; [unrolled: 1-line block ×8, first 2 shown]
	ds_store_b16 v0, v74
	ds_store_b16 v33, v75
	ds_store_b16 v34, v76
	ds_store_b16 v35, v77
	ds_store_b16 v36, v78
	ds_store_b16 v37, v79
	ds_store_b16 v38, v80
	ds_store_b16 v39, v73
	v_mad_co_u64_u32 v[73:74], null, v81, 6, v[0:1]
	v_mad_co_u64_u32 v[74:75], null, v87, 6, v[33:34]
	;; [unrolled: 1-line block ×4, first 2 shown]
	s_wait_loadcnt_dscnt 0x0
	s_barrier_signal -1
	s_barrier_wait -1
	global_inv scope:SCOPE_SE
	v_mad_co_u64_u32 v[77:78], null, v40, 6, v[36:37]
	ds_load_b128 v[33:36], v82
	v_mad_co_u64_u32 v[78:79], null, v86, 6, v[37:38]
	v_mad_co_u64_u32 v[37:38], null, v85, 6, v[38:39]
	;; [unrolled: 1-line block ×3, first 2 shown]
	s_wait_loadcnt_dscnt 0x0
	s_barrier_signal -1
	s_barrier_wait -1
	global_inv scope:SCOPE_SE
	ds_store_b64 v73, v[21:22]
	ds_store_b64 v74, v[23:24]
	;; [unrolled: 1-line block ×8, first 2 shown]
	s_wait_loadcnt_dscnt 0x0
	s_barrier_signal -1
	s_barrier_wait -1
	global_inv scope:SCOPE_SE
	ds_load_b128 v[29:32], v83
	ds_load_b128 v[25:28], v83 offset:16
	ds_load_b128 v[21:24], v83 offset:32
	;; [unrolled: 1-line block ×3, first 2 shown]
	v_cmp_lt_i16_e32 vcc_lo, -1, v33
	v_lshrrev_b32_e32 v0, 16, v33
	v_lshrrev_b32_e32 v38, 16, v34
	;; [unrolled: 1-line block ×4, first 2 shown]
	s_wait_alu 0xfffd
	v_cndmask_b32_e64 v37, 0xffff8000, -1, vcc_lo
	v_cmp_lt_i16_e32 vcc_lo, -1, v34
	s_wait_alu 0xfffd
	v_cndmask_b32_e64 v39, 0xffff8000, -1, vcc_lo
	v_cmp_lt_i16_e32 vcc_lo, -1, v35
	;; [unrolled: 3-line block ×5, first 2 shown]
	s_delay_alu instid0(VALU_DEP_2) | instskip(SKIP_3) | instid1(VALU_DEP_3)
	v_perm_b32 v0, v0, v37, 0x5040100
	s_wait_alu 0xfffd
	v_cndmask_b32_e64 v38, 0xffff8000, -1, vcc_lo
	v_cmp_lt_i16_e32 vcc_lo, -1, v40
	v_xor_b32_e32 v0, v0, v33
	s_delay_alu instid0(VALU_DEP_3) | instskip(SKIP_3) | instid1(VALU_DEP_3)
	v_perm_b32 v37, v38, v39, 0x5040100
	s_wait_alu 0xfffd
	v_cndmask_b32_e64 v40, 0xffff8000, -1, vcc_lo
	v_cmp_lt_i16_e32 vcc_lo, -1, v74
	v_xor_b32_e32 v34, v37, v34
	s_delay_alu instid0(VALU_DEP_3) | instskip(SKIP_2) | instid1(VALU_DEP_2)
	v_perm_b32 v38, v40, v73, 0x5040100
	s_wait_alu 0xfffd
	v_cndmask_b32_e64 v74, 0xffff8000, -1, vcc_lo
	v_xor_b32_e32 v33, v38, v35
	s_delay_alu instid0(VALU_DEP_2) | instskip(NEXT) | instid1(VALU_DEP_1)
	v_perm_b32 v39, v74, v75, 0x5040100
	v_xor_b32_e32 v35, v39, v36
	s_branch .LBB241_128
.LBB241_76:
	v_lshlrev_b64_e32 v[1:2], 3, v[41:42]
	v_dual_mov_b32 v43, v42 :: v_dual_mov_b32 v10, v42
	v_dual_mov_b32 v9, v42 :: v_dual_mov_b32 v12, v42
	v_mov_b32_e32 v11, v42
	s_delay_alu instid0(VALU_DEP_4)
	v_add_co_u32 v1, vcc_lo, s34, v1
	s_wait_alu 0xfffd
	v_add_co_ci_u32_e64 v2, null, s35, v2, vcc_lo
	v_dual_mov_b32 v3, v42 :: v_dual_mov_b32 v6, v42
	v_dual_mov_b32 v5, v42 :: v_dual_mov_b32 v8, v42
	global_load_b64 v[13:14], v[1:2], off
	v_dual_mov_b32 v1, v42 :: v_dual_mov_b32 v4, v42
	v_dual_mov_b32 v2, v42 :: v_dual_mov_b32 v7, v42
	s_wait_alu 0xfffe
	s_or_b32 exec_lo, exec_lo, s9
	s_and_saveexec_b32 s9, s1
	s_cbranch_execz .LBB241_22
.LBB241_77:
	v_mul_lo_u32 v22, s28, v15
	v_mov_b32_e32 v23, 0
	s_delay_alu instid0(VALU_DEP_1) | instskip(NEXT) | instid1(VALU_DEP_1)
	v_lshlrev_b64_e32 v[22:23], 3, v[22:23]
	v_add_co_u32 v22, vcc_lo, s34, v22
	s_wait_alu 0xfffd
	s_delay_alu instid0(VALU_DEP_2)
	v_add_co_ci_u32_e64 v23, null, s35, v23, vcc_lo
	global_load_b64 v[42:43], v[22:23], off
	s_wait_alu 0xfffe
	s_or_b32 exec_lo, exec_lo, s9
	s_and_saveexec_b32 s9, s2
	s_cbranch_execz .LBB241_23
.LBB241_78:
	v_mul_lo_u32 v9, s28, v16
	v_mov_b32_e32 v10, 0
	s_delay_alu instid0(VALU_DEP_1) | instskip(NEXT) | instid1(VALU_DEP_1)
	v_lshlrev_b64_e32 v[9:10], 3, v[9:10]
	v_add_co_u32 v9, vcc_lo, s34, v9
	s_wait_alu 0xfffd
	s_delay_alu instid0(VALU_DEP_2)
	v_add_co_ci_u32_e64 v10, null, s35, v10, vcc_lo
	global_load_b64 v[9:10], v[9:10], off
	s_wait_alu 0xfffe
	s_or_b32 exec_lo, exec_lo, s9
	s_and_saveexec_b32 s9, s3
	s_cbranch_execz .LBB241_24
.LBB241_79:
	v_mul_lo_u32 v11, s28, v17
	v_mov_b32_e32 v12, 0
	s_delay_alu instid0(VALU_DEP_1) | instskip(NEXT) | instid1(VALU_DEP_1)
	v_lshlrev_b64_e32 v[11:12], 3, v[11:12]
	v_add_co_u32 v11, vcc_lo, s34, v11
	s_wait_alu 0xfffd
	s_delay_alu instid0(VALU_DEP_2)
	v_add_co_ci_u32_e64 v12, null, s35, v12, vcc_lo
	global_load_b64 v[11:12], v[11:12], off
	s_wait_alu 0xfffe
	s_or_b32 exec_lo, exec_lo, s9
	s_and_saveexec_b32 s9, s4
	s_cbranch_execz .LBB241_25
.LBB241_80:
	v_mul_lo_u32 v1, s28, v18
	v_mov_b32_e32 v2, 0
	s_delay_alu instid0(VALU_DEP_1) | instskip(NEXT) | instid1(VALU_DEP_1)
	v_lshlrev_b64_e32 v[1:2], 3, v[1:2]
	v_add_co_u32 v1, vcc_lo, s34, v1
	s_wait_alu 0xfffd
	s_delay_alu instid0(VALU_DEP_2)
	v_add_co_ci_u32_e64 v2, null, s35, v2, vcc_lo
	global_load_b64 v[1:2], v[1:2], off
	s_wait_alu 0xfffe
	s_or_b32 exec_lo, exec_lo, s9
	s_and_saveexec_b32 s9, s5
	s_cbranch_execz .LBB241_26
.LBB241_81:
	v_mul_lo_u32 v3, s28, v19
	v_mov_b32_e32 v4, 0
	s_delay_alu instid0(VALU_DEP_1) | instskip(NEXT) | instid1(VALU_DEP_1)
	v_lshlrev_b64_e32 v[3:4], 3, v[3:4]
	v_add_co_u32 v3, vcc_lo, s34, v3
	s_wait_alu 0xfffd
	s_delay_alu instid0(VALU_DEP_2)
	v_add_co_ci_u32_e64 v4, null, s35, v4, vcc_lo
	global_load_b64 v[3:4], v[3:4], off
	s_wait_alu 0xfffe
	s_or_b32 exec_lo, exec_lo, s9
	s_and_saveexec_b32 s9, s6
	s_cbranch_execnz .LBB241_27
	s_branch .LBB241_28
.LBB241_82:
                                        ; implicit-def: $vgpr19_vgpr20
                                        ; implicit-def: $vgpr23_vgpr24
                                        ; implicit-def: $vgpr27_vgpr28
                                        ; implicit-def: $vgpr31_vgpr32
                                        ; implicit-def: $vgpr35
                                        ; implicit-def: $vgpr33
                                        ; implicit-def: $vgpr34
                                        ; implicit-def: $vgpr0
	s_cbranch_execz .LBB241_128
; %bb.83:
	v_lshrrev_b32_e32 v0, 16, v49
	v_cmp_gt_i16_e32 vcc_lo, 0, v49
	s_wait_dscnt 0x0
	v_lshrrev_b32_e32 v17, 16, v50
	v_lshrrev_b32_e32 v18, 16, v47
	;; [unrolled: 1-line block ×3, first 2 shown]
	v_or_b32_e32 v21, v69, v70
	s_wait_alu 0xfffd
	v_cndmask_b32_e64 v20, 0x7fff, 0, vcc_lo
	v_cmp_gt_i16_e32 vcc_lo, 0, v0
	v_and_or_b32 v36, 0x1f00, v66, v69
	s_mov_b32 s12, 0
	s_getpc_b64 s[8:9]
	s_wait_alu 0xfffe
	s_sext_i32_i16 s9, s9
	s_add_co_u32 s8, s8, _ZN7rocprim17ROCPRIM_400000_NS16block_radix_sortI12hip_bfloat16Lj256ELj8ElLj1ELj1ELj0ELNS0_26block_radix_rank_algorithmE1ELNS0_18block_padding_hintE2ELNS0_4arch9wavefront6targetE0EE19radix_bits_per_passE@rel32@lo+12
	s_wait_alu 0xfffe
	s_add_co_ci_u32 s9, s9, _ZN7rocprim17ROCPRIM_400000_NS16block_radix_sortI12hip_bfloat16Lj256ELj8ElLj1ELj1ELj0ELNS0_26block_radix_rank_algorithmE1ELNS0_18block_padding_hintE2ELNS0_4arch9wavefront6targetE0EE19radix_bits_per_passE@rel32@hi+24
	s_mov_b32 s13, s12
	s_wait_alu 0xfffd
	v_cndmask_b32_e64 v0, 0x7fff, 0, vcc_lo
	v_cmp_gt_i16_e32 vcc_lo, 0, v50
	s_mov_b32 s14, s12
	s_mov_b32 s15, s12
	v_lshlrev_b32_e32 v25, 1, v36
	v_perm_b32 v0, v0, v20, 0x5040100
	s_wait_alu 0xfffd
	v_cndmask_b32_e64 v22, 0x7fff, 0, vcc_lo
	v_cmp_gt_i16_e32 vcc_lo, 0, v17
	s_load_b32 s20, s[8:9], 0x0
	v_cndmask_b32_e64 v17, 0x7fff, 0, vcc_lo
	v_cmp_gt_i16_e32 vcc_lo, 0, v47
	s_delay_alu instid0(VALU_DEP_2)
	v_perm_b32 v20, v17, v22, 0x5040100
	s_wait_alu 0xfffd
	v_cndmask_b32_e64 v23, 0x7fff, 0, vcc_lo
	v_cmp_gt_i16_e32 vcc_lo, 0, v18
	v_xor_b32_e32 v17, v0, v49
	s_wait_alu 0xfffd
	v_cndmask_b32_e64 v18, 0x7fff, 0, vcc_lo
	v_cmp_gt_i16_e32 vcc_lo, 0, v48
	s_wait_kmcnt 0x0
	s_min_u32 s8, s20, 16
	s_delay_alu instid0(VALU_DEP_2)
	v_perm_b32 v22, v18, v23, 0x5040100
	s_wait_alu 0xfffd
	v_cndmask_b32_e64 v24, 0x7fff, 0, vcc_lo
	v_cmp_gt_i16_e32 vcc_lo, 0, v19
	v_lshlrev_b32_e32 v23, 4, v21
	v_xor_b32_e32 v18, v20, v50
	s_wait_alu 0xfffe
	s_lshl_b32 s8, -1, s8
	s_wait_alu 0xfffd
	v_cndmask_b32_e64 v19, 0x7fff, 0, vcc_lo
	s_wait_alu 0xfffe
	s_not_b32 s9, s8
	s_delay_alu instid0(VALU_DEP_1) | instskip(SKIP_1) | instid1(VALU_DEP_2)
	v_perm_b32 v24, v19, v24, 0x5040100
	v_xor_b32_e32 v19, v22, v47
	v_xor_b32_e32 v20, v24, v48
	ds_store_b128 v23, v[17:20]
	; wave barrier
	ds_load_u16 v26, v25
	ds_load_u16 v27, v25 offset:64
	ds_load_u16 v28, v25 offset:128
	;; [unrolled: 1-line block ×7, first 2 shown]
	s_wait_loadcnt_dscnt 0x0
	s_barrier_signal -1
	s_barrier_wait -1
	global_inv scope:SCOPE_SE
	v_cmp_ne_u16_e32 vcc_lo, 0x8000, v26
	s_wait_alu 0xfffd
	v_cndmask_b32_e32 v0, 0x7fff, v26, vcc_lo
	v_mad_u32_u24 v17, v21, 48, v23
	ds_store_b128 v17, v[13:16]
	ds_store_b128 v17, v[9:12] offset:16
	v_and_b32_e32 v0, 0xffff, v0
	ds_store_b128 v17, v[5:8] offset:32
	ds_store_b128 v17, v[1:4] offset:48
	v_mad_u32_u24 v12, v36, 6, v25
	; wave barrier
	s_wait_alu 0xfffe
	v_and_b32_e32 v23, s9, v0
	ds_load_2addr_b64 v[8:11], v12 offset1:32
	ds_load_2addr_b64 v[0:3], v12 offset0:64 offset1:96
	v_and_b32_e32 v4, 1, v23
	v_lshlrev_b32_e32 v18, 30, v23
	v_lshlrev_b32_e32 v19, 29, v23
	;; [unrolled: 1-line block ×3, first 2 shown]
	s_delay_alu instid0(VALU_DEP_4)
	v_add_co_u32 v16, s8, v4, -1
	s_wait_alu 0xf1ff
	v_cndmask_b32_e64 v17, 0, 1, s8
	ds_load_2addr_b64 v[4:7], v12 offset0:128 offset1:160
	ds_load_2addr_b64 v[12:15], v12 offset0:192 offset1:224
	s_wait_loadcnt_dscnt 0x0
	s_barrier_signal -1
	v_cmp_ne_u32_e32 vcc_lo, 0, v17
	v_not_b32_e32 v17, v18
	s_barrier_wait -1
	global_inv scope:SCOPE_SE
	s_load_b32 s8, s[36:37], 0xc
	v_xor_b32_e32 v16, vcc_lo, v16
	v_cmp_gt_i32_e32 vcc_lo, 0, v18
	v_ashrrev_i32_e32 v17, 31, v17
	v_not_b32_e32 v18, v19
	s_delay_alu instid0(VALU_DEP_4) | instskip(SKIP_1) | instid1(VALU_DEP_3)
	v_and_b32_e32 v16, exec_lo, v16
	s_wait_alu 0xfffd
	v_xor_b32_e32 v17, vcc_lo, v17
	v_cmp_gt_i32_e32 vcc_lo, 0, v19
	v_ashrrev_i32_e32 v18, 31, v18
	v_not_b32_e32 v19, v20
	s_delay_alu instid0(VALU_DEP_4)
	v_and_b32_e32 v16, v16, v17
	v_lshlrev_b32_e32 v17, 27, v23
	s_wait_alu 0xfffd
	v_xor_b32_e32 v18, vcc_lo, v18
	v_cmp_gt_i32_e32 vcc_lo, 0, v20
	v_ashrrev_i32_e32 v19, 31, v19
	v_not_b32_e32 v20, v17
	s_delay_alu instid0(VALU_DEP_4)
	v_and_b32_e32 v16, v16, v18
	v_lshlrev_b32_e32 v18, 26, v23
	s_wait_alu 0xfffd
	v_xor_b32_e32 v19, vcc_lo, v19
	v_cmp_gt_i32_e32 vcc_lo, 0, v17
	v_ashrrev_i32_e32 v17, 31, v20
	s_wait_kmcnt 0x0
	s_lshr_b32 s10, s8, 16
	v_not_b32_e32 v20, v18
	v_and_b32_e32 v16, v16, v19
	v_lshlrev_b32_e32 v19, 25, v23
	s_wait_alu 0xfffd
	v_xor_b32_e32 v17, vcc_lo, v17
	v_cmp_gt_i32_e32 vcc_lo, 0, v18
	v_ashrrev_i32_e32 v18, 31, v20
	v_mad_u32_u24 v21, v72, s10, v71
	v_not_b32_e32 v20, v19
	v_and_b32_e32 v16, v16, v17
	v_lshlrev_b32_e32 v17, 24, v23
	s_wait_alu 0xfffd
	v_xor_b32_e32 v18, vcc_lo, v18
	v_cmp_gt_i32_e32 vcc_lo, 0, v19
	v_ashrrev_i32_e32 v19, 31, v20
	s_and_b32 s8, s8, 0xffff
	v_not_b32_e32 v20, v17
	v_and_b32_e32 v16, v16, v18
	s_wait_alu 0xfffe
	v_mad_co_u64_u32 v[21:22], null, v21, s8, v[46:47]
	s_wait_alu 0xfffd
	v_xor_b32_e32 v18, vcc_lo, v19
	v_cmp_gt_i32_e32 vcc_lo, 0, v17
	v_ashrrev_i32_e32 v17, 31, v20
	s_delay_alu instid0(VALU_DEP_3) | instskip(SKIP_2) | instid1(VALU_DEP_3)
	v_and_b32_e32 v16, v16, v18
	v_lshrrev_b32_e32 v21, 5, v21
	s_wait_alu 0xfffd
	v_xor_b32_e32 v22, vcc_lo, v17
	v_dual_mov_b32 v20, s15 :: v_dual_mov_b32 v19, s14
	v_dual_mov_b32 v18, s13 :: v_dual_mov_b32 v17, s12
	s_delay_alu instid0(VALU_DEP_3)
	v_and_b32_e32 v16, v16, v22
	ds_store_b128 v67, v[17:20] offset:32
	ds_store_b128 v67, v[17:20] offset:48
	v_mbcnt_lo_u32_b32 v38, v16, 0
	v_lshlrev_b32_e32 v24, 2, v21
	v_lshlrev_b32_e32 v17, 5, v23
	v_cmp_ne_u32_e64 s8, 0, v16
	s_wait_loadcnt_dscnt 0x0
	v_cmp_eq_u32_e32 vcc_lo, 0, v38
	s_barrier_signal -1
	v_add_nc_u32_e32 v39, v24, v17
	s_barrier_wait -1
	global_inv scope:SCOPE_SE
	s_and_b32 s10, s8, vcc_lo
	; wave barrier
	s_wait_alu 0xfffe
	s_and_saveexec_b32 s8, s10
; %bb.84:
	v_bcnt_u32_b32 v16, v16, 0
	ds_store_b32 v39, v16 offset:32
; %bb.85:
	s_wait_alu 0xfffe
	s_or_b32 exec_lo, exec_lo, s8
	v_cmp_ne_u16_e32 vcc_lo, 0x8000, v27
	; wave barrier
	s_wait_alu 0xfffd
	v_cndmask_b32_e32 v16, 0x7fff, v27, vcc_lo
	s_delay_alu instid0(VALU_DEP_1) | instskip(NEXT) | instid1(VALU_DEP_1)
	v_and_b32_e32 v16, 0xffff, v16
	v_and_b32_e32 v16, s9, v16
	s_delay_alu instid0(VALU_DEP_1)
	v_and_b32_e32 v17, 1, v16
	v_lshlrev_b32_e32 v18, 30, v16
	v_lshlrev_b32_e32 v19, 29, v16
	;; [unrolled: 1-line block ×4, first 2 shown]
	v_add_co_u32 v17, s8, v17, -1
	s_wait_alu 0xf1ff
	v_cndmask_b32_e64 v21, 0, 1, s8
	v_not_b32_e32 v35, v18
	v_cmp_gt_i32_e64 s8, 0, v18
	v_not_b32_e32 v18, v19
	v_lshlrev_b32_e32 v23, 26, v16
	v_cmp_ne_u32_e32 vcc_lo, 0, v21
	v_ashrrev_i32_e32 v35, 31, v35
	v_lshlrev_b32_e32 v34, 25, v16
	v_ashrrev_i32_e32 v18, 31, v18
	v_lshlrev_b32_e32 v21, 24, v16
	s_wait_alu 0xfffd
	v_xor_b32_e32 v17, vcc_lo, v17
	v_cmp_gt_i32_e32 vcc_lo, 0, v19
	v_not_b32_e32 v19, v20
	s_wait_alu 0xf1ff
	v_xor_b32_e32 v35, s8, v35
	v_cmp_gt_i32_e64 s8, 0, v20
	v_and_b32_e32 v17, exec_lo, v17
	v_not_b32_e32 v20, v22
	v_ashrrev_i32_e32 v19, 31, v19
	s_wait_alu 0xfffd
	v_xor_b32_e32 v18, vcc_lo, v18
	v_cmp_gt_i32_e32 vcc_lo, 0, v22
	v_and_b32_e32 v17, v17, v35
	v_not_b32_e32 v22, v23
	v_ashrrev_i32_e32 v20, 31, v20
	s_wait_alu 0xf1ff
	v_xor_b32_e32 v19, s8, v19
	v_cmp_gt_i32_e64 s8, 0, v23
	v_and_b32_e32 v17, v17, v18
	v_not_b32_e32 v18, v34
	v_ashrrev_i32_e32 v22, 31, v22
	s_wait_alu 0xfffd
	v_xor_b32_e32 v20, vcc_lo, v20
	v_cmp_gt_i32_e32 vcc_lo, 0, v34
	v_and_b32_e32 v17, v17, v19
	v_not_b32_e32 v19, v21
	v_ashrrev_i32_e32 v18, 31, v18
	s_wait_alu 0xf1ff
	v_xor_b32_e32 v22, s8, v22
	v_lshlrev_b32_e32 v16, 5, v16
	v_and_b32_e32 v17, v17, v20
	v_cmp_gt_i32_e64 s8, 0, v21
	v_ashrrev_i32_e32 v19, 31, v19
	s_wait_alu 0xfffd
	v_xor_b32_e32 v18, vcc_lo, v18
	v_add_nc_u32_e32 v48, v24, v16
	v_and_b32_e32 v17, v17, v22
	s_wait_alu 0xf1ff
	v_xor_b32_e32 v16, s8, v19
	ds_load_b32 v40, v48 offset:32
	v_and_b32_e32 v17, v17, v18
	; wave barrier
	s_delay_alu instid0(VALU_DEP_1) | instskip(NEXT) | instid1(VALU_DEP_1)
	v_and_b32_e32 v16, v17, v16
	v_mbcnt_lo_u32_b32 v47, v16, 0
	v_cmp_ne_u32_e64 s8, 0, v16
	s_delay_alu instid0(VALU_DEP_2)
	v_cmp_eq_u32_e32 vcc_lo, 0, v47
	s_and_b32 s10, s8, vcc_lo
	s_wait_alu 0xfffe
	s_and_saveexec_b32 s8, s10
	s_cbranch_execz .LBB241_87
; %bb.86:
	s_wait_dscnt 0x0
	v_bcnt_u32_b32 v16, v16, v40
	ds_store_b32 v48, v16 offset:32
.LBB241_87:
	s_wait_alu 0xfffe
	s_or_b32 exec_lo, exec_lo, s8
	v_cmp_ne_u16_e32 vcc_lo, 0x8000, v28
	; wave barrier
	s_wait_alu 0xfffd
	v_cndmask_b32_e32 v16, 0x7fff, v28, vcc_lo
	s_delay_alu instid0(VALU_DEP_1) | instskip(NEXT) | instid1(VALU_DEP_1)
	v_and_b32_e32 v16, 0xffff, v16
	v_and_b32_e32 v16, s9, v16
	s_delay_alu instid0(VALU_DEP_1)
	v_and_b32_e32 v17, 1, v16
	v_lshlrev_b32_e32 v18, 30, v16
	v_lshlrev_b32_e32 v19, 29, v16
	;; [unrolled: 1-line block ×4, first 2 shown]
	v_add_co_u32 v17, s8, v17, -1
	s_wait_alu 0xf1ff
	v_cndmask_b32_e64 v21, 0, 1, s8
	v_not_b32_e32 v35, v18
	v_cmp_gt_i32_e64 s8, 0, v18
	v_not_b32_e32 v18, v19
	v_lshlrev_b32_e32 v23, 26, v16
	v_cmp_ne_u32_e32 vcc_lo, 0, v21
	v_ashrrev_i32_e32 v35, 31, v35
	v_lshlrev_b32_e32 v34, 25, v16
	v_ashrrev_i32_e32 v18, 31, v18
	v_lshlrev_b32_e32 v21, 24, v16
	s_wait_alu 0xfffd
	v_xor_b32_e32 v17, vcc_lo, v17
	v_cmp_gt_i32_e32 vcc_lo, 0, v19
	v_not_b32_e32 v19, v20
	s_wait_alu 0xf1ff
	v_xor_b32_e32 v35, s8, v35
	v_cmp_gt_i32_e64 s8, 0, v20
	v_and_b32_e32 v17, exec_lo, v17
	v_not_b32_e32 v20, v22
	v_ashrrev_i32_e32 v19, 31, v19
	s_wait_alu 0xfffd
	v_xor_b32_e32 v18, vcc_lo, v18
	v_cmp_gt_i32_e32 vcc_lo, 0, v22
	v_and_b32_e32 v17, v17, v35
	v_not_b32_e32 v22, v23
	v_ashrrev_i32_e32 v20, 31, v20
	s_wait_alu 0xf1ff
	v_xor_b32_e32 v19, s8, v19
	v_cmp_gt_i32_e64 s8, 0, v23
	v_and_b32_e32 v17, v17, v18
	v_not_b32_e32 v18, v34
	v_ashrrev_i32_e32 v22, 31, v22
	s_wait_alu 0xfffd
	v_xor_b32_e32 v20, vcc_lo, v20
	v_cmp_gt_i32_e32 vcc_lo, 0, v34
	v_and_b32_e32 v17, v17, v19
	v_not_b32_e32 v19, v21
	v_ashrrev_i32_e32 v18, 31, v18
	s_wait_alu 0xf1ff
	v_xor_b32_e32 v22, s8, v22
	v_lshlrev_b32_e32 v16, 5, v16
	v_and_b32_e32 v17, v17, v20
	v_cmp_gt_i32_e64 s8, 0, v21
	v_ashrrev_i32_e32 v19, 31, v19
	s_wait_alu 0xfffd
	v_xor_b32_e32 v18, vcc_lo, v18
	v_add_nc_u32_e32 v71, v24, v16
	v_and_b32_e32 v17, v17, v22
	s_wait_alu 0xf1ff
	v_xor_b32_e32 v16, s8, v19
	ds_load_b32 v49, v71 offset:32
	v_and_b32_e32 v17, v17, v18
	; wave barrier
	s_delay_alu instid0(VALU_DEP_1) | instskip(NEXT) | instid1(VALU_DEP_1)
	v_and_b32_e32 v16, v17, v16
	v_mbcnt_lo_u32_b32 v50, v16, 0
	v_cmp_ne_u32_e64 s8, 0, v16
	s_delay_alu instid0(VALU_DEP_2)
	v_cmp_eq_u32_e32 vcc_lo, 0, v50
	s_and_b32 s10, s8, vcc_lo
	s_wait_alu 0xfffe
	s_and_saveexec_b32 s8, s10
	s_cbranch_execz .LBB241_89
; %bb.88:
	s_wait_dscnt 0x0
	v_bcnt_u32_b32 v16, v16, v49
	ds_store_b32 v71, v16 offset:32
.LBB241_89:
	s_wait_alu 0xfffe
	s_or_b32 exec_lo, exec_lo, s8
	v_cmp_ne_u16_e32 vcc_lo, 0x8000, v29
	; wave barrier
	s_wait_alu 0xfffd
	v_cndmask_b32_e32 v16, 0x7fff, v29, vcc_lo
	s_delay_alu instid0(VALU_DEP_1) | instskip(NEXT) | instid1(VALU_DEP_1)
	v_and_b32_e32 v16, 0xffff, v16
	v_and_b32_e32 v16, s9, v16
	s_delay_alu instid0(VALU_DEP_1)
	v_and_b32_e32 v17, 1, v16
	v_lshlrev_b32_e32 v18, 30, v16
	v_lshlrev_b32_e32 v19, 29, v16
	;; [unrolled: 1-line block ×4, first 2 shown]
	v_add_co_u32 v17, s8, v17, -1
	s_wait_alu 0xf1ff
	v_cndmask_b32_e64 v21, 0, 1, s8
	v_not_b32_e32 v35, v18
	v_cmp_gt_i32_e64 s8, 0, v18
	v_not_b32_e32 v18, v19
	v_lshlrev_b32_e32 v23, 26, v16
	v_cmp_ne_u32_e32 vcc_lo, 0, v21
	v_ashrrev_i32_e32 v35, 31, v35
	v_lshlrev_b32_e32 v34, 25, v16
	v_ashrrev_i32_e32 v18, 31, v18
	v_lshlrev_b32_e32 v21, 24, v16
	s_wait_alu 0xfffd
	v_xor_b32_e32 v17, vcc_lo, v17
	v_cmp_gt_i32_e32 vcc_lo, 0, v19
	v_not_b32_e32 v19, v20
	s_wait_alu 0xf1ff
	v_xor_b32_e32 v35, s8, v35
	v_cmp_gt_i32_e64 s8, 0, v20
	v_and_b32_e32 v17, exec_lo, v17
	v_not_b32_e32 v20, v22
	v_ashrrev_i32_e32 v19, 31, v19
	s_wait_alu 0xfffd
	v_xor_b32_e32 v18, vcc_lo, v18
	v_cmp_gt_i32_e32 vcc_lo, 0, v22
	v_and_b32_e32 v17, v17, v35
	v_not_b32_e32 v22, v23
	v_ashrrev_i32_e32 v20, 31, v20
	s_wait_alu 0xf1ff
	v_xor_b32_e32 v19, s8, v19
	v_cmp_gt_i32_e64 s8, 0, v23
	v_and_b32_e32 v17, v17, v18
	v_not_b32_e32 v18, v34
	v_ashrrev_i32_e32 v22, 31, v22
	s_wait_alu 0xfffd
	v_xor_b32_e32 v20, vcc_lo, v20
	v_cmp_gt_i32_e32 vcc_lo, 0, v34
	v_and_b32_e32 v17, v17, v19
	v_not_b32_e32 v19, v21
	v_ashrrev_i32_e32 v18, 31, v18
	s_wait_alu 0xf1ff
	v_xor_b32_e32 v22, s8, v22
	v_lshlrev_b32_e32 v16, 5, v16
	v_and_b32_e32 v17, v17, v20
	v_cmp_gt_i32_e64 s8, 0, v21
	v_ashrrev_i32_e32 v19, 31, v19
	s_wait_alu 0xfffd
	v_xor_b32_e32 v18, vcc_lo, v18
	v_add_nc_u32_e32 v74, v24, v16
	v_and_b32_e32 v17, v17, v22
	s_wait_alu 0xf1ff
	v_xor_b32_e32 v16, s8, v19
	ds_load_b32 v72, v74 offset:32
	v_and_b32_e32 v17, v17, v18
	; wave barrier
	s_delay_alu instid0(VALU_DEP_1) | instskip(NEXT) | instid1(VALU_DEP_1)
	v_and_b32_e32 v16, v17, v16
	v_mbcnt_lo_u32_b32 v73, v16, 0
	v_cmp_ne_u32_e64 s8, 0, v16
	s_delay_alu instid0(VALU_DEP_2)
	v_cmp_eq_u32_e32 vcc_lo, 0, v73
	s_and_b32 s10, s8, vcc_lo
	s_wait_alu 0xfffe
	s_and_saveexec_b32 s8, s10
	s_cbranch_execz .LBB241_91
; %bb.90:
	s_wait_dscnt 0x0
	v_bcnt_u32_b32 v16, v16, v72
	ds_store_b32 v74, v16 offset:32
.LBB241_91:
	s_wait_alu 0xfffe
	s_or_b32 exec_lo, exec_lo, s8
	v_cmp_ne_u16_e32 vcc_lo, 0x8000, v30
	; wave barrier
	s_wait_alu 0xfffd
	v_cndmask_b32_e32 v16, 0x7fff, v30, vcc_lo
	s_delay_alu instid0(VALU_DEP_1) | instskip(NEXT) | instid1(VALU_DEP_1)
	v_and_b32_e32 v16, 0xffff, v16
	v_and_b32_e32 v16, s9, v16
	s_delay_alu instid0(VALU_DEP_1)
	v_and_b32_e32 v17, 1, v16
	v_lshlrev_b32_e32 v18, 30, v16
	v_lshlrev_b32_e32 v19, 29, v16
	;; [unrolled: 1-line block ×4, first 2 shown]
	v_add_co_u32 v17, s8, v17, -1
	s_wait_alu 0xf1ff
	v_cndmask_b32_e64 v21, 0, 1, s8
	v_not_b32_e32 v35, v18
	v_cmp_gt_i32_e64 s8, 0, v18
	v_not_b32_e32 v18, v19
	v_lshlrev_b32_e32 v23, 26, v16
	v_cmp_ne_u32_e32 vcc_lo, 0, v21
	v_ashrrev_i32_e32 v35, 31, v35
	v_lshlrev_b32_e32 v34, 25, v16
	v_ashrrev_i32_e32 v18, 31, v18
	v_lshlrev_b32_e32 v21, 24, v16
	s_wait_alu 0xfffd
	v_xor_b32_e32 v17, vcc_lo, v17
	v_cmp_gt_i32_e32 vcc_lo, 0, v19
	v_not_b32_e32 v19, v20
	s_wait_alu 0xf1ff
	v_xor_b32_e32 v35, s8, v35
	v_cmp_gt_i32_e64 s8, 0, v20
	v_and_b32_e32 v17, exec_lo, v17
	v_not_b32_e32 v20, v22
	v_ashrrev_i32_e32 v19, 31, v19
	s_wait_alu 0xfffd
	v_xor_b32_e32 v18, vcc_lo, v18
	v_cmp_gt_i32_e32 vcc_lo, 0, v22
	v_and_b32_e32 v17, v17, v35
	v_not_b32_e32 v22, v23
	v_ashrrev_i32_e32 v20, 31, v20
	s_wait_alu 0xf1ff
	v_xor_b32_e32 v19, s8, v19
	v_cmp_gt_i32_e64 s8, 0, v23
	v_and_b32_e32 v17, v17, v18
	v_not_b32_e32 v18, v34
	v_ashrrev_i32_e32 v22, 31, v22
	s_wait_alu 0xfffd
	v_xor_b32_e32 v20, vcc_lo, v20
	v_cmp_gt_i32_e32 vcc_lo, 0, v34
	v_and_b32_e32 v17, v17, v19
	v_not_b32_e32 v19, v21
	v_ashrrev_i32_e32 v18, 31, v18
	s_wait_alu 0xf1ff
	v_xor_b32_e32 v22, s8, v22
	v_lshlrev_b32_e32 v16, 5, v16
	v_and_b32_e32 v17, v17, v20
	v_cmp_gt_i32_e64 s8, 0, v21
	v_ashrrev_i32_e32 v19, 31, v19
	s_wait_alu 0xfffd
	v_xor_b32_e32 v18, vcc_lo, v18
	v_add_nc_u32_e32 v77, v24, v16
	v_and_b32_e32 v17, v17, v22
	s_wait_alu 0xf1ff
	v_xor_b32_e32 v16, s8, v19
	ds_load_b32 v75, v77 offset:32
	v_and_b32_e32 v17, v17, v18
	; wave barrier
	s_delay_alu instid0(VALU_DEP_1) | instskip(NEXT) | instid1(VALU_DEP_1)
	v_and_b32_e32 v16, v17, v16
	v_mbcnt_lo_u32_b32 v76, v16, 0
	v_cmp_ne_u32_e64 s8, 0, v16
	s_delay_alu instid0(VALU_DEP_2)
	v_cmp_eq_u32_e32 vcc_lo, 0, v76
	s_and_b32 s10, s8, vcc_lo
	s_wait_alu 0xfffe
	s_and_saveexec_b32 s8, s10
	s_cbranch_execz .LBB241_93
; %bb.92:
	s_wait_dscnt 0x0
	v_bcnt_u32_b32 v16, v16, v75
	ds_store_b32 v77, v16 offset:32
.LBB241_93:
	s_wait_alu 0xfffe
	s_or_b32 exec_lo, exec_lo, s8
	v_cmp_ne_u16_e32 vcc_lo, 0x8000, v31
	; wave barrier
	s_wait_alu 0xfffd
	v_cndmask_b32_e32 v16, 0x7fff, v31, vcc_lo
	s_delay_alu instid0(VALU_DEP_1) | instskip(NEXT) | instid1(VALU_DEP_1)
	v_and_b32_e32 v16, 0xffff, v16
	v_and_b32_e32 v16, s9, v16
	s_delay_alu instid0(VALU_DEP_1)
	v_and_b32_e32 v17, 1, v16
	v_lshlrev_b32_e32 v18, 30, v16
	v_lshlrev_b32_e32 v19, 29, v16
	;; [unrolled: 1-line block ×4, first 2 shown]
	v_add_co_u32 v17, s8, v17, -1
	s_wait_alu 0xf1ff
	v_cndmask_b32_e64 v21, 0, 1, s8
	v_not_b32_e32 v35, v18
	v_cmp_gt_i32_e64 s8, 0, v18
	v_not_b32_e32 v18, v19
	v_lshlrev_b32_e32 v23, 26, v16
	v_cmp_ne_u32_e32 vcc_lo, 0, v21
	v_ashrrev_i32_e32 v35, 31, v35
	v_lshlrev_b32_e32 v34, 25, v16
	v_ashrrev_i32_e32 v18, 31, v18
	v_lshlrev_b32_e32 v21, 24, v16
	s_wait_alu 0xfffd
	v_xor_b32_e32 v17, vcc_lo, v17
	v_cmp_gt_i32_e32 vcc_lo, 0, v19
	v_not_b32_e32 v19, v20
	s_wait_alu 0xf1ff
	v_xor_b32_e32 v35, s8, v35
	v_cmp_gt_i32_e64 s8, 0, v20
	v_and_b32_e32 v17, exec_lo, v17
	v_not_b32_e32 v20, v22
	v_ashrrev_i32_e32 v19, 31, v19
	s_wait_alu 0xfffd
	v_xor_b32_e32 v18, vcc_lo, v18
	v_cmp_gt_i32_e32 vcc_lo, 0, v22
	v_and_b32_e32 v17, v17, v35
	v_not_b32_e32 v22, v23
	v_ashrrev_i32_e32 v20, 31, v20
	s_wait_alu 0xf1ff
	v_xor_b32_e32 v19, s8, v19
	v_cmp_gt_i32_e64 s8, 0, v23
	v_and_b32_e32 v17, v17, v18
	v_not_b32_e32 v18, v34
	v_ashrrev_i32_e32 v22, 31, v22
	s_wait_alu 0xfffd
	v_xor_b32_e32 v20, vcc_lo, v20
	v_cmp_gt_i32_e32 vcc_lo, 0, v34
	v_and_b32_e32 v17, v17, v19
	v_not_b32_e32 v19, v21
	v_ashrrev_i32_e32 v18, 31, v18
	s_wait_alu 0xf1ff
	v_xor_b32_e32 v22, s8, v22
	v_lshlrev_b32_e32 v16, 5, v16
	v_and_b32_e32 v17, v17, v20
	v_cmp_gt_i32_e64 s8, 0, v21
	v_ashrrev_i32_e32 v19, 31, v19
	s_wait_alu 0xfffd
	v_xor_b32_e32 v18, vcc_lo, v18
	v_add_nc_u32_e32 v80, v24, v16
	v_and_b32_e32 v17, v17, v22
	s_wait_alu 0xf1ff
	v_xor_b32_e32 v16, s8, v19
	ds_load_b32 v78, v80 offset:32
	v_and_b32_e32 v17, v17, v18
	; wave barrier
	s_delay_alu instid0(VALU_DEP_1) | instskip(NEXT) | instid1(VALU_DEP_1)
	v_and_b32_e32 v16, v17, v16
	v_mbcnt_lo_u32_b32 v79, v16, 0
	v_cmp_ne_u32_e64 s8, 0, v16
	s_delay_alu instid0(VALU_DEP_2)
	v_cmp_eq_u32_e32 vcc_lo, 0, v79
	s_and_b32 s10, s8, vcc_lo
	s_wait_alu 0xfffe
	s_and_saveexec_b32 s8, s10
	s_cbranch_execz .LBB241_95
; %bb.94:
	s_wait_dscnt 0x0
	v_bcnt_u32_b32 v16, v16, v78
	ds_store_b32 v80, v16 offset:32
.LBB241_95:
	s_wait_alu 0xfffe
	s_or_b32 exec_lo, exec_lo, s8
	v_cmp_ne_u16_e32 vcc_lo, 0x8000, v32
	; wave barrier
	s_wait_alu 0xfffd
	v_cndmask_b32_e32 v16, 0x7fff, v32, vcc_lo
	s_delay_alu instid0(VALU_DEP_1) | instskip(NEXT) | instid1(VALU_DEP_1)
	v_and_b32_e32 v16, 0xffff, v16
	v_and_b32_e32 v16, s9, v16
	s_delay_alu instid0(VALU_DEP_1)
	v_and_b32_e32 v17, 1, v16
	v_lshlrev_b32_e32 v18, 30, v16
	v_lshlrev_b32_e32 v19, 29, v16
	;; [unrolled: 1-line block ×4, first 2 shown]
	v_add_co_u32 v17, s8, v17, -1
	s_wait_alu 0xf1ff
	v_cndmask_b32_e64 v21, 0, 1, s8
	v_not_b32_e32 v35, v18
	v_cmp_gt_i32_e64 s8, 0, v18
	v_not_b32_e32 v18, v19
	v_lshlrev_b32_e32 v23, 26, v16
	v_cmp_ne_u32_e32 vcc_lo, 0, v21
	v_ashrrev_i32_e32 v35, 31, v35
	v_lshlrev_b32_e32 v34, 25, v16
	v_ashrrev_i32_e32 v18, 31, v18
	v_lshlrev_b32_e32 v21, 24, v16
	s_wait_alu 0xfffd
	v_xor_b32_e32 v17, vcc_lo, v17
	v_cmp_gt_i32_e32 vcc_lo, 0, v19
	v_not_b32_e32 v19, v20
	s_wait_alu 0xf1ff
	v_xor_b32_e32 v35, s8, v35
	v_cmp_gt_i32_e64 s8, 0, v20
	v_and_b32_e32 v17, exec_lo, v17
	v_not_b32_e32 v20, v22
	v_ashrrev_i32_e32 v19, 31, v19
	s_wait_alu 0xfffd
	v_xor_b32_e32 v18, vcc_lo, v18
	v_cmp_gt_i32_e32 vcc_lo, 0, v22
	v_and_b32_e32 v17, v17, v35
	v_not_b32_e32 v22, v23
	v_ashrrev_i32_e32 v20, 31, v20
	s_wait_alu 0xf1ff
	v_xor_b32_e32 v19, s8, v19
	v_cmp_gt_i32_e64 s8, 0, v23
	v_and_b32_e32 v17, v17, v18
	v_not_b32_e32 v18, v34
	v_ashrrev_i32_e32 v22, 31, v22
	s_wait_alu 0xfffd
	v_xor_b32_e32 v20, vcc_lo, v20
	v_cmp_gt_i32_e32 vcc_lo, 0, v34
	v_and_b32_e32 v17, v17, v19
	v_not_b32_e32 v19, v21
	v_ashrrev_i32_e32 v18, 31, v18
	s_wait_alu 0xf1ff
	v_xor_b32_e32 v22, s8, v22
	v_lshlrev_b32_e32 v16, 5, v16
	v_and_b32_e32 v17, v17, v20
	v_cmp_gt_i32_e64 s8, 0, v21
	v_ashrrev_i32_e32 v19, 31, v19
	s_wait_alu 0xfffd
	v_xor_b32_e32 v18, vcc_lo, v18
	v_add_nc_u32_e32 v83, v24, v16
	v_and_b32_e32 v17, v17, v22
	s_wait_alu 0xf1ff
	v_xor_b32_e32 v16, s8, v19
	ds_load_b32 v81, v83 offset:32
	v_and_b32_e32 v17, v17, v18
	; wave barrier
	s_delay_alu instid0(VALU_DEP_1) | instskip(NEXT) | instid1(VALU_DEP_1)
	v_and_b32_e32 v16, v17, v16
	v_mbcnt_lo_u32_b32 v82, v16, 0
	v_cmp_ne_u32_e64 s8, 0, v16
	s_delay_alu instid0(VALU_DEP_2)
	v_cmp_eq_u32_e32 vcc_lo, 0, v82
	s_and_b32 s10, s8, vcc_lo
	s_wait_alu 0xfffe
	s_and_saveexec_b32 s8, s10
	s_cbranch_execz .LBB241_97
; %bb.96:
	s_wait_dscnt 0x0
	v_bcnt_u32_b32 v16, v16, v81
	ds_store_b32 v83, v16 offset:32
.LBB241_97:
	s_wait_alu 0xfffe
	s_or_b32 exec_lo, exec_lo, s8
	v_cmp_ne_u16_e32 vcc_lo, 0x8000, v33
	; wave barrier
	s_wait_alu 0xfffd
	v_cndmask_b32_e32 v16, 0x7fff, v33, vcc_lo
	s_delay_alu instid0(VALU_DEP_1) | instskip(NEXT) | instid1(VALU_DEP_1)
	v_and_b32_e32 v16, 0xffff, v16
	v_and_b32_e32 v16, s9, v16
	s_delay_alu instid0(VALU_DEP_1)
	v_and_b32_e32 v17, 1, v16
	v_lshlrev_b32_e32 v18, 30, v16
	v_lshlrev_b32_e32 v19, 29, v16
	;; [unrolled: 1-line block ×4, first 2 shown]
	v_add_co_u32 v17, s8, v17, -1
	s_wait_alu 0xf1ff
	v_cndmask_b32_e64 v21, 0, 1, s8
	v_not_b32_e32 v35, v18
	v_cmp_gt_i32_e64 s8, 0, v18
	v_not_b32_e32 v18, v19
	v_lshlrev_b32_e32 v23, 26, v16
	v_cmp_ne_u32_e32 vcc_lo, 0, v21
	v_ashrrev_i32_e32 v35, 31, v35
	v_lshlrev_b32_e32 v34, 25, v16
	v_ashrrev_i32_e32 v18, 31, v18
	v_lshlrev_b32_e32 v21, 24, v16
	s_wait_alu 0xfffd
	v_xor_b32_e32 v17, vcc_lo, v17
	v_cmp_gt_i32_e32 vcc_lo, 0, v19
	v_not_b32_e32 v19, v20
	s_wait_alu 0xf1ff
	v_xor_b32_e32 v35, s8, v35
	v_cmp_gt_i32_e64 s8, 0, v20
	v_and_b32_e32 v17, exec_lo, v17
	v_not_b32_e32 v20, v22
	v_ashrrev_i32_e32 v19, 31, v19
	s_wait_alu 0xfffd
	v_xor_b32_e32 v18, vcc_lo, v18
	v_cmp_gt_i32_e32 vcc_lo, 0, v22
	v_and_b32_e32 v17, v17, v35
	v_not_b32_e32 v22, v23
	v_ashrrev_i32_e32 v20, 31, v20
	s_wait_alu 0xf1ff
	v_xor_b32_e32 v19, s8, v19
	v_cmp_gt_i32_e64 s8, 0, v23
	v_and_b32_e32 v17, v17, v18
	v_not_b32_e32 v18, v34
	v_ashrrev_i32_e32 v22, 31, v22
	s_wait_alu 0xfffd
	v_xor_b32_e32 v20, vcc_lo, v20
	v_cmp_gt_i32_e32 vcc_lo, 0, v34
	v_and_b32_e32 v17, v17, v19
	v_not_b32_e32 v19, v21
	v_ashrrev_i32_e32 v18, 31, v18
	s_wait_alu 0xf1ff
	v_xor_b32_e32 v22, s8, v22
	v_lshlrev_b32_e32 v16, 5, v16
	v_and_b32_e32 v17, v17, v20
	v_cmp_gt_i32_e64 s8, 0, v21
	v_ashrrev_i32_e32 v19, 31, v19
	s_wait_alu 0xfffd
	v_xor_b32_e32 v18, vcc_lo, v18
	v_add_nc_u32_e32 v86, v24, v16
	v_and_b32_e32 v17, v17, v22
	v_min_u32_e32 v34, 0xe0, v70
	s_wait_alu 0xf1ff
	v_xor_b32_e32 v16, s8, v19
	ds_load_b32 v84, v86 offset:32
	v_and_b32_e32 v17, v17, v18
	; wave barrier
	s_delay_alu instid0(VALU_DEP_1) | instskip(NEXT) | instid1(VALU_DEP_1)
	v_and_b32_e32 v16, v17, v16
	v_mbcnt_lo_u32_b32 v85, v16, 0
	v_cmp_ne_u32_e64 s8, 0, v16
	s_delay_alu instid0(VALU_DEP_2)
	v_cmp_eq_u32_e32 vcc_lo, 0, v85
	s_and_b32 s9, s8, vcc_lo
	s_wait_alu 0xfffe
	s_and_saveexec_b32 s8, s9
	s_cbranch_execz .LBB241_99
; %bb.98:
	s_wait_dscnt 0x0
	v_bcnt_u32_b32 v16, v16, v84
	ds_store_b32 v86, v16 offset:32
.LBB241_99:
	s_wait_alu 0xfffe
	s_or_b32 exec_lo, exec_lo, s8
	; wave barrier
	s_wait_loadcnt_dscnt 0x0
	s_barrier_signal -1
	s_barrier_wait -1
	global_inv scope:SCOPE_SE
	ds_load_b128 v[20:23], v67 offset:32
	ds_load_b128 v[16:19], v67 offset:48
	v_and_b32_e32 v70, 16, v69
	v_or_b32_e32 v34, 31, v34
	s_delay_alu instid0(VALU_DEP_2) | instskip(NEXT) | instid1(VALU_DEP_2)
	v_cmp_eq_u32_e64 s17, 0, v70
	v_cmp_eq_u32_e64 s15, v46, v34
	s_wait_dscnt 0x1
	v_add_nc_u32_e32 v35, v21, v20
	s_delay_alu instid0(VALU_DEP_1) | instskip(SKIP_1) | instid1(VALU_DEP_1)
	v_add3_u32 v35, v35, v22, v23
	s_wait_dscnt 0x0
	v_add3_u32 v35, v35, v16, v17
	s_delay_alu instid0(VALU_DEP_1) | instskip(SKIP_1) | instid1(VALU_DEP_2)
	v_add3_u32 v19, v35, v18, v19
	v_and_b32_e32 v35, 15, v69
	v_mov_b32_dpp v37, v19 row_shr:1 row_mask:0xf bank_mask:0xf
	s_delay_alu instid0(VALU_DEP_2)
	v_cmp_eq_u32_e64 s9, 0, v35
	v_cmp_lt_u32_e64 s11, 1, v35
	v_cmp_lt_u32_e64 s12, 3, v35
	;; [unrolled: 1-line block ×3, first 2 shown]
	s_wait_alu 0xf1ff
	v_cndmask_b32_e64 v37, v37, 0, s9
	s_delay_alu instid0(VALU_DEP_1) | instskip(NEXT) | instid1(VALU_DEP_1)
	v_add_nc_u32_e32 v19, v37, v19
	v_mov_b32_dpp v37, v19 row_shr:2 row_mask:0xf bank_mask:0xf
	s_delay_alu instid0(VALU_DEP_1) | instskip(NEXT) | instid1(VALU_DEP_1)
	v_cndmask_b32_e64 v37, 0, v37, s11
	v_add_nc_u32_e32 v19, v19, v37
	s_delay_alu instid0(VALU_DEP_1) | instskip(NEXT) | instid1(VALU_DEP_1)
	v_mov_b32_dpp v37, v19 row_shr:4 row_mask:0xf bank_mask:0xf
	v_cndmask_b32_e64 v37, 0, v37, s12
	s_delay_alu instid0(VALU_DEP_1) | instskip(NEXT) | instid1(VALU_DEP_1)
	v_add_nc_u32_e32 v19, v19, v37
	v_mov_b32_dpp v37, v19 row_shr:8 row_mask:0xf bank_mask:0xf
	s_delay_alu instid0(VALU_DEP_1) | instskip(NEXT) | instid1(VALU_DEP_1)
	v_cndmask_b32_e64 v35, 0, v37, s14
	v_add_nc_u32_e32 v37, v19, v35
	v_bfe_i32 v35, v69, 4, 1
	ds_swizzle_b32 v19, v37 offset:swizzle(BROADCAST,32,15)
	s_wait_dscnt 0x0
	v_and_b32_e32 v87, v35, v19
	v_mul_i32_i24_e32 v19, 0xffffffe4, v46
	v_lshlrev_b32_e32 v35, 2, v68
	s_delay_alu instid0(VALU_DEP_3)
	v_add_nc_u32_e32 v37, v37, v87
	s_and_saveexec_b32 s8, s15
; %bb.100:
	ds_store_b32 v35, v37
; %bb.101:
	s_wait_alu 0xfffe
	s_or_b32 exec_lo, exec_lo, s8
	v_and_b32_e32 v34, 7, v69
	v_cmp_gt_u32_e64 s16, 8, v46
	s_wait_loadcnt_dscnt 0x0
	s_barrier_signal -1
	s_barrier_wait -1
	v_cmp_eq_u32_e64 s13, 0, v34
	v_cmp_lt_u32_e64 s10, 1, v34
	v_cmp_lt_u32_e32 vcc_lo, 3, v34
	v_add_nc_u32_e32 v34, v67, v19
	global_inv scope:SCOPE_SE
	s_and_saveexec_b32 s8, s16
	s_cbranch_execz .LBB241_103
; %bb.102:
	ds_load_b32 v19, v34
	s_wait_dscnt 0x0
	v_mov_b32_dpp v68, v19 row_shr:1 row_mask:0xf bank_mask:0xf
	s_wait_alu 0xf1ff
	s_delay_alu instid0(VALU_DEP_1) | instskip(NEXT) | instid1(VALU_DEP_1)
	v_cndmask_b32_e64 v68, v68, 0, s13
	v_add_nc_u32_e32 v19, v68, v19
	s_delay_alu instid0(VALU_DEP_1) | instskip(NEXT) | instid1(VALU_DEP_1)
	v_mov_b32_dpp v68, v19 row_shr:2 row_mask:0xf bank_mask:0xf
	v_cndmask_b32_e64 v68, 0, v68, s10
	s_delay_alu instid0(VALU_DEP_1) | instskip(NEXT) | instid1(VALU_DEP_1)
	v_add_nc_u32_e32 v19, v19, v68
	v_mov_b32_dpp v68, v19 row_shr:4 row_mask:0xf bank_mask:0xf
	s_wait_alu 0xfffd
	s_delay_alu instid0(VALU_DEP_1) | instskip(NEXT) | instid1(VALU_DEP_1)
	v_cndmask_b32_e32 v68, 0, v68, vcc_lo
	v_add_nc_u32_e32 v19, v19, v68
	ds_store_b32 v34, v19
.LBB241_103:
	s_wait_alu 0xfffe
	s_or_b32 exec_lo, exec_lo, s8
	v_mul_u32_u24_e32 v19, 6, v36
	v_sub_co_u32 v68, s8, v69, 1
	v_cmp_lt_u32_e64 s18, 31, v46
	v_add_nc_u32_e32 v36, -4, v35
	v_mov_b32_e32 v70, 0
	s_wait_loadcnt_dscnt 0x0
	s_barrier_signal -1
	s_barrier_wait -1
	global_inv scope:SCOPE_SE
	s_and_saveexec_b32 s19, s18
; %bb.104:
	ds_load_b32 v70, v36
; %bb.105:
	s_or_b32 exec_lo, exec_lo, s19
	v_cmp_gt_i32_e64 s19, 0, v68
	s_mov_b32 s24, 0
	s_min_u32 s20, s20, 8
	s_mov_b32 s25, s24
	s_mov_b32 s26, s24
	v_cndmask_b32_e64 v68, v68, v69, s19
	s_mov_b32 s27, s24
	s_wait_dscnt 0x0
	v_add_nc_u32_e32 v69, v70, v37
	v_cmp_eq_u32_e64 s19, 0, v46
	s_wait_alu 0xfffe
	s_lshl_b32 s20, -1, s20
	v_lshlrev_b32_e32 v37, 2, v68
	s_wait_alu 0xfffe
	s_not_b32 s23, s20
	ds_bpermute_b32 v68, v37, v69
	s_wait_dscnt 0x0
	v_cndmask_b32_e64 v68, v68, v70, s8
	s_delay_alu instid0(VALU_DEP_1) | instskip(NEXT) | instid1(VALU_DEP_1)
	v_cndmask_b32_e64 v87, v68, 0, s19
	v_add_nc_u32_e32 v88, v87, v20
	s_delay_alu instid0(VALU_DEP_1) | instskip(NEXT) | instid1(VALU_DEP_1)
	v_add_nc_u32_e32 v89, v88, v21
	v_add_nc_u32_e32 v90, v89, v22
	s_delay_alu instid0(VALU_DEP_1) | instskip(NEXT) | instid1(VALU_DEP_1)
	v_add_nc_u32_e32 v20, v90, v23
	;; [unrolled: 3-line block ×3, first 2 shown]
	v_add_nc_u32_e32 v23, v22, v18
	ds_store_b128 v67, v[87:90] offset:32
	ds_store_b128 v67, v[20:23] offset:48
	s_wait_loadcnt_dscnt 0x0
	s_barrier_signal -1
	s_barrier_wait -1
	global_inv scope:SCOPE_SE
	ds_load_b32 v16, v39 offset:32
	ds_load_b32 v17, v48 offset:32
	;; [unrolled: 1-line block ×8, first 2 shown]
	v_add_nc_u32_e32 v48, v25, v19
	s_wait_loadcnt_dscnt 0x0
	s_barrier_signal -1
	s_barrier_wait -1
	global_inv scope:SCOPE_SE
	v_add_nc_u32_e32 v38, v16, v38
	v_add3_u32 v40, v47, v40, v17
	v_add3_u32 v47, v50, v49, v18
	;; [unrolled: 1-line block ×7, first 2 shown]
	v_lshlrev_b32_e32 v16, 1, v38
	v_lshlrev_b32_e32 v17, 1, v40
	v_lshlrev_b32_e32 v18, 1, v47
	v_lshlrev_b32_e32 v19, 1, v49
	v_lshlrev_b32_e32 v20, 1, v50
	v_lshlrev_b32_e32 v21, 1, v68
	v_lshlrev_b32_e32 v22, 1, v69
	v_lshlrev_b32_e32 v23, 1, v70
	ds_store_b16 v16, v26
	ds_store_b16 v17, v27
	;; [unrolled: 1-line block ×8, first 2 shown]
	s_wait_loadcnt_dscnt 0x0
	s_barrier_signal -1
	s_barrier_wait -1
	global_inv scope:SCOPE_SE
	ds_load_u16 v26, v25
	ds_load_u16 v27, v25 offset:64
	ds_load_u16 v28, v25 offset:128
	;; [unrolled: 1-line block ×7, first 2 shown]
	v_mad_co_u64_u32 v[38:39], null, v38, 6, v[16:17]
	v_mad_co_u64_u32 v[16:17], null, v40, 6, v[17:18]
	;; [unrolled: 1-line block ×3, first 2 shown]
	s_wait_loadcnt_dscnt 0x0
	s_barrier_signal -1
	s_barrier_wait -1
	global_inv scope:SCOPE_SE
	v_mad_co_u64_u32 v[18:19], null, v49, 6, v[19:20]
	v_lshrrev_b16 v33, 8, v26
	v_cmp_ne_u16_e64 s20, 0x8000, v26
	ds_store_b64 v38, v[8:9]
	v_mad_co_u64_u32 v[19:20], null, v50, 6, v[20:21]
	v_mad_co_u64_u32 v[20:21], null, v68, 6, v[21:22]
	s_wait_alu 0xf1ff
	v_cndmask_b32_e64 v33, 0x7f, v33, s20
	v_mad_co_u64_u32 v[21:22], null, v69, 6, v[22:23]
	v_mad_co_u64_u32 v[22:23], null, v70, 6, v[23:24]
	s_delay_alu instid0(VALU_DEP_3)
	v_and_b32_e32 v8, 0xffff, v33
	ds_store_b64 v16, v[10:11]
	ds_store_b64 v17, v[0:1]
	;; [unrolled: 1-line block ×7, first 2 shown]
	s_wait_alu 0xfffe
	v_and_b32_e32 v23, s23, v8
	s_wait_loadcnt_dscnt 0x0
	s_barrier_signal -1
	s_barrier_wait -1
	global_inv scope:SCOPE_SE
	v_and_b32_e32 v0, 1, v23
	v_lshlrev_b32_e32 v1, 30, v23
	v_lshlrev_b32_e32 v2, 29, v23
	;; [unrolled: 1-line block ×4, first 2 shown]
	v_add_co_u32 v0, s20, v0, -1
	s_wait_alu 0xf1ff
	v_cndmask_b32_e64 v4, 0, 1, s20
	v_not_b32_e32 v8, v1
	v_cmp_gt_i32_e64 s21, 0, v1
	v_not_b32_e32 v1, v2
	v_lshlrev_b32_e32 v6, 26, v23
	v_cmp_ne_u32_e64 s20, 0, v4
	v_ashrrev_i32_e32 v8, 31, v8
	v_lshlrev_b32_e32 v7, 25, v23
	v_ashrrev_i32_e32 v1, 31, v1
	v_lshlrev_b32_e32 v4, 24, v23
	s_wait_alu 0xf1ff
	v_xor_b32_e32 v0, s20, v0
	v_cmp_gt_i32_e64 s20, 0, v2
	v_not_b32_e32 v2, v3
	v_xor_b32_e32 v8, s21, v8
	v_cmp_gt_i32_e64 s21, 0, v3
	v_and_b32_e32 v0, exec_lo, v0
	v_not_b32_e32 v3, v5
	v_ashrrev_i32_e32 v2, 31, v2
	s_wait_alu 0xf1ff
	v_xor_b32_e32 v1, s20, v1
	v_cmp_gt_i32_e64 s20, 0, v5
	v_and_b32_e32 v0, v0, v8
	v_not_b32_e32 v5, v6
	v_ashrrev_i32_e32 v3, 31, v3
	v_xor_b32_e32 v2, s21, v2
	v_cmp_gt_i32_e64 s21, 0, v6
	v_and_b32_e32 v0, v0, v1
	v_not_b32_e32 v1, v7
	v_ashrrev_i32_e32 v5, 31, v5
	s_wait_alu 0xf1ff
	v_xor_b32_e32 v3, s20, v3
	v_cmp_gt_i32_e64 s20, 0, v7
	v_and_b32_e32 v0, v0, v2
	v_not_b32_e32 v2, v4
	v_ashrrev_i32_e32 v1, 31, v1
	v_xor_b32_e32 v5, s21, v5
	v_cmp_gt_i32_e64 s21, 0, v4
	v_and_b32_e32 v0, v0, v3
	v_ashrrev_i32_e32 v2, 31, v2
	s_wait_alu 0xf1ff
	v_xor_b32_e32 v1, s20, v1
	v_dual_mov_b32 v17, s24 :: v_dual_mov_b32 v18, s25
	v_and_b32_e32 v0, v0, v5
	v_xor_b32_e32 v16, s21, v2
	ds_load_2addr_b64 v[4:7], v48 offset1:32
	v_dual_mov_b32 v19, s26 :: v_dual_mov_b32 v20, s27
	v_and_b32_e32 v21, v0, v1
	ds_load_2addr_b64 v[12:15], v48 offset0:64 offset1:96
	ds_load_2addr_b64 v[8:11], v48 offset0:128 offset1:160
	ds_load_2addr_b64 v[0:3], v48 offset0:192 offset1:224
	v_lshl_add_u32 v38, v23, 5, v24
	s_wait_loadcnt_dscnt 0x0
	s_barrier_signal -1
	v_and_b32_e32 v16, v21, v16
	s_barrier_wait -1
	global_inv scope:SCOPE_SE
	ds_store_b128 v67, v[17:20] offset:32
	ds_store_b128 v67, v[17:20] offset:48
	s_wait_loadcnt_dscnt 0x0
	v_mbcnt_lo_u32_b32 v33, v16, 0
	v_cmp_ne_u32_e64 s21, 0, v16
	s_barrier_signal -1
	s_barrier_wait -1
	global_inv scope:SCOPE_SE
	v_cmp_eq_u32_e64 s20, 0, v33
	; wave barrier
	s_and_b32 s21, s21, s20
	s_wait_alu 0xfffe
	s_and_saveexec_b32 s20, s21
; %bb.106:
	v_bcnt_u32_b32 v16, v16, 0
	ds_store_b32 v38, v16 offset:32
; %bb.107:
	s_wait_alu 0xfffe
	s_or_b32 exec_lo, exec_lo, s20
	v_lshrrev_b16 v16, 8, v27
	v_cmp_ne_u16_e64 s20, 0x8000, v27
	; wave barrier
	s_wait_alu 0xf1ff
	s_delay_alu instid0(VALU_DEP_1) | instskip(NEXT) | instid1(VALU_DEP_1)
	v_cndmask_b32_e64 v16, 0x7f, v16, s20
	v_and_b32_e32 v16, s23, v16
	s_delay_alu instid0(VALU_DEP_1)
	v_and_b32_e32 v17, 1, v16
	v_lshlrev_b32_e32 v18, 30, v16
	v_lshlrev_b32_e32 v19, 29, v16
	;; [unrolled: 1-line block ×4, first 2 shown]
	v_add_co_u32 v17, s20, v17, -1
	s_wait_alu 0xf1ff
	v_cndmask_b32_e64 v21, 0, 1, s20
	v_not_b32_e32 v40, v18
	v_cmp_gt_i32_e64 s21, 0, v18
	v_not_b32_e32 v18, v19
	v_lshlrev_b32_e32 v23, 26, v16
	v_cmp_ne_u32_e64 s20, 0, v21
	v_ashrrev_i32_e32 v40, 31, v40
	v_lshlrev_b32_e32 v39, 25, v16
	v_ashrrev_i32_e32 v18, 31, v18
	v_lshlrev_b32_e32 v21, 24, v16
	s_wait_alu 0xf1ff
	v_xor_b32_e32 v17, s20, v17
	v_cmp_gt_i32_e64 s20, 0, v19
	v_not_b32_e32 v19, v20
	v_xor_b32_e32 v40, s21, v40
	v_cmp_gt_i32_e64 s21, 0, v20
	v_and_b32_e32 v17, exec_lo, v17
	v_not_b32_e32 v20, v22
	v_ashrrev_i32_e32 v19, 31, v19
	s_wait_alu 0xf1ff
	v_xor_b32_e32 v18, s20, v18
	v_cmp_gt_i32_e64 s20, 0, v22
	v_and_b32_e32 v17, v17, v40
	v_not_b32_e32 v22, v23
	v_ashrrev_i32_e32 v20, 31, v20
	v_xor_b32_e32 v19, s21, v19
	v_cmp_gt_i32_e64 s21, 0, v23
	v_and_b32_e32 v17, v17, v18
	v_not_b32_e32 v18, v39
	v_ashrrev_i32_e32 v22, 31, v22
	s_wait_alu 0xf1ff
	v_xor_b32_e32 v20, s20, v20
	v_cmp_gt_i32_e64 s20, 0, v39
	v_and_b32_e32 v17, v17, v19
	v_not_b32_e32 v19, v21
	v_ashrrev_i32_e32 v18, 31, v18
	v_xor_b32_e32 v22, s21, v22
	v_cmp_gt_i32_e64 s21, 0, v21
	v_and_b32_e32 v17, v17, v20
	v_ashrrev_i32_e32 v19, 31, v19
	s_wait_alu 0xf1ff
	v_xor_b32_e32 v18, s20, v18
	v_lshl_add_u32 v47, v16, 5, v24
	v_and_b32_e32 v17, v17, v22
	v_xor_b32_e32 v16, s21, v19
	ds_load_b32 v39, v47 offset:32
	v_and_b32_e32 v17, v17, v18
	; wave barrier
	s_delay_alu instid0(VALU_DEP_1) | instskip(NEXT) | instid1(VALU_DEP_1)
	v_and_b32_e32 v16, v17, v16
	v_mbcnt_lo_u32_b32 v40, v16, 0
	v_cmp_ne_u32_e64 s21, 0, v16
	s_delay_alu instid0(VALU_DEP_2)
	v_cmp_eq_u32_e64 s20, 0, v40
	s_and_b32 s21, s21, s20
	s_wait_alu 0xfffe
	s_and_saveexec_b32 s20, s21
	s_cbranch_execz .LBB241_109
; %bb.108:
	s_wait_dscnt 0x0
	v_bcnt_u32_b32 v16, v16, v39
	ds_store_b32 v47, v16 offset:32
.LBB241_109:
	s_wait_alu 0xfffe
	s_or_b32 exec_lo, exec_lo, s20
	v_lshrrev_b16 v16, 8, v28
	v_cmp_ne_u16_e64 s20, 0x8000, v28
	; wave barrier
	s_wait_alu 0xf1ff
	s_delay_alu instid0(VALU_DEP_1) | instskip(NEXT) | instid1(VALU_DEP_1)
	v_cndmask_b32_e64 v16, 0x7f, v16, s20
	v_and_b32_e32 v16, s23, v16
	s_delay_alu instid0(VALU_DEP_1)
	v_and_b32_e32 v17, 1, v16
	v_lshlrev_b32_e32 v18, 30, v16
	v_lshlrev_b32_e32 v19, 29, v16
	;; [unrolled: 1-line block ×4, first 2 shown]
	v_add_co_u32 v17, s20, v17, -1
	s_wait_alu 0xf1ff
	v_cndmask_b32_e64 v21, 0, 1, s20
	v_not_b32_e32 v49, v18
	v_cmp_gt_i32_e64 s21, 0, v18
	v_not_b32_e32 v18, v19
	v_lshlrev_b32_e32 v23, 26, v16
	v_cmp_ne_u32_e64 s20, 0, v21
	v_ashrrev_i32_e32 v49, 31, v49
	v_lshlrev_b32_e32 v48, 25, v16
	v_ashrrev_i32_e32 v18, 31, v18
	v_lshlrev_b32_e32 v21, 24, v16
	s_wait_alu 0xf1ff
	v_xor_b32_e32 v17, s20, v17
	v_cmp_gt_i32_e64 s20, 0, v19
	v_not_b32_e32 v19, v20
	v_xor_b32_e32 v49, s21, v49
	v_cmp_gt_i32_e64 s21, 0, v20
	v_and_b32_e32 v17, exec_lo, v17
	v_not_b32_e32 v20, v22
	v_ashrrev_i32_e32 v19, 31, v19
	s_wait_alu 0xf1ff
	v_xor_b32_e32 v18, s20, v18
	v_cmp_gt_i32_e64 s20, 0, v22
	v_and_b32_e32 v17, v17, v49
	v_not_b32_e32 v22, v23
	v_ashrrev_i32_e32 v20, 31, v20
	v_xor_b32_e32 v19, s21, v19
	v_cmp_gt_i32_e64 s21, 0, v23
	v_and_b32_e32 v17, v17, v18
	v_not_b32_e32 v18, v48
	v_ashrrev_i32_e32 v22, 31, v22
	s_wait_alu 0xf1ff
	v_xor_b32_e32 v20, s20, v20
	v_cmp_gt_i32_e64 s20, 0, v48
	v_and_b32_e32 v17, v17, v19
	v_not_b32_e32 v19, v21
	v_ashrrev_i32_e32 v18, 31, v18
	v_xor_b32_e32 v22, s21, v22
	v_cmp_gt_i32_e64 s21, 0, v21
	v_and_b32_e32 v17, v17, v20
	v_ashrrev_i32_e32 v19, 31, v19
	s_wait_alu 0xf1ff
	v_xor_b32_e32 v18, s20, v18
	v_lshl_add_u32 v50, v16, 5, v24
	v_and_b32_e32 v17, v17, v22
	v_xor_b32_e32 v16, s21, v19
	ds_load_b32 v48, v50 offset:32
	v_and_b32_e32 v17, v17, v18
	; wave barrier
	s_delay_alu instid0(VALU_DEP_1) | instskip(NEXT) | instid1(VALU_DEP_1)
	v_and_b32_e32 v16, v17, v16
	v_mbcnt_lo_u32_b32 v49, v16, 0
	v_cmp_ne_u32_e64 s21, 0, v16
	s_delay_alu instid0(VALU_DEP_2)
	v_cmp_eq_u32_e64 s20, 0, v49
	s_and_b32 s21, s21, s20
	s_wait_alu 0xfffe
	s_and_saveexec_b32 s20, s21
	s_cbranch_execz .LBB241_111
; %bb.110:
	s_wait_dscnt 0x0
	v_bcnt_u32_b32 v16, v16, v48
	ds_store_b32 v50, v16 offset:32
.LBB241_111:
	s_wait_alu 0xfffe
	s_or_b32 exec_lo, exec_lo, s20
	v_lshrrev_b16 v16, 8, v29
	v_cmp_ne_u16_e64 s20, 0x8000, v29
	; wave barrier
	s_wait_alu 0xf1ff
	s_delay_alu instid0(VALU_DEP_1) | instskip(NEXT) | instid1(VALU_DEP_1)
	v_cndmask_b32_e64 v16, 0x7f, v16, s20
	v_and_b32_e32 v16, s23, v16
	s_delay_alu instid0(VALU_DEP_1)
	v_and_b32_e32 v17, 1, v16
	v_lshlrev_b32_e32 v18, 30, v16
	v_lshlrev_b32_e32 v19, 29, v16
	;; [unrolled: 1-line block ×4, first 2 shown]
	v_add_co_u32 v17, s20, v17, -1
	s_wait_alu 0xf1ff
	v_cndmask_b32_e64 v21, 0, 1, s20
	v_not_b32_e32 v69, v18
	v_cmp_gt_i32_e64 s21, 0, v18
	v_not_b32_e32 v18, v19
	v_lshlrev_b32_e32 v23, 26, v16
	v_cmp_ne_u32_e64 s20, 0, v21
	v_ashrrev_i32_e32 v69, 31, v69
	v_lshlrev_b32_e32 v68, 25, v16
	v_ashrrev_i32_e32 v18, 31, v18
	v_lshlrev_b32_e32 v21, 24, v16
	s_wait_alu 0xf1ff
	v_xor_b32_e32 v17, s20, v17
	v_cmp_gt_i32_e64 s20, 0, v19
	v_not_b32_e32 v19, v20
	v_xor_b32_e32 v69, s21, v69
	v_cmp_gt_i32_e64 s21, 0, v20
	v_and_b32_e32 v17, exec_lo, v17
	v_not_b32_e32 v20, v22
	v_ashrrev_i32_e32 v19, 31, v19
	s_wait_alu 0xf1ff
	v_xor_b32_e32 v18, s20, v18
	v_cmp_gt_i32_e64 s20, 0, v22
	v_and_b32_e32 v17, v17, v69
	v_not_b32_e32 v22, v23
	v_ashrrev_i32_e32 v20, 31, v20
	v_xor_b32_e32 v19, s21, v19
	v_cmp_gt_i32_e64 s21, 0, v23
	v_and_b32_e32 v17, v17, v18
	v_not_b32_e32 v18, v68
	v_ashrrev_i32_e32 v22, 31, v22
	s_wait_alu 0xf1ff
	v_xor_b32_e32 v20, s20, v20
	v_cmp_gt_i32_e64 s20, 0, v68
	v_and_b32_e32 v17, v17, v19
	v_not_b32_e32 v19, v21
	v_ashrrev_i32_e32 v18, 31, v18
	v_xor_b32_e32 v22, s21, v22
	v_cmp_gt_i32_e64 s21, 0, v21
	v_and_b32_e32 v17, v17, v20
	v_ashrrev_i32_e32 v19, 31, v19
	s_wait_alu 0xf1ff
	v_xor_b32_e32 v18, s20, v18
	v_lshl_add_u32 v70, v16, 5, v24
	v_and_b32_e32 v17, v17, v22
	v_xor_b32_e32 v16, s21, v19
	ds_load_b32 v68, v70 offset:32
	v_and_b32_e32 v17, v17, v18
	; wave barrier
	s_delay_alu instid0(VALU_DEP_1) | instskip(NEXT) | instid1(VALU_DEP_1)
	v_and_b32_e32 v16, v17, v16
	v_mbcnt_lo_u32_b32 v69, v16, 0
	v_cmp_ne_u32_e64 s21, 0, v16
	s_delay_alu instid0(VALU_DEP_2)
	v_cmp_eq_u32_e64 s20, 0, v69
	s_and_b32 s21, s21, s20
	s_wait_alu 0xfffe
	s_and_saveexec_b32 s20, s21
	s_cbranch_execz .LBB241_113
; %bb.112:
	s_wait_dscnt 0x0
	v_bcnt_u32_b32 v16, v16, v68
	ds_store_b32 v70, v16 offset:32
.LBB241_113:
	s_wait_alu 0xfffe
	s_or_b32 exec_lo, exec_lo, s20
	v_lshrrev_b16 v16, 8, v30
	v_cmp_ne_u16_e64 s20, 0x8000, v30
	; wave barrier
	s_wait_alu 0xf1ff
	s_delay_alu instid0(VALU_DEP_1) | instskip(NEXT) | instid1(VALU_DEP_1)
	v_cndmask_b32_e64 v16, 0x7f, v16, s20
	v_and_b32_e32 v16, s23, v16
	s_delay_alu instid0(VALU_DEP_1)
	v_and_b32_e32 v17, 1, v16
	v_lshlrev_b32_e32 v18, 30, v16
	v_lshlrev_b32_e32 v19, 29, v16
	;; [unrolled: 1-line block ×4, first 2 shown]
	v_add_co_u32 v17, s20, v17, -1
	s_wait_alu 0xf1ff
	v_cndmask_b32_e64 v21, 0, 1, s20
	v_not_b32_e32 v72, v18
	v_cmp_gt_i32_e64 s21, 0, v18
	v_not_b32_e32 v18, v19
	v_lshlrev_b32_e32 v23, 26, v16
	v_cmp_ne_u32_e64 s20, 0, v21
	v_ashrrev_i32_e32 v72, 31, v72
	v_lshlrev_b32_e32 v71, 25, v16
	v_ashrrev_i32_e32 v18, 31, v18
	v_lshlrev_b32_e32 v21, 24, v16
	s_wait_alu 0xf1ff
	v_xor_b32_e32 v17, s20, v17
	v_cmp_gt_i32_e64 s20, 0, v19
	v_not_b32_e32 v19, v20
	v_xor_b32_e32 v72, s21, v72
	v_cmp_gt_i32_e64 s21, 0, v20
	v_and_b32_e32 v17, exec_lo, v17
	v_not_b32_e32 v20, v22
	v_ashrrev_i32_e32 v19, 31, v19
	s_wait_alu 0xf1ff
	v_xor_b32_e32 v18, s20, v18
	v_cmp_gt_i32_e64 s20, 0, v22
	v_and_b32_e32 v17, v17, v72
	v_not_b32_e32 v22, v23
	v_ashrrev_i32_e32 v20, 31, v20
	v_xor_b32_e32 v19, s21, v19
	v_cmp_gt_i32_e64 s21, 0, v23
	v_and_b32_e32 v17, v17, v18
	v_not_b32_e32 v18, v71
	v_ashrrev_i32_e32 v22, 31, v22
	s_wait_alu 0xf1ff
	v_xor_b32_e32 v20, s20, v20
	v_cmp_gt_i32_e64 s20, 0, v71
	v_and_b32_e32 v17, v17, v19
	v_not_b32_e32 v19, v21
	v_ashrrev_i32_e32 v18, 31, v18
	v_xor_b32_e32 v22, s21, v22
	v_cmp_gt_i32_e64 s21, 0, v21
	v_and_b32_e32 v17, v17, v20
	v_ashrrev_i32_e32 v19, 31, v19
	s_wait_alu 0xf1ff
	v_xor_b32_e32 v18, s20, v18
	v_lshl_add_u32 v73, v16, 5, v24
	v_and_b32_e32 v17, v17, v22
	v_xor_b32_e32 v16, s21, v19
	ds_load_b32 v71, v73 offset:32
	v_and_b32_e32 v17, v17, v18
	; wave barrier
	s_delay_alu instid0(VALU_DEP_1) | instskip(NEXT) | instid1(VALU_DEP_1)
	v_and_b32_e32 v16, v17, v16
	v_mbcnt_lo_u32_b32 v72, v16, 0
	v_cmp_ne_u32_e64 s21, 0, v16
	s_delay_alu instid0(VALU_DEP_2)
	v_cmp_eq_u32_e64 s20, 0, v72
	s_and_b32 s21, s21, s20
	s_wait_alu 0xfffe
	s_and_saveexec_b32 s20, s21
	s_cbranch_execz .LBB241_115
; %bb.114:
	s_wait_dscnt 0x0
	v_bcnt_u32_b32 v16, v16, v71
	ds_store_b32 v73, v16 offset:32
.LBB241_115:
	s_wait_alu 0xfffe
	s_or_b32 exec_lo, exec_lo, s20
	v_lshrrev_b16 v16, 8, v31
	v_cmp_ne_u16_e64 s20, 0x8000, v31
	; wave barrier
	s_wait_alu 0xf1ff
	s_delay_alu instid0(VALU_DEP_1) | instskip(NEXT) | instid1(VALU_DEP_1)
	v_cndmask_b32_e64 v16, 0x7f, v16, s20
	v_and_b32_e32 v16, s23, v16
	s_delay_alu instid0(VALU_DEP_1)
	v_and_b32_e32 v17, 1, v16
	v_lshlrev_b32_e32 v18, 30, v16
	v_lshlrev_b32_e32 v19, 29, v16
	;; [unrolled: 1-line block ×4, first 2 shown]
	v_add_co_u32 v17, s20, v17, -1
	s_wait_alu 0xf1ff
	v_cndmask_b32_e64 v21, 0, 1, s20
	v_not_b32_e32 v75, v18
	v_cmp_gt_i32_e64 s21, 0, v18
	v_not_b32_e32 v18, v19
	v_lshlrev_b32_e32 v23, 26, v16
	v_cmp_ne_u32_e64 s20, 0, v21
	v_ashrrev_i32_e32 v75, 31, v75
	v_lshlrev_b32_e32 v74, 25, v16
	v_ashrrev_i32_e32 v18, 31, v18
	v_lshlrev_b32_e32 v21, 24, v16
	s_wait_alu 0xf1ff
	v_xor_b32_e32 v17, s20, v17
	v_cmp_gt_i32_e64 s20, 0, v19
	v_not_b32_e32 v19, v20
	v_xor_b32_e32 v75, s21, v75
	v_cmp_gt_i32_e64 s21, 0, v20
	v_and_b32_e32 v17, exec_lo, v17
	v_not_b32_e32 v20, v22
	v_ashrrev_i32_e32 v19, 31, v19
	s_wait_alu 0xf1ff
	v_xor_b32_e32 v18, s20, v18
	v_cmp_gt_i32_e64 s20, 0, v22
	v_and_b32_e32 v17, v17, v75
	v_not_b32_e32 v22, v23
	v_ashrrev_i32_e32 v20, 31, v20
	v_xor_b32_e32 v19, s21, v19
	v_cmp_gt_i32_e64 s21, 0, v23
	v_and_b32_e32 v17, v17, v18
	v_not_b32_e32 v18, v74
	v_ashrrev_i32_e32 v22, 31, v22
	s_wait_alu 0xf1ff
	v_xor_b32_e32 v20, s20, v20
	v_cmp_gt_i32_e64 s20, 0, v74
	v_and_b32_e32 v17, v17, v19
	v_not_b32_e32 v19, v21
	v_ashrrev_i32_e32 v18, 31, v18
	v_xor_b32_e32 v22, s21, v22
	v_cmp_gt_i32_e64 s21, 0, v21
	v_and_b32_e32 v17, v17, v20
	v_ashrrev_i32_e32 v19, 31, v19
	s_wait_alu 0xf1ff
	v_xor_b32_e32 v18, s20, v18
	v_lshl_add_u32 v76, v16, 5, v24
	v_and_b32_e32 v17, v17, v22
	v_xor_b32_e32 v16, s21, v19
	ds_load_b32 v74, v76 offset:32
	v_and_b32_e32 v17, v17, v18
	; wave barrier
	s_delay_alu instid0(VALU_DEP_1) | instskip(NEXT) | instid1(VALU_DEP_1)
	v_and_b32_e32 v16, v17, v16
	v_mbcnt_lo_u32_b32 v75, v16, 0
	v_cmp_ne_u32_e64 s21, 0, v16
	s_delay_alu instid0(VALU_DEP_2)
	v_cmp_eq_u32_e64 s20, 0, v75
	s_and_b32 s21, s21, s20
	s_wait_alu 0xfffe
	s_and_saveexec_b32 s20, s21
	s_cbranch_execz .LBB241_117
; %bb.116:
	s_wait_dscnt 0x0
	v_bcnt_u32_b32 v16, v16, v74
	ds_store_b32 v76, v16 offset:32
.LBB241_117:
	s_wait_alu 0xfffe
	s_or_b32 exec_lo, exec_lo, s20
	v_lshrrev_b16 v16, 8, v32
	v_cmp_ne_u16_e64 s20, 0x8000, v32
	; wave barrier
	s_wait_alu 0xf1ff
	s_delay_alu instid0(VALU_DEP_1) | instskip(NEXT) | instid1(VALU_DEP_1)
	v_cndmask_b32_e64 v16, 0x7f, v16, s20
	v_and_b32_e32 v16, s23, v16
	s_delay_alu instid0(VALU_DEP_1)
	v_and_b32_e32 v17, 1, v16
	v_lshlrev_b32_e32 v18, 30, v16
	v_lshlrev_b32_e32 v19, 29, v16
	;; [unrolled: 1-line block ×4, first 2 shown]
	v_add_co_u32 v17, s20, v17, -1
	s_wait_alu 0xf1ff
	v_cndmask_b32_e64 v21, 0, 1, s20
	v_not_b32_e32 v78, v18
	v_cmp_gt_i32_e64 s21, 0, v18
	v_not_b32_e32 v18, v19
	v_lshlrev_b32_e32 v23, 26, v16
	v_cmp_ne_u32_e64 s20, 0, v21
	v_ashrrev_i32_e32 v78, 31, v78
	v_lshlrev_b32_e32 v77, 25, v16
	v_ashrrev_i32_e32 v18, 31, v18
	v_lshlrev_b32_e32 v21, 24, v16
	s_wait_alu 0xf1ff
	v_xor_b32_e32 v17, s20, v17
	v_cmp_gt_i32_e64 s20, 0, v19
	v_not_b32_e32 v19, v20
	v_xor_b32_e32 v78, s21, v78
	v_cmp_gt_i32_e64 s21, 0, v20
	v_and_b32_e32 v17, exec_lo, v17
	v_not_b32_e32 v20, v22
	v_ashrrev_i32_e32 v19, 31, v19
	s_wait_alu 0xf1ff
	v_xor_b32_e32 v18, s20, v18
	v_cmp_gt_i32_e64 s20, 0, v22
	v_and_b32_e32 v17, v17, v78
	v_not_b32_e32 v22, v23
	v_ashrrev_i32_e32 v20, 31, v20
	v_xor_b32_e32 v19, s21, v19
	v_cmp_gt_i32_e64 s21, 0, v23
	v_and_b32_e32 v17, v17, v18
	v_not_b32_e32 v18, v77
	v_ashrrev_i32_e32 v22, 31, v22
	s_wait_alu 0xf1ff
	v_xor_b32_e32 v20, s20, v20
	v_cmp_gt_i32_e64 s20, 0, v77
	v_and_b32_e32 v17, v17, v19
	v_not_b32_e32 v19, v21
	v_ashrrev_i32_e32 v18, 31, v18
	v_xor_b32_e32 v22, s21, v22
	v_cmp_gt_i32_e64 s21, 0, v21
	v_and_b32_e32 v17, v17, v20
	v_ashrrev_i32_e32 v19, 31, v19
	s_wait_alu 0xf1ff
	v_xor_b32_e32 v18, s20, v18
	v_lshl_add_u32 v79, v16, 5, v24
	v_and_b32_e32 v17, v17, v22
	v_xor_b32_e32 v16, s21, v19
	ds_load_b32 v77, v79 offset:32
	v_and_b32_e32 v17, v17, v18
	; wave barrier
	s_delay_alu instid0(VALU_DEP_1) | instskip(NEXT) | instid1(VALU_DEP_1)
	v_and_b32_e32 v16, v17, v16
	v_mbcnt_lo_u32_b32 v78, v16, 0
	v_cmp_ne_u32_e64 s21, 0, v16
	s_delay_alu instid0(VALU_DEP_2)
	v_cmp_eq_u32_e64 s20, 0, v78
	s_and_b32 s21, s21, s20
	s_wait_alu 0xfffe
	s_and_saveexec_b32 s20, s21
	s_cbranch_execz .LBB241_119
; %bb.118:
	s_wait_dscnt 0x0
	v_bcnt_u32_b32 v16, v16, v77
	ds_store_b32 v79, v16 offset:32
.LBB241_119:
	s_wait_alu 0xfffe
	s_or_b32 exec_lo, exec_lo, s20
	v_lshrrev_b16 v16, 8, v25
	v_cmp_ne_u16_e64 s20, 0x8000, v25
	; wave barrier
	s_wait_alu 0xf1ff
	s_delay_alu instid0(VALU_DEP_1) | instskip(NEXT) | instid1(VALU_DEP_1)
	v_cndmask_b32_e64 v16, 0x7f, v16, s20
	v_and_b32_e32 v16, s23, v16
	s_delay_alu instid0(VALU_DEP_1)
	v_and_b32_e32 v17, 1, v16
	v_lshlrev_b32_e32 v18, 30, v16
	v_lshlrev_b32_e32 v19, 29, v16
	;; [unrolled: 1-line block ×4, first 2 shown]
	v_add_co_u32 v17, s20, v17, -1
	s_wait_alu 0xf1ff
	v_cndmask_b32_e64 v21, 0, 1, s20
	v_not_b32_e32 v81, v18
	v_cmp_gt_i32_e64 s21, 0, v18
	v_not_b32_e32 v18, v19
	v_lshlrev_b32_e32 v23, 26, v16
	v_cmp_ne_u32_e64 s20, 0, v21
	v_ashrrev_i32_e32 v81, 31, v81
	v_lshlrev_b32_e32 v80, 25, v16
	v_ashrrev_i32_e32 v18, 31, v18
	v_lshlrev_b32_e32 v21, 24, v16
	s_wait_alu 0xf1ff
	v_xor_b32_e32 v17, s20, v17
	v_cmp_gt_i32_e64 s20, 0, v19
	v_not_b32_e32 v19, v20
	v_xor_b32_e32 v81, s21, v81
	v_cmp_gt_i32_e64 s21, 0, v20
	v_and_b32_e32 v17, exec_lo, v17
	v_not_b32_e32 v20, v22
	v_ashrrev_i32_e32 v19, 31, v19
	s_wait_alu 0xf1ff
	v_xor_b32_e32 v18, s20, v18
	v_cmp_gt_i32_e64 s20, 0, v22
	v_and_b32_e32 v17, v17, v81
	v_not_b32_e32 v22, v23
	v_ashrrev_i32_e32 v20, 31, v20
	v_xor_b32_e32 v19, s21, v19
	v_cmp_gt_i32_e64 s21, 0, v23
	v_and_b32_e32 v17, v17, v18
	v_not_b32_e32 v18, v80
	v_ashrrev_i32_e32 v22, 31, v22
	s_wait_alu 0xf1ff
	v_xor_b32_e32 v20, s20, v20
	v_cmp_gt_i32_e64 s20, 0, v80
	v_and_b32_e32 v17, v17, v19
	v_not_b32_e32 v19, v21
	v_ashrrev_i32_e32 v18, 31, v18
	v_xor_b32_e32 v22, s21, v22
	v_cmp_gt_i32_e64 s21, 0, v21
	v_and_b32_e32 v17, v17, v20
	v_ashrrev_i32_e32 v19, 31, v19
	s_wait_alu 0xf1ff
	v_xor_b32_e32 v18, s20, v18
	v_lshl_add_u32 v81, v16, 5, v24
	v_and_b32_e32 v17, v17, v22
	v_xor_b32_e32 v16, s21, v19
	ds_load_b32 v24, v81 offset:32
	v_and_b32_e32 v17, v17, v18
	; wave barrier
	s_delay_alu instid0(VALU_DEP_1) | instskip(NEXT) | instid1(VALU_DEP_1)
	v_and_b32_e32 v16, v17, v16
	v_mbcnt_lo_u32_b32 v80, v16, 0
	v_cmp_ne_u32_e64 s21, 0, v16
	s_delay_alu instid0(VALU_DEP_2)
	v_cmp_eq_u32_e64 s20, 0, v80
	s_and_b32 s21, s21, s20
	s_wait_alu 0xfffe
	s_and_saveexec_b32 s20, s21
	s_cbranch_execz .LBB241_121
; %bb.120:
	s_wait_dscnt 0x0
	v_bcnt_u32_b32 v16, v16, v24
	ds_store_b32 v81, v16 offset:32
.LBB241_121:
	s_wait_alu 0xfffe
	s_or_b32 exec_lo, exec_lo, s20
	; wave barrier
	s_wait_loadcnt_dscnt 0x0
	s_barrier_signal -1
	s_barrier_wait -1
	global_inv scope:SCOPE_SE
	ds_load_b128 v[20:23], v67 offset:32
	ds_load_b128 v[16:19], v67 offset:48
	s_wait_dscnt 0x1
	v_add_nc_u32_e32 v82, v21, v20
	s_delay_alu instid0(VALU_DEP_1) | instskip(SKIP_1) | instid1(VALU_DEP_1)
	v_add3_u32 v82, v82, v22, v23
	s_wait_dscnt 0x0
	v_add3_u32 v82, v82, v16, v17
	s_delay_alu instid0(VALU_DEP_1) | instskip(NEXT) | instid1(VALU_DEP_1)
	v_add3_u32 v19, v82, v18, v19
	v_mov_b32_dpp v82, v19 row_shr:1 row_mask:0xf bank_mask:0xf
	s_delay_alu instid0(VALU_DEP_1) | instskip(NEXT) | instid1(VALU_DEP_1)
	v_cndmask_b32_e64 v82, v82, 0, s9
	v_add_nc_u32_e32 v19, v82, v19
	s_delay_alu instid0(VALU_DEP_1) | instskip(NEXT) | instid1(VALU_DEP_1)
	v_mov_b32_dpp v82, v19 row_shr:2 row_mask:0xf bank_mask:0xf
	v_cndmask_b32_e64 v82, 0, v82, s11
	s_delay_alu instid0(VALU_DEP_1) | instskip(NEXT) | instid1(VALU_DEP_1)
	v_add_nc_u32_e32 v19, v19, v82
	v_mov_b32_dpp v82, v19 row_shr:4 row_mask:0xf bank_mask:0xf
	s_delay_alu instid0(VALU_DEP_1) | instskip(NEXT) | instid1(VALU_DEP_1)
	v_cndmask_b32_e64 v82, 0, v82, s12
	v_add_nc_u32_e32 v19, v19, v82
	s_delay_alu instid0(VALU_DEP_1) | instskip(NEXT) | instid1(VALU_DEP_1)
	v_mov_b32_dpp v82, v19 row_shr:8 row_mask:0xf bank_mask:0xf
	v_cndmask_b32_e64 v82, 0, v82, s14
	s_delay_alu instid0(VALU_DEP_1) | instskip(SKIP_3) | instid1(VALU_DEP_1)
	v_add_nc_u32_e32 v19, v19, v82
	ds_swizzle_b32 v82, v19 offset:swizzle(BROADCAST,32,15)
	s_wait_dscnt 0x0
	v_cndmask_b32_e64 v82, v82, 0, s17
	v_add_nc_u32_e32 v19, v19, v82
	s_and_saveexec_b32 s9, s15
; %bb.122:
	ds_store_b32 v35, v19
; %bb.123:
	s_wait_alu 0xfffe
	s_or_b32 exec_lo, exec_lo, s9
	s_wait_loadcnt_dscnt 0x0
	s_barrier_signal -1
	s_barrier_wait -1
	global_inv scope:SCOPE_SE
	s_and_saveexec_b32 s9, s16
	s_cbranch_execz .LBB241_125
; %bb.124:
	ds_load_b32 v35, v34
	s_wait_dscnt 0x0
	v_mov_b32_dpp v82, v35 row_shr:1 row_mask:0xf bank_mask:0xf
	s_delay_alu instid0(VALU_DEP_1) | instskip(NEXT) | instid1(VALU_DEP_1)
	v_cndmask_b32_e64 v82, v82, 0, s13
	v_add_nc_u32_e32 v35, v82, v35
	s_delay_alu instid0(VALU_DEP_1) | instskip(NEXT) | instid1(VALU_DEP_1)
	v_mov_b32_dpp v82, v35 row_shr:2 row_mask:0xf bank_mask:0xf
	v_cndmask_b32_e64 v82, 0, v82, s10
	s_delay_alu instid0(VALU_DEP_1) | instskip(NEXT) | instid1(VALU_DEP_1)
	v_add_nc_u32_e32 v35, v35, v82
	v_mov_b32_dpp v82, v35 row_shr:4 row_mask:0xf bank_mask:0xf
	s_wait_alu 0xfffd
	s_delay_alu instid0(VALU_DEP_1) | instskip(NEXT) | instid1(VALU_DEP_1)
	v_cndmask_b32_e32 v82, 0, v82, vcc_lo
	v_add_nc_u32_e32 v35, v35, v82
	ds_store_b32 v34, v35
.LBB241_125:
	s_wait_alu 0xfffe
	s_or_b32 exec_lo, exec_lo, s9
	v_mov_b32_e32 v34, 0
	s_wait_loadcnt_dscnt 0x0
	s_barrier_signal -1
	s_barrier_wait -1
	global_inv scope:SCOPE_SE
	s_and_saveexec_b32 s9, s18
; %bb.126:
	ds_load_b32 v34, v36
; %bb.127:
	s_wait_alu 0xfffe
	s_or_b32 exec_lo, exec_lo, s9
	s_wait_dscnt 0x0
	v_add_nc_u32_e32 v19, v34, v19
	ds_bpermute_b32 v19, v37, v19
	s_wait_dscnt 0x0
	v_cndmask_b32_e64 v19, v19, v34, s8
	s_delay_alu instid0(VALU_DEP_1) | instskip(NEXT) | instid1(VALU_DEP_1)
	v_cndmask_b32_e64 v19, v19, 0, s19
	v_add_nc_u32_e32 v20, v19, v20
	s_delay_alu instid0(VALU_DEP_1) | instskip(NEXT) | instid1(VALU_DEP_1)
	v_add_nc_u32_e32 v21, v20, v21
	v_add_nc_u32_e32 v22, v21, v22
	s_delay_alu instid0(VALU_DEP_1) | instskip(NEXT) | instid1(VALU_DEP_1)
	v_add_nc_u32_e32 v34, v22, v23
	;; [unrolled: 3-line block ×3, first 2 shown]
	v_add_nc_u32_e32 v37, v36, v18
	ds_store_b128 v67, v[19:22] offset:32
	ds_store_b128 v67, v[34:37] offset:48
	s_wait_loadcnt_dscnt 0x0
	s_barrier_signal -1
	s_barrier_wait -1
	global_inv scope:SCOPE_SE
	ds_load_b32 v16, v81 offset:32
	ds_load_b32 v17, v79 offset:32
	;; [unrolled: 1-line block ×8, first 2 shown]
	v_lshlrev_b32_e32 v34, 1, v66
	s_wait_loadcnt_dscnt 0x0
	s_barrier_signal -1
	s_barrier_wait -1
	global_inv scope:SCOPE_SE
	v_mad_u32_u24 v37, v46, 48, v34
	v_add3_u32 v35, v80, v24, v16
	v_add3_u32 v36, v78, v77, v17
	;; [unrolled: 1-line block ×3, first 2 shown]
	v_add_nc_u32_e32 v24, v19, v33
	v_add3_u32 v33, v40, v39, v20
	v_add3_u32 v39, v49, v48, v21
	;; [unrolled: 1-line block ×4, first 2 shown]
	v_lshlrev_b32_e32 v16, 1, v24
	v_lshlrev_b32_e32 v17, 1, v33
	;; [unrolled: 1-line block ×8, first 2 shown]
	ds_store_b16 v16, v26
	ds_store_b16 v17, v27
	ds_store_b16 v18, v28
	ds_store_b16 v19, v29
	ds_store_b16 v20, v30
	ds_store_b16 v21, v31
	ds_store_b16 v22, v32
	ds_store_b16 v23, v25
	v_mad_co_u64_u32 v[24:25], null, v24, 6, v[16:17]
	v_mad_co_u64_u32 v[16:17], null, v33, 6, v[17:18]
	v_mad_co_u64_u32 v[17:18], null, v39, 6, v[18:19]
	v_mad_co_u64_u32 v[18:19], null, v40, 6, v[19:20]
	v_mad_co_u64_u32 v[19:20], null, v46, 6, v[20:21]
	v_mad_co_u64_u32 v[20:21], null, v38, 6, v[21:22]
	v_mad_co_u64_u32 v[21:22], null, v36, 6, v[22:23]
	s_wait_loadcnt_dscnt 0x0
	s_barrier_signal -1
	s_barrier_wait -1
	global_inv scope:SCOPE_SE
	v_mad_co_u64_u32 v[22:23], null, v35, 6, v[23:24]
	ds_load_b128 v[33:36], v34
	s_wait_loadcnt_dscnt 0x0
	s_barrier_signal -1
	s_barrier_wait -1
	global_inv scope:SCOPE_SE
	ds_store_b64 v24, v[4:5]
	ds_store_b64 v16, v[6:7]
	ds_store_b64 v17, v[12:13]
	ds_store_b64 v18, v[14:15]
	ds_store_b64 v19, v[8:9]
	ds_store_b64 v20, v[10:11]
	ds_store_b64 v21, v[0:1]
	ds_store_b64 v22, v[2:3]
	s_wait_loadcnt_dscnt 0x0
	s_barrier_signal -1
	s_barrier_wait -1
	global_inv scope:SCOPE_SE
	ds_load_b128 v[29:32], v37
	ds_load_b128 v[25:28], v37 offset:16
	ds_load_b128 v[21:24], v37 offset:32
	;; [unrolled: 1-line block ×3, first 2 shown]
	v_cmp_gt_i16_e32 vcc_lo, 0, v33
	v_lshrrev_b32_e32 v0, 16, v33
	v_lshrrev_b32_e32 v2, 16, v34
	;; [unrolled: 1-line block ×4, first 2 shown]
	s_wait_alu 0xfffd
	v_cndmask_b32_e64 v1, 0x7fff, 0, vcc_lo
	v_cmp_gt_i16_e32 vcc_lo, 0, v34
	s_wait_alu 0xfffd
	v_cndmask_b32_e64 v3, 0x7fff, 0, vcc_lo
	v_cmp_gt_i16_e32 vcc_lo, 0, v35
	s_wait_alu 0xfffd
	v_cndmask_b32_e64 v5, 0x7fff, 0, vcc_lo
	v_cmp_gt_i16_e32 vcc_lo, 0, v36
	s_wait_alu 0xfffd
	v_cndmask_b32_e64 v7, 0x7fff, 0, vcc_lo
	v_cmp_gt_i16_e32 vcc_lo, 0, v0
	s_wait_alu 0xfffd
	v_cndmask_b32_e64 v0, 0x7fff, 0, vcc_lo
	v_cmp_gt_i16_e32 vcc_lo, 0, v2
	s_delay_alu instid0(VALU_DEP_2) | instskip(SKIP_3) | instid1(VALU_DEP_3)
	v_perm_b32 v0, v0, v1, 0x5040100
	s_wait_alu 0xfffd
	v_cndmask_b32_e64 v2, 0x7fff, 0, vcc_lo
	v_cmp_gt_i16_e32 vcc_lo, 0, v4
	v_xor_b32_e32 v0, v0, v33
	s_delay_alu instid0(VALU_DEP_3) | instskip(SKIP_3) | instid1(VALU_DEP_3)
	v_perm_b32 v1, v2, v3, 0x5040100
	s_wait_alu 0xfffd
	v_cndmask_b32_e64 v4, 0x7fff, 0, vcc_lo
	v_cmp_gt_i16_e32 vcc_lo, 0, v6
	v_xor_b32_e32 v34, v1, v34
	s_delay_alu instid0(VALU_DEP_3) | instskip(SKIP_2) | instid1(VALU_DEP_2)
	v_perm_b32 v2, v4, v5, 0x5040100
	s_wait_alu 0xfffd
	v_cndmask_b32_e64 v6, 0x7fff, 0, vcc_lo
	v_xor_b32_e32 v33, v2, v35
	s_delay_alu instid0(VALU_DEP_2) | instskip(NEXT) | instid1(VALU_DEP_1)
	v_perm_b32 v3, v6, v7, 0x5040100
	v_xor_b32_e32 v35, v3, v36
.LBB241_128:
	s_wait_loadcnt_dscnt 0x0
	s_barrier_signal -1
	s_barrier_wait -1
	global_inv scope:SCOPE_SE
	ds_store_2addr_b32 v58, v0, v34 offset1:1
	ds_store_2addr_b32 v58, v33, v35 offset0:2 offset1:3
	s_wait_loadcnt_dscnt 0x0
	s_barrier_signal -1
	s_barrier_wait -1
	global_inv scope:SCOPE_SE
	ds_load_u16 v8, v45 offset:512
	ds_load_u16 v7, v52 offset:1024
	;; [unrolled: 1-line block ×7, first 2 shown]
	v_mov_b32_e32 v45, 0
	s_delay_alu instid0(VALU_DEP_1) | instskip(NEXT) | instid1(VALU_DEP_1)
	v_lshlrev_b64_e32 v[0:1], 1, v[44:45]
	v_add_co_u32 v0, vcc_lo, s30, v0
	s_wait_alu 0xfffd
	s_delay_alu instid0(VALU_DEP_2)
	v_add_co_ci_u32_e64 v1, null, s31, v1, vcc_lo
	s_and_saveexec_b32 s8, s0
	s_cbranch_execnz .LBB241_147
; %bb.129:
	s_wait_alu 0xfffe
	s_or_b32 exec_lo, exec_lo, s8
	s_and_saveexec_b32 s8, s1
	s_cbranch_execnz .LBB241_148
.LBB241_130:
	s_wait_alu 0xfffe
	s_or_b32 exec_lo, exec_lo, s8
	s_and_saveexec_b32 s8, s2
	s_cbranch_execnz .LBB241_149
.LBB241_131:
	s_wait_alu 0xfffe
	s_or_b32 exec_lo, exec_lo, s8
	s_and_saveexec_b32 s8, s3
	s_cbranch_execnz .LBB241_150
.LBB241_132:
	s_wait_alu 0xfffe
	s_or_b32 exec_lo, exec_lo, s8
	s_and_saveexec_b32 s8, s4
	s_cbranch_execnz .LBB241_151
.LBB241_133:
	s_wait_alu 0xfffe
	s_or_b32 exec_lo, exec_lo, s8
	s_and_saveexec_b32 s8, s5
	s_cbranch_execnz .LBB241_152
.LBB241_134:
	s_wait_alu 0xfffe
	s_or_b32 exec_lo, exec_lo, s8
	s_and_saveexec_b32 s8, s6
	s_cbranch_execnz .LBB241_153
.LBB241_135:
	s_wait_alu 0xfffe
	s_or_b32 exec_lo, exec_lo, s8
	s_and_saveexec_b32 s8, s7
	s_cbranch_execz .LBB241_137
.LBB241_136:
	s_mul_i32 s10, s22, 0x700
	s_mov_b32 s11, 0
	s_wait_alu 0xfffe
	s_lshl_b64 s[10:11], s[10:11], 1
	s_wait_alu 0xfffe
	v_add_co_u32 v0, vcc_lo, v0, s10
	s_wait_alu 0xfffd
	v_add_co_ci_u32_e64 v1, null, s11, v1, vcc_lo
	s_wait_dscnt 0x0
	global_store_b16 v[0:1], v2, off
.LBB241_137:
	s_wait_alu 0xfffe
	s_or_b32 exec_lo, exec_lo, s8
	s_wait_storecnt 0x0
	s_wait_loadcnt_dscnt 0x0
	s_barrier_signal -1
	s_barrier_wait -1
	global_inv scope:SCOPE_SE
	ds_store_2addr_b64 v65, v[29:30], v[31:32] offset1:1
	ds_store_2addr_b64 v65, v[25:26], v[27:28] offset0:2 offset1:3
	ds_store_2addr_b64 v65, v[21:22], v[23:24] offset0:4 offset1:5
	;; [unrolled: 1-line block ×3, first 2 shown]
	s_wait_loadcnt_dscnt 0x0
	s_barrier_signal -1
	s_barrier_wait -1
	global_inv scope:SCOPE_SE
	ds_load_b64 v[14:15], v60 offset:2048
	ds_load_b64 v[12:13], v61 offset:4096
	;; [unrolled: 1-line block ×7, first 2 shown]
	v_mov_b32_e32 v42, 0
	s_delay_alu instid0(VALU_DEP_1) | instskip(NEXT) | instid1(VALU_DEP_1)
	v_lshlrev_b64_e32 v[2:3], 3, v[41:42]
	v_add_co_u32 v2, vcc_lo, s34, v2
	s_wait_alu 0xfffd
	s_delay_alu instid0(VALU_DEP_2)
	v_add_co_ci_u32_e64 v3, null, s35, v3, vcc_lo
	s_and_saveexec_b32 s8, s0
	s_cbranch_execnz .LBB241_154
; %bb.138:
	s_wait_alu 0xfffe
	s_or_b32 exec_lo, exec_lo, s8
	s_and_saveexec_b32 s0, s1
	s_cbranch_execnz .LBB241_155
.LBB241_139:
	s_or_b32 exec_lo, exec_lo, s0
	s_and_saveexec_b32 s0, s2
	s_cbranch_execnz .LBB241_156
.LBB241_140:
	s_or_b32 exec_lo, exec_lo, s0
	s_and_saveexec_b32 s0, s3
	s_cbranch_execnz .LBB241_157
.LBB241_141:
	s_or_b32 exec_lo, exec_lo, s0
	s_and_saveexec_b32 s0, s4
	s_cbranch_execnz .LBB241_158
.LBB241_142:
	s_or_b32 exec_lo, exec_lo, s0
	s_and_saveexec_b32 s0, s5
	s_cbranch_execnz .LBB241_159
.LBB241_143:
	s_or_b32 exec_lo, exec_lo, s0
	s_and_saveexec_b32 s0, s6
	s_cbranch_execnz .LBB241_160
.LBB241_144:
	s_or_b32 exec_lo, exec_lo, s0
	s_and_saveexec_b32 s0, s7
	s_cbranch_execz .LBB241_146
.LBB241_145:
	s_mul_i32 s0, s28, 0x700
	s_mov_b32 s1, 0
	s_delay_alu instid0(SALU_CYCLE_1) | instskip(NEXT) | instid1(SALU_CYCLE_1)
	s_lshl_b64 s[0:1], s[0:1], 3
	v_add_co_u32 v2, vcc_lo, v2, s0
	s_wait_alu 0xfffd
	v_add_co_ci_u32_e64 v3, null, s1, v3, vcc_lo
	s_wait_dscnt 0x0
	global_store_b64 v[2:3], v[0:1], off
.LBB241_146:
	s_nop 0
	s_sendmsg sendmsg(MSG_DEALLOC_VGPRS)
	s_endpgm
.LBB241_147:
	ds_load_u16 v9, v51
	s_wait_dscnt 0x0
	global_store_b16 v[0:1], v9, off
	s_wait_alu 0xfffe
	s_or_b32 exec_lo, exec_lo, s8
	s_and_saveexec_b32 s8, s1
	s_cbranch_execz .LBB241_130
.LBB241_148:
	s_lshl_b32 s10, s22, 8
	s_mov_b32 s11, 0
	s_wait_alu 0xfffe
	s_lshl_b64 s[10:11], s[10:11], 1
	s_wait_alu 0xfffe
	v_add_co_u32 v9, vcc_lo, v0, s10
	s_wait_alu 0xfffd
	v_add_co_ci_u32_e64 v10, null, s11, v1, vcc_lo
	s_wait_dscnt 0x6
	global_store_b16 v[9:10], v8, off
	s_or_b32 exec_lo, exec_lo, s8
	s_and_saveexec_b32 s8, s2
	s_cbranch_execz .LBB241_131
.LBB241_149:
	s_lshl_b32 s10, s22, 9
	s_mov_b32 s11, 0
	s_wait_alu 0xfffe
	s_lshl_b64 s[10:11], s[10:11], 1
	s_wait_dscnt 0x6
	s_wait_alu 0xfffe
	v_add_co_u32 v8, vcc_lo, v0, s10
	s_wait_alu 0xfffd
	v_add_co_ci_u32_e64 v9, null, s11, v1, vcc_lo
	s_wait_dscnt 0x5
	global_store_b16 v[8:9], v7, off
	s_or_b32 exec_lo, exec_lo, s8
	s_and_saveexec_b32 s8, s3
	s_cbranch_execz .LBB241_132
.LBB241_150:
	s_mul_i32 s10, s22, 0x300
	s_mov_b32 s11, 0
	s_wait_alu 0xfffe
	s_lshl_b64 s[10:11], s[10:11], 1
	s_wait_dscnt 0x5
	s_wait_alu 0xfffe
	v_add_co_u32 v7, vcc_lo, v0, s10
	s_wait_alu 0xfffd
	v_add_co_ci_u32_e64 v8, null, s11, v1, vcc_lo
	s_wait_dscnt 0x4
	global_store_b16 v[7:8], v6, off
	s_or_b32 exec_lo, exec_lo, s8
	s_and_saveexec_b32 s8, s4
	s_cbranch_execz .LBB241_133
.LBB241_151:
	s_lshl_b32 s10, s22, 10
	s_mov_b32 s11, 0
	s_wait_alu 0xfffe
	s_lshl_b64 s[10:11], s[10:11], 1
	s_wait_dscnt 0x4
	s_wait_alu 0xfffe
	v_add_co_u32 v6, vcc_lo, v0, s10
	s_wait_alu 0xfffd
	v_add_co_ci_u32_e64 v7, null, s11, v1, vcc_lo
	s_wait_dscnt 0x3
	global_store_b16 v[6:7], v5, off
	s_or_b32 exec_lo, exec_lo, s8
	s_and_saveexec_b32 s8, s5
	s_cbranch_execz .LBB241_134
.LBB241_152:
	s_mul_i32 s10, s22, 0x500
	s_mov_b32 s11, 0
	s_wait_alu 0xfffe
	s_lshl_b64 s[10:11], s[10:11], 1
	s_wait_dscnt 0x3
	s_wait_alu 0xfffe
	v_add_co_u32 v5, vcc_lo, v0, s10
	s_wait_alu 0xfffd
	v_add_co_ci_u32_e64 v6, null, s11, v1, vcc_lo
	s_wait_dscnt 0x2
	global_store_b16 v[5:6], v4, off
	s_or_b32 exec_lo, exec_lo, s8
	s_and_saveexec_b32 s8, s6
	s_cbranch_execz .LBB241_135
.LBB241_153:
	s_mul_i32 s10, s22, 0x600
	s_mov_b32 s11, 0
	s_wait_alu 0xfffe
	s_lshl_b64 s[10:11], s[10:11], 1
	s_wait_dscnt 0x2
	s_wait_alu 0xfffe
	v_add_co_u32 v4, vcc_lo, v0, s10
	s_wait_alu 0xfffd
	v_add_co_ci_u32_e64 v5, null, s11, v1, vcc_lo
	s_wait_dscnt 0x1
	global_store_b16 v[4:5], v3, off
	s_or_b32 exec_lo, exec_lo, s8
	s_and_saveexec_b32 s8, s7
	s_cbranch_execnz .LBB241_136
	s_branch .LBB241_137
.LBB241_154:
	ds_load_b64 v[16:17], v59
	s_wait_dscnt 0x0
	global_store_b64 v[2:3], v[16:17], off
	s_wait_alu 0xfffe
	s_or_b32 exec_lo, exec_lo, s8
	s_and_saveexec_b32 s0, s1
	s_cbranch_execz .LBB241_139
.LBB241_155:
	s_lshl_b32 s8, s28, 8
	s_mov_b32 s9, 0
	s_wait_alu 0xfffe
	s_lshl_b64 s[8:9], s[8:9], 3
	s_wait_alu 0xfffe
	v_add_co_u32 v16, vcc_lo, v2, s8
	s_wait_alu 0xfffd
	v_add_co_ci_u32_e64 v17, null, s9, v3, vcc_lo
	s_wait_dscnt 0x6
	global_store_b64 v[16:17], v[14:15], off
	s_or_b32 exec_lo, exec_lo, s0
	s_and_saveexec_b32 s0, s2
	s_cbranch_execz .LBB241_140
.LBB241_156:
	s_lshl_b32 s8, s28, 9
	s_mov_b32 s9, 0
	s_wait_alu 0xfffe
	s_lshl_b64 s[8:9], s[8:9], 3
	s_wait_dscnt 0x6
	s_wait_alu 0xfffe
	v_add_co_u32 v14, vcc_lo, v2, s8
	s_wait_alu 0xfffd
	v_add_co_ci_u32_e64 v15, null, s9, v3, vcc_lo
	s_wait_dscnt 0x5
	global_store_b64 v[14:15], v[12:13], off
	s_or_b32 exec_lo, exec_lo, s0
	s_and_saveexec_b32 s0, s3
	s_cbranch_execz .LBB241_141
.LBB241_157:
	s_mul_i32 s2, s28, 0x300
	s_mov_b32 s3, 0
	s_delay_alu instid0(SALU_CYCLE_1)
	s_lshl_b64 s[2:3], s[2:3], 3
	s_wait_dscnt 0x5
	v_add_co_u32 v12, vcc_lo, v2, s2
	s_wait_alu 0xfffd
	v_add_co_ci_u32_e64 v13, null, s3, v3, vcc_lo
	s_wait_dscnt 0x4
	global_store_b64 v[12:13], v[10:11], off
	s_or_b32 exec_lo, exec_lo, s0
	s_and_saveexec_b32 s0, s4
	s_cbranch_execz .LBB241_142
.LBB241_158:
	s_lshl_b32 s2, s28, 10
	s_mov_b32 s3, 0
	s_wait_alu 0xfffe
	s_lshl_b64 s[2:3], s[2:3], 3
	s_wait_dscnt 0x4
	s_wait_alu 0xfffe
	v_add_co_u32 v10, vcc_lo, v2, s2
	s_wait_alu 0xfffd
	v_add_co_ci_u32_e64 v11, null, s3, v3, vcc_lo
	s_wait_dscnt 0x3
	global_store_b64 v[10:11], v[8:9], off
	s_or_b32 exec_lo, exec_lo, s0
	s_and_saveexec_b32 s0, s5
	s_cbranch_execz .LBB241_143
.LBB241_159:
	s_mul_i32 s2, s28, 0x500
	s_mov_b32 s3, 0
	s_wait_alu 0xfffe
	s_lshl_b64 s[2:3], s[2:3], 3
	s_wait_dscnt 0x3
	s_wait_alu 0xfffe
	v_add_co_u32 v8, vcc_lo, v2, s2
	s_wait_alu 0xfffd
	v_add_co_ci_u32_e64 v9, null, s3, v3, vcc_lo
	s_wait_dscnt 0x2
	global_store_b64 v[8:9], v[6:7], off
	s_or_b32 exec_lo, exec_lo, s0
	s_and_saveexec_b32 s0, s6
	s_cbranch_execz .LBB241_144
.LBB241_160:
	s_mul_i32 s2, s28, 0x600
	s_mov_b32 s3, 0
	s_wait_alu 0xfffe
	s_lshl_b64 s[2:3], s[2:3], 3
	s_wait_dscnt 0x2
	s_wait_alu 0xfffe
	v_add_co_u32 v6, vcc_lo, v2, s2
	s_wait_alu 0xfffd
	v_add_co_ci_u32_e64 v7, null, s3, v3, vcc_lo
	s_wait_dscnt 0x1
	global_store_b64 v[6:7], v[4:5], off
	s_or_b32 exec_lo, exec_lo, s0
	s_and_saveexec_b32 s0, s7
	s_cbranch_execnz .LBB241_145
	s_branch .LBB241_146
	.section	.rodata,"a",@progbits
	.p2align	6, 0x0
	.amdhsa_kernel _ZN2at6native18radixSortKVInPlaceILin2ELin1ELi256ELi8EN3c108BFloat16EljEEvNS_4cuda6detail10TensorInfoIT3_T5_EES8_S8_S8_NS6_IT4_S8_EES8_b
		.amdhsa_group_segment_fixed_size 16896
		.amdhsa_private_segment_fixed_size 0
		.amdhsa_kernarg_size 712
		.amdhsa_user_sgpr_count 2
		.amdhsa_user_sgpr_dispatch_ptr 0
		.amdhsa_user_sgpr_queue_ptr 0
		.amdhsa_user_sgpr_kernarg_segment_ptr 1
		.amdhsa_user_sgpr_dispatch_id 0
		.amdhsa_user_sgpr_private_segment_size 0
		.amdhsa_wavefront_size32 1
		.amdhsa_uses_dynamic_stack 0
		.amdhsa_enable_private_segment 0
		.amdhsa_system_sgpr_workgroup_id_x 1
		.amdhsa_system_sgpr_workgroup_id_y 1
		.amdhsa_system_sgpr_workgroup_id_z 1
		.amdhsa_system_sgpr_workgroup_info 0
		.amdhsa_system_vgpr_workitem_id 2
		.amdhsa_next_free_vgpr 113
		.amdhsa_next_free_sgpr 38
		.amdhsa_reserve_vcc 1
		.amdhsa_float_round_mode_32 0
		.amdhsa_float_round_mode_16_64 0
		.amdhsa_float_denorm_mode_32 3
		.amdhsa_float_denorm_mode_16_64 3
		.amdhsa_fp16_overflow 0
		.amdhsa_workgroup_processor_mode 1
		.amdhsa_memory_ordered 1
		.amdhsa_forward_progress 1
		.amdhsa_inst_pref_size 180
		.amdhsa_round_robin_scheduling 0
		.amdhsa_exception_fp_ieee_invalid_op 0
		.amdhsa_exception_fp_denorm_src 0
		.amdhsa_exception_fp_ieee_div_zero 0
		.amdhsa_exception_fp_ieee_overflow 0
		.amdhsa_exception_fp_ieee_underflow 0
		.amdhsa_exception_fp_ieee_inexact 0
		.amdhsa_exception_int_div_zero 0
	.end_amdhsa_kernel
	.section	.text._ZN2at6native18radixSortKVInPlaceILin2ELin1ELi256ELi8EN3c108BFloat16EljEEvNS_4cuda6detail10TensorInfoIT3_T5_EES8_S8_S8_NS6_IT4_S8_EES8_b,"axG",@progbits,_ZN2at6native18radixSortKVInPlaceILin2ELin1ELi256ELi8EN3c108BFloat16EljEEvNS_4cuda6detail10TensorInfoIT3_T5_EES8_S8_S8_NS6_IT4_S8_EES8_b,comdat
.Lfunc_end241:
	.size	_ZN2at6native18radixSortKVInPlaceILin2ELin1ELi256ELi8EN3c108BFloat16EljEEvNS_4cuda6detail10TensorInfoIT3_T5_EES8_S8_S8_NS6_IT4_S8_EES8_b, .Lfunc_end241-_ZN2at6native18radixSortKVInPlaceILin2ELin1ELi256ELi8EN3c108BFloat16EljEEvNS_4cuda6detail10TensorInfoIT3_T5_EES8_S8_S8_NS6_IT4_S8_EES8_b
                                        ; -- End function
	.set _ZN2at6native18radixSortKVInPlaceILin2ELin1ELi256ELi8EN3c108BFloat16EljEEvNS_4cuda6detail10TensorInfoIT3_T5_EES8_S8_S8_NS6_IT4_S8_EES8_b.num_vgpr, 113
	.set _ZN2at6native18radixSortKVInPlaceILin2ELin1ELi256ELi8EN3c108BFloat16EljEEvNS_4cuda6detail10TensorInfoIT3_T5_EES8_S8_S8_NS6_IT4_S8_EES8_b.num_agpr, 0
	.set _ZN2at6native18radixSortKVInPlaceILin2ELin1ELi256ELi8EN3c108BFloat16EljEEvNS_4cuda6detail10TensorInfoIT3_T5_EES8_S8_S8_NS6_IT4_S8_EES8_b.numbered_sgpr, 38
	.set _ZN2at6native18radixSortKVInPlaceILin2ELin1ELi256ELi8EN3c108BFloat16EljEEvNS_4cuda6detail10TensorInfoIT3_T5_EES8_S8_S8_NS6_IT4_S8_EES8_b.num_named_barrier, 0
	.set _ZN2at6native18radixSortKVInPlaceILin2ELin1ELi256ELi8EN3c108BFloat16EljEEvNS_4cuda6detail10TensorInfoIT3_T5_EES8_S8_S8_NS6_IT4_S8_EES8_b.private_seg_size, 0
	.set _ZN2at6native18radixSortKVInPlaceILin2ELin1ELi256ELi8EN3c108BFloat16EljEEvNS_4cuda6detail10TensorInfoIT3_T5_EES8_S8_S8_NS6_IT4_S8_EES8_b.uses_vcc, 1
	.set _ZN2at6native18radixSortKVInPlaceILin2ELin1ELi256ELi8EN3c108BFloat16EljEEvNS_4cuda6detail10TensorInfoIT3_T5_EES8_S8_S8_NS6_IT4_S8_EES8_b.uses_flat_scratch, 0
	.set _ZN2at6native18radixSortKVInPlaceILin2ELin1ELi256ELi8EN3c108BFloat16EljEEvNS_4cuda6detail10TensorInfoIT3_T5_EES8_S8_S8_NS6_IT4_S8_EES8_b.has_dyn_sized_stack, 0
	.set _ZN2at6native18radixSortKVInPlaceILin2ELin1ELi256ELi8EN3c108BFloat16EljEEvNS_4cuda6detail10TensorInfoIT3_T5_EES8_S8_S8_NS6_IT4_S8_EES8_b.has_recursion, 0
	.set _ZN2at6native18radixSortKVInPlaceILin2ELin1ELi256ELi8EN3c108BFloat16EljEEvNS_4cuda6detail10TensorInfoIT3_T5_EES8_S8_S8_NS6_IT4_S8_EES8_b.has_indirect_call, 0
	.section	.AMDGPU.csdata,"",@progbits
; Kernel info:
; codeLenInByte = 23016
; TotalNumSgprs: 40
; NumVgprs: 113
; ScratchSize: 0
; MemoryBound: 0
; FloatMode: 240
; IeeeMode: 1
; LDSByteSize: 16896 bytes/workgroup (compile time only)
; SGPRBlocks: 0
; VGPRBlocks: 14
; NumSGPRsForWavesPerEU: 40
; NumVGPRsForWavesPerEU: 113
; Occupancy: 12
; WaveLimiterHint : 1
; COMPUTE_PGM_RSRC2:SCRATCH_EN: 0
; COMPUTE_PGM_RSRC2:USER_SGPR: 2
; COMPUTE_PGM_RSRC2:TRAP_HANDLER: 0
; COMPUTE_PGM_RSRC2:TGID_X_EN: 1
; COMPUTE_PGM_RSRC2:TGID_Y_EN: 1
; COMPUTE_PGM_RSRC2:TGID_Z_EN: 1
; COMPUTE_PGM_RSRC2:TIDIG_COMP_CNT: 2
	.section	.text._ZN2at6native18radixSortKVInPlaceILin2ELin1ELi128ELi8EN3c108BFloat16EljEEvNS_4cuda6detail10TensorInfoIT3_T5_EES8_S8_S8_NS6_IT4_S8_EES8_b,"axG",@progbits,_ZN2at6native18radixSortKVInPlaceILin2ELin1ELi128ELi8EN3c108BFloat16EljEEvNS_4cuda6detail10TensorInfoIT3_T5_EES8_S8_S8_NS6_IT4_S8_EES8_b,comdat
	.protected	_ZN2at6native18radixSortKVInPlaceILin2ELin1ELi128ELi8EN3c108BFloat16EljEEvNS_4cuda6detail10TensorInfoIT3_T5_EES8_S8_S8_NS6_IT4_S8_EES8_b ; -- Begin function _ZN2at6native18radixSortKVInPlaceILin2ELin1ELi128ELi8EN3c108BFloat16EljEEvNS_4cuda6detail10TensorInfoIT3_T5_EES8_S8_S8_NS6_IT4_S8_EES8_b
	.globl	_ZN2at6native18radixSortKVInPlaceILin2ELin1ELi128ELi8EN3c108BFloat16EljEEvNS_4cuda6detail10TensorInfoIT3_T5_EES8_S8_S8_NS6_IT4_S8_EES8_b
	.p2align	8
	.type	_ZN2at6native18radixSortKVInPlaceILin2ELin1ELi128ELi8EN3c108BFloat16EljEEvNS_4cuda6detail10TensorInfoIT3_T5_EES8_S8_S8_NS6_IT4_S8_EES8_b,@function
_ZN2at6native18radixSortKVInPlaceILin2ELin1ELi128ELi8EN3c108BFloat16EljEEvNS_4cuda6detail10TensorInfoIT3_T5_EES8_S8_S8_NS6_IT4_S8_EES8_b: ; @_ZN2at6native18radixSortKVInPlaceILin2ELin1ELi128ELi8EN3c108BFloat16EljEEvNS_4cuda6detail10TensorInfoIT3_T5_EES8_S8_S8_NS6_IT4_S8_EES8_b
; %bb.0:
	s_clause 0x1
	s_load_b64 s[2:3], s[0:1], 0x1c8
	s_load_b96 s[20:22], s[0:1], 0xd8
	s_lshr_b32 s4, ttmp7, 16
	s_wait_kmcnt 0x0
	s_mul_i32 s3, s3, s4
	s_and_b32 s4, ttmp7, 0xffff
	s_delay_alu instid0(SALU_CYCLE_1) | instskip(NEXT) | instid1(SALU_CYCLE_1)
	s_add_co_i32 s3, s3, s4
	s_mul_i32 s4, s3, s2
	s_delay_alu instid0(SALU_CYCLE_1) | instskip(NEXT) | instid1(SALU_CYCLE_1)
	s_add_co_i32 s4, s4, ttmp9
	s_cmp_ge_u32 s4, s20
	s_cbranch_scc1 .LBB242_146
; %bb.1:
	s_load_b32 s2, s[0:1], 0x1b8
	s_add_nc_u64 s[10:11], s[0:1], 0xe8
	s_mov_b32 s9, 0
	s_mov_b32 s12, s4
	s_wait_kmcnt 0x0
	s_cmp_lt_i32 s2, 2
	s_cbranch_scc1 .LBB242_4
; %bb.2:
	s_add_co_i32 s8, s2, -1
	s_add_co_i32 s5, s2, 1
	s_lshl_b64 s[6:7], s[8:9], 2
	s_mov_b32 s12, s4
	s_add_nc_u64 s[6:7], s[10:11], s[6:7]
	s_delay_alu instid0(SALU_CYCLE_1)
	s_add_nc_u64 s[2:3], s[6:7], 8
.LBB242_3:                              ; =>This Inner Loop Header: Depth=1
	s_clause 0x1
	s_load_b32 s6, s[2:3], 0x0
	s_load_b32 s7, s[2:3], 0x64
	s_mov_b32 s14, s12
	s_add_nc_u64 s[2:3], s[2:3], -4
	s_wait_kmcnt 0x0
	s_cvt_f32_u32 s8, s6
	s_sub_co_i32 s13, 0, s6
	s_wait_alu 0xfffe
	s_delay_alu instid0(SALU_CYCLE_1) | instskip(NEXT) | instid1(TRANS32_DEP_1)
	v_rcp_iflag_f32_e32 v1, s8
	v_readfirstlane_b32 s8, v1
	s_mul_f32 s8, s8, 0x4f7ffffe
	s_wait_alu 0xfffe
	s_delay_alu instid0(SALU_CYCLE_2) | instskip(SKIP_1) | instid1(SALU_CYCLE_2)
	s_cvt_u32_f32 s8, s8
	s_wait_alu 0xfffe
	s_mul_i32 s13, s13, s8
	s_delay_alu instid0(SALU_CYCLE_1) | instskip(NEXT) | instid1(SALU_CYCLE_1)
	s_mul_hi_u32 s13, s8, s13
	s_add_co_i32 s8, s8, s13
	s_wait_alu 0xfffe
	s_mul_hi_u32 s8, s12, s8
	s_wait_alu 0xfffe
	s_mul_i32 s12, s8, s6
	s_add_co_i32 s13, s8, 1
	s_sub_co_i32 s12, s14, s12
	s_delay_alu instid0(SALU_CYCLE_1)
	s_sub_co_i32 s15, s12, s6
	s_cmp_ge_u32 s12, s6
	s_cselect_b32 s8, s13, s8
	s_cselect_b32 s12, s15, s12
	s_wait_alu 0xfffe
	s_add_co_i32 s13, s8, 1
	s_cmp_ge_u32 s12, s6
	s_cselect_b32 s12, s13, s8
	s_add_co_i32 s5, s5, -1
	s_mul_i32 s6, s12, s6
	s_delay_alu instid0(SALU_CYCLE_1) | instskip(NEXT) | instid1(SALU_CYCLE_1)
	s_sub_co_i32 s6, s14, s6
	s_mul_i32 s6, s7, s6
	s_delay_alu instid0(SALU_CYCLE_1)
	s_add_co_i32 s9, s6, s9
	s_cmp_gt_u32 s5, 2
	s_cbranch_scc1 .LBB242_3
.LBB242_4:
	s_clause 0x2
	s_load_b64 s[28:29], s[0:1], 0x1c0
	s_load_b64 s[2:3], s[0:1], 0x0
	s_load_b32 s5, s[0:1], 0x6c
	s_add_nc_u64 s[36:37], s[0:1], 0x1c8
	s_mov_b32 s0, 0xffff
	s_wait_kmcnt 0x0
	s_bitcmp1_b32 s29, 0
	s_mul_i32 s4, s5, s4
	s_cselect_b32 s8, -1, 0
	s_mov_b32 s5, 0
	s_wait_alu 0xfffe
	s_and_b32 s1, s8, exec_lo
	s_cselect_b32 s13, s0, 0x7fff
	s_delay_alu instid0(SALU_CYCLE_1) | instskip(SKIP_1) | instid1(SALU_CYCLE_1)
	v_dual_mov_b32 v1, s13 :: v_dual_and_b32 v46, 0x3ff, v0
	s_lshl_b64 s[4:5], s[4:5], 1
	s_add_nc_u64 s[30:31], s[2:3], s[4:5]
	s_delay_alu instid0(VALU_DEP_1)
	v_mul_lo_u32 v44, s22, v46
	v_cmp_gt_u32_e64 s0, s21, v46
	s_and_saveexec_b32 s1, s0
	s_cbranch_execz .LBB242_6
; %bb.5:
	v_mov_b32_e32 v45, 0
	s_delay_alu instid0(VALU_DEP_1) | instskip(NEXT) | instid1(VALU_DEP_1)
	v_lshlrev_b64_e32 v[1:2], 1, v[44:45]
	v_add_co_u32 v1, vcc_lo, s30, v1
	s_delay_alu instid0(VALU_DEP_1)
	v_add_co_ci_u32_e64 v2, null, s31, v2, vcc_lo
	global_load_u16 v1, v[1:2], off
.LBB242_6:
	s_or_b32 exec_lo, exec_lo, s1
	v_dual_mov_b32 v2, s13 :: v_dual_add_nc_u32 v15, 0x80, v46
	s_delay_alu instid0(VALU_DEP_1)
	v_cmp_gt_u32_e64 s1, s21, v15
	s_and_saveexec_b32 s2, s1
	s_cbranch_execz .LBB242_8
; %bb.7:
	v_mul_lo_u32 v2, s22, v15
	v_mov_b32_e32 v3, 0
	s_delay_alu instid0(VALU_DEP_1) | instskip(NEXT) | instid1(VALU_DEP_1)
	v_lshlrev_b64_e32 v[2:3], 1, v[2:3]
	v_add_co_u32 v2, vcc_lo, s30, v2
	s_wait_alu 0xfffd
	s_delay_alu instid0(VALU_DEP_2)
	v_add_co_ci_u32_e64 v3, null, s31, v3, vcc_lo
	global_load_u16 v2, v[2:3], off
.LBB242_8:
	s_or_b32 exec_lo, exec_lo, s2
	v_dual_mov_b32 v3, s13 :: v_dual_add_nc_u32 v16, 0x100, v46
	s_delay_alu instid0(VALU_DEP_1)
	v_cmp_gt_u32_e64 s2, s21, v16
	s_and_saveexec_b32 s3, s2
	s_cbranch_execz .LBB242_10
; %bb.9:
	v_mul_lo_u32 v3, s22, v16
	v_mov_b32_e32 v4, 0
	s_delay_alu instid0(VALU_DEP_1) | instskip(NEXT) | instid1(VALU_DEP_1)
	v_lshlrev_b64_e32 v[3:4], 1, v[3:4]
	v_add_co_u32 v3, vcc_lo, s30, v3
	s_wait_alu 0xfffd
	s_delay_alu instid0(VALU_DEP_2)
	v_add_co_ci_u32_e64 v4, null, s31, v4, vcc_lo
	global_load_u16 v3, v[3:4], off
.LBB242_10:
	;; [unrolled: 17-line block ×6, first 2 shown]
	s_or_b32 exec_lo, exec_lo, s7
	s_clause 0x1
	s_load_b32 s14, s[10:11], 0x6c
	s_load_b64 s[10:11], s[10:11], 0x0
	v_dual_mov_b32 v8, s13 :: v_dual_add_nc_u32 v21, 0x380, v46
	s_delay_alu instid0(VALU_DEP_1)
	v_cmp_gt_u32_e64 s7, s21, v21
	s_and_saveexec_b32 s13, s7
	s_cbranch_execz .LBB242_20
; %bb.19:
	v_mul_lo_u32 v8, s22, v21
	v_mov_b32_e32 v9, 0
	s_delay_alu instid0(VALU_DEP_1) | instskip(NEXT) | instid1(VALU_DEP_1)
	v_lshlrev_b64_e32 v[8:9], 1, v[8:9]
	v_add_co_u32 v8, vcc_lo, s30, v8
	s_wait_alu 0xfffd
	s_delay_alu instid0(VALU_DEP_2)
	v_add_co_ci_u32_e64 v9, null, s31, v9, vcc_lo
	global_load_u16 v8, v[8:9], off
.LBB242_20:
	s_wait_alu 0xfffe
	s_or_b32 exec_lo, exec_lo, s13
	v_lshrrev_b32_e32 v9, 4, v46
	v_lshrrev_b32_e32 v10, 4, v15
	;; [unrolled: 1-line block ×5, first 2 shown]
	v_dual_mov_b32 v42, 0 :: v_dual_and_b32 v9, 60, v9
	v_lshlrev_b32_e32 v12, 1, v46
	v_and_b32_e32 v10, 0x7c, v10
	v_and_b32_e32 v11, 0x7c, v11
	s_wait_kmcnt 0x0
	s_mul_i32 s12, s14, s12
	v_mov_b32_e32 v43, v42
	v_add_nc_u32_e32 v51, v9, v12
	v_add_nc_u32_e32 v45, v10, v12
	;; [unrolled: 1-line block ×3, first 2 shown]
	v_and_b32_e32 v9, 0x7c, v13
	v_lshrrev_b32_e32 v10, 4, v18
	v_lshrrev_b32_e32 v11, 4, v19
	;; [unrolled: 1-line block ×3, first 2 shown]
	v_mul_lo_u32 v41, s28, v46
	v_add_nc_u32_e32 v53, v9, v12
	v_and_b32_e32 v9, 0x7c, v10
	v_and_b32_e32 v10, 0x7c, v11
	;; [unrolled: 1-line block ×4, first 2 shown]
	v_lshrrev_b32_e32 v14, 1, v46
	v_add_nc_u32_e32 v54, v9, v12
	v_add_nc_u32_e32 v55, v10, v12
	;; [unrolled: 1-line block ×4, first 2 shown]
	v_and_b32_e32 v9, 0x1fc, v14
	v_mov_b32_e32 v13, 0
	v_dual_mov_b32 v11, v42 :: v_dual_mov_b32 v12, v42
	v_mov_b32_e32 v14, 0
	s_delay_alu instid0(VALU_DEP_4)
	v_lshl_add_u32 v58, v46, 4, v9
	s_wait_loadcnt 0x0
	ds_store_b16 v51, v1
	ds_store_b16 v45, v2 offset:256
	ds_store_b16 v52, v3 offset:512
	;; [unrolled: 1-line block ×7, first 2 shown]
	s_wait_dscnt 0x0
	s_barrier_signal -1
	s_barrier_wait -1
	global_inv scope:SCOPE_SE
	ds_load_2addr_b32 v[49:50], v58 offset1:1
	ds_load_2addr_b32 v[47:48], v58 offset0:2 offset1:3
	s_wait_alu 0xfffe
	s_add_co_i32 s12, s12, s9
	s_mov_b32 s13, 0
	v_dual_mov_b32 v9, v42 :: v_dual_mov_b32 v10, v42
	v_dual_mov_b32 v1, v42 :: v_dual_mov_b32 v2, v42
	;; [unrolled: 1-line block ×5, first 2 shown]
	s_wait_alu 0xfffe
	s_lshl_b64 s[12:13], s[12:13], 3
	s_wait_loadcnt_dscnt 0x0
	s_wait_alu 0xfffe
	s_add_nc_u64 s[34:35], s[10:11], s[12:13]
	s_barrier_signal -1
	s_barrier_wait -1
	global_inv scope:SCOPE_SE
	s_and_saveexec_b32 s9, s0
	s_cbranch_execnz .LBB242_76
; %bb.21:
	s_wait_alu 0xfffe
	s_or_b32 exec_lo, exec_lo, s9
	s_and_saveexec_b32 s9, s1
	s_cbranch_execnz .LBB242_77
.LBB242_22:
	s_wait_alu 0xfffe
	s_or_b32 exec_lo, exec_lo, s9
	s_and_saveexec_b32 s9, s2
	s_cbranch_execnz .LBB242_78
.LBB242_23:
	s_wait_alu 0xfffe
	s_or_b32 exec_lo, exec_lo, s9
	s_and_saveexec_b32 s9, s3
	s_cbranch_execnz .LBB242_79
.LBB242_24:
	s_wait_alu 0xfffe
	s_or_b32 exec_lo, exec_lo, s9
	s_and_saveexec_b32 s9, s4
	s_cbranch_execnz .LBB242_80
.LBB242_25:
	s_wait_alu 0xfffe
	s_or_b32 exec_lo, exec_lo, s9
	s_and_saveexec_b32 s9, s5
	s_cbranch_execnz .LBB242_81
.LBB242_26:
	s_wait_alu 0xfffe
	s_or_b32 exec_lo, exec_lo, s9
	s_and_saveexec_b32 s9, s6
	s_cbranch_execz .LBB242_28
.LBB242_27:
	v_mul_lo_u32 v5, s28, v20
	v_mov_b32_e32 v6, 0
	s_delay_alu instid0(VALU_DEP_1) | instskip(NEXT) | instid1(VALU_DEP_1)
	v_lshlrev_b64_e32 v[5:6], 3, v[5:6]
	v_add_co_u32 v5, vcc_lo, s34, v5
	s_wait_alu 0xfffd
	s_delay_alu instid0(VALU_DEP_2)
	v_add_co_ci_u32_e64 v6, null, s35, v6, vcc_lo
	global_load_b64 v[5:6], v[5:6], off
.LBB242_28:
	s_wait_alu 0xfffe
	s_or_b32 exec_lo, exec_lo, s9
	v_lshrrev_b32_e32 v68, 5, v46
	v_lshrrev_b32_e32 v25, 5, v15
	;; [unrolled: 1-line block ×8, first 2 shown]
	v_lshlrev_b32_e32 v66, 3, v46
	v_lshrrev_b32_e32 v15, 2, v46
	s_xor_b32 s8, s8, -1
	s_and_saveexec_b32 s9, s7
	s_cbranch_execz .LBB242_30
; %bb.29:
	v_mul_lo_u32 v7, s28, v21
	v_mov_b32_e32 v8, 0
	s_delay_alu instid0(VALU_DEP_1) | instskip(NEXT) | instid1(VALU_DEP_1)
	v_lshlrev_b64_e32 v[7:8], 3, v[7:8]
	v_add_co_u32 v7, vcc_lo, s34, v7
	s_wait_alu 0xfffd
	s_delay_alu instid0(VALU_DEP_2)
	v_add_co_ci_u32_e64 v8, null, s35, v8, vcc_lo
	global_load_b64 v[7:8], v[7:8], off
.LBB242_30:
	s_wait_alu 0xfffe
	s_or_b32 exec_lo, exec_lo, s9
	v_lshl_add_u32 v59, v68, 3, v66
	v_lshl_add_u32 v60, v25, 3, v66
	v_lshl_add_u32 v61, v24, 3, v66
	v_lshl_add_u32 v62, v23, 3, v66
	v_lshl_add_u32 v63, v17, 3, v66
	s_wait_loadcnt 0x0
	ds_store_b64 v59, v[13:14]
	ds_store_b64 v60, v[42:43] offset:1024
	ds_store_b64 v61, v[9:10] offset:2048
	;; [unrolled: 1-line block ×3, first 2 shown]
	v_lshlrev_b32_e32 v9, 3, v66
	v_lshl_add_u32 v42, v22, 3, v66
	v_lshl_add_u32 v43, v18, 3, v66
	;; [unrolled: 1-line block ×3, first 2 shown]
	ds_store_b64 v42, v[1:2] offset:4096
	ds_store_b64 v43, v[3:4] offset:5120
	;; [unrolled: 1-line block ×4, first 2 shown]
	v_lshl_add_u32 v65, v15, 3, v9
	s_wait_dscnt 0x0
	s_barrier_signal -1
	s_barrier_wait -1
	global_inv scope:SCOPE_SE
	ds_load_2addr_b64 v[13:16], v65 offset1:1
	ds_load_2addr_b64 v[9:12], v65 offset0:2 offset1:3
	ds_load_2addr_b64 v[5:8], v65 offset0:4 offset1:5
	;; [unrolled: 1-line block ×3, first 2 shown]
	v_bfe_u32 v71, v0, 10, 10
	v_bfe_u32 v72, v0, 20, 10
	v_mbcnt_lo_u32_b32 v69, -1, 0
	v_and_b32_e32 v70, 0x3e0, v46
	v_lshlrev_b32_e32 v67, 2, v66
	s_and_b32 vcc_lo, exec_lo, s8
	s_wait_loadcnt_dscnt 0x0
	s_barrier_signal -1
	s_barrier_wait -1
	global_inv scope:SCOPE_SE
	s_wait_alu 0xfffe
	s_cbranch_vccz .LBB242_82
; %bb.31:
	v_pk_ashrrev_i16 v0, 15, v49 op_sel_hi:[0,1]
	v_pk_ashrrev_i16 v17, 15, v50 op_sel_hi:[0,1]
	;; [unrolled: 1-line block ×4, first 2 shown]
	v_or_b32_e32 v21, v69, v70
	v_or_b32_e32 v0, 0x80008000, v0
	;; [unrolled: 1-line block ×5, first 2 shown]
	v_and_or_b32 v84, 0x1f00, v66, v69
	s_mov_b32 s12, 0
	v_xor_b32_e32 v17, v0, v49
	v_xor_b32_e32 v18, v20, v50
	v_xor_b32_e32 v19, v22, v47
	v_xor_b32_e32 v20, v24, v48
	s_wait_alu 0xfffe
	s_mov_b32 s13, s12
	s_mov_b32 s14, s12
	;; [unrolled: 1-line block ×3, first 2 shown]
	v_lshlrev_b32_e32 v23, 4, v21
	v_lshlrev_b32_e32 v73, 1, v84
	s_getpc_b64 s[8:9]
	s_wait_alu 0xfffe
	s_sext_i32_i16 s9, s9
	s_add_co_u32 s8, s8, _ZN7rocprim17ROCPRIM_400000_NS16block_radix_sortI12hip_bfloat16Lj128ELj8ElLj1ELj1ELj0ELNS0_26block_radix_rank_algorithmE1ELNS0_18block_padding_hintE2ELNS0_4arch9wavefront6targetE0EE19radix_bits_per_passE@rel32@lo+12
	s_wait_alu 0xfffe
	s_add_co_ci_u32 s9, s9, _ZN7rocprim17ROCPRIM_400000_NS16block_radix_sortI12hip_bfloat16Lj128ELj8ElLj1ELj1ELj0ELNS0_26block_radix_rank_algorithmE1ELNS0_18block_padding_hintE2ELNS0_4arch9wavefront6targetE0EE19radix_bits_per_passE@rel32@hi+24
	s_load_b32 s19, s[8:9], 0x0
	ds_store_b128 v23, v[17:20]
	; wave barrier
	ds_load_u16 v74, v73
	v_mad_u32_u24 v0, v21, 48, v23
	ds_load_u16 v75, v73 offset:64
	ds_load_u16 v76, v73 offset:128
	;; [unrolled: 1-line block ×7, first 2 shown]
	s_wait_loadcnt_dscnt 0x0
	s_barrier_signal -1
	s_barrier_wait -1
	global_inv scope:SCOPE_SE
	ds_store_b128 v0, v[13:16]
	ds_store_b128 v0, v[9:12] offset:16
	ds_store_b128 v0, v[5:8] offset:32
	;; [unrolled: 1-line block ×3, first 2 shown]
	v_mad_u32_u24 v29, v84, 6, v73
	; wave barrier
	s_wait_kmcnt 0x0
	s_min_u32 s8, s19, 16
	s_wait_alu 0xfffe
	s_lshl_b32 s8, -1, s8
	v_cmp_ne_u16_e32 vcc_lo, 0x7fff, v74
	s_wait_alu 0xfffe
	s_not_b32 s9, s8
	s_wait_alu 0xfffd
	v_cndmask_b32_e32 v17, 0xffff8000, v74, vcc_lo
	s_delay_alu instid0(VALU_DEP_1) | instskip(SKIP_1) | instid1(VALU_DEP_1)
	v_and_b32_e32 v17, 0xffff, v17
	s_wait_alu 0xfffe
	v_and_b32_e32 v40, s9, v17
	ds_load_2addr_b64 v[17:20], v29 offset1:32
	ds_load_2addr_b64 v[25:28], v29 offset0:64 offset1:96
	ds_load_2addr_b64 v[21:24], v29 offset0:128 offset1:160
	ds_load_2addr_b64 v[29:32], v29 offset0:192 offset1:224
	s_wait_loadcnt_dscnt 0x0
	v_and_b32_e32 v0, 1, v40
	v_lshlrev_b32_e32 v33, 30, v40
	v_lshlrev_b32_e32 v36, 28, v40
	s_barrier_signal -1
	s_barrier_wait -1
	v_add_co_u32 v0, s8, v0, -1
	s_wait_alu 0xf1ff
	v_cndmask_b32_e64 v34, 0, 1, s8
	v_not_b32_e32 v35, v33
	v_cmp_gt_i32_e64 s8, 0, v33
	global_inv scope:SCOPE_SE
	v_cmp_ne_u32_e32 vcc_lo, 0, v34
	v_lshlrev_b32_e32 v34, 29, v40
	v_ashrrev_i32_e32 v33, 31, v35
	s_wait_alu 0xfffd
	v_xor_b32_e32 v0, vcc_lo, v0
	s_delay_alu instid0(VALU_DEP_3)
	v_not_b32_e32 v35, v34
	s_wait_alu 0xf1ff
	v_xor_b32_e32 v33, s8, v33
	v_cmp_gt_i32_e32 vcc_lo, 0, v34
	s_load_b32 s8, s[36:37], 0xc
	v_and_b32_e32 v0, exec_lo, v0
	v_ashrrev_i32_e32 v34, 31, v35
	v_not_b32_e32 v35, v36
	s_delay_alu instid0(VALU_DEP_3) | instskip(SKIP_1) | instid1(VALU_DEP_4)
	v_and_b32_e32 v0, v0, v33
	v_lshlrev_b32_e32 v33, 27, v40
	v_xor_b32_e32 v34, vcc_lo, v34
	v_cmp_gt_i32_e32 vcc_lo, 0, v36
	v_ashrrev_i32_e32 v35, 31, v35
	s_delay_alu instid0(VALU_DEP_4) | instskip(NEXT) | instid1(VALU_DEP_4)
	v_not_b32_e32 v36, v33
	v_and_b32_e32 v0, v0, v34
	v_lshlrev_b32_e32 v34, 26, v40
	s_wait_alu 0xfffd
	v_xor_b32_e32 v35, vcc_lo, v35
	v_cmp_gt_i32_e32 vcc_lo, 0, v33
	v_ashrrev_i32_e32 v33, 31, v36
	v_not_b32_e32 v36, v34
	s_delay_alu instid0(VALU_DEP_4)
	v_and_b32_e32 v0, v0, v35
	v_lshlrev_b32_e32 v35, 25, v40
	s_wait_alu 0xfffd
	v_xor_b32_e32 v33, vcc_lo, v33
	v_cmp_gt_i32_e32 vcc_lo, 0, v34
	v_ashrrev_i32_e32 v34, 31, v36
	s_wait_kmcnt 0x0
	s_lshr_b32 s10, s8, 16
	v_not_b32_e32 v36, v35
	v_and_b32_e32 v0, v0, v33
	v_lshlrev_b32_e32 v33, 24, v40
	s_wait_alu 0xfffd
	v_xor_b32_e32 v34, vcc_lo, v34
	v_cmp_gt_i32_e32 vcc_lo, 0, v35
	v_ashrrev_i32_e32 v35, 31, v36
	v_mad_u32_u24 v37, v72, s10, v71
	v_not_b32_e32 v36, v33
	v_and_b32_e32 v0, v0, v34
	s_and_b32 s8, s8, 0xffff
	s_wait_alu 0xfffd
	v_xor_b32_e32 v34, vcc_lo, v35
	v_cmp_gt_i32_e32 vcc_lo, 0, v33
	v_ashrrev_i32_e32 v33, 31, v36
	s_wait_alu 0xfffe
	v_mad_co_u64_u32 v[38:39], null, v37, s8, v[46:47]
	v_dual_mov_b32 v37, s15 :: v_dual_and_b32 v0, v0, v34
	s_wait_alu 0xfffd
	v_xor_b32_e32 v33, vcc_lo, v33
	v_dual_mov_b32 v36, s14 :: v_dual_mov_b32 v35, s13
	v_mov_b32_e32 v34, s12
	ds_store_b128 v67, v[34:37] offset:16
	ds_store_b128 v67, v[34:37] offset:32
	v_and_b32_e32 v33, v0, v33
	v_lshrrev_b32_e32 v0, 5, v38
	v_lshlrev_b32_e32 v34, 4, v40
	s_wait_loadcnt_dscnt 0x0
	s_barrier_signal -1
	v_mbcnt_lo_u32_b32 v86, v33, 0
	v_lshlrev_b32_e32 v0, 2, v0
	v_cmp_ne_u32_e64 s8, 0, v33
	s_barrier_wait -1
	global_inv scope:SCOPE_SE
	v_cmp_eq_u32_e32 vcc_lo, 0, v86
	v_add_nc_u32_e32 v87, v0, v34
	; wave barrier
	s_and_b32 s10, s8, vcc_lo
	s_wait_alu 0xfffe
	s_and_saveexec_b32 s8, s10
; %bb.32:
	v_bcnt_u32_b32 v33, v33, 0
	ds_store_b32 v87, v33 offset:16
; %bb.33:
	s_wait_alu 0xfffe
	s_or_b32 exec_lo, exec_lo, s8
	v_cmp_ne_u16_e32 vcc_lo, 0x7fff, v75
	; wave barrier
	s_wait_alu 0xfffd
	v_cndmask_b32_e32 v33, 0xffff8000, v75, vcc_lo
	s_delay_alu instid0(VALU_DEP_1) | instskip(NEXT) | instid1(VALU_DEP_1)
	v_and_b32_e32 v33, 0xffff, v33
	v_and_b32_e32 v33, s9, v33
	s_delay_alu instid0(VALU_DEP_1)
	v_and_b32_e32 v34, 1, v33
	v_lshlrev_b32_e32 v35, 30, v33
	v_lshlrev_b32_e32 v36, 29, v33
	;; [unrolled: 1-line block ×4, first 2 shown]
	v_add_co_u32 v34, s8, v34, -1
	s_wait_alu 0xf1ff
	v_cndmask_b32_e64 v38, 0, 1, s8
	v_not_b32_e32 v83, v35
	v_cmp_gt_i32_e64 s8, 0, v35
	v_not_b32_e32 v35, v36
	v_lshlrev_b32_e32 v40, 26, v33
	v_cmp_ne_u32_e32 vcc_lo, 0, v38
	v_ashrrev_i32_e32 v83, 31, v83
	v_lshlrev_b32_e32 v82, 25, v33
	v_ashrrev_i32_e32 v35, 31, v35
	v_lshlrev_b32_e32 v38, 24, v33
	s_wait_alu 0xfffd
	v_xor_b32_e32 v34, vcc_lo, v34
	v_cmp_gt_i32_e32 vcc_lo, 0, v36
	v_not_b32_e32 v36, v37
	s_wait_alu 0xf1ff
	v_xor_b32_e32 v83, s8, v83
	v_cmp_gt_i32_e64 s8, 0, v37
	v_and_b32_e32 v34, exec_lo, v34
	v_not_b32_e32 v37, v39
	v_ashrrev_i32_e32 v36, 31, v36
	s_wait_alu 0xfffd
	v_xor_b32_e32 v35, vcc_lo, v35
	v_cmp_gt_i32_e32 vcc_lo, 0, v39
	v_and_b32_e32 v34, v34, v83
	v_not_b32_e32 v39, v40
	v_ashrrev_i32_e32 v37, 31, v37
	s_wait_alu 0xf1ff
	v_xor_b32_e32 v36, s8, v36
	v_cmp_gt_i32_e64 s8, 0, v40
	v_and_b32_e32 v34, v34, v35
	v_not_b32_e32 v35, v82
	v_ashrrev_i32_e32 v39, 31, v39
	s_wait_alu 0xfffd
	v_xor_b32_e32 v37, vcc_lo, v37
	v_cmp_gt_i32_e32 vcc_lo, 0, v82
	v_and_b32_e32 v34, v34, v36
	v_not_b32_e32 v36, v38
	v_ashrrev_i32_e32 v35, 31, v35
	s_wait_alu 0xf1ff
	v_xor_b32_e32 v39, s8, v39
	v_lshlrev_b32_e32 v33, 4, v33
	v_and_b32_e32 v34, v34, v37
	v_cmp_gt_i32_e64 s8, 0, v38
	v_ashrrev_i32_e32 v36, 31, v36
	s_wait_alu 0xfffd
	v_xor_b32_e32 v35, vcc_lo, v35
	v_add_nc_u32_e32 v90, v0, v33
	v_and_b32_e32 v34, v34, v39
	s_wait_alu 0xf1ff
	v_xor_b32_e32 v33, s8, v36
	ds_load_b32 v88, v90 offset:16
	v_and_b32_e32 v34, v34, v35
	; wave barrier
	s_delay_alu instid0(VALU_DEP_1) | instskip(NEXT) | instid1(VALU_DEP_1)
	v_and_b32_e32 v33, v34, v33
	v_mbcnt_lo_u32_b32 v89, v33, 0
	v_cmp_ne_u32_e64 s8, 0, v33
	s_delay_alu instid0(VALU_DEP_2)
	v_cmp_eq_u32_e32 vcc_lo, 0, v89
	s_and_b32 s10, s8, vcc_lo
	s_wait_alu 0xfffe
	s_and_saveexec_b32 s8, s10
	s_cbranch_execz .LBB242_35
; %bb.34:
	s_wait_dscnt 0x0
	v_bcnt_u32_b32 v33, v33, v88
	ds_store_b32 v90, v33 offset:16
.LBB242_35:
	s_wait_alu 0xfffe
	s_or_b32 exec_lo, exec_lo, s8
	v_cmp_ne_u16_e32 vcc_lo, 0x7fff, v76
	; wave barrier
	s_wait_alu 0xfffd
	v_cndmask_b32_e32 v33, 0xffff8000, v76, vcc_lo
	s_delay_alu instid0(VALU_DEP_1) | instskip(NEXT) | instid1(VALU_DEP_1)
	v_and_b32_e32 v33, 0xffff, v33
	v_and_b32_e32 v33, s9, v33
	s_delay_alu instid0(VALU_DEP_1)
	v_and_b32_e32 v34, 1, v33
	v_lshlrev_b32_e32 v35, 30, v33
	v_lshlrev_b32_e32 v36, 29, v33
	;; [unrolled: 1-line block ×4, first 2 shown]
	v_add_co_u32 v34, s8, v34, -1
	s_wait_alu 0xf1ff
	v_cndmask_b32_e64 v38, 0, 1, s8
	v_not_b32_e32 v83, v35
	v_cmp_gt_i32_e64 s8, 0, v35
	v_not_b32_e32 v35, v36
	v_lshlrev_b32_e32 v40, 26, v33
	v_cmp_ne_u32_e32 vcc_lo, 0, v38
	v_ashrrev_i32_e32 v83, 31, v83
	v_lshlrev_b32_e32 v82, 25, v33
	v_ashrrev_i32_e32 v35, 31, v35
	v_lshlrev_b32_e32 v38, 24, v33
	s_wait_alu 0xfffd
	v_xor_b32_e32 v34, vcc_lo, v34
	v_cmp_gt_i32_e32 vcc_lo, 0, v36
	v_not_b32_e32 v36, v37
	s_wait_alu 0xf1ff
	v_xor_b32_e32 v83, s8, v83
	v_cmp_gt_i32_e64 s8, 0, v37
	v_and_b32_e32 v34, exec_lo, v34
	v_not_b32_e32 v37, v39
	v_ashrrev_i32_e32 v36, 31, v36
	s_wait_alu 0xfffd
	v_xor_b32_e32 v35, vcc_lo, v35
	v_cmp_gt_i32_e32 vcc_lo, 0, v39
	v_and_b32_e32 v34, v34, v83
	v_not_b32_e32 v39, v40
	v_ashrrev_i32_e32 v37, 31, v37
	s_wait_alu 0xf1ff
	v_xor_b32_e32 v36, s8, v36
	v_cmp_gt_i32_e64 s8, 0, v40
	v_and_b32_e32 v34, v34, v35
	v_not_b32_e32 v35, v82
	v_ashrrev_i32_e32 v39, 31, v39
	s_wait_alu 0xfffd
	v_xor_b32_e32 v37, vcc_lo, v37
	v_cmp_gt_i32_e32 vcc_lo, 0, v82
	v_and_b32_e32 v34, v34, v36
	v_not_b32_e32 v36, v38
	v_ashrrev_i32_e32 v35, 31, v35
	s_wait_alu 0xf1ff
	v_xor_b32_e32 v39, s8, v39
	v_lshlrev_b32_e32 v33, 4, v33
	v_and_b32_e32 v34, v34, v37
	v_cmp_gt_i32_e64 s8, 0, v38
	v_ashrrev_i32_e32 v36, 31, v36
	s_wait_alu 0xfffd
	v_xor_b32_e32 v35, vcc_lo, v35
	v_add_nc_u32_e32 v93, v0, v33
	v_and_b32_e32 v34, v34, v39
	s_wait_alu 0xf1ff
	v_xor_b32_e32 v33, s8, v36
	ds_load_b32 v91, v93 offset:16
	v_and_b32_e32 v34, v34, v35
	; wave barrier
	s_delay_alu instid0(VALU_DEP_1) | instskip(NEXT) | instid1(VALU_DEP_1)
	v_and_b32_e32 v33, v34, v33
	v_mbcnt_lo_u32_b32 v92, v33, 0
	v_cmp_ne_u32_e64 s8, 0, v33
	s_delay_alu instid0(VALU_DEP_2)
	v_cmp_eq_u32_e32 vcc_lo, 0, v92
	s_and_b32 s10, s8, vcc_lo
	s_wait_alu 0xfffe
	s_and_saveexec_b32 s8, s10
	s_cbranch_execz .LBB242_37
; %bb.36:
	s_wait_dscnt 0x0
	v_bcnt_u32_b32 v33, v33, v91
	ds_store_b32 v93, v33 offset:16
.LBB242_37:
	s_wait_alu 0xfffe
	s_or_b32 exec_lo, exec_lo, s8
	v_cmp_ne_u16_e32 vcc_lo, 0x7fff, v77
	; wave barrier
	s_wait_alu 0xfffd
	v_cndmask_b32_e32 v33, 0xffff8000, v77, vcc_lo
	s_delay_alu instid0(VALU_DEP_1) | instskip(NEXT) | instid1(VALU_DEP_1)
	v_and_b32_e32 v33, 0xffff, v33
	v_and_b32_e32 v33, s9, v33
	s_delay_alu instid0(VALU_DEP_1)
	v_and_b32_e32 v34, 1, v33
	v_lshlrev_b32_e32 v35, 30, v33
	v_lshlrev_b32_e32 v36, 29, v33
	;; [unrolled: 1-line block ×4, first 2 shown]
	v_add_co_u32 v34, s8, v34, -1
	s_wait_alu 0xf1ff
	v_cndmask_b32_e64 v38, 0, 1, s8
	v_not_b32_e32 v83, v35
	v_cmp_gt_i32_e64 s8, 0, v35
	v_not_b32_e32 v35, v36
	v_lshlrev_b32_e32 v40, 26, v33
	v_cmp_ne_u32_e32 vcc_lo, 0, v38
	v_ashrrev_i32_e32 v83, 31, v83
	v_lshlrev_b32_e32 v82, 25, v33
	v_ashrrev_i32_e32 v35, 31, v35
	v_lshlrev_b32_e32 v38, 24, v33
	s_wait_alu 0xfffd
	v_xor_b32_e32 v34, vcc_lo, v34
	v_cmp_gt_i32_e32 vcc_lo, 0, v36
	v_not_b32_e32 v36, v37
	s_wait_alu 0xf1ff
	v_xor_b32_e32 v83, s8, v83
	v_cmp_gt_i32_e64 s8, 0, v37
	v_and_b32_e32 v34, exec_lo, v34
	v_not_b32_e32 v37, v39
	v_ashrrev_i32_e32 v36, 31, v36
	s_wait_alu 0xfffd
	v_xor_b32_e32 v35, vcc_lo, v35
	v_cmp_gt_i32_e32 vcc_lo, 0, v39
	v_and_b32_e32 v34, v34, v83
	v_not_b32_e32 v39, v40
	v_ashrrev_i32_e32 v37, 31, v37
	s_wait_alu 0xf1ff
	v_xor_b32_e32 v36, s8, v36
	v_cmp_gt_i32_e64 s8, 0, v40
	v_and_b32_e32 v34, v34, v35
	v_not_b32_e32 v35, v82
	v_ashrrev_i32_e32 v39, 31, v39
	s_wait_alu 0xfffd
	v_xor_b32_e32 v37, vcc_lo, v37
	v_cmp_gt_i32_e32 vcc_lo, 0, v82
	v_and_b32_e32 v34, v34, v36
	v_not_b32_e32 v36, v38
	v_ashrrev_i32_e32 v35, 31, v35
	s_wait_alu 0xf1ff
	v_xor_b32_e32 v39, s8, v39
	v_lshlrev_b32_e32 v33, 4, v33
	v_and_b32_e32 v34, v34, v37
	v_cmp_gt_i32_e64 s8, 0, v38
	v_ashrrev_i32_e32 v36, 31, v36
	s_wait_alu 0xfffd
	v_xor_b32_e32 v35, vcc_lo, v35
	v_add_nc_u32_e32 v96, v0, v33
	v_and_b32_e32 v34, v34, v39
	s_wait_alu 0xf1ff
	v_xor_b32_e32 v33, s8, v36
	ds_load_b32 v94, v96 offset:16
	v_and_b32_e32 v34, v34, v35
	; wave barrier
	s_delay_alu instid0(VALU_DEP_1) | instskip(NEXT) | instid1(VALU_DEP_1)
	v_and_b32_e32 v33, v34, v33
	v_mbcnt_lo_u32_b32 v95, v33, 0
	v_cmp_ne_u32_e64 s8, 0, v33
	s_delay_alu instid0(VALU_DEP_2)
	v_cmp_eq_u32_e32 vcc_lo, 0, v95
	s_and_b32 s10, s8, vcc_lo
	s_wait_alu 0xfffe
	s_and_saveexec_b32 s8, s10
	s_cbranch_execz .LBB242_39
; %bb.38:
	s_wait_dscnt 0x0
	v_bcnt_u32_b32 v33, v33, v94
	ds_store_b32 v96, v33 offset:16
.LBB242_39:
	s_wait_alu 0xfffe
	s_or_b32 exec_lo, exec_lo, s8
	v_cmp_ne_u16_e32 vcc_lo, 0x7fff, v78
	; wave barrier
	s_wait_alu 0xfffd
	v_cndmask_b32_e32 v33, 0xffff8000, v78, vcc_lo
	s_delay_alu instid0(VALU_DEP_1) | instskip(NEXT) | instid1(VALU_DEP_1)
	v_and_b32_e32 v33, 0xffff, v33
	v_and_b32_e32 v33, s9, v33
	s_delay_alu instid0(VALU_DEP_1)
	v_and_b32_e32 v34, 1, v33
	v_lshlrev_b32_e32 v35, 30, v33
	v_lshlrev_b32_e32 v36, 29, v33
	;; [unrolled: 1-line block ×4, first 2 shown]
	v_add_co_u32 v34, s8, v34, -1
	s_wait_alu 0xf1ff
	v_cndmask_b32_e64 v38, 0, 1, s8
	v_not_b32_e32 v83, v35
	v_cmp_gt_i32_e64 s8, 0, v35
	v_not_b32_e32 v35, v36
	v_lshlrev_b32_e32 v40, 26, v33
	v_cmp_ne_u32_e32 vcc_lo, 0, v38
	v_ashrrev_i32_e32 v83, 31, v83
	v_lshlrev_b32_e32 v82, 25, v33
	v_ashrrev_i32_e32 v35, 31, v35
	v_lshlrev_b32_e32 v38, 24, v33
	s_wait_alu 0xfffd
	v_xor_b32_e32 v34, vcc_lo, v34
	v_cmp_gt_i32_e32 vcc_lo, 0, v36
	v_not_b32_e32 v36, v37
	s_wait_alu 0xf1ff
	v_xor_b32_e32 v83, s8, v83
	v_cmp_gt_i32_e64 s8, 0, v37
	v_and_b32_e32 v34, exec_lo, v34
	v_not_b32_e32 v37, v39
	v_ashrrev_i32_e32 v36, 31, v36
	s_wait_alu 0xfffd
	v_xor_b32_e32 v35, vcc_lo, v35
	v_cmp_gt_i32_e32 vcc_lo, 0, v39
	v_and_b32_e32 v34, v34, v83
	v_not_b32_e32 v39, v40
	v_ashrrev_i32_e32 v37, 31, v37
	s_wait_alu 0xf1ff
	v_xor_b32_e32 v36, s8, v36
	v_cmp_gt_i32_e64 s8, 0, v40
	v_and_b32_e32 v34, v34, v35
	v_not_b32_e32 v35, v82
	v_ashrrev_i32_e32 v39, 31, v39
	s_wait_alu 0xfffd
	v_xor_b32_e32 v37, vcc_lo, v37
	v_cmp_gt_i32_e32 vcc_lo, 0, v82
	v_and_b32_e32 v34, v34, v36
	v_not_b32_e32 v36, v38
	v_ashrrev_i32_e32 v35, 31, v35
	s_wait_alu 0xf1ff
	v_xor_b32_e32 v39, s8, v39
	v_lshlrev_b32_e32 v33, 4, v33
	v_and_b32_e32 v34, v34, v37
	v_cmp_gt_i32_e64 s8, 0, v38
	v_ashrrev_i32_e32 v36, 31, v36
	s_wait_alu 0xfffd
	v_xor_b32_e32 v35, vcc_lo, v35
	v_add_nc_u32_e32 v99, v0, v33
	v_and_b32_e32 v34, v34, v39
	s_wait_alu 0xf1ff
	v_xor_b32_e32 v33, s8, v36
	ds_load_b32 v97, v99 offset:16
	v_and_b32_e32 v34, v34, v35
	; wave barrier
	s_delay_alu instid0(VALU_DEP_1) | instskip(NEXT) | instid1(VALU_DEP_1)
	v_and_b32_e32 v33, v34, v33
	v_mbcnt_lo_u32_b32 v98, v33, 0
	v_cmp_ne_u32_e64 s8, 0, v33
	s_delay_alu instid0(VALU_DEP_2)
	v_cmp_eq_u32_e32 vcc_lo, 0, v98
	s_and_b32 s10, s8, vcc_lo
	s_wait_alu 0xfffe
	s_and_saveexec_b32 s8, s10
	s_cbranch_execz .LBB242_41
; %bb.40:
	s_wait_dscnt 0x0
	v_bcnt_u32_b32 v33, v33, v97
	ds_store_b32 v99, v33 offset:16
.LBB242_41:
	s_wait_alu 0xfffe
	s_or_b32 exec_lo, exec_lo, s8
	v_cmp_ne_u16_e32 vcc_lo, 0x7fff, v79
	; wave barrier
	s_wait_alu 0xfffd
	v_cndmask_b32_e32 v33, 0xffff8000, v79, vcc_lo
	s_delay_alu instid0(VALU_DEP_1) | instskip(NEXT) | instid1(VALU_DEP_1)
	v_and_b32_e32 v33, 0xffff, v33
	v_and_b32_e32 v33, s9, v33
	s_delay_alu instid0(VALU_DEP_1)
	v_and_b32_e32 v34, 1, v33
	v_lshlrev_b32_e32 v35, 30, v33
	v_lshlrev_b32_e32 v36, 29, v33
	;; [unrolled: 1-line block ×4, first 2 shown]
	v_add_co_u32 v34, s8, v34, -1
	s_wait_alu 0xf1ff
	v_cndmask_b32_e64 v38, 0, 1, s8
	v_not_b32_e32 v83, v35
	v_cmp_gt_i32_e64 s8, 0, v35
	v_not_b32_e32 v35, v36
	v_lshlrev_b32_e32 v40, 26, v33
	v_cmp_ne_u32_e32 vcc_lo, 0, v38
	v_ashrrev_i32_e32 v83, 31, v83
	v_lshlrev_b32_e32 v82, 25, v33
	v_ashrrev_i32_e32 v35, 31, v35
	v_lshlrev_b32_e32 v38, 24, v33
	s_wait_alu 0xfffd
	v_xor_b32_e32 v34, vcc_lo, v34
	v_cmp_gt_i32_e32 vcc_lo, 0, v36
	v_not_b32_e32 v36, v37
	s_wait_alu 0xf1ff
	v_xor_b32_e32 v83, s8, v83
	v_cmp_gt_i32_e64 s8, 0, v37
	v_and_b32_e32 v34, exec_lo, v34
	v_not_b32_e32 v37, v39
	v_ashrrev_i32_e32 v36, 31, v36
	s_wait_alu 0xfffd
	v_xor_b32_e32 v35, vcc_lo, v35
	v_cmp_gt_i32_e32 vcc_lo, 0, v39
	v_and_b32_e32 v34, v34, v83
	v_not_b32_e32 v39, v40
	v_ashrrev_i32_e32 v37, 31, v37
	s_wait_alu 0xf1ff
	v_xor_b32_e32 v36, s8, v36
	v_cmp_gt_i32_e64 s8, 0, v40
	v_and_b32_e32 v34, v34, v35
	v_not_b32_e32 v35, v82
	v_ashrrev_i32_e32 v39, 31, v39
	s_wait_alu 0xfffd
	v_xor_b32_e32 v37, vcc_lo, v37
	v_cmp_gt_i32_e32 vcc_lo, 0, v82
	v_and_b32_e32 v34, v34, v36
	v_not_b32_e32 v36, v38
	v_ashrrev_i32_e32 v35, 31, v35
	s_wait_alu 0xf1ff
	v_xor_b32_e32 v39, s8, v39
	v_lshlrev_b32_e32 v33, 4, v33
	v_and_b32_e32 v34, v34, v37
	v_cmp_gt_i32_e64 s8, 0, v38
	v_ashrrev_i32_e32 v36, 31, v36
	s_wait_alu 0xfffd
	v_xor_b32_e32 v35, vcc_lo, v35
	v_add_nc_u32_e32 v102, v0, v33
	v_and_b32_e32 v34, v34, v39
	s_wait_alu 0xf1ff
	v_xor_b32_e32 v33, s8, v36
	ds_load_b32 v100, v102 offset:16
	v_and_b32_e32 v34, v34, v35
	; wave barrier
	s_delay_alu instid0(VALU_DEP_1) | instskip(NEXT) | instid1(VALU_DEP_1)
	v_and_b32_e32 v33, v34, v33
	v_mbcnt_lo_u32_b32 v101, v33, 0
	v_cmp_ne_u32_e64 s8, 0, v33
	s_delay_alu instid0(VALU_DEP_2)
	v_cmp_eq_u32_e32 vcc_lo, 0, v101
	s_and_b32 s10, s8, vcc_lo
	s_wait_alu 0xfffe
	s_and_saveexec_b32 s8, s10
	s_cbranch_execz .LBB242_43
; %bb.42:
	s_wait_dscnt 0x0
	v_bcnt_u32_b32 v33, v33, v100
	ds_store_b32 v102, v33 offset:16
.LBB242_43:
	s_wait_alu 0xfffe
	s_or_b32 exec_lo, exec_lo, s8
	v_cmp_ne_u16_e32 vcc_lo, 0x7fff, v80
	; wave barrier
	s_wait_alu 0xfffd
	v_cndmask_b32_e32 v33, 0xffff8000, v80, vcc_lo
	s_delay_alu instid0(VALU_DEP_1) | instskip(NEXT) | instid1(VALU_DEP_1)
	v_and_b32_e32 v33, 0xffff, v33
	v_and_b32_e32 v33, s9, v33
	s_delay_alu instid0(VALU_DEP_1)
	v_and_b32_e32 v34, 1, v33
	v_lshlrev_b32_e32 v35, 30, v33
	v_lshlrev_b32_e32 v36, 29, v33
	;; [unrolled: 1-line block ×4, first 2 shown]
	v_add_co_u32 v34, s8, v34, -1
	s_wait_alu 0xf1ff
	v_cndmask_b32_e64 v38, 0, 1, s8
	v_not_b32_e32 v83, v35
	v_cmp_gt_i32_e64 s8, 0, v35
	v_not_b32_e32 v35, v36
	v_lshlrev_b32_e32 v40, 26, v33
	v_cmp_ne_u32_e32 vcc_lo, 0, v38
	v_ashrrev_i32_e32 v83, 31, v83
	v_lshlrev_b32_e32 v82, 25, v33
	v_ashrrev_i32_e32 v35, 31, v35
	v_lshlrev_b32_e32 v38, 24, v33
	s_wait_alu 0xfffd
	v_xor_b32_e32 v34, vcc_lo, v34
	v_cmp_gt_i32_e32 vcc_lo, 0, v36
	v_not_b32_e32 v36, v37
	s_wait_alu 0xf1ff
	v_xor_b32_e32 v83, s8, v83
	v_cmp_gt_i32_e64 s8, 0, v37
	v_and_b32_e32 v34, exec_lo, v34
	v_not_b32_e32 v37, v39
	v_ashrrev_i32_e32 v36, 31, v36
	s_wait_alu 0xfffd
	v_xor_b32_e32 v35, vcc_lo, v35
	v_cmp_gt_i32_e32 vcc_lo, 0, v39
	v_and_b32_e32 v34, v34, v83
	v_not_b32_e32 v39, v40
	v_ashrrev_i32_e32 v37, 31, v37
	s_wait_alu 0xf1ff
	v_xor_b32_e32 v36, s8, v36
	v_cmp_gt_i32_e64 s8, 0, v40
	v_and_b32_e32 v34, v34, v35
	v_not_b32_e32 v35, v82
	v_ashrrev_i32_e32 v39, 31, v39
	s_wait_alu 0xfffd
	v_xor_b32_e32 v37, vcc_lo, v37
	v_cmp_gt_i32_e32 vcc_lo, 0, v82
	v_and_b32_e32 v34, v34, v36
	v_not_b32_e32 v36, v38
	v_ashrrev_i32_e32 v35, 31, v35
	s_wait_alu 0xf1ff
	v_xor_b32_e32 v39, s8, v39
	v_lshlrev_b32_e32 v33, 4, v33
	v_and_b32_e32 v34, v34, v37
	v_cmp_gt_i32_e64 s8, 0, v38
	v_ashrrev_i32_e32 v36, 31, v36
	s_wait_alu 0xfffd
	v_xor_b32_e32 v35, vcc_lo, v35
	v_add_nc_u32_e32 v105, v0, v33
	v_and_b32_e32 v34, v34, v39
	s_wait_alu 0xf1ff
	v_xor_b32_e32 v33, s8, v36
	ds_load_b32 v103, v105 offset:16
	v_and_b32_e32 v34, v34, v35
	; wave barrier
	s_delay_alu instid0(VALU_DEP_1) | instskip(NEXT) | instid1(VALU_DEP_1)
	v_and_b32_e32 v33, v34, v33
	v_mbcnt_lo_u32_b32 v104, v33, 0
	v_cmp_ne_u32_e64 s8, 0, v33
	s_delay_alu instid0(VALU_DEP_2)
	v_cmp_eq_u32_e32 vcc_lo, 0, v104
	s_and_b32 s10, s8, vcc_lo
	s_wait_alu 0xfffe
	s_and_saveexec_b32 s8, s10
	s_cbranch_execz .LBB242_45
; %bb.44:
	s_wait_dscnt 0x0
	v_bcnt_u32_b32 v33, v33, v103
	ds_store_b32 v105, v33 offset:16
.LBB242_45:
	s_wait_alu 0xfffe
	s_or_b32 exec_lo, exec_lo, s8
	v_cmp_ne_u16_e32 vcc_lo, 0x7fff, v81
	; wave barrier
	s_wait_alu 0xfffd
	v_cndmask_b32_e32 v33, 0xffff8000, v81, vcc_lo
	s_delay_alu instid0(VALU_DEP_1) | instskip(NEXT) | instid1(VALU_DEP_1)
	v_and_b32_e32 v33, 0xffff, v33
	v_and_b32_e32 v33, s9, v33
	s_delay_alu instid0(VALU_DEP_1)
	v_and_b32_e32 v34, 1, v33
	v_lshlrev_b32_e32 v35, 30, v33
	v_lshlrev_b32_e32 v36, 29, v33
	;; [unrolled: 1-line block ×4, first 2 shown]
	v_add_co_u32 v34, s8, v34, -1
	s_wait_alu 0xf1ff
	v_cndmask_b32_e64 v38, 0, 1, s8
	v_not_b32_e32 v83, v35
	v_cmp_gt_i32_e64 s8, 0, v35
	v_not_b32_e32 v35, v36
	v_lshlrev_b32_e32 v40, 26, v33
	v_cmp_ne_u32_e32 vcc_lo, 0, v38
	v_ashrrev_i32_e32 v83, 31, v83
	v_lshlrev_b32_e32 v82, 25, v33
	v_ashrrev_i32_e32 v35, 31, v35
	v_lshlrev_b32_e32 v38, 24, v33
	s_wait_alu 0xfffd
	v_xor_b32_e32 v34, vcc_lo, v34
	v_cmp_gt_i32_e32 vcc_lo, 0, v36
	v_not_b32_e32 v36, v37
	s_wait_alu 0xf1ff
	v_xor_b32_e32 v83, s8, v83
	v_cmp_gt_i32_e64 s8, 0, v37
	v_and_b32_e32 v34, exec_lo, v34
	v_not_b32_e32 v37, v39
	v_ashrrev_i32_e32 v36, 31, v36
	s_wait_alu 0xfffd
	v_xor_b32_e32 v35, vcc_lo, v35
	v_cmp_gt_i32_e32 vcc_lo, 0, v39
	v_and_b32_e32 v34, v34, v83
	v_not_b32_e32 v39, v40
	v_ashrrev_i32_e32 v37, 31, v37
	s_wait_alu 0xf1ff
	v_xor_b32_e32 v36, s8, v36
	v_cmp_gt_i32_e64 s8, 0, v40
	v_and_b32_e32 v34, v34, v35
	v_not_b32_e32 v35, v82
	v_ashrrev_i32_e32 v39, 31, v39
	s_wait_alu 0xfffd
	v_xor_b32_e32 v37, vcc_lo, v37
	v_cmp_gt_i32_e32 vcc_lo, 0, v82
	v_and_b32_e32 v34, v34, v36
	v_not_b32_e32 v36, v38
	v_ashrrev_i32_e32 v35, 31, v35
	s_wait_alu 0xf1ff
	v_xor_b32_e32 v39, s8, v39
	v_lshlrev_b32_e32 v33, 4, v33
	v_and_b32_e32 v34, v34, v37
	v_cmp_gt_i32_e64 s8, 0, v38
	v_ashrrev_i32_e32 v36, 31, v36
	s_wait_alu 0xfffd
	v_xor_b32_e32 v35, vcc_lo, v35
	v_add_nc_u32_e32 v108, v0, v33
	v_and_b32_e32 v34, v34, v39
	v_min_u32_e32 v82, 0x60, v70
	s_wait_alu 0xf1ff
	v_xor_b32_e32 v33, s8, v36
	ds_load_b32 v106, v108 offset:16
	v_and_b32_e32 v34, v34, v35
	; wave barrier
	s_delay_alu instid0(VALU_DEP_1) | instskip(NEXT) | instid1(VALU_DEP_1)
	v_and_b32_e32 v33, v34, v33
	v_mbcnt_lo_u32_b32 v107, v33, 0
	v_cmp_ne_u32_e64 s8, 0, v33
	s_delay_alu instid0(VALU_DEP_2)
	v_cmp_eq_u32_e32 vcc_lo, 0, v107
	s_and_b32 s9, s8, vcc_lo
	s_wait_alu 0xfffe
	s_and_saveexec_b32 s8, s9
	s_cbranch_execz .LBB242_47
; %bb.46:
	s_wait_dscnt 0x0
	v_bcnt_u32_b32 v33, v33, v106
	ds_store_b32 v108, v33 offset:16
.LBB242_47:
	s_wait_alu 0xfffe
	s_or_b32 exec_lo, exec_lo, s8
	; wave barrier
	s_wait_loadcnt_dscnt 0x0
	s_barrier_signal -1
	s_barrier_wait -1
	global_inv scope:SCOPE_SE
	ds_load_b128 v[37:40], v67 offset:16
	ds_load_b128 v[33:36], v67 offset:32
	v_and_b32_e32 v109, 16, v69
	v_or_b32_e32 v82, 31, v82
	s_delay_alu instid0(VALU_DEP_2) | instskip(NEXT) | instid1(VALU_DEP_2)
	v_cmp_eq_u32_e64 s16, 0, v109
	v_cmp_eq_u32_e64 s14, v46, v82
	v_lshlrev_b32_e32 v82, 2, v68
	s_wait_dscnt 0x1
	v_add_nc_u32_e32 v83, v38, v37
	s_delay_alu instid0(VALU_DEP_1) | instskip(SKIP_1) | instid1(VALU_DEP_1)
	v_add3_u32 v83, v83, v39, v40
	s_wait_dscnt 0x0
	v_add3_u32 v83, v83, v33, v34
	s_delay_alu instid0(VALU_DEP_1) | instskip(SKIP_1) | instid1(VALU_DEP_2)
	v_add3_u32 v36, v83, v35, v36
	v_and_b32_e32 v83, 15, v69
	v_mov_b32_dpp v85, v36 row_shr:1 row_mask:0xf bank_mask:0xf
	s_delay_alu instid0(VALU_DEP_2)
	v_cmp_eq_u32_e64 s8, 0, v83
	v_cmp_lt_u32_e64 s10, 1, v83
	v_cmp_lt_u32_e64 s11, 3, v83
	;; [unrolled: 1-line block ×3, first 2 shown]
	s_wait_alu 0xf1ff
	v_cndmask_b32_e64 v85, v85, 0, s8
	s_delay_alu instid0(VALU_DEP_1) | instskip(NEXT) | instid1(VALU_DEP_1)
	v_add_nc_u32_e32 v36, v85, v36
	v_mov_b32_dpp v85, v36 row_shr:2 row_mask:0xf bank_mask:0xf
	s_delay_alu instid0(VALU_DEP_1) | instskip(NEXT) | instid1(VALU_DEP_1)
	v_cndmask_b32_e64 v85, 0, v85, s10
	v_add_nc_u32_e32 v36, v36, v85
	s_delay_alu instid0(VALU_DEP_1) | instskip(NEXT) | instid1(VALU_DEP_1)
	v_mov_b32_dpp v85, v36 row_shr:4 row_mask:0xf bank_mask:0xf
	v_cndmask_b32_e64 v85, 0, v85, s11
	s_delay_alu instid0(VALU_DEP_1) | instskip(NEXT) | instid1(VALU_DEP_1)
	v_add_nc_u32_e32 v36, v36, v85
	v_mov_b32_dpp v85, v36 row_shr:8 row_mask:0xf bank_mask:0xf
	s_delay_alu instid0(VALU_DEP_1) | instskip(SKIP_1) | instid1(VALU_DEP_2)
	v_cndmask_b32_e64 v83, 0, v85, s13
	v_bfe_i32 v85, v69, 4, 1
	v_add_nc_u32_e32 v83, v36, v83
	ds_swizzle_b32 v36, v83 offset:swizzle(BROADCAST,32,15)
	s_wait_dscnt 0x0
	v_and_b32_e32 v85, v85, v36
	v_mul_i32_i24_e32 v36, 0xffffffe4, v46
	s_delay_alu instid0(VALU_DEP_2)
	v_add_nc_u32_e32 v85, v83, v85
	s_and_saveexec_b32 s9, s14
; %bb.48:
	ds_store_b32 v82, v85
; %bb.49:
	s_wait_alu 0xfffe
	s_or_b32 exec_lo, exec_lo, s9
	v_and_b32_e32 v83, 3, v69
	v_cmp_gt_u32_e64 s15, 4, v46
	s_wait_loadcnt_dscnt 0x0
	s_barrier_signal -1
	s_barrier_wait -1
	v_cmp_eq_u32_e64 s12, 0, v83
	v_cmp_lt_u32_e64 s9, 1, v83
	v_add_nc_u32_e32 v83, v67, v36
	global_inv scope:SCOPE_SE
	s_and_saveexec_b32 s17, s15
	s_cbranch_execz .LBB242_51
; %bb.50:
	ds_load_b32 v36, v83
	s_wait_dscnt 0x0
	v_mov_b32_dpp v109, v36 row_shr:1 row_mask:0xf bank_mask:0xf
	s_delay_alu instid0(VALU_DEP_1) | instskip(NEXT) | instid1(VALU_DEP_1)
	v_cndmask_b32_e64 v109, v109, 0, s12
	v_add_nc_u32_e32 v36, v109, v36
	s_delay_alu instid0(VALU_DEP_1) | instskip(NEXT) | instid1(VALU_DEP_1)
	v_mov_b32_dpp v109, v36 row_shr:2 row_mask:0xf bank_mask:0xf
	v_cndmask_b32_e64 v109, 0, v109, s9
	s_delay_alu instid0(VALU_DEP_1)
	v_add_nc_u32_e32 v36, v36, v109
	ds_store_b32 v83, v36
.LBB242_51:
	s_or_b32 exec_lo, exec_lo, s17
	v_mul_u32_u24_e32 v36, 6, v84
	v_sub_co_u32 v109, vcc_lo, v69, 1
	v_cmp_lt_u32_e64 s17, 31, v46
	v_add_nc_u32_e32 v84, -4, v82
	v_mov_b32_e32 v110, 0
	s_wait_loadcnt_dscnt 0x0
	s_barrier_signal -1
	s_barrier_wait -1
	global_inv scope:SCOPE_SE
	s_and_saveexec_b32 s18, s17
; %bb.52:
	ds_load_b32 v110, v84
; %bb.53:
	s_or_b32 exec_lo, exec_lo, s18
	v_cmp_gt_i32_e64 s18, 0, v109
	s_mov_b32 s24, 0
	s_min_u32 s19, s19, 8
	s_mov_b32 s25, s24
	s_mov_b32 s26, s24
	v_cndmask_b32_e64 v109, v109, v69, s18
	s_mov_b32 s27, s24
	s_wait_dscnt 0x0
	v_add_nc_u32_e32 v111, v110, v85
	v_cmp_eq_u32_e64 s18, 0, v46
	s_lshl_b32 s19, -1, s19
	v_lshlrev_b32_e32 v85, 2, v109
	s_wait_alu 0xfffe
	s_not_b32 s21, s19
	ds_bpermute_b32 v109, v85, v111
	s_wait_dscnt 0x0
	s_wait_alu 0xfffd
	v_cndmask_b32_e32 v109, v109, v110, vcc_lo
	s_delay_alu instid0(VALU_DEP_1) | instskip(NEXT) | instid1(VALU_DEP_1)
	v_cndmask_b32_e64 v109, v109, 0, s18
	v_add_nc_u32_e32 v110, v109, v37
	s_delay_alu instid0(VALU_DEP_1) | instskip(NEXT) | instid1(VALU_DEP_1)
	v_add_nc_u32_e32 v111, v110, v38
	v_add_nc_u32_e32 v112, v111, v39
	s_delay_alu instid0(VALU_DEP_1) | instskip(NEXT) | instid1(VALU_DEP_1)
	v_add_nc_u32_e32 v37, v112, v40
	v_add_nc_u32_e32 v38, v37, v33
	s_delay_alu instid0(VALU_DEP_1) | instskip(NEXT) | instid1(VALU_DEP_1)
	v_add_nc_u32_e32 v39, v38, v34
	v_add_nc_u32_e32 v40, v39, v35
	ds_store_b128 v67, v[109:112] offset:16
	ds_store_b128 v67, v[37:40] offset:32
	s_wait_loadcnt_dscnt 0x0
	s_barrier_signal -1
	s_barrier_wait -1
	global_inv scope:SCOPE_SE
	ds_load_b32 v33, v87 offset:16
	ds_load_b32 v34, v90 offset:16
	;; [unrolled: 1-line block ×8, first 2 shown]
	v_add_nc_u32_e32 v90, v73, v36
	s_wait_loadcnt_dscnt 0x0
	s_barrier_signal -1
	s_barrier_wait -1
	global_inv scope:SCOPE_SE
	v_add_nc_u32_e32 v86, v33, v86
	v_add3_u32 v88, v89, v88, v34
	v_add3_u32 v89, v92, v91, v35
	;; [unrolled: 1-line block ×7, first 2 shown]
	v_lshlrev_b32_e32 v33, 1, v86
	v_lshlrev_b32_e32 v34, 1, v88
	;; [unrolled: 1-line block ×8, first 2 shown]
	ds_store_b16 v33, v74
	ds_store_b16 v34, v75
	;; [unrolled: 1-line block ×8, first 2 shown]
	s_wait_loadcnt_dscnt 0x0
	s_barrier_signal -1
	s_barrier_wait -1
	global_inv scope:SCOPE_SE
	ds_load_u16 v74, v73
	ds_load_u16 v75, v73 offset:64
	ds_load_u16 v76, v73 offset:128
	;; [unrolled: 1-line block ×7, first 2 shown]
	v_mad_co_u64_u32 v[86:87], null, v86, 6, v[33:34]
	v_mad_co_u64_u32 v[33:34], null, v88, 6, v[34:35]
	;; [unrolled: 1-line block ×3, first 2 shown]
	s_wait_loadcnt_dscnt 0x0
	s_barrier_signal -1
	s_barrier_wait -1
	global_inv scope:SCOPE_SE
	v_mad_co_u64_u32 v[35:36], null, v91, 6, v[36:37]
	v_lshrrev_b16 v81, 8, v74
	v_cmp_ne_u16_e64 s19, 0x7fff, v74
	ds_store_b64 v86, v[17:18]
	v_mad_co_u64_u32 v[36:37], null, v92, 6, v[37:38]
	v_mad_co_u64_u32 v[37:38], null, v93, 6, v[38:39]
	s_wait_alu 0xf1ff
	v_cndmask_b32_e64 v81, 0x80, v81, s19
	v_mad_co_u64_u32 v[38:39], null, v94, 6, v[39:40]
	v_mad_co_u64_u32 v[39:40], null, v95, 6, v[40:41]
	s_delay_alu instid0(VALU_DEP_3)
	v_and_b32_e32 v17, 0xffff, v81
	ds_store_b64 v33, v[19:20]
	ds_store_b64 v34, v[25:26]
	;; [unrolled: 1-line block ×7, first 2 shown]
	s_wait_alu 0xfffe
	v_and_b32_e32 v40, s21, v17
	s_wait_loadcnt_dscnt 0x0
	s_barrier_signal -1
	s_barrier_wait -1
	global_inv scope:SCOPE_SE
	v_and_b32_e32 v17, 1, v40
	v_lshlrev_b32_e32 v18, 30, v40
	v_lshlrev_b32_e32 v19, 29, v40
	;; [unrolled: 1-line block ×4, first 2 shown]
	v_add_co_u32 v17, s19, v17, -1
	s_wait_alu 0xf1ff
	v_cndmask_b32_e64 v21, 0, 1, s19
	v_not_b32_e32 v25, v18
	v_cmp_gt_i32_e64 s20, 0, v18
	v_not_b32_e32 v18, v19
	v_lshlrev_b32_e32 v23, 26, v40
	v_cmp_ne_u32_e64 s19, 0, v21
	v_ashrrev_i32_e32 v25, 31, v25
	v_lshlrev_b32_e32 v24, 25, v40
	v_ashrrev_i32_e32 v18, 31, v18
	v_lshlrev_b32_e32 v21, 24, v40
	s_wait_alu 0xf1ff
	v_xor_b32_e32 v17, s19, v17
	v_cmp_gt_i32_e64 s19, 0, v19
	v_not_b32_e32 v19, v20
	v_xor_b32_e32 v25, s20, v25
	v_cmp_gt_i32_e64 s20, 0, v20
	v_and_b32_e32 v17, exec_lo, v17
	v_not_b32_e32 v20, v22
	v_ashrrev_i32_e32 v19, 31, v19
	s_wait_alu 0xf1ff
	v_xor_b32_e32 v18, s19, v18
	v_cmp_gt_i32_e64 s19, 0, v22
	v_and_b32_e32 v17, v17, v25
	v_not_b32_e32 v22, v23
	v_ashrrev_i32_e32 v20, 31, v20
	v_xor_b32_e32 v19, s20, v19
	v_cmp_gt_i32_e64 s20, 0, v23
	v_and_b32_e32 v17, v17, v18
	v_not_b32_e32 v18, v24
	v_ashrrev_i32_e32 v22, 31, v22
	s_wait_alu 0xf1ff
	v_xor_b32_e32 v20, s19, v20
	v_cmp_gt_i32_e64 s19, 0, v24
	v_and_b32_e32 v17, v17, v19
	v_not_b32_e32 v19, v21
	v_ashrrev_i32_e32 v18, 31, v18
	v_xor_b32_e32 v22, s20, v22
	v_cmp_gt_i32_e64 s20, 0, v21
	v_and_b32_e32 v17, v17, v20
	v_ashrrev_i32_e32 v19, 31, v19
	s_wait_alu 0xf1ff
	v_xor_b32_e32 v18, s19, v18
	v_dual_mov_b32 v37, s27 :: v_dual_mov_b32 v36, s26
	v_and_b32_e32 v17, v17, v22
	v_xor_b32_e32 v33, s20, v19
	ds_load_2addr_b64 v[21:24], v90 offset1:32
	v_dual_mov_b32 v35, s25 :: v_dual_mov_b32 v34, s24
	v_and_b32_e32 v38, v17, v18
	ds_load_2addr_b64 v[29:32], v90 offset0:64 offset1:96
	ds_load_2addr_b64 v[25:28], v90 offset0:128 offset1:160
	;; [unrolled: 1-line block ×3, first 2 shown]
	v_lshl_add_u32 v86, v40, 4, v0
	s_wait_loadcnt_dscnt 0x0
	s_barrier_signal -1
	v_and_b32_e32 v33, v38, v33
	s_barrier_wait -1
	global_inv scope:SCOPE_SE
	ds_store_b128 v67, v[34:37] offset:16
	ds_store_b128 v67, v[34:37] offset:32
	s_wait_loadcnt_dscnt 0x0
	v_mbcnt_lo_u32_b32 v81, v33, 0
	v_cmp_ne_u32_e64 s20, 0, v33
	s_barrier_signal -1
	s_barrier_wait -1
	global_inv scope:SCOPE_SE
	v_cmp_eq_u32_e64 s19, 0, v81
	; wave barrier
	s_and_b32 s20, s20, s19
	s_wait_alu 0xfffe
	s_and_saveexec_b32 s19, s20
; %bb.54:
	v_bcnt_u32_b32 v33, v33, 0
	ds_store_b32 v86, v33 offset:16
; %bb.55:
	s_wait_alu 0xfffe
	s_or_b32 exec_lo, exec_lo, s19
	v_lshrrev_b16 v33, 8, v75
	v_cmp_ne_u16_e64 s19, 0x7fff, v75
	; wave barrier
	s_wait_alu 0xf1ff
	s_delay_alu instid0(VALU_DEP_1) | instskip(NEXT) | instid1(VALU_DEP_1)
	v_cndmask_b32_e64 v33, 0x80, v33, s19
	v_and_b32_e32 v33, s21, v33
	s_delay_alu instid0(VALU_DEP_1)
	v_and_b32_e32 v34, 1, v33
	v_lshlrev_b32_e32 v35, 30, v33
	v_lshlrev_b32_e32 v36, 29, v33
	;; [unrolled: 1-line block ×4, first 2 shown]
	v_add_co_u32 v34, s19, v34, -1
	s_wait_alu 0xf1ff
	v_cndmask_b32_e64 v38, 0, 1, s19
	v_not_b32_e32 v88, v35
	v_cmp_gt_i32_e64 s20, 0, v35
	v_not_b32_e32 v35, v36
	v_lshlrev_b32_e32 v40, 26, v33
	v_cmp_ne_u32_e64 s19, 0, v38
	v_ashrrev_i32_e32 v88, 31, v88
	v_lshlrev_b32_e32 v87, 25, v33
	v_ashrrev_i32_e32 v35, 31, v35
	v_lshlrev_b32_e32 v38, 24, v33
	s_wait_alu 0xf1ff
	v_xor_b32_e32 v34, s19, v34
	v_cmp_gt_i32_e64 s19, 0, v36
	v_not_b32_e32 v36, v37
	v_xor_b32_e32 v88, s20, v88
	v_cmp_gt_i32_e64 s20, 0, v37
	v_and_b32_e32 v34, exec_lo, v34
	v_not_b32_e32 v37, v39
	v_ashrrev_i32_e32 v36, 31, v36
	s_wait_alu 0xf1ff
	v_xor_b32_e32 v35, s19, v35
	v_cmp_gt_i32_e64 s19, 0, v39
	v_and_b32_e32 v34, v34, v88
	v_not_b32_e32 v39, v40
	v_ashrrev_i32_e32 v37, 31, v37
	v_xor_b32_e32 v36, s20, v36
	v_cmp_gt_i32_e64 s20, 0, v40
	v_and_b32_e32 v34, v34, v35
	v_not_b32_e32 v35, v87
	v_ashrrev_i32_e32 v39, 31, v39
	s_wait_alu 0xf1ff
	v_xor_b32_e32 v37, s19, v37
	v_cmp_gt_i32_e64 s19, 0, v87
	v_and_b32_e32 v34, v34, v36
	v_not_b32_e32 v36, v38
	v_ashrrev_i32_e32 v35, 31, v35
	v_xor_b32_e32 v39, s20, v39
	v_cmp_gt_i32_e64 s20, 0, v38
	v_and_b32_e32 v34, v34, v37
	v_ashrrev_i32_e32 v36, 31, v36
	s_wait_alu 0xf1ff
	v_xor_b32_e32 v35, s19, v35
	v_lshl_add_u32 v89, v33, 4, v0
	v_and_b32_e32 v34, v34, v39
	v_xor_b32_e32 v33, s20, v36
	ds_load_b32 v87, v89 offset:16
	v_and_b32_e32 v34, v34, v35
	; wave barrier
	s_delay_alu instid0(VALU_DEP_1) | instskip(NEXT) | instid1(VALU_DEP_1)
	v_and_b32_e32 v33, v34, v33
	v_mbcnt_lo_u32_b32 v88, v33, 0
	v_cmp_ne_u32_e64 s20, 0, v33
	s_delay_alu instid0(VALU_DEP_2)
	v_cmp_eq_u32_e64 s19, 0, v88
	s_and_b32 s20, s20, s19
	s_wait_alu 0xfffe
	s_and_saveexec_b32 s19, s20
	s_cbranch_execz .LBB242_57
; %bb.56:
	s_wait_dscnt 0x0
	v_bcnt_u32_b32 v33, v33, v87
	ds_store_b32 v89, v33 offset:16
.LBB242_57:
	s_wait_alu 0xfffe
	s_or_b32 exec_lo, exec_lo, s19
	v_lshrrev_b16 v33, 8, v76
	v_cmp_ne_u16_e64 s19, 0x7fff, v76
	; wave barrier
	s_wait_alu 0xf1ff
	s_delay_alu instid0(VALU_DEP_1) | instskip(NEXT) | instid1(VALU_DEP_1)
	v_cndmask_b32_e64 v33, 0x80, v33, s19
	v_and_b32_e32 v33, s21, v33
	s_delay_alu instid0(VALU_DEP_1)
	v_and_b32_e32 v34, 1, v33
	v_lshlrev_b32_e32 v35, 30, v33
	v_lshlrev_b32_e32 v36, 29, v33
	;; [unrolled: 1-line block ×4, first 2 shown]
	v_add_co_u32 v34, s19, v34, -1
	s_wait_alu 0xf1ff
	v_cndmask_b32_e64 v38, 0, 1, s19
	v_not_b32_e32 v91, v35
	v_cmp_gt_i32_e64 s20, 0, v35
	v_not_b32_e32 v35, v36
	v_lshlrev_b32_e32 v40, 26, v33
	v_cmp_ne_u32_e64 s19, 0, v38
	v_ashrrev_i32_e32 v91, 31, v91
	v_lshlrev_b32_e32 v90, 25, v33
	v_ashrrev_i32_e32 v35, 31, v35
	v_lshlrev_b32_e32 v38, 24, v33
	s_wait_alu 0xf1ff
	v_xor_b32_e32 v34, s19, v34
	v_cmp_gt_i32_e64 s19, 0, v36
	v_not_b32_e32 v36, v37
	v_xor_b32_e32 v91, s20, v91
	v_cmp_gt_i32_e64 s20, 0, v37
	v_and_b32_e32 v34, exec_lo, v34
	v_not_b32_e32 v37, v39
	v_ashrrev_i32_e32 v36, 31, v36
	s_wait_alu 0xf1ff
	v_xor_b32_e32 v35, s19, v35
	v_cmp_gt_i32_e64 s19, 0, v39
	v_and_b32_e32 v34, v34, v91
	v_not_b32_e32 v39, v40
	v_ashrrev_i32_e32 v37, 31, v37
	v_xor_b32_e32 v36, s20, v36
	v_cmp_gt_i32_e64 s20, 0, v40
	v_and_b32_e32 v34, v34, v35
	v_not_b32_e32 v35, v90
	v_ashrrev_i32_e32 v39, 31, v39
	s_wait_alu 0xf1ff
	v_xor_b32_e32 v37, s19, v37
	v_cmp_gt_i32_e64 s19, 0, v90
	v_and_b32_e32 v34, v34, v36
	v_not_b32_e32 v36, v38
	v_ashrrev_i32_e32 v35, 31, v35
	v_xor_b32_e32 v39, s20, v39
	v_cmp_gt_i32_e64 s20, 0, v38
	v_and_b32_e32 v34, v34, v37
	v_ashrrev_i32_e32 v36, 31, v36
	s_wait_alu 0xf1ff
	v_xor_b32_e32 v35, s19, v35
	v_lshl_add_u32 v92, v33, 4, v0
	v_and_b32_e32 v34, v34, v39
	v_xor_b32_e32 v33, s20, v36
	ds_load_b32 v90, v92 offset:16
	v_and_b32_e32 v34, v34, v35
	; wave barrier
	s_delay_alu instid0(VALU_DEP_1) | instskip(NEXT) | instid1(VALU_DEP_1)
	v_and_b32_e32 v33, v34, v33
	v_mbcnt_lo_u32_b32 v91, v33, 0
	v_cmp_ne_u32_e64 s20, 0, v33
	s_delay_alu instid0(VALU_DEP_2)
	v_cmp_eq_u32_e64 s19, 0, v91
	s_and_b32 s20, s20, s19
	s_wait_alu 0xfffe
	s_and_saveexec_b32 s19, s20
	s_cbranch_execz .LBB242_59
; %bb.58:
	s_wait_dscnt 0x0
	v_bcnt_u32_b32 v33, v33, v90
	ds_store_b32 v92, v33 offset:16
.LBB242_59:
	s_wait_alu 0xfffe
	s_or_b32 exec_lo, exec_lo, s19
	v_lshrrev_b16 v33, 8, v77
	v_cmp_ne_u16_e64 s19, 0x7fff, v77
	; wave barrier
	s_wait_alu 0xf1ff
	s_delay_alu instid0(VALU_DEP_1) | instskip(NEXT) | instid1(VALU_DEP_1)
	v_cndmask_b32_e64 v33, 0x80, v33, s19
	v_and_b32_e32 v33, s21, v33
	s_delay_alu instid0(VALU_DEP_1)
	v_and_b32_e32 v34, 1, v33
	v_lshlrev_b32_e32 v35, 30, v33
	v_lshlrev_b32_e32 v36, 29, v33
	;; [unrolled: 1-line block ×4, first 2 shown]
	v_add_co_u32 v34, s19, v34, -1
	s_wait_alu 0xf1ff
	v_cndmask_b32_e64 v38, 0, 1, s19
	v_not_b32_e32 v94, v35
	v_cmp_gt_i32_e64 s20, 0, v35
	v_not_b32_e32 v35, v36
	v_lshlrev_b32_e32 v40, 26, v33
	v_cmp_ne_u32_e64 s19, 0, v38
	v_ashrrev_i32_e32 v94, 31, v94
	v_lshlrev_b32_e32 v93, 25, v33
	v_ashrrev_i32_e32 v35, 31, v35
	v_lshlrev_b32_e32 v38, 24, v33
	s_wait_alu 0xf1ff
	v_xor_b32_e32 v34, s19, v34
	v_cmp_gt_i32_e64 s19, 0, v36
	v_not_b32_e32 v36, v37
	v_xor_b32_e32 v94, s20, v94
	v_cmp_gt_i32_e64 s20, 0, v37
	v_and_b32_e32 v34, exec_lo, v34
	v_not_b32_e32 v37, v39
	v_ashrrev_i32_e32 v36, 31, v36
	s_wait_alu 0xf1ff
	v_xor_b32_e32 v35, s19, v35
	v_cmp_gt_i32_e64 s19, 0, v39
	v_and_b32_e32 v34, v34, v94
	v_not_b32_e32 v39, v40
	v_ashrrev_i32_e32 v37, 31, v37
	v_xor_b32_e32 v36, s20, v36
	v_cmp_gt_i32_e64 s20, 0, v40
	v_and_b32_e32 v34, v34, v35
	v_not_b32_e32 v35, v93
	v_ashrrev_i32_e32 v39, 31, v39
	s_wait_alu 0xf1ff
	v_xor_b32_e32 v37, s19, v37
	v_cmp_gt_i32_e64 s19, 0, v93
	v_and_b32_e32 v34, v34, v36
	v_not_b32_e32 v36, v38
	v_ashrrev_i32_e32 v35, 31, v35
	v_xor_b32_e32 v39, s20, v39
	v_cmp_gt_i32_e64 s20, 0, v38
	v_and_b32_e32 v34, v34, v37
	v_ashrrev_i32_e32 v36, 31, v36
	s_wait_alu 0xf1ff
	v_xor_b32_e32 v35, s19, v35
	v_lshl_add_u32 v95, v33, 4, v0
	v_and_b32_e32 v34, v34, v39
	v_xor_b32_e32 v33, s20, v36
	ds_load_b32 v93, v95 offset:16
	v_and_b32_e32 v34, v34, v35
	; wave barrier
	s_delay_alu instid0(VALU_DEP_1) | instskip(NEXT) | instid1(VALU_DEP_1)
	v_and_b32_e32 v33, v34, v33
	v_mbcnt_lo_u32_b32 v94, v33, 0
	v_cmp_ne_u32_e64 s20, 0, v33
	s_delay_alu instid0(VALU_DEP_2)
	v_cmp_eq_u32_e64 s19, 0, v94
	s_and_b32 s20, s20, s19
	s_wait_alu 0xfffe
	s_and_saveexec_b32 s19, s20
	s_cbranch_execz .LBB242_61
; %bb.60:
	s_wait_dscnt 0x0
	v_bcnt_u32_b32 v33, v33, v93
	ds_store_b32 v95, v33 offset:16
.LBB242_61:
	s_wait_alu 0xfffe
	s_or_b32 exec_lo, exec_lo, s19
	v_lshrrev_b16 v33, 8, v78
	v_cmp_ne_u16_e64 s19, 0x7fff, v78
	; wave barrier
	s_wait_alu 0xf1ff
	s_delay_alu instid0(VALU_DEP_1) | instskip(NEXT) | instid1(VALU_DEP_1)
	v_cndmask_b32_e64 v33, 0x80, v33, s19
	v_and_b32_e32 v33, s21, v33
	s_delay_alu instid0(VALU_DEP_1)
	v_and_b32_e32 v34, 1, v33
	v_lshlrev_b32_e32 v35, 30, v33
	v_lshlrev_b32_e32 v36, 29, v33
	;; [unrolled: 1-line block ×4, first 2 shown]
	v_add_co_u32 v34, s19, v34, -1
	s_wait_alu 0xf1ff
	v_cndmask_b32_e64 v38, 0, 1, s19
	v_not_b32_e32 v97, v35
	v_cmp_gt_i32_e64 s20, 0, v35
	v_not_b32_e32 v35, v36
	v_lshlrev_b32_e32 v40, 26, v33
	v_cmp_ne_u32_e64 s19, 0, v38
	v_ashrrev_i32_e32 v97, 31, v97
	v_lshlrev_b32_e32 v96, 25, v33
	v_ashrrev_i32_e32 v35, 31, v35
	v_lshlrev_b32_e32 v38, 24, v33
	s_wait_alu 0xf1ff
	v_xor_b32_e32 v34, s19, v34
	v_cmp_gt_i32_e64 s19, 0, v36
	v_not_b32_e32 v36, v37
	v_xor_b32_e32 v97, s20, v97
	v_cmp_gt_i32_e64 s20, 0, v37
	v_and_b32_e32 v34, exec_lo, v34
	v_not_b32_e32 v37, v39
	v_ashrrev_i32_e32 v36, 31, v36
	s_wait_alu 0xf1ff
	v_xor_b32_e32 v35, s19, v35
	v_cmp_gt_i32_e64 s19, 0, v39
	v_and_b32_e32 v34, v34, v97
	v_not_b32_e32 v39, v40
	v_ashrrev_i32_e32 v37, 31, v37
	v_xor_b32_e32 v36, s20, v36
	v_cmp_gt_i32_e64 s20, 0, v40
	v_and_b32_e32 v34, v34, v35
	v_not_b32_e32 v35, v96
	v_ashrrev_i32_e32 v39, 31, v39
	s_wait_alu 0xf1ff
	v_xor_b32_e32 v37, s19, v37
	v_cmp_gt_i32_e64 s19, 0, v96
	v_and_b32_e32 v34, v34, v36
	v_not_b32_e32 v36, v38
	v_ashrrev_i32_e32 v35, 31, v35
	v_xor_b32_e32 v39, s20, v39
	v_cmp_gt_i32_e64 s20, 0, v38
	v_and_b32_e32 v34, v34, v37
	v_ashrrev_i32_e32 v36, 31, v36
	s_wait_alu 0xf1ff
	v_xor_b32_e32 v35, s19, v35
	v_lshl_add_u32 v98, v33, 4, v0
	v_and_b32_e32 v34, v34, v39
	v_xor_b32_e32 v33, s20, v36
	ds_load_b32 v96, v98 offset:16
	v_and_b32_e32 v34, v34, v35
	; wave barrier
	s_delay_alu instid0(VALU_DEP_1) | instskip(NEXT) | instid1(VALU_DEP_1)
	v_and_b32_e32 v33, v34, v33
	v_mbcnt_lo_u32_b32 v97, v33, 0
	v_cmp_ne_u32_e64 s20, 0, v33
	s_delay_alu instid0(VALU_DEP_2)
	v_cmp_eq_u32_e64 s19, 0, v97
	s_and_b32 s20, s20, s19
	s_wait_alu 0xfffe
	s_and_saveexec_b32 s19, s20
	s_cbranch_execz .LBB242_63
; %bb.62:
	s_wait_dscnt 0x0
	v_bcnt_u32_b32 v33, v33, v96
	ds_store_b32 v98, v33 offset:16
.LBB242_63:
	s_wait_alu 0xfffe
	s_or_b32 exec_lo, exec_lo, s19
	v_lshrrev_b16 v33, 8, v79
	v_cmp_ne_u16_e64 s19, 0x7fff, v79
	; wave barrier
	s_wait_alu 0xf1ff
	s_delay_alu instid0(VALU_DEP_1) | instskip(NEXT) | instid1(VALU_DEP_1)
	v_cndmask_b32_e64 v33, 0x80, v33, s19
	v_and_b32_e32 v33, s21, v33
	s_delay_alu instid0(VALU_DEP_1)
	v_and_b32_e32 v34, 1, v33
	v_lshlrev_b32_e32 v35, 30, v33
	v_lshlrev_b32_e32 v36, 29, v33
	;; [unrolled: 1-line block ×4, first 2 shown]
	v_add_co_u32 v34, s19, v34, -1
	s_wait_alu 0xf1ff
	v_cndmask_b32_e64 v38, 0, 1, s19
	v_not_b32_e32 v100, v35
	v_cmp_gt_i32_e64 s20, 0, v35
	v_not_b32_e32 v35, v36
	v_lshlrev_b32_e32 v40, 26, v33
	v_cmp_ne_u32_e64 s19, 0, v38
	v_ashrrev_i32_e32 v100, 31, v100
	v_lshlrev_b32_e32 v99, 25, v33
	v_ashrrev_i32_e32 v35, 31, v35
	v_lshlrev_b32_e32 v38, 24, v33
	s_wait_alu 0xf1ff
	v_xor_b32_e32 v34, s19, v34
	v_cmp_gt_i32_e64 s19, 0, v36
	v_not_b32_e32 v36, v37
	v_xor_b32_e32 v100, s20, v100
	v_cmp_gt_i32_e64 s20, 0, v37
	v_and_b32_e32 v34, exec_lo, v34
	v_not_b32_e32 v37, v39
	v_ashrrev_i32_e32 v36, 31, v36
	s_wait_alu 0xf1ff
	v_xor_b32_e32 v35, s19, v35
	v_cmp_gt_i32_e64 s19, 0, v39
	v_and_b32_e32 v34, v34, v100
	v_not_b32_e32 v39, v40
	v_ashrrev_i32_e32 v37, 31, v37
	v_xor_b32_e32 v36, s20, v36
	v_cmp_gt_i32_e64 s20, 0, v40
	v_and_b32_e32 v34, v34, v35
	v_not_b32_e32 v35, v99
	v_ashrrev_i32_e32 v39, 31, v39
	s_wait_alu 0xf1ff
	v_xor_b32_e32 v37, s19, v37
	v_cmp_gt_i32_e64 s19, 0, v99
	v_and_b32_e32 v34, v34, v36
	v_not_b32_e32 v36, v38
	v_ashrrev_i32_e32 v35, 31, v35
	v_xor_b32_e32 v39, s20, v39
	v_cmp_gt_i32_e64 s20, 0, v38
	v_and_b32_e32 v34, v34, v37
	v_ashrrev_i32_e32 v36, 31, v36
	s_wait_alu 0xf1ff
	v_xor_b32_e32 v35, s19, v35
	v_lshl_add_u32 v101, v33, 4, v0
	v_and_b32_e32 v34, v34, v39
	v_xor_b32_e32 v33, s20, v36
	ds_load_b32 v99, v101 offset:16
	v_and_b32_e32 v34, v34, v35
	; wave barrier
	s_delay_alu instid0(VALU_DEP_1) | instskip(NEXT) | instid1(VALU_DEP_1)
	v_and_b32_e32 v33, v34, v33
	v_mbcnt_lo_u32_b32 v100, v33, 0
	v_cmp_ne_u32_e64 s20, 0, v33
	s_delay_alu instid0(VALU_DEP_2)
	v_cmp_eq_u32_e64 s19, 0, v100
	s_and_b32 s20, s20, s19
	s_wait_alu 0xfffe
	s_and_saveexec_b32 s19, s20
	s_cbranch_execz .LBB242_65
; %bb.64:
	s_wait_dscnt 0x0
	v_bcnt_u32_b32 v33, v33, v99
	ds_store_b32 v101, v33 offset:16
.LBB242_65:
	s_wait_alu 0xfffe
	s_or_b32 exec_lo, exec_lo, s19
	v_lshrrev_b16 v33, 8, v80
	v_cmp_ne_u16_e64 s19, 0x7fff, v80
	; wave barrier
	s_wait_alu 0xf1ff
	s_delay_alu instid0(VALU_DEP_1) | instskip(NEXT) | instid1(VALU_DEP_1)
	v_cndmask_b32_e64 v33, 0x80, v33, s19
	v_and_b32_e32 v33, s21, v33
	s_delay_alu instid0(VALU_DEP_1)
	v_and_b32_e32 v34, 1, v33
	v_lshlrev_b32_e32 v35, 30, v33
	v_lshlrev_b32_e32 v36, 29, v33
	;; [unrolled: 1-line block ×4, first 2 shown]
	v_add_co_u32 v34, s19, v34, -1
	s_wait_alu 0xf1ff
	v_cndmask_b32_e64 v38, 0, 1, s19
	v_not_b32_e32 v103, v35
	v_cmp_gt_i32_e64 s20, 0, v35
	v_not_b32_e32 v35, v36
	v_lshlrev_b32_e32 v40, 26, v33
	v_cmp_ne_u32_e64 s19, 0, v38
	v_ashrrev_i32_e32 v103, 31, v103
	v_lshlrev_b32_e32 v102, 25, v33
	v_ashrrev_i32_e32 v35, 31, v35
	v_lshlrev_b32_e32 v38, 24, v33
	s_wait_alu 0xf1ff
	v_xor_b32_e32 v34, s19, v34
	v_cmp_gt_i32_e64 s19, 0, v36
	v_not_b32_e32 v36, v37
	v_xor_b32_e32 v103, s20, v103
	v_cmp_gt_i32_e64 s20, 0, v37
	v_and_b32_e32 v34, exec_lo, v34
	v_not_b32_e32 v37, v39
	v_ashrrev_i32_e32 v36, 31, v36
	s_wait_alu 0xf1ff
	v_xor_b32_e32 v35, s19, v35
	v_cmp_gt_i32_e64 s19, 0, v39
	v_and_b32_e32 v34, v34, v103
	v_not_b32_e32 v39, v40
	v_ashrrev_i32_e32 v37, 31, v37
	v_xor_b32_e32 v36, s20, v36
	v_cmp_gt_i32_e64 s20, 0, v40
	v_and_b32_e32 v34, v34, v35
	v_not_b32_e32 v35, v102
	v_ashrrev_i32_e32 v39, 31, v39
	s_wait_alu 0xf1ff
	v_xor_b32_e32 v37, s19, v37
	v_cmp_gt_i32_e64 s19, 0, v102
	v_and_b32_e32 v34, v34, v36
	v_not_b32_e32 v36, v38
	v_ashrrev_i32_e32 v35, 31, v35
	v_xor_b32_e32 v39, s20, v39
	v_cmp_gt_i32_e64 s20, 0, v38
	v_and_b32_e32 v34, v34, v37
	v_ashrrev_i32_e32 v36, 31, v36
	s_wait_alu 0xf1ff
	v_xor_b32_e32 v35, s19, v35
	v_lshl_add_u32 v104, v33, 4, v0
	v_and_b32_e32 v34, v34, v39
	v_xor_b32_e32 v33, s20, v36
	ds_load_b32 v102, v104 offset:16
	v_and_b32_e32 v34, v34, v35
	; wave barrier
	s_delay_alu instid0(VALU_DEP_1) | instskip(NEXT) | instid1(VALU_DEP_1)
	v_and_b32_e32 v33, v34, v33
	v_mbcnt_lo_u32_b32 v103, v33, 0
	v_cmp_ne_u32_e64 s20, 0, v33
	s_delay_alu instid0(VALU_DEP_2)
	v_cmp_eq_u32_e64 s19, 0, v103
	s_and_b32 s20, s20, s19
	s_wait_alu 0xfffe
	s_and_saveexec_b32 s19, s20
	s_cbranch_execz .LBB242_67
; %bb.66:
	s_wait_dscnt 0x0
	v_bcnt_u32_b32 v33, v33, v102
	ds_store_b32 v104, v33 offset:16
.LBB242_67:
	s_wait_alu 0xfffe
	s_or_b32 exec_lo, exec_lo, s19
	v_lshrrev_b16 v33, 8, v73
	v_cmp_ne_u16_e64 s19, 0x7fff, v73
	; wave barrier
	s_wait_alu 0xf1ff
	s_delay_alu instid0(VALU_DEP_1) | instskip(NEXT) | instid1(VALU_DEP_1)
	v_cndmask_b32_e64 v33, 0x80, v33, s19
	v_and_b32_e32 v33, s21, v33
	s_delay_alu instid0(VALU_DEP_1)
	v_and_b32_e32 v34, 1, v33
	v_lshlrev_b32_e32 v35, 30, v33
	v_lshlrev_b32_e32 v36, 29, v33
	v_lshlrev_b32_e32 v37, 28, v33
	v_lshlrev_b32_e32 v39, 27, v33
	v_add_co_u32 v34, s19, v34, -1
	s_wait_alu 0xf1ff
	v_cndmask_b32_e64 v38, 0, 1, s19
	v_not_b32_e32 v106, v35
	v_cmp_gt_i32_e64 s20, 0, v35
	v_not_b32_e32 v35, v36
	v_lshlrev_b32_e32 v40, 26, v33
	v_cmp_ne_u32_e64 s19, 0, v38
	v_ashrrev_i32_e32 v106, 31, v106
	v_lshlrev_b32_e32 v105, 25, v33
	v_ashrrev_i32_e32 v35, 31, v35
	v_lshlrev_b32_e32 v38, 24, v33
	s_wait_alu 0xf1ff
	v_xor_b32_e32 v34, s19, v34
	v_cmp_gt_i32_e64 s19, 0, v36
	v_not_b32_e32 v36, v37
	v_xor_b32_e32 v106, s20, v106
	v_cmp_gt_i32_e64 s20, 0, v37
	v_and_b32_e32 v34, exec_lo, v34
	v_not_b32_e32 v37, v39
	v_ashrrev_i32_e32 v36, 31, v36
	s_wait_alu 0xf1ff
	v_xor_b32_e32 v35, s19, v35
	v_cmp_gt_i32_e64 s19, 0, v39
	v_and_b32_e32 v34, v34, v106
	v_not_b32_e32 v39, v40
	v_ashrrev_i32_e32 v37, 31, v37
	v_xor_b32_e32 v36, s20, v36
	v_cmp_gt_i32_e64 s20, 0, v40
	v_and_b32_e32 v34, v34, v35
	v_not_b32_e32 v35, v105
	v_ashrrev_i32_e32 v39, 31, v39
	s_wait_alu 0xf1ff
	v_xor_b32_e32 v37, s19, v37
	v_cmp_gt_i32_e64 s19, 0, v105
	v_and_b32_e32 v34, v34, v36
	v_not_b32_e32 v36, v38
	v_ashrrev_i32_e32 v35, 31, v35
	v_xor_b32_e32 v39, s20, v39
	v_cmp_gt_i32_e64 s20, 0, v38
	v_and_b32_e32 v34, v34, v37
	v_ashrrev_i32_e32 v36, 31, v36
	s_wait_alu 0xf1ff
	v_xor_b32_e32 v35, s19, v35
	v_lshl_add_u32 v106, v33, 4, v0
	v_and_b32_e32 v34, v34, v39
	v_xor_b32_e32 v33, s20, v36
	ds_load_b32 v0, v106 offset:16
	v_and_b32_e32 v34, v34, v35
	; wave barrier
	s_delay_alu instid0(VALU_DEP_1) | instskip(NEXT) | instid1(VALU_DEP_1)
	v_and_b32_e32 v33, v34, v33
	v_mbcnt_lo_u32_b32 v105, v33, 0
	v_cmp_ne_u32_e64 s20, 0, v33
	s_delay_alu instid0(VALU_DEP_2)
	v_cmp_eq_u32_e64 s19, 0, v105
	s_and_b32 s20, s20, s19
	s_wait_alu 0xfffe
	s_and_saveexec_b32 s19, s20
	s_cbranch_execz .LBB242_69
; %bb.68:
	s_wait_dscnt 0x0
	v_bcnt_u32_b32 v33, v33, v0
	ds_store_b32 v106, v33 offset:16
.LBB242_69:
	s_wait_alu 0xfffe
	s_or_b32 exec_lo, exec_lo, s19
	; wave barrier
	s_wait_loadcnt_dscnt 0x0
	s_barrier_signal -1
	s_barrier_wait -1
	global_inv scope:SCOPE_SE
	ds_load_b128 v[37:40], v67 offset:16
	ds_load_b128 v[33:36], v67 offset:32
	s_wait_dscnt 0x1
	v_add_nc_u32_e32 v107, v38, v37
	s_delay_alu instid0(VALU_DEP_1) | instskip(SKIP_1) | instid1(VALU_DEP_1)
	v_add3_u32 v107, v107, v39, v40
	s_wait_dscnt 0x0
	v_add3_u32 v107, v107, v33, v34
	s_delay_alu instid0(VALU_DEP_1) | instskip(NEXT) | instid1(VALU_DEP_1)
	v_add3_u32 v36, v107, v35, v36
	v_mov_b32_dpp v107, v36 row_shr:1 row_mask:0xf bank_mask:0xf
	s_delay_alu instid0(VALU_DEP_1) | instskip(NEXT) | instid1(VALU_DEP_1)
	v_cndmask_b32_e64 v107, v107, 0, s8
	v_add_nc_u32_e32 v36, v107, v36
	s_delay_alu instid0(VALU_DEP_1) | instskip(NEXT) | instid1(VALU_DEP_1)
	v_mov_b32_dpp v107, v36 row_shr:2 row_mask:0xf bank_mask:0xf
	v_cndmask_b32_e64 v107, 0, v107, s10
	s_delay_alu instid0(VALU_DEP_1) | instskip(NEXT) | instid1(VALU_DEP_1)
	v_add_nc_u32_e32 v36, v36, v107
	v_mov_b32_dpp v107, v36 row_shr:4 row_mask:0xf bank_mask:0xf
	s_delay_alu instid0(VALU_DEP_1) | instskip(NEXT) | instid1(VALU_DEP_1)
	v_cndmask_b32_e64 v107, 0, v107, s11
	v_add_nc_u32_e32 v36, v36, v107
	s_delay_alu instid0(VALU_DEP_1) | instskip(NEXT) | instid1(VALU_DEP_1)
	v_mov_b32_dpp v107, v36 row_shr:8 row_mask:0xf bank_mask:0xf
	v_cndmask_b32_e64 v107, 0, v107, s13
	s_delay_alu instid0(VALU_DEP_1) | instskip(SKIP_3) | instid1(VALU_DEP_1)
	v_add_nc_u32_e32 v36, v36, v107
	ds_swizzle_b32 v107, v36 offset:swizzle(BROADCAST,32,15)
	s_wait_dscnt 0x0
	v_cndmask_b32_e64 v107, v107, 0, s16
	v_add_nc_u32_e32 v36, v36, v107
	s_and_saveexec_b32 s8, s14
; %bb.70:
	ds_store_b32 v82, v36
; %bb.71:
	s_wait_alu 0xfffe
	s_or_b32 exec_lo, exec_lo, s8
	s_wait_loadcnt_dscnt 0x0
	s_barrier_signal -1
	s_barrier_wait -1
	global_inv scope:SCOPE_SE
	s_and_saveexec_b32 s8, s15
	s_cbranch_execz .LBB242_73
; %bb.72:
	ds_load_b32 v82, v83
	s_wait_dscnt 0x0
	v_mov_b32_dpp v107, v82 row_shr:1 row_mask:0xf bank_mask:0xf
	s_delay_alu instid0(VALU_DEP_1) | instskip(NEXT) | instid1(VALU_DEP_1)
	v_cndmask_b32_e64 v107, v107, 0, s12
	v_add_nc_u32_e32 v82, v107, v82
	s_delay_alu instid0(VALU_DEP_1) | instskip(NEXT) | instid1(VALU_DEP_1)
	v_mov_b32_dpp v107, v82 row_shr:2 row_mask:0xf bank_mask:0xf
	v_cndmask_b32_e64 v107, 0, v107, s9
	s_delay_alu instid0(VALU_DEP_1)
	v_add_nc_u32_e32 v82, v82, v107
	ds_store_b32 v83, v82
.LBB242_73:
	s_wait_alu 0xfffe
	s_or_b32 exec_lo, exec_lo, s8
	v_mov_b32_e32 v82, 0
	s_wait_loadcnt_dscnt 0x0
	s_barrier_signal -1
	s_barrier_wait -1
	global_inv scope:SCOPE_SE
	s_and_saveexec_b32 s8, s17
; %bb.74:
	ds_load_b32 v82, v84
; %bb.75:
	s_wait_alu 0xfffe
	s_or_b32 exec_lo, exec_lo, s8
	s_wait_dscnt 0x0
	v_add_nc_u32_e32 v36, v82, v36
	ds_bpermute_b32 v36, v85, v36
	s_wait_dscnt 0x0
	v_cndmask_b32_e32 v36, v36, v82, vcc_lo
	s_delay_alu instid0(VALU_DEP_1) | instskip(NEXT) | instid1(VALU_DEP_1)
	v_cndmask_b32_e64 v36, v36, 0, s18
	v_add_nc_u32_e32 v37, v36, v37
	s_delay_alu instid0(VALU_DEP_1) | instskip(NEXT) | instid1(VALU_DEP_1)
	v_add_nc_u32_e32 v38, v37, v38
	v_add_nc_u32_e32 v39, v38, v39
	s_delay_alu instid0(VALU_DEP_1) | instskip(NEXT) | instid1(VALU_DEP_1)
	v_add_nc_u32_e32 v82, v39, v40
	;; [unrolled: 3-line block ×3, first 2 shown]
	v_add_nc_u32_e32 v85, v84, v35
	ds_store_b128 v67, v[36:39] offset:16
	ds_store_b128 v67, v[82:85] offset:32
	s_wait_loadcnt_dscnt 0x0
	s_barrier_signal -1
	s_barrier_wait -1
	global_inv scope:SCOPE_SE
	ds_load_b32 v33, v106 offset:16
	ds_load_b32 v34, v104 offset:16
	;; [unrolled: 1-line block ×8, first 2 shown]
	v_lshlrev_b32_e32 v82, 1, v66
	s_wait_loadcnt_dscnt 0x0
	s_barrier_signal -1
	s_barrier_wait -1
	global_inv scope:SCOPE_SE
	v_mad_u32_u24 v83, v46, 48, v82
	v_add3_u32 v84, v105, v0, v33
	v_add3_u32 v85, v103, v102, v34
	;; [unrolled: 1-line block ×3, first 2 shown]
	v_add_nc_u32_e32 v81, v36, v81
	v_add3_u32 v87, v88, v87, v37
	v_add3_u32 v88, v91, v90, v38
	;; [unrolled: 1-line block ×4, first 2 shown]
	v_lshlrev_b32_e32 v0, 1, v81
	v_lshlrev_b32_e32 v33, 1, v87
	;; [unrolled: 1-line block ×8, first 2 shown]
	ds_store_b16 v0, v74
	ds_store_b16 v33, v75
	;; [unrolled: 1-line block ×8, first 2 shown]
	v_mad_co_u64_u32 v[73:74], null, v81, 6, v[0:1]
	v_mad_co_u64_u32 v[74:75], null, v87, 6, v[33:34]
	;; [unrolled: 1-line block ×4, first 2 shown]
	s_wait_loadcnt_dscnt 0x0
	s_barrier_signal -1
	s_barrier_wait -1
	global_inv scope:SCOPE_SE
	v_mad_co_u64_u32 v[77:78], null, v40, 6, v[36:37]
	ds_load_b128 v[33:36], v82
	v_mad_co_u64_u32 v[78:79], null, v86, 6, v[37:38]
	v_mad_co_u64_u32 v[37:38], null, v85, 6, v[38:39]
	;; [unrolled: 1-line block ×3, first 2 shown]
	s_wait_loadcnt_dscnt 0x0
	s_barrier_signal -1
	s_barrier_wait -1
	global_inv scope:SCOPE_SE
	ds_store_b64 v73, v[21:22]
	ds_store_b64 v74, v[23:24]
	;; [unrolled: 1-line block ×8, first 2 shown]
	s_wait_loadcnt_dscnt 0x0
	s_barrier_signal -1
	s_barrier_wait -1
	global_inv scope:SCOPE_SE
	ds_load_b128 v[29:32], v83
	ds_load_b128 v[25:28], v83 offset:16
	ds_load_b128 v[21:24], v83 offset:32
	;; [unrolled: 1-line block ×3, first 2 shown]
	v_cmp_lt_i16_e32 vcc_lo, -1, v33
	v_lshrrev_b32_e32 v0, 16, v33
	v_lshrrev_b32_e32 v38, 16, v34
	v_lshrrev_b32_e32 v40, 16, v35
	v_lshrrev_b32_e32 v74, 16, v36
	s_wait_alu 0xfffd
	v_cndmask_b32_e64 v37, 0xffff8000, -1, vcc_lo
	v_cmp_lt_i16_e32 vcc_lo, -1, v34
	s_wait_alu 0xfffd
	v_cndmask_b32_e64 v39, 0xffff8000, -1, vcc_lo
	v_cmp_lt_i16_e32 vcc_lo, -1, v35
	;; [unrolled: 3-line block ×5, first 2 shown]
	s_delay_alu instid0(VALU_DEP_2) | instskip(SKIP_3) | instid1(VALU_DEP_3)
	v_perm_b32 v0, v0, v37, 0x5040100
	s_wait_alu 0xfffd
	v_cndmask_b32_e64 v38, 0xffff8000, -1, vcc_lo
	v_cmp_lt_i16_e32 vcc_lo, -1, v40
	v_xor_b32_e32 v0, v0, v33
	s_delay_alu instid0(VALU_DEP_3) | instskip(SKIP_3) | instid1(VALU_DEP_3)
	v_perm_b32 v37, v38, v39, 0x5040100
	s_wait_alu 0xfffd
	v_cndmask_b32_e64 v40, 0xffff8000, -1, vcc_lo
	v_cmp_lt_i16_e32 vcc_lo, -1, v74
	v_xor_b32_e32 v34, v37, v34
	s_delay_alu instid0(VALU_DEP_3) | instskip(SKIP_2) | instid1(VALU_DEP_2)
	v_perm_b32 v38, v40, v73, 0x5040100
	s_wait_alu 0xfffd
	v_cndmask_b32_e64 v74, 0xffff8000, -1, vcc_lo
	v_xor_b32_e32 v33, v38, v35
	s_delay_alu instid0(VALU_DEP_2) | instskip(NEXT) | instid1(VALU_DEP_1)
	v_perm_b32 v39, v74, v75, 0x5040100
	v_xor_b32_e32 v35, v39, v36
	s_branch .LBB242_128
.LBB242_76:
	v_lshlrev_b64_e32 v[1:2], 3, v[41:42]
	v_dual_mov_b32 v43, v42 :: v_dual_mov_b32 v10, v42
	v_dual_mov_b32 v9, v42 :: v_dual_mov_b32 v12, v42
	v_mov_b32_e32 v11, v42
	s_delay_alu instid0(VALU_DEP_4)
	v_add_co_u32 v1, vcc_lo, s34, v1
	s_wait_alu 0xfffd
	v_add_co_ci_u32_e64 v2, null, s35, v2, vcc_lo
	v_dual_mov_b32 v3, v42 :: v_dual_mov_b32 v6, v42
	v_dual_mov_b32 v5, v42 :: v_dual_mov_b32 v8, v42
	global_load_b64 v[13:14], v[1:2], off
	v_dual_mov_b32 v1, v42 :: v_dual_mov_b32 v4, v42
	v_dual_mov_b32 v2, v42 :: v_dual_mov_b32 v7, v42
	s_wait_alu 0xfffe
	s_or_b32 exec_lo, exec_lo, s9
	s_and_saveexec_b32 s9, s1
	s_cbranch_execz .LBB242_22
.LBB242_77:
	v_mul_lo_u32 v22, s28, v15
	v_mov_b32_e32 v23, 0
	s_delay_alu instid0(VALU_DEP_1) | instskip(NEXT) | instid1(VALU_DEP_1)
	v_lshlrev_b64_e32 v[22:23], 3, v[22:23]
	v_add_co_u32 v22, vcc_lo, s34, v22
	s_wait_alu 0xfffd
	s_delay_alu instid0(VALU_DEP_2)
	v_add_co_ci_u32_e64 v23, null, s35, v23, vcc_lo
	global_load_b64 v[42:43], v[22:23], off
	s_wait_alu 0xfffe
	s_or_b32 exec_lo, exec_lo, s9
	s_and_saveexec_b32 s9, s2
	s_cbranch_execz .LBB242_23
.LBB242_78:
	v_mul_lo_u32 v9, s28, v16
	v_mov_b32_e32 v10, 0
	s_delay_alu instid0(VALU_DEP_1) | instskip(NEXT) | instid1(VALU_DEP_1)
	v_lshlrev_b64_e32 v[9:10], 3, v[9:10]
	v_add_co_u32 v9, vcc_lo, s34, v9
	s_wait_alu 0xfffd
	s_delay_alu instid0(VALU_DEP_2)
	v_add_co_ci_u32_e64 v10, null, s35, v10, vcc_lo
	global_load_b64 v[9:10], v[9:10], off
	s_wait_alu 0xfffe
	s_or_b32 exec_lo, exec_lo, s9
	s_and_saveexec_b32 s9, s3
	s_cbranch_execz .LBB242_24
.LBB242_79:
	v_mul_lo_u32 v11, s28, v17
	v_mov_b32_e32 v12, 0
	s_delay_alu instid0(VALU_DEP_1) | instskip(NEXT) | instid1(VALU_DEP_1)
	v_lshlrev_b64_e32 v[11:12], 3, v[11:12]
	v_add_co_u32 v11, vcc_lo, s34, v11
	s_wait_alu 0xfffd
	s_delay_alu instid0(VALU_DEP_2)
	v_add_co_ci_u32_e64 v12, null, s35, v12, vcc_lo
	global_load_b64 v[11:12], v[11:12], off
	s_wait_alu 0xfffe
	s_or_b32 exec_lo, exec_lo, s9
	s_and_saveexec_b32 s9, s4
	s_cbranch_execz .LBB242_25
.LBB242_80:
	v_mul_lo_u32 v1, s28, v18
	v_mov_b32_e32 v2, 0
	s_delay_alu instid0(VALU_DEP_1) | instskip(NEXT) | instid1(VALU_DEP_1)
	v_lshlrev_b64_e32 v[1:2], 3, v[1:2]
	v_add_co_u32 v1, vcc_lo, s34, v1
	s_wait_alu 0xfffd
	s_delay_alu instid0(VALU_DEP_2)
	v_add_co_ci_u32_e64 v2, null, s35, v2, vcc_lo
	global_load_b64 v[1:2], v[1:2], off
	s_wait_alu 0xfffe
	s_or_b32 exec_lo, exec_lo, s9
	s_and_saveexec_b32 s9, s5
	s_cbranch_execz .LBB242_26
.LBB242_81:
	v_mul_lo_u32 v3, s28, v19
	v_mov_b32_e32 v4, 0
	s_delay_alu instid0(VALU_DEP_1) | instskip(NEXT) | instid1(VALU_DEP_1)
	v_lshlrev_b64_e32 v[3:4], 3, v[3:4]
	v_add_co_u32 v3, vcc_lo, s34, v3
	s_wait_alu 0xfffd
	s_delay_alu instid0(VALU_DEP_2)
	v_add_co_ci_u32_e64 v4, null, s35, v4, vcc_lo
	global_load_b64 v[3:4], v[3:4], off
	s_wait_alu 0xfffe
	s_or_b32 exec_lo, exec_lo, s9
	s_and_saveexec_b32 s9, s6
	s_cbranch_execnz .LBB242_27
	s_branch .LBB242_28
.LBB242_82:
                                        ; implicit-def: $vgpr19_vgpr20
                                        ; implicit-def: $vgpr23_vgpr24
                                        ; implicit-def: $vgpr27_vgpr28
                                        ; implicit-def: $vgpr31_vgpr32
                                        ; implicit-def: $vgpr35
                                        ; implicit-def: $vgpr33
                                        ; implicit-def: $vgpr34
                                        ; implicit-def: $vgpr0
	s_cbranch_execz .LBB242_128
; %bb.83:
	v_lshrrev_b32_e32 v0, 16, v49
	v_cmp_gt_i16_e32 vcc_lo, 0, v49
	s_wait_dscnt 0x0
	v_lshrrev_b32_e32 v17, 16, v50
	v_lshrrev_b32_e32 v18, 16, v47
	;; [unrolled: 1-line block ×3, first 2 shown]
	v_or_b32_e32 v21, v69, v70
	s_wait_alu 0xfffd
	v_cndmask_b32_e64 v20, 0x7fff, 0, vcc_lo
	v_cmp_gt_i16_e32 vcc_lo, 0, v0
	v_and_or_b32 v36, 0x1f00, v66, v69
	s_mov_b32 s12, 0
	s_getpc_b64 s[8:9]
	s_wait_alu 0xfffe
	s_sext_i32_i16 s9, s9
	s_add_co_u32 s8, s8, _ZN7rocprim17ROCPRIM_400000_NS16block_radix_sortI12hip_bfloat16Lj128ELj8ElLj1ELj1ELj0ELNS0_26block_radix_rank_algorithmE1ELNS0_18block_padding_hintE2ELNS0_4arch9wavefront6targetE0EE19radix_bits_per_passE@rel32@lo+12
	s_wait_alu 0xfffe
	s_add_co_ci_u32 s9, s9, _ZN7rocprim17ROCPRIM_400000_NS16block_radix_sortI12hip_bfloat16Lj128ELj8ElLj1ELj1ELj0ELNS0_26block_radix_rank_algorithmE1ELNS0_18block_padding_hintE2ELNS0_4arch9wavefront6targetE0EE19radix_bits_per_passE@rel32@hi+24
	s_mov_b32 s13, s12
	s_wait_alu 0xfffd
	v_cndmask_b32_e64 v0, 0x7fff, 0, vcc_lo
	v_cmp_gt_i16_e32 vcc_lo, 0, v50
	s_mov_b32 s14, s12
	s_mov_b32 s15, s12
	v_lshlrev_b32_e32 v25, 1, v36
	v_perm_b32 v0, v0, v20, 0x5040100
	s_wait_alu 0xfffd
	v_cndmask_b32_e64 v22, 0x7fff, 0, vcc_lo
	v_cmp_gt_i16_e32 vcc_lo, 0, v17
	s_load_b32 s19, s[8:9], 0x0
	v_cndmask_b32_e64 v17, 0x7fff, 0, vcc_lo
	v_cmp_gt_i16_e32 vcc_lo, 0, v47
	s_delay_alu instid0(VALU_DEP_2)
	v_perm_b32 v20, v17, v22, 0x5040100
	s_wait_alu 0xfffd
	v_cndmask_b32_e64 v23, 0x7fff, 0, vcc_lo
	v_cmp_gt_i16_e32 vcc_lo, 0, v18
	v_xor_b32_e32 v17, v0, v49
	s_wait_alu 0xfffd
	v_cndmask_b32_e64 v18, 0x7fff, 0, vcc_lo
	v_cmp_gt_i16_e32 vcc_lo, 0, v48
	s_wait_kmcnt 0x0
	s_min_u32 s8, s19, 16
	s_delay_alu instid0(VALU_DEP_2)
	v_perm_b32 v22, v18, v23, 0x5040100
	s_wait_alu 0xfffd
	v_cndmask_b32_e64 v24, 0x7fff, 0, vcc_lo
	v_cmp_gt_i16_e32 vcc_lo, 0, v19
	v_lshlrev_b32_e32 v23, 4, v21
	v_xor_b32_e32 v18, v20, v50
	s_wait_alu 0xfffe
	s_lshl_b32 s8, -1, s8
	s_wait_alu 0xfffd
	v_cndmask_b32_e64 v19, 0x7fff, 0, vcc_lo
	s_wait_alu 0xfffe
	s_not_b32 s9, s8
	s_delay_alu instid0(VALU_DEP_1) | instskip(SKIP_1) | instid1(VALU_DEP_2)
	v_perm_b32 v24, v19, v24, 0x5040100
	v_xor_b32_e32 v19, v22, v47
	v_xor_b32_e32 v20, v24, v48
	ds_store_b128 v23, v[17:20]
	; wave barrier
	ds_load_u16 v26, v25
	ds_load_u16 v27, v25 offset:64
	ds_load_u16 v28, v25 offset:128
	;; [unrolled: 1-line block ×7, first 2 shown]
	s_wait_loadcnt_dscnt 0x0
	s_barrier_signal -1
	s_barrier_wait -1
	global_inv scope:SCOPE_SE
	v_cmp_ne_u16_e32 vcc_lo, 0x8000, v26
	s_wait_alu 0xfffd
	v_cndmask_b32_e32 v0, 0x7fff, v26, vcc_lo
	v_mad_u32_u24 v17, v21, 48, v23
	ds_store_b128 v17, v[13:16]
	ds_store_b128 v17, v[9:12] offset:16
	v_and_b32_e32 v0, 0xffff, v0
	ds_store_b128 v17, v[5:8] offset:32
	ds_store_b128 v17, v[1:4] offset:48
	v_mad_u32_u24 v12, v36, 6, v25
	; wave barrier
	s_wait_alu 0xfffe
	v_and_b32_e32 v23, s9, v0
	ds_load_2addr_b64 v[8:11], v12 offset1:32
	ds_load_2addr_b64 v[0:3], v12 offset0:64 offset1:96
	v_and_b32_e32 v4, 1, v23
	v_lshlrev_b32_e32 v18, 30, v23
	v_lshlrev_b32_e32 v19, 29, v23
	;; [unrolled: 1-line block ×3, first 2 shown]
	s_delay_alu instid0(VALU_DEP_4)
	v_add_co_u32 v16, s8, v4, -1
	s_wait_alu 0xf1ff
	v_cndmask_b32_e64 v17, 0, 1, s8
	ds_load_2addr_b64 v[4:7], v12 offset0:128 offset1:160
	ds_load_2addr_b64 v[12:15], v12 offset0:192 offset1:224
	s_wait_loadcnt_dscnt 0x0
	s_barrier_signal -1
	v_cmp_ne_u32_e32 vcc_lo, 0, v17
	v_not_b32_e32 v17, v18
	s_barrier_wait -1
	global_inv scope:SCOPE_SE
	s_load_b32 s8, s[36:37], 0xc
	v_xor_b32_e32 v16, vcc_lo, v16
	v_cmp_gt_i32_e32 vcc_lo, 0, v18
	v_ashrrev_i32_e32 v17, 31, v17
	v_not_b32_e32 v18, v19
	s_delay_alu instid0(VALU_DEP_4) | instskip(SKIP_1) | instid1(VALU_DEP_3)
	v_and_b32_e32 v16, exec_lo, v16
	s_wait_alu 0xfffd
	v_xor_b32_e32 v17, vcc_lo, v17
	v_cmp_gt_i32_e32 vcc_lo, 0, v19
	v_ashrrev_i32_e32 v18, 31, v18
	v_not_b32_e32 v19, v20
	s_delay_alu instid0(VALU_DEP_4)
	v_and_b32_e32 v16, v16, v17
	v_lshlrev_b32_e32 v17, 27, v23
	s_wait_alu 0xfffd
	v_xor_b32_e32 v18, vcc_lo, v18
	v_cmp_gt_i32_e32 vcc_lo, 0, v20
	v_ashrrev_i32_e32 v19, 31, v19
	v_not_b32_e32 v20, v17
	s_delay_alu instid0(VALU_DEP_4)
	v_and_b32_e32 v16, v16, v18
	v_lshlrev_b32_e32 v18, 26, v23
	s_wait_alu 0xfffd
	v_xor_b32_e32 v19, vcc_lo, v19
	v_cmp_gt_i32_e32 vcc_lo, 0, v17
	v_ashrrev_i32_e32 v17, 31, v20
	s_wait_kmcnt 0x0
	s_lshr_b32 s10, s8, 16
	v_not_b32_e32 v20, v18
	v_and_b32_e32 v16, v16, v19
	v_lshlrev_b32_e32 v19, 25, v23
	s_wait_alu 0xfffd
	v_xor_b32_e32 v17, vcc_lo, v17
	v_cmp_gt_i32_e32 vcc_lo, 0, v18
	v_ashrrev_i32_e32 v18, 31, v20
	v_mad_u32_u24 v21, v72, s10, v71
	v_not_b32_e32 v20, v19
	v_and_b32_e32 v16, v16, v17
	v_lshlrev_b32_e32 v17, 24, v23
	s_wait_alu 0xfffd
	v_xor_b32_e32 v18, vcc_lo, v18
	v_cmp_gt_i32_e32 vcc_lo, 0, v19
	v_ashrrev_i32_e32 v19, 31, v20
	s_and_b32 s8, s8, 0xffff
	v_not_b32_e32 v20, v17
	v_and_b32_e32 v16, v16, v18
	s_wait_alu 0xfffe
	v_mad_co_u64_u32 v[21:22], null, v21, s8, v[46:47]
	s_wait_alu 0xfffd
	v_xor_b32_e32 v18, vcc_lo, v19
	v_cmp_gt_i32_e32 vcc_lo, 0, v17
	v_ashrrev_i32_e32 v17, 31, v20
	s_delay_alu instid0(VALU_DEP_3) | instskip(SKIP_2) | instid1(VALU_DEP_3)
	v_and_b32_e32 v16, v16, v18
	v_lshrrev_b32_e32 v21, 5, v21
	s_wait_alu 0xfffd
	v_xor_b32_e32 v22, vcc_lo, v17
	v_dual_mov_b32 v20, s15 :: v_dual_mov_b32 v19, s14
	v_dual_mov_b32 v18, s13 :: v_dual_mov_b32 v17, s12
	s_delay_alu instid0(VALU_DEP_3)
	v_and_b32_e32 v16, v16, v22
	ds_store_b128 v67, v[17:20] offset:16
	ds_store_b128 v67, v[17:20] offset:32
	v_mbcnt_lo_u32_b32 v38, v16, 0
	v_lshlrev_b32_e32 v24, 2, v21
	v_lshlrev_b32_e32 v17, 4, v23
	v_cmp_ne_u32_e64 s8, 0, v16
	s_wait_loadcnt_dscnt 0x0
	v_cmp_eq_u32_e32 vcc_lo, 0, v38
	s_barrier_signal -1
	v_add_nc_u32_e32 v39, v24, v17
	s_barrier_wait -1
	global_inv scope:SCOPE_SE
	s_and_b32 s10, s8, vcc_lo
	; wave barrier
	s_wait_alu 0xfffe
	s_and_saveexec_b32 s8, s10
; %bb.84:
	v_bcnt_u32_b32 v16, v16, 0
	ds_store_b32 v39, v16 offset:16
; %bb.85:
	s_wait_alu 0xfffe
	s_or_b32 exec_lo, exec_lo, s8
	v_cmp_ne_u16_e32 vcc_lo, 0x8000, v27
	; wave barrier
	s_wait_alu 0xfffd
	v_cndmask_b32_e32 v16, 0x7fff, v27, vcc_lo
	s_delay_alu instid0(VALU_DEP_1) | instskip(NEXT) | instid1(VALU_DEP_1)
	v_and_b32_e32 v16, 0xffff, v16
	v_and_b32_e32 v16, s9, v16
	s_delay_alu instid0(VALU_DEP_1)
	v_and_b32_e32 v17, 1, v16
	v_lshlrev_b32_e32 v18, 30, v16
	v_lshlrev_b32_e32 v19, 29, v16
	;; [unrolled: 1-line block ×4, first 2 shown]
	v_add_co_u32 v17, s8, v17, -1
	s_wait_alu 0xf1ff
	v_cndmask_b32_e64 v21, 0, 1, s8
	v_not_b32_e32 v35, v18
	v_cmp_gt_i32_e64 s8, 0, v18
	v_not_b32_e32 v18, v19
	v_lshlrev_b32_e32 v23, 26, v16
	v_cmp_ne_u32_e32 vcc_lo, 0, v21
	v_ashrrev_i32_e32 v35, 31, v35
	v_lshlrev_b32_e32 v34, 25, v16
	v_ashrrev_i32_e32 v18, 31, v18
	v_lshlrev_b32_e32 v21, 24, v16
	s_wait_alu 0xfffd
	v_xor_b32_e32 v17, vcc_lo, v17
	v_cmp_gt_i32_e32 vcc_lo, 0, v19
	v_not_b32_e32 v19, v20
	s_wait_alu 0xf1ff
	v_xor_b32_e32 v35, s8, v35
	v_cmp_gt_i32_e64 s8, 0, v20
	v_and_b32_e32 v17, exec_lo, v17
	v_not_b32_e32 v20, v22
	v_ashrrev_i32_e32 v19, 31, v19
	s_wait_alu 0xfffd
	v_xor_b32_e32 v18, vcc_lo, v18
	v_cmp_gt_i32_e32 vcc_lo, 0, v22
	v_and_b32_e32 v17, v17, v35
	v_not_b32_e32 v22, v23
	v_ashrrev_i32_e32 v20, 31, v20
	s_wait_alu 0xf1ff
	v_xor_b32_e32 v19, s8, v19
	v_cmp_gt_i32_e64 s8, 0, v23
	v_and_b32_e32 v17, v17, v18
	v_not_b32_e32 v18, v34
	v_ashrrev_i32_e32 v22, 31, v22
	s_wait_alu 0xfffd
	v_xor_b32_e32 v20, vcc_lo, v20
	v_cmp_gt_i32_e32 vcc_lo, 0, v34
	v_and_b32_e32 v17, v17, v19
	v_not_b32_e32 v19, v21
	v_ashrrev_i32_e32 v18, 31, v18
	s_wait_alu 0xf1ff
	v_xor_b32_e32 v22, s8, v22
	v_lshlrev_b32_e32 v16, 4, v16
	v_and_b32_e32 v17, v17, v20
	v_cmp_gt_i32_e64 s8, 0, v21
	v_ashrrev_i32_e32 v19, 31, v19
	s_wait_alu 0xfffd
	v_xor_b32_e32 v18, vcc_lo, v18
	v_add_nc_u32_e32 v48, v24, v16
	v_and_b32_e32 v17, v17, v22
	s_wait_alu 0xf1ff
	v_xor_b32_e32 v16, s8, v19
	ds_load_b32 v40, v48 offset:16
	v_and_b32_e32 v17, v17, v18
	; wave barrier
	s_delay_alu instid0(VALU_DEP_1) | instskip(NEXT) | instid1(VALU_DEP_1)
	v_and_b32_e32 v16, v17, v16
	v_mbcnt_lo_u32_b32 v47, v16, 0
	v_cmp_ne_u32_e64 s8, 0, v16
	s_delay_alu instid0(VALU_DEP_2)
	v_cmp_eq_u32_e32 vcc_lo, 0, v47
	s_and_b32 s10, s8, vcc_lo
	s_wait_alu 0xfffe
	s_and_saveexec_b32 s8, s10
	s_cbranch_execz .LBB242_87
; %bb.86:
	s_wait_dscnt 0x0
	v_bcnt_u32_b32 v16, v16, v40
	ds_store_b32 v48, v16 offset:16
.LBB242_87:
	s_wait_alu 0xfffe
	s_or_b32 exec_lo, exec_lo, s8
	v_cmp_ne_u16_e32 vcc_lo, 0x8000, v28
	; wave barrier
	s_wait_alu 0xfffd
	v_cndmask_b32_e32 v16, 0x7fff, v28, vcc_lo
	s_delay_alu instid0(VALU_DEP_1) | instskip(NEXT) | instid1(VALU_DEP_1)
	v_and_b32_e32 v16, 0xffff, v16
	v_and_b32_e32 v16, s9, v16
	s_delay_alu instid0(VALU_DEP_1)
	v_and_b32_e32 v17, 1, v16
	v_lshlrev_b32_e32 v18, 30, v16
	v_lshlrev_b32_e32 v19, 29, v16
	;; [unrolled: 1-line block ×4, first 2 shown]
	v_add_co_u32 v17, s8, v17, -1
	s_wait_alu 0xf1ff
	v_cndmask_b32_e64 v21, 0, 1, s8
	v_not_b32_e32 v35, v18
	v_cmp_gt_i32_e64 s8, 0, v18
	v_not_b32_e32 v18, v19
	v_lshlrev_b32_e32 v23, 26, v16
	v_cmp_ne_u32_e32 vcc_lo, 0, v21
	v_ashrrev_i32_e32 v35, 31, v35
	v_lshlrev_b32_e32 v34, 25, v16
	v_ashrrev_i32_e32 v18, 31, v18
	v_lshlrev_b32_e32 v21, 24, v16
	s_wait_alu 0xfffd
	v_xor_b32_e32 v17, vcc_lo, v17
	v_cmp_gt_i32_e32 vcc_lo, 0, v19
	v_not_b32_e32 v19, v20
	s_wait_alu 0xf1ff
	v_xor_b32_e32 v35, s8, v35
	v_cmp_gt_i32_e64 s8, 0, v20
	v_and_b32_e32 v17, exec_lo, v17
	v_not_b32_e32 v20, v22
	v_ashrrev_i32_e32 v19, 31, v19
	s_wait_alu 0xfffd
	v_xor_b32_e32 v18, vcc_lo, v18
	v_cmp_gt_i32_e32 vcc_lo, 0, v22
	v_and_b32_e32 v17, v17, v35
	v_not_b32_e32 v22, v23
	v_ashrrev_i32_e32 v20, 31, v20
	s_wait_alu 0xf1ff
	v_xor_b32_e32 v19, s8, v19
	v_cmp_gt_i32_e64 s8, 0, v23
	v_and_b32_e32 v17, v17, v18
	v_not_b32_e32 v18, v34
	v_ashrrev_i32_e32 v22, 31, v22
	s_wait_alu 0xfffd
	v_xor_b32_e32 v20, vcc_lo, v20
	v_cmp_gt_i32_e32 vcc_lo, 0, v34
	v_and_b32_e32 v17, v17, v19
	v_not_b32_e32 v19, v21
	v_ashrrev_i32_e32 v18, 31, v18
	s_wait_alu 0xf1ff
	v_xor_b32_e32 v22, s8, v22
	v_lshlrev_b32_e32 v16, 4, v16
	v_and_b32_e32 v17, v17, v20
	v_cmp_gt_i32_e64 s8, 0, v21
	v_ashrrev_i32_e32 v19, 31, v19
	s_wait_alu 0xfffd
	v_xor_b32_e32 v18, vcc_lo, v18
	v_add_nc_u32_e32 v71, v24, v16
	v_and_b32_e32 v17, v17, v22
	s_wait_alu 0xf1ff
	v_xor_b32_e32 v16, s8, v19
	ds_load_b32 v49, v71 offset:16
	v_and_b32_e32 v17, v17, v18
	; wave barrier
	s_delay_alu instid0(VALU_DEP_1) | instskip(NEXT) | instid1(VALU_DEP_1)
	v_and_b32_e32 v16, v17, v16
	v_mbcnt_lo_u32_b32 v50, v16, 0
	v_cmp_ne_u32_e64 s8, 0, v16
	s_delay_alu instid0(VALU_DEP_2)
	v_cmp_eq_u32_e32 vcc_lo, 0, v50
	s_and_b32 s10, s8, vcc_lo
	s_wait_alu 0xfffe
	s_and_saveexec_b32 s8, s10
	s_cbranch_execz .LBB242_89
; %bb.88:
	s_wait_dscnt 0x0
	v_bcnt_u32_b32 v16, v16, v49
	ds_store_b32 v71, v16 offset:16
.LBB242_89:
	s_wait_alu 0xfffe
	s_or_b32 exec_lo, exec_lo, s8
	v_cmp_ne_u16_e32 vcc_lo, 0x8000, v29
	; wave barrier
	s_wait_alu 0xfffd
	v_cndmask_b32_e32 v16, 0x7fff, v29, vcc_lo
	s_delay_alu instid0(VALU_DEP_1) | instskip(NEXT) | instid1(VALU_DEP_1)
	v_and_b32_e32 v16, 0xffff, v16
	v_and_b32_e32 v16, s9, v16
	s_delay_alu instid0(VALU_DEP_1)
	v_and_b32_e32 v17, 1, v16
	v_lshlrev_b32_e32 v18, 30, v16
	v_lshlrev_b32_e32 v19, 29, v16
	v_lshlrev_b32_e32 v20, 28, v16
	v_lshlrev_b32_e32 v22, 27, v16
	v_add_co_u32 v17, s8, v17, -1
	s_wait_alu 0xf1ff
	v_cndmask_b32_e64 v21, 0, 1, s8
	v_not_b32_e32 v35, v18
	v_cmp_gt_i32_e64 s8, 0, v18
	v_not_b32_e32 v18, v19
	v_lshlrev_b32_e32 v23, 26, v16
	v_cmp_ne_u32_e32 vcc_lo, 0, v21
	v_ashrrev_i32_e32 v35, 31, v35
	v_lshlrev_b32_e32 v34, 25, v16
	v_ashrrev_i32_e32 v18, 31, v18
	v_lshlrev_b32_e32 v21, 24, v16
	s_wait_alu 0xfffd
	v_xor_b32_e32 v17, vcc_lo, v17
	v_cmp_gt_i32_e32 vcc_lo, 0, v19
	v_not_b32_e32 v19, v20
	s_wait_alu 0xf1ff
	v_xor_b32_e32 v35, s8, v35
	v_cmp_gt_i32_e64 s8, 0, v20
	v_and_b32_e32 v17, exec_lo, v17
	v_not_b32_e32 v20, v22
	v_ashrrev_i32_e32 v19, 31, v19
	s_wait_alu 0xfffd
	v_xor_b32_e32 v18, vcc_lo, v18
	v_cmp_gt_i32_e32 vcc_lo, 0, v22
	v_and_b32_e32 v17, v17, v35
	v_not_b32_e32 v22, v23
	v_ashrrev_i32_e32 v20, 31, v20
	s_wait_alu 0xf1ff
	v_xor_b32_e32 v19, s8, v19
	v_cmp_gt_i32_e64 s8, 0, v23
	v_and_b32_e32 v17, v17, v18
	v_not_b32_e32 v18, v34
	v_ashrrev_i32_e32 v22, 31, v22
	s_wait_alu 0xfffd
	v_xor_b32_e32 v20, vcc_lo, v20
	v_cmp_gt_i32_e32 vcc_lo, 0, v34
	v_and_b32_e32 v17, v17, v19
	v_not_b32_e32 v19, v21
	v_ashrrev_i32_e32 v18, 31, v18
	s_wait_alu 0xf1ff
	v_xor_b32_e32 v22, s8, v22
	v_lshlrev_b32_e32 v16, 4, v16
	v_and_b32_e32 v17, v17, v20
	v_cmp_gt_i32_e64 s8, 0, v21
	v_ashrrev_i32_e32 v19, 31, v19
	s_wait_alu 0xfffd
	v_xor_b32_e32 v18, vcc_lo, v18
	v_add_nc_u32_e32 v74, v24, v16
	v_and_b32_e32 v17, v17, v22
	s_wait_alu 0xf1ff
	v_xor_b32_e32 v16, s8, v19
	ds_load_b32 v72, v74 offset:16
	v_and_b32_e32 v17, v17, v18
	; wave barrier
	s_delay_alu instid0(VALU_DEP_1) | instskip(NEXT) | instid1(VALU_DEP_1)
	v_and_b32_e32 v16, v17, v16
	v_mbcnt_lo_u32_b32 v73, v16, 0
	v_cmp_ne_u32_e64 s8, 0, v16
	s_delay_alu instid0(VALU_DEP_2)
	v_cmp_eq_u32_e32 vcc_lo, 0, v73
	s_and_b32 s10, s8, vcc_lo
	s_wait_alu 0xfffe
	s_and_saveexec_b32 s8, s10
	s_cbranch_execz .LBB242_91
; %bb.90:
	s_wait_dscnt 0x0
	v_bcnt_u32_b32 v16, v16, v72
	ds_store_b32 v74, v16 offset:16
.LBB242_91:
	s_wait_alu 0xfffe
	s_or_b32 exec_lo, exec_lo, s8
	v_cmp_ne_u16_e32 vcc_lo, 0x8000, v30
	; wave barrier
	s_wait_alu 0xfffd
	v_cndmask_b32_e32 v16, 0x7fff, v30, vcc_lo
	s_delay_alu instid0(VALU_DEP_1) | instskip(NEXT) | instid1(VALU_DEP_1)
	v_and_b32_e32 v16, 0xffff, v16
	v_and_b32_e32 v16, s9, v16
	s_delay_alu instid0(VALU_DEP_1)
	v_and_b32_e32 v17, 1, v16
	v_lshlrev_b32_e32 v18, 30, v16
	v_lshlrev_b32_e32 v19, 29, v16
	;; [unrolled: 1-line block ×4, first 2 shown]
	v_add_co_u32 v17, s8, v17, -1
	s_wait_alu 0xf1ff
	v_cndmask_b32_e64 v21, 0, 1, s8
	v_not_b32_e32 v35, v18
	v_cmp_gt_i32_e64 s8, 0, v18
	v_not_b32_e32 v18, v19
	v_lshlrev_b32_e32 v23, 26, v16
	v_cmp_ne_u32_e32 vcc_lo, 0, v21
	v_ashrrev_i32_e32 v35, 31, v35
	v_lshlrev_b32_e32 v34, 25, v16
	v_ashrrev_i32_e32 v18, 31, v18
	v_lshlrev_b32_e32 v21, 24, v16
	s_wait_alu 0xfffd
	v_xor_b32_e32 v17, vcc_lo, v17
	v_cmp_gt_i32_e32 vcc_lo, 0, v19
	v_not_b32_e32 v19, v20
	s_wait_alu 0xf1ff
	v_xor_b32_e32 v35, s8, v35
	v_cmp_gt_i32_e64 s8, 0, v20
	v_and_b32_e32 v17, exec_lo, v17
	v_not_b32_e32 v20, v22
	v_ashrrev_i32_e32 v19, 31, v19
	s_wait_alu 0xfffd
	v_xor_b32_e32 v18, vcc_lo, v18
	v_cmp_gt_i32_e32 vcc_lo, 0, v22
	v_and_b32_e32 v17, v17, v35
	v_not_b32_e32 v22, v23
	v_ashrrev_i32_e32 v20, 31, v20
	s_wait_alu 0xf1ff
	v_xor_b32_e32 v19, s8, v19
	v_cmp_gt_i32_e64 s8, 0, v23
	v_and_b32_e32 v17, v17, v18
	v_not_b32_e32 v18, v34
	v_ashrrev_i32_e32 v22, 31, v22
	s_wait_alu 0xfffd
	v_xor_b32_e32 v20, vcc_lo, v20
	v_cmp_gt_i32_e32 vcc_lo, 0, v34
	v_and_b32_e32 v17, v17, v19
	v_not_b32_e32 v19, v21
	v_ashrrev_i32_e32 v18, 31, v18
	s_wait_alu 0xf1ff
	v_xor_b32_e32 v22, s8, v22
	v_lshlrev_b32_e32 v16, 4, v16
	v_and_b32_e32 v17, v17, v20
	v_cmp_gt_i32_e64 s8, 0, v21
	v_ashrrev_i32_e32 v19, 31, v19
	s_wait_alu 0xfffd
	v_xor_b32_e32 v18, vcc_lo, v18
	v_add_nc_u32_e32 v77, v24, v16
	v_and_b32_e32 v17, v17, v22
	s_wait_alu 0xf1ff
	v_xor_b32_e32 v16, s8, v19
	ds_load_b32 v75, v77 offset:16
	v_and_b32_e32 v17, v17, v18
	; wave barrier
	s_delay_alu instid0(VALU_DEP_1) | instskip(NEXT) | instid1(VALU_DEP_1)
	v_and_b32_e32 v16, v17, v16
	v_mbcnt_lo_u32_b32 v76, v16, 0
	v_cmp_ne_u32_e64 s8, 0, v16
	s_delay_alu instid0(VALU_DEP_2)
	v_cmp_eq_u32_e32 vcc_lo, 0, v76
	s_and_b32 s10, s8, vcc_lo
	s_wait_alu 0xfffe
	s_and_saveexec_b32 s8, s10
	s_cbranch_execz .LBB242_93
; %bb.92:
	s_wait_dscnt 0x0
	v_bcnt_u32_b32 v16, v16, v75
	ds_store_b32 v77, v16 offset:16
.LBB242_93:
	s_wait_alu 0xfffe
	s_or_b32 exec_lo, exec_lo, s8
	v_cmp_ne_u16_e32 vcc_lo, 0x8000, v31
	; wave barrier
	s_wait_alu 0xfffd
	v_cndmask_b32_e32 v16, 0x7fff, v31, vcc_lo
	s_delay_alu instid0(VALU_DEP_1) | instskip(NEXT) | instid1(VALU_DEP_1)
	v_and_b32_e32 v16, 0xffff, v16
	v_and_b32_e32 v16, s9, v16
	s_delay_alu instid0(VALU_DEP_1)
	v_and_b32_e32 v17, 1, v16
	v_lshlrev_b32_e32 v18, 30, v16
	v_lshlrev_b32_e32 v19, 29, v16
	;; [unrolled: 1-line block ×4, first 2 shown]
	v_add_co_u32 v17, s8, v17, -1
	s_wait_alu 0xf1ff
	v_cndmask_b32_e64 v21, 0, 1, s8
	v_not_b32_e32 v35, v18
	v_cmp_gt_i32_e64 s8, 0, v18
	v_not_b32_e32 v18, v19
	v_lshlrev_b32_e32 v23, 26, v16
	v_cmp_ne_u32_e32 vcc_lo, 0, v21
	v_ashrrev_i32_e32 v35, 31, v35
	v_lshlrev_b32_e32 v34, 25, v16
	v_ashrrev_i32_e32 v18, 31, v18
	v_lshlrev_b32_e32 v21, 24, v16
	s_wait_alu 0xfffd
	v_xor_b32_e32 v17, vcc_lo, v17
	v_cmp_gt_i32_e32 vcc_lo, 0, v19
	v_not_b32_e32 v19, v20
	s_wait_alu 0xf1ff
	v_xor_b32_e32 v35, s8, v35
	v_cmp_gt_i32_e64 s8, 0, v20
	v_and_b32_e32 v17, exec_lo, v17
	v_not_b32_e32 v20, v22
	v_ashrrev_i32_e32 v19, 31, v19
	s_wait_alu 0xfffd
	v_xor_b32_e32 v18, vcc_lo, v18
	v_cmp_gt_i32_e32 vcc_lo, 0, v22
	v_and_b32_e32 v17, v17, v35
	v_not_b32_e32 v22, v23
	v_ashrrev_i32_e32 v20, 31, v20
	s_wait_alu 0xf1ff
	v_xor_b32_e32 v19, s8, v19
	v_cmp_gt_i32_e64 s8, 0, v23
	v_and_b32_e32 v17, v17, v18
	v_not_b32_e32 v18, v34
	v_ashrrev_i32_e32 v22, 31, v22
	s_wait_alu 0xfffd
	v_xor_b32_e32 v20, vcc_lo, v20
	v_cmp_gt_i32_e32 vcc_lo, 0, v34
	v_and_b32_e32 v17, v17, v19
	v_not_b32_e32 v19, v21
	v_ashrrev_i32_e32 v18, 31, v18
	s_wait_alu 0xf1ff
	v_xor_b32_e32 v22, s8, v22
	v_lshlrev_b32_e32 v16, 4, v16
	v_and_b32_e32 v17, v17, v20
	v_cmp_gt_i32_e64 s8, 0, v21
	v_ashrrev_i32_e32 v19, 31, v19
	s_wait_alu 0xfffd
	v_xor_b32_e32 v18, vcc_lo, v18
	v_add_nc_u32_e32 v80, v24, v16
	v_and_b32_e32 v17, v17, v22
	s_wait_alu 0xf1ff
	v_xor_b32_e32 v16, s8, v19
	ds_load_b32 v78, v80 offset:16
	v_and_b32_e32 v17, v17, v18
	; wave barrier
	s_delay_alu instid0(VALU_DEP_1) | instskip(NEXT) | instid1(VALU_DEP_1)
	v_and_b32_e32 v16, v17, v16
	v_mbcnt_lo_u32_b32 v79, v16, 0
	v_cmp_ne_u32_e64 s8, 0, v16
	s_delay_alu instid0(VALU_DEP_2)
	v_cmp_eq_u32_e32 vcc_lo, 0, v79
	s_and_b32 s10, s8, vcc_lo
	s_wait_alu 0xfffe
	s_and_saveexec_b32 s8, s10
	s_cbranch_execz .LBB242_95
; %bb.94:
	s_wait_dscnt 0x0
	v_bcnt_u32_b32 v16, v16, v78
	ds_store_b32 v80, v16 offset:16
.LBB242_95:
	s_wait_alu 0xfffe
	s_or_b32 exec_lo, exec_lo, s8
	v_cmp_ne_u16_e32 vcc_lo, 0x8000, v32
	; wave barrier
	s_wait_alu 0xfffd
	v_cndmask_b32_e32 v16, 0x7fff, v32, vcc_lo
	s_delay_alu instid0(VALU_DEP_1) | instskip(NEXT) | instid1(VALU_DEP_1)
	v_and_b32_e32 v16, 0xffff, v16
	v_and_b32_e32 v16, s9, v16
	s_delay_alu instid0(VALU_DEP_1)
	v_and_b32_e32 v17, 1, v16
	v_lshlrev_b32_e32 v18, 30, v16
	v_lshlrev_b32_e32 v19, 29, v16
	;; [unrolled: 1-line block ×4, first 2 shown]
	v_add_co_u32 v17, s8, v17, -1
	s_wait_alu 0xf1ff
	v_cndmask_b32_e64 v21, 0, 1, s8
	v_not_b32_e32 v35, v18
	v_cmp_gt_i32_e64 s8, 0, v18
	v_not_b32_e32 v18, v19
	v_lshlrev_b32_e32 v23, 26, v16
	v_cmp_ne_u32_e32 vcc_lo, 0, v21
	v_ashrrev_i32_e32 v35, 31, v35
	v_lshlrev_b32_e32 v34, 25, v16
	v_ashrrev_i32_e32 v18, 31, v18
	v_lshlrev_b32_e32 v21, 24, v16
	s_wait_alu 0xfffd
	v_xor_b32_e32 v17, vcc_lo, v17
	v_cmp_gt_i32_e32 vcc_lo, 0, v19
	v_not_b32_e32 v19, v20
	s_wait_alu 0xf1ff
	v_xor_b32_e32 v35, s8, v35
	v_cmp_gt_i32_e64 s8, 0, v20
	v_and_b32_e32 v17, exec_lo, v17
	v_not_b32_e32 v20, v22
	v_ashrrev_i32_e32 v19, 31, v19
	s_wait_alu 0xfffd
	v_xor_b32_e32 v18, vcc_lo, v18
	v_cmp_gt_i32_e32 vcc_lo, 0, v22
	v_and_b32_e32 v17, v17, v35
	v_not_b32_e32 v22, v23
	v_ashrrev_i32_e32 v20, 31, v20
	s_wait_alu 0xf1ff
	v_xor_b32_e32 v19, s8, v19
	v_cmp_gt_i32_e64 s8, 0, v23
	v_and_b32_e32 v17, v17, v18
	v_not_b32_e32 v18, v34
	v_ashrrev_i32_e32 v22, 31, v22
	s_wait_alu 0xfffd
	v_xor_b32_e32 v20, vcc_lo, v20
	v_cmp_gt_i32_e32 vcc_lo, 0, v34
	v_and_b32_e32 v17, v17, v19
	v_not_b32_e32 v19, v21
	v_ashrrev_i32_e32 v18, 31, v18
	s_wait_alu 0xf1ff
	v_xor_b32_e32 v22, s8, v22
	v_lshlrev_b32_e32 v16, 4, v16
	v_and_b32_e32 v17, v17, v20
	v_cmp_gt_i32_e64 s8, 0, v21
	v_ashrrev_i32_e32 v19, 31, v19
	s_wait_alu 0xfffd
	v_xor_b32_e32 v18, vcc_lo, v18
	v_add_nc_u32_e32 v83, v24, v16
	v_and_b32_e32 v17, v17, v22
	s_wait_alu 0xf1ff
	v_xor_b32_e32 v16, s8, v19
	ds_load_b32 v81, v83 offset:16
	v_and_b32_e32 v17, v17, v18
	; wave barrier
	s_delay_alu instid0(VALU_DEP_1) | instskip(NEXT) | instid1(VALU_DEP_1)
	v_and_b32_e32 v16, v17, v16
	v_mbcnt_lo_u32_b32 v82, v16, 0
	v_cmp_ne_u32_e64 s8, 0, v16
	s_delay_alu instid0(VALU_DEP_2)
	v_cmp_eq_u32_e32 vcc_lo, 0, v82
	s_and_b32 s10, s8, vcc_lo
	s_wait_alu 0xfffe
	s_and_saveexec_b32 s8, s10
	s_cbranch_execz .LBB242_97
; %bb.96:
	s_wait_dscnt 0x0
	v_bcnt_u32_b32 v16, v16, v81
	ds_store_b32 v83, v16 offset:16
.LBB242_97:
	s_wait_alu 0xfffe
	s_or_b32 exec_lo, exec_lo, s8
	v_cmp_ne_u16_e32 vcc_lo, 0x8000, v33
	; wave barrier
	s_wait_alu 0xfffd
	v_cndmask_b32_e32 v16, 0x7fff, v33, vcc_lo
	s_delay_alu instid0(VALU_DEP_1) | instskip(NEXT) | instid1(VALU_DEP_1)
	v_and_b32_e32 v16, 0xffff, v16
	v_and_b32_e32 v16, s9, v16
	s_delay_alu instid0(VALU_DEP_1)
	v_and_b32_e32 v17, 1, v16
	v_lshlrev_b32_e32 v18, 30, v16
	v_lshlrev_b32_e32 v19, 29, v16
	;; [unrolled: 1-line block ×4, first 2 shown]
	v_add_co_u32 v17, s8, v17, -1
	s_wait_alu 0xf1ff
	v_cndmask_b32_e64 v21, 0, 1, s8
	v_not_b32_e32 v35, v18
	v_cmp_gt_i32_e64 s8, 0, v18
	v_not_b32_e32 v18, v19
	v_lshlrev_b32_e32 v23, 26, v16
	v_cmp_ne_u32_e32 vcc_lo, 0, v21
	v_ashrrev_i32_e32 v35, 31, v35
	v_lshlrev_b32_e32 v34, 25, v16
	v_ashrrev_i32_e32 v18, 31, v18
	v_lshlrev_b32_e32 v21, 24, v16
	s_wait_alu 0xfffd
	v_xor_b32_e32 v17, vcc_lo, v17
	v_cmp_gt_i32_e32 vcc_lo, 0, v19
	v_not_b32_e32 v19, v20
	s_wait_alu 0xf1ff
	v_xor_b32_e32 v35, s8, v35
	v_cmp_gt_i32_e64 s8, 0, v20
	v_and_b32_e32 v17, exec_lo, v17
	v_not_b32_e32 v20, v22
	v_ashrrev_i32_e32 v19, 31, v19
	s_wait_alu 0xfffd
	v_xor_b32_e32 v18, vcc_lo, v18
	v_cmp_gt_i32_e32 vcc_lo, 0, v22
	v_and_b32_e32 v17, v17, v35
	v_not_b32_e32 v22, v23
	v_ashrrev_i32_e32 v20, 31, v20
	s_wait_alu 0xf1ff
	v_xor_b32_e32 v19, s8, v19
	v_cmp_gt_i32_e64 s8, 0, v23
	v_and_b32_e32 v17, v17, v18
	v_not_b32_e32 v18, v34
	v_ashrrev_i32_e32 v22, 31, v22
	s_wait_alu 0xfffd
	v_xor_b32_e32 v20, vcc_lo, v20
	v_cmp_gt_i32_e32 vcc_lo, 0, v34
	v_and_b32_e32 v17, v17, v19
	v_not_b32_e32 v19, v21
	v_ashrrev_i32_e32 v18, 31, v18
	s_wait_alu 0xf1ff
	v_xor_b32_e32 v22, s8, v22
	v_lshlrev_b32_e32 v16, 4, v16
	v_and_b32_e32 v17, v17, v20
	v_cmp_gt_i32_e64 s8, 0, v21
	v_ashrrev_i32_e32 v19, 31, v19
	s_wait_alu 0xfffd
	v_xor_b32_e32 v18, vcc_lo, v18
	v_add_nc_u32_e32 v86, v24, v16
	v_and_b32_e32 v17, v17, v22
	v_min_u32_e32 v34, 0x60, v70
	s_wait_alu 0xf1ff
	v_xor_b32_e32 v16, s8, v19
	ds_load_b32 v84, v86 offset:16
	v_and_b32_e32 v17, v17, v18
	; wave barrier
	s_delay_alu instid0(VALU_DEP_1) | instskip(NEXT) | instid1(VALU_DEP_1)
	v_and_b32_e32 v16, v17, v16
	v_mbcnt_lo_u32_b32 v85, v16, 0
	v_cmp_ne_u32_e64 s8, 0, v16
	s_delay_alu instid0(VALU_DEP_2)
	v_cmp_eq_u32_e32 vcc_lo, 0, v85
	s_and_b32 s9, s8, vcc_lo
	s_wait_alu 0xfffe
	s_and_saveexec_b32 s8, s9
	s_cbranch_execz .LBB242_99
; %bb.98:
	s_wait_dscnt 0x0
	v_bcnt_u32_b32 v16, v16, v84
	ds_store_b32 v86, v16 offset:16
.LBB242_99:
	s_wait_alu 0xfffe
	s_or_b32 exec_lo, exec_lo, s8
	; wave barrier
	s_wait_loadcnt_dscnt 0x0
	s_barrier_signal -1
	s_barrier_wait -1
	global_inv scope:SCOPE_SE
	ds_load_b128 v[20:23], v67 offset:16
	ds_load_b128 v[16:19], v67 offset:32
	v_and_b32_e32 v70, 16, v69
	v_or_b32_e32 v34, 31, v34
	s_delay_alu instid0(VALU_DEP_2) | instskip(NEXT) | instid1(VALU_DEP_2)
	v_cmp_eq_u32_e64 s16, 0, v70
	v_cmp_eq_u32_e64 s14, v46, v34
	v_lshlrev_b32_e32 v34, 2, v68
	s_wait_dscnt 0x1
	v_add_nc_u32_e32 v35, v21, v20
	s_delay_alu instid0(VALU_DEP_1) | instskip(SKIP_1) | instid1(VALU_DEP_1)
	v_add3_u32 v35, v35, v22, v23
	s_wait_dscnt 0x0
	v_add3_u32 v35, v35, v16, v17
	s_delay_alu instid0(VALU_DEP_1) | instskip(SKIP_1) | instid1(VALU_DEP_2)
	v_add3_u32 v19, v35, v18, v19
	v_and_b32_e32 v35, 15, v69
	v_mov_b32_dpp v37, v19 row_shr:1 row_mask:0xf bank_mask:0xf
	s_delay_alu instid0(VALU_DEP_2)
	v_cmp_eq_u32_e64 s8, 0, v35
	v_cmp_lt_u32_e64 s10, 1, v35
	v_cmp_lt_u32_e64 s11, 3, v35
	;; [unrolled: 1-line block ×3, first 2 shown]
	s_wait_alu 0xf1ff
	v_cndmask_b32_e64 v37, v37, 0, s8
	s_delay_alu instid0(VALU_DEP_1) | instskip(NEXT) | instid1(VALU_DEP_1)
	v_add_nc_u32_e32 v19, v37, v19
	v_mov_b32_dpp v37, v19 row_shr:2 row_mask:0xf bank_mask:0xf
	s_delay_alu instid0(VALU_DEP_1) | instskip(NEXT) | instid1(VALU_DEP_1)
	v_cndmask_b32_e64 v37, 0, v37, s10
	v_add_nc_u32_e32 v19, v19, v37
	s_delay_alu instid0(VALU_DEP_1) | instskip(NEXT) | instid1(VALU_DEP_1)
	v_mov_b32_dpp v37, v19 row_shr:4 row_mask:0xf bank_mask:0xf
	v_cndmask_b32_e64 v37, 0, v37, s11
	s_delay_alu instid0(VALU_DEP_1) | instskip(NEXT) | instid1(VALU_DEP_1)
	v_add_nc_u32_e32 v19, v19, v37
	v_mov_b32_dpp v37, v19 row_shr:8 row_mask:0xf bank_mask:0xf
	s_delay_alu instid0(VALU_DEP_1) | instskip(SKIP_1) | instid1(VALU_DEP_2)
	v_cndmask_b32_e64 v35, 0, v37, s13
	v_bfe_i32 v37, v69, 4, 1
	v_add_nc_u32_e32 v35, v19, v35
	ds_swizzle_b32 v19, v35 offset:swizzle(BROADCAST,32,15)
	s_wait_dscnt 0x0
	v_and_b32_e32 v37, v37, v19
	v_mul_i32_i24_e32 v19, 0xffffffe4, v46
	s_delay_alu instid0(VALU_DEP_2)
	v_add_nc_u32_e32 v37, v35, v37
	s_and_saveexec_b32 s9, s14
; %bb.100:
	ds_store_b32 v34, v37
; %bb.101:
	s_wait_alu 0xfffe
	s_or_b32 exec_lo, exec_lo, s9
	v_and_b32_e32 v35, 3, v69
	v_cmp_gt_u32_e64 s15, 4, v46
	s_wait_loadcnt_dscnt 0x0
	s_barrier_signal -1
	s_barrier_wait -1
	v_cmp_eq_u32_e64 s12, 0, v35
	v_cmp_lt_u32_e64 s9, 1, v35
	v_add_nc_u32_e32 v35, v67, v19
	global_inv scope:SCOPE_SE
	s_and_saveexec_b32 s17, s15
	s_cbranch_execz .LBB242_103
; %bb.102:
	ds_load_b32 v19, v35
	s_wait_dscnt 0x0
	v_mov_b32_dpp v68, v19 row_shr:1 row_mask:0xf bank_mask:0xf
	s_delay_alu instid0(VALU_DEP_1) | instskip(NEXT) | instid1(VALU_DEP_1)
	v_cndmask_b32_e64 v68, v68, 0, s12
	v_add_nc_u32_e32 v19, v68, v19
	s_delay_alu instid0(VALU_DEP_1) | instskip(NEXT) | instid1(VALU_DEP_1)
	v_mov_b32_dpp v68, v19 row_shr:2 row_mask:0xf bank_mask:0xf
	v_cndmask_b32_e64 v68, 0, v68, s9
	s_delay_alu instid0(VALU_DEP_1)
	v_add_nc_u32_e32 v19, v19, v68
	ds_store_b32 v35, v19
.LBB242_103:
	s_or_b32 exec_lo, exec_lo, s17
	v_mul_u32_u24_e32 v19, 6, v36
	v_sub_co_u32 v68, vcc_lo, v69, 1
	v_cmp_lt_u32_e64 s17, 31, v46
	v_add_nc_u32_e32 v36, -4, v34
	v_mov_b32_e32 v70, 0
	s_wait_loadcnt_dscnt 0x0
	s_barrier_signal -1
	s_barrier_wait -1
	global_inv scope:SCOPE_SE
	s_and_saveexec_b32 s18, s17
; %bb.104:
	ds_load_b32 v70, v36
; %bb.105:
	s_or_b32 exec_lo, exec_lo, s18
	v_cmp_gt_i32_e64 s18, 0, v68
	s_mov_b32 s24, 0
	s_min_u32 s19, s19, 8
	s_mov_b32 s25, s24
	s_mov_b32 s26, s24
	v_cndmask_b32_e64 v68, v68, v69, s18
	s_wait_dscnt 0x0
	v_add_nc_u32_e32 v69, v70, v37
	s_mov_b32 s27, s24
	v_cmp_eq_u32_e64 s18, 0, v46
	s_lshl_b32 s19, -1, s19
	v_lshlrev_b32_e32 v37, 2, v68
	s_wait_alu 0xfffe
	s_not_b32 s21, s19
	ds_bpermute_b32 v68, v37, v69
	s_wait_dscnt 0x0
	s_wait_alu 0xfffd
	v_cndmask_b32_e32 v68, v68, v70, vcc_lo
	s_delay_alu instid0(VALU_DEP_1) | instskip(NEXT) | instid1(VALU_DEP_1)
	v_cndmask_b32_e64 v87, v68, 0, s18
	v_add_nc_u32_e32 v88, v87, v20
	s_delay_alu instid0(VALU_DEP_1) | instskip(NEXT) | instid1(VALU_DEP_1)
	v_add_nc_u32_e32 v89, v88, v21
	v_add_nc_u32_e32 v90, v89, v22
	s_delay_alu instid0(VALU_DEP_1) | instskip(NEXT) | instid1(VALU_DEP_1)
	v_add_nc_u32_e32 v20, v90, v23
	;; [unrolled: 3-line block ×3, first 2 shown]
	v_add_nc_u32_e32 v23, v22, v18
	ds_store_b128 v67, v[87:90] offset:16
	ds_store_b128 v67, v[20:23] offset:32
	s_wait_loadcnt_dscnt 0x0
	s_barrier_signal -1
	s_barrier_wait -1
	global_inv scope:SCOPE_SE
	ds_load_b32 v16, v39 offset:16
	ds_load_b32 v17, v48 offset:16
	;; [unrolled: 1-line block ×8, first 2 shown]
	v_add_nc_u32_e32 v48, v25, v19
	s_wait_loadcnt_dscnt 0x0
	s_barrier_signal -1
	s_barrier_wait -1
	global_inv scope:SCOPE_SE
	v_add_nc_u32_e32 v38, v16, v38
	v_add3_u32 v40, v47, v40, v17
	v_add3_u32 v47, v50, v49, v18
	;; [unrolled: 1-line block ×7, first 2 shown]
	v_lshlrev_b32_e32 v16, 1, v38
	v_lshlrev_b32_e32 v17, 1, v40
	v_lshlrev_b32_e32 v18, 1, v47
	v_lshlrev_b32_e32 v19, 1, v49
	v_lshlrev_b32_e32 v20, 1, v50
	v_lshlrev_b32_e32 v21, 1, v68
	v_lshlrev_b32_e32 v22, 1, v69
	v_lshlrev_b32_e32 v23, 1, v70
	ds_store_b16 v16, v26
	ds_store_b16 v17, v27
	;; [unrolled: 1-line block ×8, first 2 shown]
	s_wait_loadcnt_dscnt 0x0
	s_barrier_signal -1
	s_barrier_wait -1
	global_inv scope:SCOPE_SE
	ds_load_u16 v26, v25
	ds_load_u16 v27, v25 offset:64
	ds_load_u16 v28, v25 offset:128
	;; [unrolled: 1-line block ×7, first 2 shown]
	v_mad_co_u64_u32 v[38:39], null, v38, 6, v[16:17]
	v_mad_co_u64_u32 v[16:17], null, v40, 6, v[17:18]
	;; [unrolled: 1-line block ×3, first 2 shown]
	s_wait_loadcnt_dscnt 0x0
	s_barrier_signal -1
	s_barrier_wait -1
	global_inv scope:SCOPE_SE
	v_mad_co_u64_u32 v[18:19], null, v49, 6, v[19:20]
	v_lshrrev_b16 v33, 8, v26
	v_cmp_ne_u16_e64 s19, 0x8000, v26
	ds_store_b64 v38, v[8:9]
	v_mad_co_u64_u32 v[19:20], null, v50, 6, v[20:21]
	v_mad_co_u64_u32 v[20:21], null, v68, 6, v[21:22]
	s_wait_alu 0xf1ff
	v_cndmask_b32_e64 v33, 0x7f, v33, s19
	v_mad_co_u64_u32 v[21:22], null, v69, 6, v[22:23]
	v_mad_co_u64_u32 v[22:23], null, v70, 6, v[23:24]
	s_delay_alu instid0(VALU_DEP_3)
	v_and_b32_e32 v8, 0xffff, v33
	ds_store_b64 v16, v[10:11]
	ds_store_b64 v17, v[0:1]
	;; [unrolled: 1-line block ×7, first 2 shown]
	s_wait_alu 0xfffe
	v_and_b32_e32 v23, s21, v8
	s_wait_loadcnt_dscnt 0x0
	s_barrier_signal -1
	s_barrier_wait -1
	global_inv scope:SCOPE_SE
	v_and_b32_e32 v0, 1, v23
	v_lshlrev_b32_e32 v1, 30, v23
	v_lshlrev_b32_e32 v2, 29, v23
	v_lshlrev_b32_e32 v3, 28, v23
	v_lshlrev_b32_e32 v5, 27, v23
	v_add_co_u32 v0, s19, v0, -1
	s_wait_alu 0xf1ff
	v_cndmask_b32_e64 v4, 0, 1, s19
	v_not_b32_e32 v8, v1
	v_cmp_gt_i32_e64 s20, 0, v1
	v_not_b32_e32 v1, v2
	v_lshlrev_b32_e32 v6, 26, v23
	v_cmp_ne_u32_e64 s19, 0, v4
	v_ashrrev_i32_e32 v8, 31, v8
	v_lshlrev_b32_e32 v7, 25, v23
	v_ashrrev_i32_e32 v1, 31, v1
	v_lshlrev_b32_e32 v4, 24, v23
	s_wait_alu 0xf1ff
	v_xor_b32_e32 v0, s19, v0
	v_cmp_gt_i32_e64 s19, 0, v2
	v_not_b32_e32 v2, v3
	v_xor_b32_e32 v8, s20, v8
	v_cmp_gt_i32_e64 s20, 0, v3
	v_and_b32_e32 v0, exec_lo, v0
	v_not_b32_e32 v3, v5
	v_ashrrev_i32_e32 v2, 31, v2
	s_wait_alu 0xf1ff
	v_xor_b32_e32 v1, s19, v1
	v_cmp_gt_i32_e64 s19, 0, v5
	v_and_b32_e32 v0, v0, v8
	v_not_b32_e32 v5, v6
	v_ashrrev_i32_e32 v3, 31, v3
	v_xor_b32_e32 v2, s20, v2
	v_cmp_gt_i32_e64 s20, 0, v6
	v_and_b32_e32 v0, v0, v1
	v_not_b32_e32 v1, v7
	v_ashrrev_i32_e32 v5, 31, v5
	s_wait_alu 0xf1ff
	v_xor_b32_e32 v3, s19, v3
	v_cmp_gt_i32_e64 s19, 0, v7
	v_and_b32_e32 v0, v0, v2
	v_not_b32_e32 v2, v4
	v_ashrrev_i32_e32 v1, 31, v1
	v_xor_b32_e32 v5, s20, v5
	v_cmp_gt_i32_e64 s20, 0, v4
	v_and_b32_e32 v0, v0, v3
	v_ashrrev_i32_e32 v2, 31, v2
	s_wait_alu 0xf1ff
	v_xor_b32_e32 v1, s19, v1
	v_dual_mov_b32 v17, s24 :: v_dual_mov_b32 v18, s25
	v_and_b32_e32 v0, v0, v5
	v_xor_b32_e32 v16, s20, v2
	ds_load_2addr_b64 v[4:7], v48 offset1:32
	v_dual_mov_b32 v19, s26 :: v_dual_mov_b32 v20, s27
	v_and_b32_e32 v21, v0, v1
	ds_load_2addr_b64 v[12:15], v48 offset0:64 offset1:96
	ds_load_2addr_b64 v[8:11], v48 offset0:128 offset1:160
	;; [unrolled: 1-line block ×3, first 2 shown]
	v_lshl_add_u32 v38, v23, 4, v24
	s_wait_loadcnt_dscnt 0x0
	s_barrier_signal -1
	v_and_b32_e32 v16, v21, v16
	s_barrier_wait -1
	global_inv scope:SCOPE_SE
	ds_store_b128 v67, v[17:20] offset:16
	ds_store_b128 v67, v[17:20] offset:32
	s_wait_loadcnt_dscnt 0x0
	v_mbcnt_lo_u32_b32 v33, v16, 0
	v_cmp_ne_u32_e64 s20, 0, v16
	s_barrier_signal -1
	s_barrier_wait -1
	global_inv scope:SCOPE_SE
	v_cmp_eq_u32_e64 s19, 0, v33
	; wave barrier
	s_and_b32 s20, s20, s19
	s_wait_alu 0xfffe
	s_and_saveexec_b32 s19, s20
; %bb.106:
	v_bcnt_u32_b32 v16, v16, 0
	ds_store_b32 v38, v16 offset:16
; %bb.107:
	s_wait_alu 0xfffe
	s_or_b32 exec_lo, exec_lo, s19
	v_lshrrev_b16 v16, 8, v27
	v_cmp_ne_u16_e64 s19, 0x8000, v27
	; wave barrier
	s_wait_alu 0xf1ff
	s_delay_alu instid0(VALU_DEP_1) | instskip(NEXT) | instid1(VALU_DEP_1)
	v_cndmask_b32_e64 v16, 0x7f, v16, s19
	v_and_b32_e32 v16, s21, v16
	s_delay_alu instid0(VALU_DEP_1)
	v_and_b32_e32 v17, 1, v16
	v_lshlrev_b32_e32 v18, 30, v16
	v_lshlrev_b32_e32 v19, 29, v16
	;; [unrolled: 1-line block ×4, first 2 shown]
	v_add_co_u32 v17, s19, v17, -1
	s_wait_alu 0xf1ff
	v_cndmask_b32_e64 v21, 0, 1, s19
	v_not_b32_e32 v40, v18
	v_cmp_gt_i32_e64 s20, 0, v18
	v_not_b32_e32 v18, v19
	v_lshlrev_b32_e32 v23, 26, v16
	v_cmp_ne_u32_e64 s19, 0, v21
	v_ashrrev_i32_e32 v40, 31, v40
	v_lshlrev_b32_e32 v39, 25, v16
	v_ashrrev_i32_e32 v18, 31, v18
	v_lshlrev_b32_e32 v21, 24, v16
	s_wait_alu 0xf1ff
	v_xor_b32_e32 v17, s19, v17
	v_cmp_gt_i32_e64 s19, 0, v19
	v_not_b32_e32 v19, v20
	v_xor_b32_e32 v40, s20, v40
	v_cmp_gt_i32_e64 s20, 0, v20
	v_and_b32_e32 v17, exec_lo, v17
	v_not_b32_e32 v20, v22
	v_ashrrev_i32_e32 v19, 31, v19
	s_wait_alu 0xf1ff
	v_xor_b32_e32 v18, s19, v18
	v_cmp_gt_i32_e64 s19, 0, v22
	v_and_b32_e32 v17, v17, v40
	v_not_b32_e32 v22, v23
	v_ashrrev_i32_e32 v20, 31, v20
	v_xor_b32_e32 v19, s20, v19
	v_cmp_gt_i32_e64 s20, 0, v23
	v_and_b32_e32 v17, v17, v18
	v_not_b32_e32 v18, v39
	v_ashrrev_i32_e32 v22, 31, v22
	s_wait_alu 0xf1ff
	v_xor_b32_e32 v20, s19, v20
	v_cmp_gt_i32_e64 s19, 0, v39
	v_and_b32_e32 v17, v17, v19
	v_not_b32_e32 v19, v21
	v_ashrrev_i32_e32 v18, 31, v18
	v_xor_b32_e32 v22, s20, v22
	v_cmp_gt_i32_e64 s20, 0, v21
	v_and_b32_e32 v17, v17, v20
	v_ashrrev_i32_e32 v19, 31, v19
	s_wait_alu 0xf1ff
	v_xor_b32_e32 v18, s19, v18
	v_lshl_add_u32 v47, v16, 4, v24
	v_and_b32_e32 v17, v17, v22
	v_xor_b32_e32 v16, s20, v19
	ds_load_b32 v39, v47 offset:16
	v_and_b32_e32 v17, v17, v18
	; wave barrier
	s_delay_alu instid0(VALU_DEP_1) | instskip(NEXT) | instid1(VALU_DEP_1)
	v_and_b32_e32 v16, v17, v16
	v_mbcnt_lo_u32_b32 v40, v16, 0
	v_cmp_ne_u32_e64 s20, 0, v16
	s_delay_alu instid0(VALU_DEP_2)
	v_cmp_eq_u32_e64 s19, 0, v40
	s_and_b32 s20, s20, s19
	s_wait_alu 0xfffe
	s_and_saveexec_b32 s19, s20
	s_cbranch_execz .LBB242_109
; %bb.108:
	s_wait_dscnt 0x0
	v_bcnt_u32_b32 v16, v16, v39
	ds_store_b32 v47, v16 offset:16
.LBB242_109:
	s_wait_alu 0xfffe
	s_or_b32 exec_lo, exec_lo, s19
	v_lshrrev_b16 v16, 8, v28
	v_cmp_ne_u16_e64 s19, 0x8000, v28
	; wave barrier
	s_wait_alu 0xf1ff
	s_delay_alu instid0(VALU_DEP_1) | instskip(NEXT) | instid1(VALU_DEP_1)
	v_cndmask_b32_e64 v16, 0x7f, v16, s19
	v_and_b32_e32 v16, s21, v16
	s_delay_alu instid0(VALU_DEP_1)
	v_and_b32_e32 v17, 1, v16
	v_lshlrev_b32_e32 v18, 30, v16
	v_lshlrev_b32_e32 v19, 29, v16
	;; [unrolled: 1-line block ×4, first 2 shown]
	v_add_co_u32 v17, s19, v17, -1
	s_wait_alu 0xf1ff
	v_cndmask_b32_e64 v21, 0, 1, s19
	v_not_b32_e32 v49, v18
	v_cmp_gt_i32_e64 s20, 0, v18
	v_not_b32_e32 v18, v19
	v_lshlrev_b32_e32 v23, 26, v16
	v_cmp_ne_u32_e64 s19, 0, v21
	v_ashrrev_i32_e32 v49, 31, v49
	v_lshlrev_b32_e32 v48, 25, v16
	v_ashrrev_i32_e32 v18, 31, v18
	v_lshlrev_b32_e32 v21, 24, v16
	s_wait_alu 0xf1ff
	v_xor_b32_e32 v17, s19, v17
	v_cmp_gt_i32_e64 s19, 0, v19
	v_not_b32_e32 v19, v20
	v_xor_b32_e32 v49, s20, v49
	v_cmp_gt_i32_e64 s20, 0, v20
	v_and_b32_e32 v17, exec_lo, v17
	v_not_b32_e32 v20, v22
	v_ashrrev_i32_e32 v19, 31, v19
	s_wait_alu 0xf1ff
	v_xor_b32_e32 v18, s19, v18
	v_cmp_gt_i32_e64 s19, 0, v22
	v_and_b32_e32 v17, v17, v49
	v_not_b32_e32 v22, v23
	v_ashrrev_i32_e32 v20, 31, v20
	v_xor_b32_e32 v19, s20, v19
	v_cmp_gt_i32_e64 s20, 0, v23
	v_and_b32_e32 v17, v17, v18
	v_not_b32_e32 v18, v48
	v_ashrrev_i32_e32 v22, 31, v22
	s_wait_alu 0xf1ff
	v_xor_b32_e32 v20, s19, v20
	v_cmp_gt_i32_e64 s19, 0, v48
	v_and_b32_e32 v17, v17, v19
	v_not_b32_e32 v19, v21
	v_ashrrev_i32_e32 v18, 31, v18
	v_xor_b32_e32 v22, s20, v22
	v_cmp_gt_i32_e64 s20, 0, v21
	v_and_b32_e32 v17, v17, v20
	v_ashrrev_i32_e32 v19, 31, v19
	s_wait_alu 0xf1ff
	v_xor_b32_e32 v18, s19, v18
	v_lshl_add_u32 v50, v16, 4, v24
	v_and_b32_e32 v17, v17, v22
	v_xor_b32_e32 v16, s20, v19
	ds_load_b32 v48, v50 offset:16
	v_and_b32_e32 v17, v17, v18
	; wave barrier
	s_delay_alu instid0(VALU_DEP_1) | instskip(NEXT) | instid1(VALU_DEP_1)
	v_and_b32_e32 v16, v17, v16
	v_mbcnt_lo_u32_b32 v49, v16, 0
	v_cmp_ne_u32_e64 s20, 0, v16
	s_delay_alu instid0(VALU_DEP_2)
	v_cmp_eq_u32_e64 s19, 0, v49
	s_and_b32 s20, s20, s19
	s_wait_alu 0xfffe
	s_and_saveexec_b32 s19, s20
	s_cbranch_execz .LBB242_111
; %bb.110:
	s_wait_dscnt 0x0
	v_bcnt_u32_b32 v16, v16, v48
	ds_store_b32 v50, v16 offset:16
.LBB242_111:
	s_wait_alu 0xfffe
	s_or_b32 exec_lo, exec_lo, s19
	v_lshrrev_b16 v16, 8, v29
	v_cmp_ne_u16_e64 s19, 0x8000, v29
	; wave barrier
	s_wait_alu 0xf1ff
	s_delay_alu instid0(VALU_DEP_1) | instskip(NEXT) | instid1(VALU_DEP_1)
	v_cndmask_b32_e64 v16, 0x7f, v16, s19
	v_and_b32_e32 v16, s21, v16
	s_delay_alu instid0(VALU_DEP_1)
	v_and_b32_e32 v17, 1, v16
	v_lshlrev_b32_e32 v18, 30, v16
	v_lshlrev_b32_e32 v19, 29, v16
	;; [unrolled: 1-line block ×4, first 2 shown]
	v_add_co_u32 v17, s19, v17, -1
	s_wait_alu 0xf1ff
	v_cndmask_b32_e64 v21, 0, 1, s19
	v_not_b32_e32 v69, v18
	v_cmp_gt_i32_e64 s20, 0, v18
	v_not_b32_e32 v18, v19
	v_lshlrev_b32_e32 v23, 26, v16
	v_cmp_ne_u32_e64 s19, 0, v21
	v_ashrrev_i32_e32 v69, 31, v69
	v_lshlrev_b32_e32 v68, 25, v16
	v_ashrrev_i32_e32 v18, 31, v18
	v_lshlrev_b32_e32 v21, 24, v16
	s_wait_alu 0xf1ff
	v_xor_b32_e32 v17, s19, v17
	v_cmp_gt_i32_e64 s19, 0, v19
	v_not_b32_e32 v19, v20
	v_xor_b32_e32 v69, s20, v69
	v_cmp_gt_i32_e64 s20, 0, v20
	v_and_b32_e32 v17, exec_lo, v17
	v_not_b32_e32 v20, v22
	v_ashrrev_i32_e32 v19, 31, v19
	s_wait_alu 0xf1ff
	v_xor_b32_e32 v18, s19, v18
	v_cmp_gt_i32_e64 s19, 0, v22
	v_and_b32_e32 v17, v17, v69
	v_not_b32_e32 v22, v23
	v_ashrrev_i32_e32 v20, 31, v20
	v_xor_b32_e32 v19, s20, v19
	v_cmp_gt_i32_e64 s20, 0, v23
	v_and_b32_e32 v17, v17, v18
	v_not_b32_e32 v18, v68
	v_ashrrev_i32_e32 v22, 31, v22
	s_wait_alu 0xf1ff
	v_xor_b32_e32 v20, s19, v20
	v_cmp_gt_i32_e64 s19, 0, v68
	v_and_b32_e32 v17, v17, v19
	v_not_b32_e32 v19, v21
	v_ashrrev_i32_e32 v18, 31, v18
	v_xor_b32_e32 v22, s20, v22
	v_cmp_gt_i32_e64 s20, 0, v21
	v_and_b32_e32 v17, v17, v20
	v_ashrrev_i32_e32 v19, 31, v19
	s_wait_alu 0xf1ff
	v_xor_b32_e32 v18, s19, v18
	v_lshl_add_u32 v70, v16, 4, v24
	v_and_b32_e32 v17, v17, v22
	v_xor_b32_e32 v16, s20, v19
	ds_load_b32 v68, v70 offset:16
	v_and_b32_e32 v17, v17, v18
	; wave barrier
	s_delay_alu instid0(VALU_DEP_1) | instskip(NEXT) | instid1(VALU_DEP_1)
	v_and_b32_e32 v16, v17, v16
	v_mbcnt_lo_u32_b32 v69, v16, 0
	v_cmp_ne_u32_e64 s20, 0, v16
	s_delay_alu instid0(VALU_DEP_2)
	v_cmp_eq_u32_e64 s19, 0, v69
	s_and_b32 s20, s20, s19
	s_wait_alu 0xfffe
	s_and_saveexec_b32 s19, s20
	s_cbranch_execz .LBB242_113
; %bb.112:
	s_wait_dscnt 0x0
	v_bcnt_u32_b32 v16, v16, v68
	ds_store_b32 v70, v16 offset:16
.LBB242_113:
	s_wait_alu 0xfffe
	s_or_b32 exec_lo, exec_lo, s19
	v_lshrrev_b16 v16, 8, v30
	v_cmp_ne_u16_e64 s19, 0x8000, v30
	; wave barrier
	s_wait_alu 0xf1ff
	s_delay_alu instid0(VALU_DEP_1) | instskip(NEXT) | instid1(VALU_DEP_1)
	v_cndmask_b32_e64 v16, 0x7f, v16, s19
	v_and_b32_e32 v16, s21, v16
	s_delay_alu instid0(VALU_DEP_1)
	v_and_b32_e32 v17, 1, v16
	v_lshlrev_b32_e32 v18, 30, v16
	v_lshlrev_b32_e32 v19, 29, v16
	v_lshlrev_b32_e32 v20, 28, v16
	v_lshlrev_b32_e32 v22, 27, v16
	v_add_co_u32 v17, s19, v17, -1
	s_wait_alu 0xf1ff
	v_cndmask_b32_e64 v21, 0, 1, s19
	v_not_b32_e32 v72, v18
	v_cmp_gt_i32_e64 s20, 0, v18
	v_not_b32_e32 v18, v19
	v_lshlrev_b32_e32 v23, 26, v16
	v_cmp_ne_u32_e64 s19, 0, v21
	v_ashrrev_i32_e32 v72, 31, v72
	v_lshlrev_b32_e32 v71, 25, v16
	v_ashrrev_i32_e32 v18, 31, v18
	v_lshlrev_b32_e32 v21, 24, v16
	s_wait_alu 0xf1ff
	v_xor_b32_e32 v17, s19, v17
	v_cmp_gt_i32_e64 s19, 0, v19
	v_not_b32_e32 v19, v20
	v_xor_b32_e32 v72, s20, v72
	v_cmp_gt_i32_e64 s20, 0, v20
	v_and_b32_e32 v17, exec_lo, v17
	v_not_b32_e32 v20, v22
	v_ashrrev_i32_e32 v19, 31, v19
	s_wait_alu 0xf1ff
	v_xor_b32_e32 v18, s19, v18
	v_cmp_gt_i32_e64 s19, 0, v22
	v_and_b32_e32 v17, v17, v72
	v_not_b32_e32 v22, v23
	v_ashrrev_i32_e32 v20, 31, v20
	v_xor_b32_e32 v19, s20, v19
	v_cmp_gt_i32_e64 s20, 0, v23
	v_and_b32_e32 v17, v17, v18
	v_not_b32_e32 v18, v71
	v_ashrrev_i32_e32 v22, 31, v22
	s_wait_alu 0xf1ff
	v_xor_b32_e32 v20, s19, v20
	v_cmp_gt_i32_e64 s19, 0, v71
	v_and_b32_e32 v17, v17, v19
	v_not_b32_e32 v19, v21
	v_ashrrev_i32_e32 v18, 31, v18
	v_xor_b32_e32 v22, s20, v22
	v_cmp_gt_i32_e64 s20, 0, v21
	v_and_b32_e32 v17, v17, v20
	v_ashrrev_i32_e32 v19, 31, v19
	s_wait_alu 0xf1ff
	v_xor_b32_e32 v18, s19, v18
	v_lshl_add_u32 v73, v16, 4, v24
	v_and_b32_e32 v17, v17, v22
	v_xor_b32_e32 v16, s20, v19
	ds_load_b32 v71, v73 offset:16
	v_and_b32_e32 v17, v17, v18
	; wave barrier
	s_delay_alu instid0(VALU_DEP_1) | instskip(NEXT) | instid1(VALU_DEP_1)
	v_and_b32_e32 v16, v17, v16
	v_mbcnt_lo_u32_b32 v72, v16, 0
	v_cmp_ne_u32_e64 s20, 0, v16
	s_delay_alu instid0(VALU_DEP_2)
	v_cmp_eq_u32_e64 s19, 0, v72
	s_and_b32 s20, s20, s19
	s_wait_alu 0xfffe
	s_and_saveexec_b32 s19, s20
	s_cbranch_execz .LBB242_115
; %bb.114:
	s_wait_dscnt 0x0
	v_bcnt_u32_b32 v16, v16, v71
	ds_store_b32 v73, v16 offset:16
.LBB242_115:
	s_wait_alu 0xfffe
	s_or_b32 exec_lo, exec_lo, s19
	v_lshrrev_b16 v16, 8, v31
	v_cmp_ne_u16_e64 s19, 0x8000, v31
	; wave barrier
	s_wait_alu 0xf1ff
	s_delay_alu instid0(VALU_DEP_1) | instskip(NEXT) | instid1(VALU_DEP_1)
	v_cndmask_b32_e64 v16, 0x7f, v16, s19
	v_and_b32_e32 v16, s21, v16
	s_delay_alu instid0(VALU_DEP_1)
	v_and_b32_e32 v17, 1, v16
	v_lshlrev_b32_e32 v18, 30, v16
	v_lshlrev_b32_e32 v19, 29, v16
	;; [unrolled: 1-line block ×4, first 2 shown]
	v_add_co_u32 v17, s19, v17, -1
	s_wait_alu 0xf1ff
	v_cndmask_b32_e64 v21, 0, 1, s19
	v_not_b32_e32 v75, v18
	v_cmp_gt_i32_e64 s20, 0, v18
	v_not_b32_e32 v18, v19
	v_lshlrev_b32_e32 v23, 26, v16
	v_cmp_ne_u32_e64 s19, 0, v21
	v_ashrrev_i32_e32 v75, 31, v75
	v_lshlrev_b32_e32 v74, 25, v16
	v_ashrrev_i32_e32 v18, 31, v18
	v_lshlrev_b32_e32 v21, 24, v16
	s_wait_alu 0xf1ff
	v_xor_b32_e32 v17, s19, v17
	v_cmp_gt_i32_e64 s19, 0, v19
	v_not_b32_e32 v19, v20
	v_xor_b32_e32 v75, s20, v75
	v_cmp_gt_i32_e64 s20, 0, v20
	v_and_b32_e32 v17, exec_lo, v17
	v_not_b32_e32 v20, v22
	v_ashrrev_i32_e32 v19, 31, v19
	s_wait_alu 0xf1ff
	v_xor_b32_e32 v18, s19, v18
	v_cmp_gt_i32_e64 s19, 0, v22
	v_and_b32_e32 v17, v17, v75
	v_not_b32_e32 v22, v23
	v_ashrrev_i32_e32 v20, 31, v20
	v_xor_b32_e32 v19, s20, v19
	v_cmp_gt_i32_e64 s20, 0, v23
	v_and_b32_e32 v17, v17, v18
	v_not_b32_e32 v18, v74
	v_ashrrev_i32_e32 v22, 31, v22
	s_wait_alu 0xf1ff
	v_xor_b32_e32 v20, s19, v20
	v_cmp_gt_i32_e64 s19, 0, v74
	v_and_b32_e32 v17, v17, v19
	v_not_b32_e32 v19, v21
	v_ashrrev_i32_e32 v18, 31, v18
	v_xor_b32_e32 v22, s20, v22
	v_cmp_gt_i32_e64 s20, 0, v21
	v_and_b32_e32 v17, v17, v20
	v_ashrrev_i32_e32 v19, 31, v19
	s_wait_alu 0xf1ff
	v_xor_b32_e32 v18, s19, v18
	v_lshl_add_u32 v76, v16, 4, v24
	v_and_b32_e32 v17, v17, v22
	v_xor_b32_e32 v16, s20, v19
	ds_load_b32 v74, v76 offset:16
	v_and_b32_e32 v17, v17, v18
	; wave barrier
	s_delay_alu instid0(VALU_DEP_1) | instskip(NEXT) | instid1(VALU_DEP_1)
	v_and_b32_e32 v16, v17, v16
	v_mbcnt_lo_u32_b32 v75, v16, 0
	v_cmp_ne_u32_e64 s20, 0, v16
	s_delay_alu instid0(VALU_DEP_2)
	v_cmp_eq_u32_e64 s19, 0, v75
	s_and_b32 s20, s20, s19
	s_wait_alu 0xfffe
	s_and_saveexec_b32 s19, s20
	s_cbranch_execz .LBB242_117
; %bb.116:
	s_wait_dscnt 0x0
	v_bcnt_u32_b32 v16, v16, v74
	ds_store_b32 v76, v16 offset:16
.LBB242_117:
	s_wait_alu 0xfffe
	s_or_b32 exec_lo, exec_lo, s19
	v_lshrrev_b16 v16, 8, v32
	v_cmp_ne_u16_e64 s19, 0x8000, v32
	; wave barrier
	s_wait_alu 0xf1ff
	s_delay_alu instid0(VALU_DEP_1) | instskip(NEXT) | instid1(VALU_DEP_1)
	v_cndmask_b32_e64 v16, 0x7f, v16, s19
	v_and_b32_e32 v16, s21, v16
	s_delay_alu instid0(VALU_DEP_1)
	v_and_b32_e32 v17, 1, v16
	v_lshlrev_b32_e32 v18, 30, v16
	v_lshlrev_b32_e32 v19, 29, v16
	;; [unrolled: 1-line block ×4, first 2 shown]
	v_add_co_u32 v17, s19, v17, -1
	s_wait_alu 0xf1ff
	v_cndmask_b32_e64 v21, 0, 1, s19
	v_not_b32_e32 v78, v18
	v_cmp_gt_i32_e64 s20, 0, v18
	v_not_b32_e32 v18, v19
	v_lshlrev_b32_e32 v23, 26, v16
	v_cmp_ne_u32_e64 s19, 0, v21
	v_ashrrev_i32_e32 v78, 31, v78
	v_lshlrev_b32_e32 v77, 25, v16
	v_ashrrev_i32_e32 v18, 31, v18
	v_lshlrev_b32_e32 v21, 24, v16
	s_wait_alu 0xf1ff
	v_xor_b32_e32 v17, s19, v17
	v_cmp_gt_i32_e64 s19, 0, v19
	v_not_b32_e32 v19, v20
	v_xor_b32_e32 v78, s20, v78
	v_cmp_gt_i32_e64 s20, 0, v20
	v_and_b32_e32 v17, exec_lo, v17
	v_not_b32_e32 v20, v22
	v_ashrrev_i32_e32 v19, 31, v19
	s_wait_alu 0xf1ff
	v_xor_b32_e32 v18, s19, v18
	v_cmp_gt_i32_e64 s19, 0, v22
	v_and_b32_e32 v17, v17, v78
	v_not_b32_e32 v22, v23
	v_ashrrev_i32_e32 v20, 31, v20
	v_xor_b32_e32 v19, s20, v19
	v_cmp_gt_i32_e64 s20, 0, v23
	v_and_b32_e32 v17, v17, v18
	v_not_b32_e32 v18, v77
	v_ashrrev_i32_e32 v22, 31, v22
	s_wait_alu 0xf1ff
	v_xor_b32_e32 v20, s19, v20
	v_cmp_gt_i32_e64 s19, 0, v77
	v_and_b32_e32 v17, v17, v19
	v_not_b32_e32 v19, v21
	v_ashrrev_i32_e32 v18, 31, v18
	v_xor_b32_e32 v22, s20, v22
	v_cmp_gt_i32_e64 s20, 0, v21
	v_and_b32_e32 v17, v17, v20
	v_ashrrev_i32_e32 v19, 31, v19
	s_wait_alu 0xf1ff
	v_xor_b32_e32 v18, s19, v18
	v_lshl_add_u32 v79, v16, 4, v24
	v_and_b32_e32 v17, v17, v22
	v_xor_b32_e32 v16, s20, v19
	ds_load_b32 v77, v79 offset:16
	v_and_b32_e32 v17, v17, v18
	; wave barrier
	s_delay_alu instid0(VALU_DEP_1) | instskip(NEXT) | instid1(VALU_DEP_1)
	v_and_b32_e32 v16, v17, v16
	v_mbcnt_lo_u32_b32 v78, v16, 0
	v_cmp_ne_u32_e64 s20, 0, v16
	s_delay_alu instid0(VALU_DEP_2)
	v_cmp_eq_u32_e64 s19, 0, v78
	s_and_b32 s20, s20, s19
	s_wait_alu 0xfffe
	s_and_saveexec_b32 s19, s20
	s_cbranch_execz .LBB242_119
; %bb.118:
	s_wait_dscnt 0x0
	v_bcnt_u32_b32 v16, v16, v77
	ds_store_b32 v79, v16 offset:16
.LBB242_119:
	s_wait_alu 0xfffe
	s_or_b32 exec_lo, exec_lo, s19
	v_lshrrev_b16 v16, 8, v25
	v_cmp_ne_u16_e64 s19, 0x8000, v25
	; wave barrier
	s_wait_alu 0xf1ff
	s_delay_alu instid0(VALU_DEP_1) | instskip(NEXT) | instid1(VALU_DEP_1)
	v_cndmask_b32_e64 v16, 0x7f, v16, s19
	v_and_b32_e32 v16, s21, v16
	s_delay_alu instid0(VALU_DEP_1)
	v_and_b32_e32 v17, 1, v16
	v_lshlrev_b32_e32 v18, 30, v16
	v_lshlrev_b32_e32 v19, 29, v16
	;; [unrolled: 1-line block ×4, first 2 shown]
	v_add_co_u32 v17, s19, v17, -1
	s_wait_alu 0xf1ff
	v_cndmask_b32_e64 v21, 0, 1, s19
	v_not_b32_e32 v81, v18
	v_cmp_gt_i32_e64 s20, 0, v18
	v_not_b32_e32 v18, v19
	v_lshlrev_b32_e32 v23, 26, v16
	v_cmp_ne_u32_e64 s19, 0, v21
	v_ashrrev_i32_e32 v81, 31, v81
	v_lshlrev_b32_e32 v80, 25, v16
	v_ashrrev_i32_e32 v18, 31, v18
	v_lshlrev_b32_e32 v21, 24, v16
	s_wait_alu 0xf1ff
	v_xor_b32_e32 v17, s19, v17
	v_cmp_gt_i32_e64 s19, 0, v19
	v_not_b32_e32 v19, v20
	v_xor_b32_e32 v81, s20, v81
	v_cmp_gt_i32_e64 s20, 0, v20
	v_and_b32_e32 v17, exec_lo, v17
	v_not_b32_e32 v20, v22
	v_ashrrev_i32_e32 v19, 31, v19
	s_wait_alu 0xf1ff
	v_xor_b32_e32 v18, s19, v18
	v_cmp_gt_i32_e64 s19, 0, v22
	v_and_b32_e32 v17, v17, v81
	v_not_b32_e32 v22, v23
	v_ashrrev_i32_e32 v20, 31, v20
	v_xor_b32_e32 v19, s20, v19
	v_cmp_gt_i32_e64 s20, 0, v23
	v_and_b32_e32 v17, v17, v18
	v_not_b32_e32 v18, v80
	v_ashrrev_i32_e32 v22, 31, v22
	s_wait_alu 0xf1ff
	v_xor_b32_e32 v20, s19, v20
	v_cmp_gt_i32_e64 s19, 0, v80
	v_and_b32_e32 v17, v17, v19
	v_not_b32_e32 v19, v21
	v_ashrrev_i32_e32 v18, 31, v18
	v_xor_b32_e32 v22, s20, v22
	v_cmp_gt_i32_e64 s20, 0, v21
	v_and_b32_e32 v17, v17, v20
	v_ashrrev_i32_e32 v19, 31, v19
	s_wait_alu 0xf1ff
	v_xor_b32_e32 v18, s19, v18
	v_lshl_add_u32 v81, v16, 4, v24
	v_and_b32_e32 v17, v17, v22
	v_xor_b32_e32 v16, s20, v19
	ds_load_b32 v24, v81 offset:16
	v_and_b32_e32 v17, v17, v18
	; wave barrier
	s_delay_alu instid0(VALU_DEP_1) | instskip(NEXT) | instid1(VALU_DEP_1)
	v_and_b32_e32 v16, v17, v16
	v_mbcnt_lo_u32_b32 v80, v16, 0
	v_cmp_ne_u32_e64 s20, 0, v16
	s_delay_alu instid0(VALU_DEP_2)
	v_cmp_eq_u32_e64 s19, 0, v80
	s_and_b32 s20, s20, s19
	s_wait_alu 0xfffe
	s_and_saveexec_b32 s19, s20
	s_cbranch_execz .LBB242_121
; %bb.120:
	s_wait_dscnt 0x0
	v_bcnt_u32_b32 v16, v16, v24
	ds_store_b32 v81, v16 offset:16
.LBB242_121:
	s_wait_alu 0xfffe
	s_or_b32 exec_lo, exec_lo, s19
	; wave barrier
	s_wait_loadcnt_dscnt 0x0
	s_barrier_signal -1
	s_barrier_wait -1
	global_inv scope:SCOPE_SE
	ds_load_b128 v[20:23], v67 offset:16
	ds_load_b128 v[16:19], v67 offset:32
	s_wait_dscnt 0x1
	v_add_nc_u32_e32 v82, v21, v20
	s_delay_alu instid0(VALU_DEP_1) | instskip(SKIP_1) | instid1(VALU_DEP_1)
	v_add3_u32 v82, v82, v22, v23
	s_wait_dscnt 0x0
	v_add3_u32 v82, v82, v16, v17
	s_delay_alu instid0(VALU_DEP_1) | instskip(NEXT) | instid1(VALU_DEP_1)
	v_add3_u32 v19, v82, v18, v19
	v_mov_b32_dpp v82, v19 row_shr:1 row_mask:0xf bank_mask:0xf
	s_delay_alu instid0(VALU_DEP_1) | instskip(NEXT) | instid1(VALU_DEP_1)
	v_cndmask_b32_e64 v82, v82, 0, s8
	v_add_nc_u32_e32 v19, v82, v19
	s_delay_alu instid0(VALU_DEP_1) | instskip(NEXT) | instid1(VALU_DEP_1)
	v_mov_b32_dpp v82, v19 row_shr:2 row_mask:0xf bank_mask:0xf
	v_cndmask_b32_e64 v82, 0, v82, s10
	s_delay_alu instid0(VALU_DEP_1) | instskip(NEXT) | instid1(VALU_DEP_1)
	v_add_nc_u32_e32 v19, v19, v82
	v_mov_b32_dpp v82, v19 row_shr:4 row_mask:0xf bank_mask:0xf
	s_delay_alu instid0(VALU_DEP_1) | instskip(NEXT) | instid1(VALU_DEP_1)
	v_cndmask_b32_e64 v82, 0, v82, s11
	v_add_nc_u32_e32 v19, v19, v82
	s_delay_alu instid0(VALU_DEP_1) | instskip(NEXT) | instid1(VALU_DEP_1)
	v_mov_b32_dpp v82, v19 row_shr:8 row_mask:0xf bank_mask:0xf
	v_cndmask_b32_e64 v82, 0, v82, s13
	s_delay_alu instid0(VALU_DEP_1) | instskip(SKIP_3) | instid1(VALU_DEP_1)
	v_add_nc_u32_e32 v19, v19, v82
	ds_swizzle_b32 v82, v19 offset:swizzle(BROADCAST,32,15)
	s_wait_dscnt 0x0
	v_cndmask_b32_e64 v82, v82, 0, s16
	v_add_nc_u32_e32 v19, v19, v82
	s_and_saveexec_b32 s8, s14
; %bb.122:
	ds_store_b32 v34, v19
; %bb.123:
	s_wait_alu 0xfffe
	s_or_b32 exec_lo, exec_lo, s8
	s_wait_loadcnt_dscnt 0x0
	s_barrier_signal -1
	s_barrier_wait -1
	global_inv scope:SCOPE_SE
	s_and_saveexec_b32 s8, s15
	s_cbranch_execz .LBB242_125
; %bb.124:
	ds_load_b32 v34, v35
	s_wait_dscnt 0x0
	v_mov_b32_dpp v82, v34 row_shr:1 row_mask:0xf bank_mask:0xf
	s_delay_alu instid0(VALU_DEP_1) | instskip(NEXT) | instid1(VALU_DEP_1)
	v_cndmask_b32_e64 v82, v82, 0, s12
	v_add_nc_u32_e32 v34, v82, v34
	s_delay_alu instid0(VALU_DEP_1) | instskip(NEXT) | instid1(VALU_DEP_1)
	v_mov_b32_dpp v82, v34 row_shr:2 row_mask:0xf bank_mask:0xf
	v_cndmask_b32_e64 v82, 0, v82, s9
	s_delay_alu instid0(VALU_DEP_1)
	v_add_nc_u32_e32 v34, v34, v82
	ds_store_b32 v35, v34
.LBB242_125:
	s_wait_alu 0xfffe
	s_or_b32 exec_lo, exec_lo, s8
	v_mov_b32_e32 v34, 0
	s_wait_loadcnt_dscnt 0x0
	s_barrier_signal -1
	s_barrier_wait -1
	global_inv scope:SCOPE_SE
	s_and_saveexec_b32 s8, s17
; %bb.126:
	ds_load_b32 v34, v36
; %bb.127:
	s_wait_alu 0xfffe
	s_or_b32 exec_lo, exec_lo, s8
	s_wait_dscnt 0x0
	v_add_nc_u32_e32 v19, v34, v19
	ds_bpermute_b32 v19, v37, v19
	s_wait_dscnt 0x0
	v_cndmask_b32_e32 v19, v19, v34, vcc_lo
	s_delay_alu instid0(VALU_DEP_1) | instskip(NEXT) | instid1(VALU_DEP_1)
	v_cndmask_b32_e64 v19, v19, 0, s18
	v_add_nc_u32_e32 v20, v19, v20
	s_delay_alu instid0(VALU_DEP_1) | instskip(NEXT) | instid1(VALU_DEP_1)
	v_add_nc_u32_e32 v21, v20, v21
	v_add_nc_u32_e32 v22, v21, v22
	s_delay_alu instid0(VALU_DEP_1) | instskip(NEXT) | instid1(VALU_DEP_1)
	v_add_nc_u32_e32 v34, v22, v23
	;; [unrolled: 3-line block ×3, first 2 shown]
	v_add_nc_u32_e32 v37, v36, v18
	ds_store_b128 v67, v[19:22] offset:16
	ds_store_b128 v67, v[34:37] offset:32
	s_wait_loadcnt_dscnt 0x0
	s_barrier_signal -1
	s_barrier_wait -1
	global_inv scope:SCOPE_SE
	ds_load_b32 v16, v81 offset:16
	ds_load_b32 v17, v79 offset:16
	;; [unrolled: 1-line block ×8, first 2 shown]
	v_lshlrev_b32_e32 v34, 1, v66
	s_wait_loadcnt_dscnt 0x0
	s_barrier_signal -1
	s_barrier_wait -1
	global_inv scope:SCOPE_SE
	v_mad_u32_u24 v37, v46, 48, v34
	v_add3_u32 v35, v80, v24, v16
	v_add3_u32 v36, v78, v77, v17
	;; [unrolled: 1-line block ×3, first 2 shown]
	v_add_nc_u32_e32 v24, v19, v33
	v_add3_u32 v33, v40, v39, v20
	v_add3_u32 v39, v49, v48, v21
	;; [unrolled: 1-line block ×4, first 2 shown]
	v_lshlrev_b32_e32 v16, 1, v24
	v_lshlrev_b32_e32 v17, 1, v33
	;; [unrolled: 1-line block ×8, first 2 shown]
	ds_store_b16 v16, v26
	ds_store_b16 v17, v27
	;; [unrolled: 1-line block ×8, first 2 shown]
	v_mad_co_u64_u32 v[24:25], null, v24, 6, v[16:17]
	v_mad_co_u64_u32 v[16:17], null, v33, 6, v[17:18]
	;; [unrolled: 1-line block ×7, first 2 shown]
	s_wait_loadcnt_dscnt 0x0
	s_barrier_signal -1
	s_barrier_wait -1
	global_inv scope:SCOPE_SE
	v_mad_co_u64_u32 v[22:23], null, v35, 6, v[23:24]
	ds_load_b128 v[33:36], v34
	s_wait_loadcnt_dscnt 0x0
	s_barrier_signal -1
	s_barrier_wait -1
	global_inv scope:SCOPE_SE
	ds_store_b64 v24, v[4:5]
	ds_store_b64 v16, v[6:7]
	;; [unrolled: 1-line block ×8, first 2 shown]
	s_wait_loadcnt_dscnt 0x0
	s_barrier_signal -1
	s_barrier_wait -1
	global_inv scope:SCOPE_SE
	ds_load_b128 v[29:32], v37
	ds_load_b128 v[25:28], v37 offset:16
	ds_load_b128 v[21:24], v37 offset:32
	;; [unrolled: 1-line block ×3, first 2 shown]
	v_cmp_gt_i16_e32 vcc_lo, 0, v33
	v_lshrrev_b32_e32 v0, 16, v33
	v_lshrrev_b32_e32 v2, 16, v34
	;; [unrolled: 1-line block ×4, first 2 shown]
	s_wait_alu 0xfffd
	v_cndmask_b32_e64 v1, 0x7fff, 0, vcc_lo
	v_cmp_gt_i16_e32 vcc_lo, 0, v34
	s_wait_alu 0xfffd
	v_cndmask_b32_e64 v3, 0x7fff, 0, vcc_lo
	v_cmp_gt_i16_e32 vcc_lo, 0, v35
	;; [unrolled: 3-line block ×5, first 2 shown]
	s_delay_alu instid0(VALU_DEP_2) | instskip(SKIP_3) | instid1(VALU_DEP_3)
	v_perm_b32 v0, v0, v1, 0x5040100
	s_wait_alu 0xfffd
	v_cndmask_b32_e64 v2, 0x7fff, 0, vcc_lo
	v_cmp_gt_i16_e32 vcc_lo, 0, v4
	v_xor_b32_e32 v0, v0, v33
	s_delay_alu instid0(VALU_DEP_3) | instskip(SKIP_3) | instid1(VALU_DEP_3)
	v_perm_b32 v1, v2, v3, 0x5040100
	s_wait_alu 0xfffd
	v_cndmask_b32_e64 v4, 0x7fff, 0, vcc_lo
	v_cmp_gt_i16_e32 vcc_lo, 0, v6
	v_xor_b32_e32 v34, v1, v34
	s_delay_alu instid0(VALU_DEP_3) | instskip(SKIP_2) | instid1(VALU_DEP_2)
	v_perm_b32 v2, v4, v5, 0x5040100
	s_wait_alu 0xfffd
	v_cndmask_b32_e64 v6, 0x7fff, 0, vcc_lo
	v_xor_b32_e32 v33, v2, v35
	s_delay_alu instid0(VALU_DEP_2) | instskip(NEXT) | instid1(VALU_DEP_1)
	v_perm_b32 v3, v6, v7, 0x5040100
	v_xor_b32_e32 v35, v3, v36
.LBB242_128:
	s_wait_loadcnt_dscnt 0x0
	s_barrier_signal -1
	s_barrier_wait -1
	global_inv scope:SCOPE_SE
	ds_store_2addr_b32 v58, v0, v34 offset1:1
	ds_store_2addr_b32 v58, v33, v35 offset0:2 offset1:3
	s_wait_loadcnt_dscnt 0x0
	s_barrier_signal -1
	s_barrier_wait -1
	global_inv scope:SCOPE_SE
	ds_load_u16 v8, v45 offset:256
	ds_load_u16 v7, v52 offset:512
	;; [unrolled: 1-line block ×7, first 2 shown]
	v_mov_b32_e32 v45, 0
	s_delay_alu instid0(VALU_DEP_1) | instskip(NEXT) | instid1(VALU_DEP_1)
	v_lshlrev_b64_e32 v[0:1], 1, v[44:45]
	v_add_co_u32 v0, vcc_lo, s30, v0
	s_wait_alu 0xfffd
	s_delay_alu instid0(VALU_DEP_2)
	v_add_co_ci_u32_e64 v1, null, s31, v1, vcc_lo
	s_and_saveexec_b32 s8, s0
	s_cbranch_execnz .LBB242_147
; %bb.129:
	s_wait_alu 0xfffe
	s_or_b32 exec_lo, exec_lo, s8
	s_and_saveexec_b32 s8, s1
	s_cbranch_execnz .LBB242_148
.LBB242_130:
	s_wait_alu 0xfffe
	s_or_b32 exec_lo, exec_lo, s8
	s_and_saveexec_b32 s8, s2
	s_cbranch_execnz .LBB242_149
.LBB242_131:
	s_wait_alu 0xfffe
	s_or_b32 exec_lo, exec_lo, s8
	s_and_saveexec_b32 s8, s3
	s_cbranch_execnz .LBB242_150
.LBB242_132:
	s_wait_alu 0xfffe
	s_or_b32 exec_lo, exec_lo, s8
	s_and_saveexec_b32 s8, s4
	s_cbranch_execnz .LBB242_151
.LBB242_133:
	s_wait_alu 0xfffe
	s_or_b32 exec_lo, exec_lo, s8
	s_and_saveexec_b32 s8, s5
	s_cbranch_execnz .LBB242_152
.LBB242_134:
	s_wait_alu 0xfffe
	s_or_b32 exec_lo, exec_lo, s8
	s_and_saveexec_b32 s8, s6
	s_cbranch_execnz .LBB242_153
.LBB242_135:
	s_wait_alu 0xfffe
	s_or_b32 exec_lo, exec_lo, s8
	s_and_saveexec_b32 s8, s7
	s_cbranch_execz .LBB242_137
.LBB242_136:
	s_mul_i32 s10, s22, 0x380
	s_mov_b32 s11, 0
	s_wait_alu 0xfffe
	s_lshl_b64 s[10:11], s[10:11], 1
	s_wait_alu 0xfffe
	v_add_co_u32 v0, vcc_lo, v0, s10
	s_wait_alu 0xfffd
	v_add_co_ci_u32_e64 v1, null, s11, v1, vcc_lo
	s_wait_dscnt 0x0
	global_store_b16 v[0:1], v2, off
.LBB242_137:
	s_wait_alu 0xfffe
	s_or_b32 exec_lo, exec_lo, s8
	s_wait_storecnt 0x0
	s_wait_loadcnt_dscnt 0x0
	s_barrier_signal -1
	s_barrier_wait -1
	global_inv scope:SCOPE_SE
	ds_store_2addr_b64 v65, v[29:30], v[31:32] offset1:1
	ds_store_2addr_b64 v65, v[25:26], v[27:28] offset0:2 offset1:3
	ds_store_2addr_b64 v65, v[21:22], v[23:24] offset0:4 offset1:5
	;; [unrolled: 1-line block ×3, first 2 shown]
	s_wait_loadcnt_dscnt 0x0
	s_barrier_signal -1
	s_barrier_wait -1
	global_inv scope:SCOPE_SE
	ds_load_b64 v[14:15], v60 offset:1024
	ds_load_b64 v[12:13], v61 offset:2048
	ds_load_b64 v[10:11], v62 offset:3072
	ds_load_b64 v[8:9], v42 offset:4096
	ds_load_b64 v[6:7], v43 offset:5120
	ds_load_b64 v[4:5], v63 offset:6144
	ds_load_b64 v[0:1], v64 offset:7168
	v_mov_b32_e32 v42, 0
	s_delay_alu instid0(VALU_DEP_1) | instskip(NEXT) | instid1(VALU_DEP_1)
	v_lshlrev_b64_e32 v[2:3], 3, v[41:42]
	v_add_co_u32 v2, vcc_lo, s34, v2
	s_wait_alu 0xfffd
	s_delay_alu instid0(VALU_DEP_2)
	v_add_co_ci_u32_e64 v3, null, s35, v3, vcc_lo
	s_and_saveexec_b32 s8, s0
	s_cbranch_execnz .LBB242_154
; %bb.138:
	s_wait_alu 0xfffe
	s_or_b32 exec_lo, exec_lo, s8
	s_and_saveexec_b32 s0, s1
	s_cbranch_execnz .LBB242_155
.LBB242_139:
	s_or_b32 exec_lo, exec_lo, s0
	s_and_saveexec_b32 s0, s2
	s_cbranch_execnz .LBB242_156
.LBB242_140:
	s_or_b32 exec_lo, exec_lo, s0
	s_and_saveexec_b32 s0, s3
	s_cbranch_execnz .LBB242_157
.LBB242_141:
	s_or_b32 exec_lo, exec_lo, s0
	s_and_saveexec_b32 s0, s4
	s_cbranch_execnz .LBB242_158
.LBB242_142:
	s_or_b32 exec_lo, exec_lo, s0
	s_and_saveexec_b32 s0, s5
	s_cbranch_execnz .LBB242_159
.LBB242_143:
	s_or_b32 exec_lo, exec_lo, s0
	s_and_saveexec_b32 s0, s6
	s_cbranch_execnz .LBB242_160
.LBB242_144:
	s_or_b32 exec_lo, exec_lo, s0
	s_and_saveexec_b32 s0, s7
	s_cbranch_execz .LBB242_146
.LBB242_145:
	s_mul_i32 s0, s28, 0x380
	s_mov_b32 s1, 0
	s_delay_alu instid0(SALU_CYCLE_1) | instskip(NEXT) | instid1(SALU_CYCLE_1)
	s_lshl_b64 s[0:1], s[0:1], 3
	v_add_co_u32 v2, vcc_lo, v2, s0
	s_wait_alu 0xfffd
	v_add_co_ci_u32_e64 v3, null, s1, v3, vcc_lo
	s_wait_dscnt 0x0
	global_store_b64 v[2:3], v[0:1], off
.LBB242_146:
	s_nop 0
	s_sendmsg sendmsg(MSG_DEALLOC_VGPRS)
	s_endpgm
.LBB242_147:
	ds_load_u16 v9, v51
	s_wait_dscnt 0x0
	global_store_b16 v[0:1], v9, off
	s_wait_alu 0xfffe
	s_or_b32 exec_lo, exec_lo, s8
	s_and_saveexec_b32 s8, s1
	s_cbranch_execz .LBB242_130
.LBB242_148:
	s_lshl_b32 s10, s22, 7
	s_mov_b32 s11, 0
	s_wait_alu 0xfffe
	s_lshl_b64 s[10:11], s[10:11], 1
	s_wait_alu 0xfffe
	v_add_co_u32 v9, vcc_lo, v0, s10
	s_wait_alu 0xfffd
	v_add_co_ci_u32_e64 v10, null, s11, v1, vcc_lo
	s_wait_dscnt 0x6
	global_store_b16 v[9:10], v8, off
	s_or_b32 exec_lo, exec_lo, s8
	s_and_saveexec_b32 s8, s2
	s_cbranch_execz .LBB242_131
.LBB242_149:
	s_lshl_b32 s10, s22, 8
	s_mov_b32 s11, 0
	s_wait_alu 0xfffe
	s_lshl_b64 s[10:11], s[10:11], 1
	s_wait_dscnt 0x6
	s_wait_alu 0xfffe
	v_add_co_u32 v8, vcc_lo, v0, s10
	s_wait_alu 0xfffd
	v_add_co_ci_u32_e64 v9, null, s11, v1, vcc_lo
	s_wait_dscnt 0x5
	global_store_b16 v[8:9], v7, off
	s_or_b32 exec_lo, exec_lo, s8
	s_and_saveexec_b32 s8, s3
	s_cbranch_execz .LBB242_132
.LBB242_150:
	s_mul_i32 s10, s22, 0x180
	s_mov_b32 s11, 0
	s_wait_alu 0xfffe
	s_lshl_b64 s[10:11], s[10:11], 1
	s_wait_dscnt 0x5
	s_wait_alu 0xfffe
	v_add_co_u32 v7, vcc_lo, v0, s10
	s_wait_alu 0xfffd
	v_add_co_ci_u32_e64 v8, null, s11, v1, vcc_lo
	s_wait_dscnt 0x4
	global_store_b16 v[7:8], v6, off
	s_or_b32 exec_lo, exec_lo, s8
	s_and_saveexec_b32 s8, s4
	s_cbranch_execz .LBB242_133
.LBB242_151:
	s_lshl_b32 s10, s22, 9
	s_mov_b32 s11, 0
	s_wait_alu 0xfffe
	s_lshl_b64 s[10:11], s[10:11], 1
	s_wait_dscnt 0x4
	s_wait_alu 0xfffe
	v_add_co_u32 v6, vcc_lo, v0, s10
	s_wait_alu 0xfffd
	v_add_co_ci_u32_e64 v7, null, s11, v1, vcc_lo
	s_wait_dscnt 0x3
	global_store_b16 v[6:7], v5, off
	s_or_b32 exec_lo, exec_lo, s8
	s_and_saveexec_b32 s8, s5
	s_cbranch_execz .LBB242_134
.LBB242_152:
	s_mul_i32 s10, s22, 0x280
	s_mov_b32 s11, 0
	s_wait_alu 0xfffe
	s_lshl_b64 s[10:11], s[10:11], 1
	s_wait_dscnt 0x3
	s_wait_alu 0xfffe
	v_add_co_u32 v5, vcc_lo, v0, s10
	s_wait_alu 0xfffd
	v_add_co_ci_u32_e64 v6, null, s11, v1, vcc_lo
	s_wait_dscnt 0x2
	global_store_b16 v[5:6], v4, off
	s_or_b32 exec_lo, exec_lo, s8
	s_and_saveexec_b32 s8, s6
	s_cbranch_execz .LBB242_135
.LBB242_153:
	s_mul_i32 s10, s22, 0x300
	s_mov_b32 s11, 0
	s_wait_alu 0xfffe
	s_lshl_b64 s[10:11], s[10:11], 1
	s_wait_dscnt 0x2
	s_wait_alu 0xfffe
	v_add_co_u32 v4, vcc_lo, v0, s10
	s_wait_alu 0xfffd
	v_add_co_ci_u32_e64 v5, null, s11, v1, vcc_lo
	s_wait_dscnt 0x1
	global_store_b16 v[4:5], v3, off
	s_or_b32 exec_lo, exec_lo, s8
	s_and_saveexec_b32 s8, s7
	s_cbranch_execnz .LBB242_136
	s_branch .LBB242_137
.LBB242_154:
	ds_load_b64 v[16:17], v59
	s_wait_dscnt 0x0
	global_store_b64 v[2:3], v[16:17], off
	s_wait_alu 0xfffe
	s_or_b32 exec_lo, exec_lo, s8
	s_and_saveexec_b32 s0, s1
	s_cbranch_execz .LBB242_139
.LBB242_155:
	s_lshl_b32 s8, s28, 7
	s_mov_b32 s9, 0
	s_wait_alu 0xfffe
	s_lshl_b64 s[8:9], s[8:9], 3
	s_wait_alu 0xfffe
	v_add_co_u32 v16, vcc_lo, v2, s8
	s_wait_alu 0xfffd
	v_add_co_ci_u32_e64 v17, null, s9, v3, vcc_lo
	s_wait_dscnt 0x6
	global_store_b64 v[16:17], v[14:15], off
	s_or_b32 exec_lo, exec_lo, s0
	s_and_saveexec_b32 s0, s2
	s_cbranch_execz .LBB242_140
.LBB242_156:
	s_lshl_b32 s8, s28, 8
	s_mov_b32 s9, 0
	s_wait_alu 0xfffe
	s_lshl_b64 s[8:9], s[8:9], 3
	s_wait_dscnt 0x6
	s_wait_alu 0xfffe
	v_add_co_u32 v14, vcc_lo, v2, s8
	s_wait_alu 0xfffd
	v_add_co_ci_u32_e64 v15, null, s9, v3, vcc_lo
	s_wait_dscnt 0x5
	global_store_b64 v[14:15], v[12:13], off
	s_or_b32 exec_lo, exec_lo, s0
	s_and_saveexec_b32 s0, s3
	s_cbranch_execz .LBB242_141
.LBB242_157:
	s_mul_i32 s2, s28, 0x180
	s_mov_b32 s3, 0
	s_delay_alu instid0(SALU_CYCLE_1)
	s_lshl_b64 s[2:3], s[2:3], 3
	s_wait_dscnt 0x5
	v_add_co_u32 v12, vcc_lo, v2, s2
	s_wait_alu 0xfffd
	v_add_co_ci_u32_e64 v13, null, s3, v3, vcc_lo
	s_wait_dscnt 0x4
	global_store_b64 v[12:13], v[10:11], off
	s_or_b32 exec_lo, exec_lo, s0
	s_and_saveexec_b32 s0, s4
	s_cbranch_execz .LBB242_142
.LBB242_158:
	s_lshl_b32 s2, s28, 9
	s_mov_b32 s3, 0
	s_wait_alu 0xfffe
	s_lshl_b64 s[2:3], s[2:3], 3
	s_wait_dscnt 0x4
	s_wait_alu 0xfffe
	v_add_co_u32 v10, vcc_lo, v2, s2
	s_wait_alu 0xfffd
	v_add_co_ci_u32_e64 v11, null, s3, v3, vcc_lo
	s_wait_dscnt 0x3
	global_store_b64 v[10:11], v[8:9], off
	s_or_b32 exec_lo, exec_lo, s0
	s_and_saveexec_b32 s0, s5
	s_cbranch_execz .LBB242_143
.LBB242_159:
	s_mul_i32 s2, s28, 0x280
	s_mov_b32 s3, 0
	s_wait_alu 0xfffe
	s_lshl_b64 s[2:3], s[2:3], 3
	s_wait_dscnt 0x3
	s_wait_alu 0xfffe
	v_add_co_u32 v8, vcc_lo, v2, s2
	s_wait_alu 0xfffd
	v_add_co_ci_u32_e64 v9, null, s3, v3, vcc_lo
	s_wait_dscnt 0x2
	global_store_b64 v[8:9], v[6:7], off
	s_or_b32 exec_lo, exec_lo, s0
	s_and_saveexec_b32 s0, s6
	s_cbranch_execz .LBB242_144
.LBB242_160:
	s_mul_i32 s2, s28, 0x300
	s_mov_b32 s3, 0
	s_wait_alu 0xfffe
	s_lshl_b64 s[2:3], s[2:3], 3
	s_wait_dscnt 0x2
	s_wait_alu 0xfffe
	v_add_co_u32 v6, vcc_lo, v2, s2
	s_wait_alu 0xfffd
	v_add_co_ci_u32_e64 v7, null, s3, v3, vcc_lo
	s_wait_dscnt 0x1
	global_store_b64 v[6:7], v[4:5], off
	s_or_b32 exec_lo, exec_lo, s0
	s_and_saveexec_b32 s0, s7
	s_cbranch_execnz .LBB242_145
	s_branch .LBB242_146
	.section	.rodata,"a",@progbits
	.p2align	6, 0x0
	.amdhsa_kernel _ZN2at6native18radixSortKVInPlaceILin2ELin1ELi128ELi8EN3c108BFloat16EljEEvNS_4cuda6detail10TensorInfoIT3_T5_EES8_S8_S8_NS6_IT4_S8_EES8_b
		.amdhsa_group_segment_fixed_size 8448
		.amdhsa_private_segment_fixed_size 0
		.amdhsa_kernarg_size 712
		.amdhsa_user_sgpr_count 2
		.amdhsa_user_sgpr_dispatch_ptr 0
		.amdhsa_user_sgpr_queue_ptr 0
		.amdhsa_user_sgpr_kernarg_segment_ptr 1
		.amdhsa_user_sgpr_dispatch_id 0
		.amdhsa_user_sgpr_private_segment_size 0
		.amdhsa_wavefront_size32 1
		.amdhsa_uses_dynamic_stack 0
		.amdhsa_enable_private_segment 0
		.amdhsa_system_sgpr_workgroup_id_x 1
		.amdhsa_system_sgpr_workgroup_id_y 1
		.amdhsa_system_sgpr_workgroup_id_z 1
		.amdhsa_system_sgpr_workgroup_info 0
		.amdhsa_system_vgpr_workitem_id 2
		.amdhsa_next_free_vgpr 113
		.amdhsa_next_free_sgpr 38
		.amdhsa_reserve_vcc 1
		.amdhsa_float_round_mode_32 0
		.amdhsa_float_round_mode_16_64 0
		.amdhsa_float_denorm_mode_32 3
		.amdhsa_float_denorm_mode_16_64 3
		.amdhsa_fp16_overflow 0
		.amdhsa_workgroup_processor_mode 1
		.amdhsa_memory_ordered 1
		.amdhsa_forward_progress 1
		.amdhsa_inst_pref_size 179
		.amdhsa_round_robin_scheduling 0
		.amdhsa_exception_fp_ieee_invalid_op 0
		.amdhsa_exception_fp_denorm_src 0
		.amdhsa_exception_fp_ieee_div_zero 0
		.amdhsa_exception_fp_ieee_overflow 0
		.amdhsa_exception_fp_ieee_underflow 0
		.amdhsa_exception_fp_ieee_inexact 0
		.amdhsa_exception_int_div_zero 0
	.end_amdhsa_kernel
	.section	.text._ZN2at6native18radixSortKVInPlaceILin2ELin1ELi128ELi8EN3c108BFloat16EljEEvNS_4cuda6detail10TensorInfoIT3_T5_EES8_S8_S8_NS6_IT4_S8_EES8_b,"axG",@progbits,_ZN2at6native18radixSortKVInPlaceILin2ELin1ELi128ELi8EN3c108BFloat16EljEEvNS_4cuda6detail10TensorInfoIT3_T5_EES8_S8_S8_NS6_IT4_S8_EES8_b,comdat
.Lfunc_end242:
	.size	_ZN2at6native18radixSortKVInPlaceILin2ELin1ELi128ELi8EN3c108BFloat16EljEEvNS_4cuda6detail10TensorInfoIT3_T5_EES8_S8_S8_NS6_IT4_S8_EES8_b, .Lfunc_end242-_ZN2at6native18radixSortKVInPlaceILin2ELin1ELi128ELi8EN3c108BFloat16EljEEvNS_4cuda6detail10TensorInfoIT3_T5_EES8_S8_S8_NS6_IT4_S8_EES8_b
                                        ; -- End function
	.set _ZN2at6native18radixSortKVInPlaceILin2ELin1ELi128ELi8EN3c108BFloat16EljEEvNS_4cuda6detail10TensorInfoIT3_T5_EES8_S8_S8_NS6_IT4_S8_EES8_b.num_vgpr, 113
	.set _ZN2at6native18radixSortKVInPlaceILin2ELin1ELi128ELi8EN3c108BFloat16EljEEvNS_4cuda6detail10TensorInfoIT3_T5_EES8_S8_S8_NS6_IT4_S8_EES8_b.num_agpr, 0
	.set _ZN2at6native18radixSortKVInPlaceILin2ELin1ELi128ELi8EN3c108BFloat16EljEEvNS_4cuda6detail10TensorInfoIT3_T5_EES8_S8_S8_NS6_IT4_S8_EES8_b.numbered_sgpr, 38
	.set _ZN2at6native18radixSortKVInPlaceILin2ELin1ELi128ELi8EN3c108BFloat16EljEEvNS_4cuda6detail10TensorInfoIT3_T5_EES8_S8_S8_NS6_IT4_S8_EES8_b.num_named_barrier, 0
	.set _ZN2at6native18radixSortKVInPlaceILin2ELin1ELi128ELi8EN3c108BFloat16EljEEvNS_4cuda6detail10TensorInfoIT3_T5_EES8_S8_S8_NS6_IT4_S8_EES8_b.private_seg_size, 0
	.set _ZN2at6native18radixSortKVInPlaceILin2ELin1ELi128ELi8EN3c108BFloat16EljEEvNS_4cuda6detail10TensorInfoIT3_T5_EES8_S8_S8_NS6_IT4_S8_EES8_b.uses_vcc, 1
	.set _ZN2at6native18radixSortKVInPlaceILin2ELin1ELi128ELi8EN3c108BFloat16EljEEvNS_4cuda6detail10TensorInfoIT3_T5_EES8_S8_S8_NS6_IT4_S8_EES8_b.uses_flat_scratch, 0
	.set _ZN2at6native18radixSortKVInPlaceILin2ELin1ELi128ELi8EN3c108BFloat16EljEEvNS_4cuda6detail10TensorInfoIT3_T5_EES8_S8_S8_NS6_IT4_S8_EES8_b.has_dyn_sized_stack, 0
	.set _ZN2at6native18radixSortKVInPlaceILin2ELin1ELi128ELi8EN3c108BFloat16EljEEvNS_4cuda6detail10TensorInfoIT3_T5_EES8_S8_S8_NS6_IT4_S8_EES8_b.has_recursion, 0
	.set _ZN2at6native18radixSortKVInPlaceILin2ELin1ELi128ELi8EN3c108BFloat16EljEEvNS_4cuda6detail10TensorInfoIT3_T5_EES8_S8_S8_NS6_IT4_S8_EES8_b.has_indirect_call, 0
	.section	.AMDGPU.csdata,"",@progbits
; Kernel info:
; codeLenInByte = 22880
; TotalNumSgprs: 40
; NumVgprs: 113
; ScratchSize: 0
; MemoryBound: 0
; FloatMode: 240
; IeeeMode: 1
; LDSByteSize: 8448 bytes/workgroup (compile time only)
; SGPRBlocks: 0
; VGPRBlocks: 14
; NumSGPRsForWavesPerEU: 40
; NumVGPRsForWavesPerEU: 113
; Occupancy: 12
; WaveLimiterHint : 1
; COMPUTE_PGM_RSRC2:SCRATCH_EN: 0
; COMPUTE_PGM_RSRC2:USER_SGPR: 2
; COMPUTE_PGM_RSRC2:TRAP_HANDLER: 0
; COMPUTE_PGM_RSRC2:TGID_X_EN: 1
; COMPUTE_PGM_RSRC2:TGID_Y_EN: 1
; COMPUTE_PGM_RSRC2:TGID_Z_EN: 1
; COMPUTE_PGM_RSRC2:TIDIG_COMP_CNT: 2
	.section	.text._ZN2at6native18radixSortKVInPlaceILin2ELin1ELi32ELi4EN3c108BFloat16EljEEvNS_4cuda6detail10TensorInfoIT3_T5_EES8_S8_S8_NS6_IT4_S8_EES8_b,"axG",@progbits,_ZN2at6native18radixSortKVInPlaceILin2ELin1ELi32ELi4EN3c108BFloat16EljEEvNS_4cuda6detail10TensorInfoIT3_T5_EES8_S8_S8_NS6_IT4_S8_EES8_b,comdat
	.protected	_ZN2at6native18radixSortKVInPlaceILin2ELin1ELi32ELi4EN3c108BFloat16EljEEvNS_4cuda6detail10TensorInfoIT3_T5_EES8_S8_S8_NS6_IT4_S8_EES8_b ; -- Begin function _ZN2at6native18radixSortKVInPlaceILin2ELin1ELi32ELi4EN3c108BFloat16EljEEvNS_4cuda6detail10TensorInfoIT3_T5_EES8_S8_S8_NS6_IT4_S8_EES8_b
	.globl	_ZN2at6native18radixSortKVInPlaceILin2ELin1ELi32ELi4EN3c108BFloat16EljEEvNS_4cuda6detail10TensorInfoIT3_T5_EES8_S8_S8_NS6_IT4_S8_EES8_b
	.p2align	8
	.type	_ZN2at6native18radixSortKVInPlaceILin2ELin1ELi32ELi4EN3c108BFloat16EljEEvNS_4cuda6detail10TensorInfoIT3_T5_EES8_S8_S8_NS6_IT4_S8_EES8_b,@function
_ZN2at6native18radixSortKVInPlaceILin2ELin1ELi32ELi4EN3c108BFloat16EljEEvNS_4cuda6detail10TensorInfoIT3_T5_EES8_S8_S8_NS6_IT4_S8_EES8_b: ; @_ZN2at6native18radixSortKVInPlaceILin2ELin1ELi32ELi4EN3c108BFloat16EljEEvNS_4cuda6detail10TensorInfoIT3_T5_EES8_S8_S8_NS6_IT4_S8_EES8_b
; %bb.0:
	s_clause 0x1
	s_load_b64 s[2:3], s[0:1], 0x1c8
	s_load_b96 s[12:14], s[0:1], 0xd8
	s_lshr_b32 s4, ttmp7, 16
	s_wait_kmcnt 0x0
	s_mul_i32 s3, s3, s4
	s_and_b32 s4, ttmp7, 0xffff
	s_delay_alu instid0(SALU_CYCLE_1) | instskip(NEXT) | instid1(SALU_CYCLE_1)
	s_add_co_i32 s3, s3, s4
	s_mul_i32 s8, s3, s2
	s_delay_alu instid0(SALU_CYCLE_1) | instskip(NEXT) | instid1(SALU_CYCLE_1)
	s_add_co_i32 s8, s8, ttmp9
	s_cmp_ge_u32 s8, s12
	s_cbranch_scc1 .LBB243_74
; %bb.1:
	s_load_b32 s2, s[0:1], 0x1b8
	s_add_nc_u64 s[6:7], s[0:1], 0xe8
	s_mov_b32 s5, 0
	s_mov_b32 s4, s8
	s_wait_kmcnt 0x0
	s_cmp_lt_i32 s2, 2
	s_cbranch_scc1 .LBB243_4
; %bb.2:
	s_add_co_i32 s4, s2, -1
	s_add_co_i32 s9, s2, 1
	s_lshl_b64 s[10:11], s[4:5], 2
	s_mov_b32 s4, s8
	s_add_nc_u64 s[10:11], s[6:7], s[10:11]
	s_delay_alu instid0(SALU_CYCLE_1)
	s_add_nc_u64 s[2:3], s[10:11], 8
.LBB243_3:                              ; =>This Inner Loop Header: Depth=1
	s_clause 0x1
	s_load_b32 s10, s[2:3], 0x0
	s_load_b32 s11, s[2:3], 0x64
	s_mov_b32 s16, s4
	s_add_nc_u64 s[2:3], s[2:3], -4
	s_wait_kmcnt 0x0
	s_cvt_f32_u32 s12, s10
	s_sub_co_i32 s15, 0, s10
	s_wait_alu 0xfffe
	s_delay_alu instid0(SALU_CYCLE_1) | instskip(NEXT) | instid1(TRANS32_DEP_1)
	v_rcp_iflag_f32_e32 v1, s12
	v_readfirstlane_b32 s12, v1
	s_mul_f32 s12, s12, 0x4f7ffffe
	s_wait_alu 0xfffe
	s_delay_alu instid0(SALU_CYCLE_2) | instskip(SKIP_1) | instid1(SALU_CYCLE_2)
	s_cvt_u32_f32 s12, s12
	s_wait_alu 0xfffe
	s_mul_i32 s15, s15, s12
	s_delay_alu instid0(SALU_CYCLE_1) | instskip(NEXT) | instid1(SALU_CYCLE_1)
	s_mul_hi_u32 s15, s12, s15
	s_add_co_i32 s12, s12, s15
	s_wait_alu 0xfffe
	s_mul_hi_u32 s4, s4, s12
	s_delay_alu instid0(SALU_CYCLE_1)
	s_mul_i32 s12, s4, s10
	s_add_co_i32 s15, s4, 1
	s_wait_alu 0xfffe
	s_sub_co_i32 s12, s16, s12
	s_wait_alu 0xfffe
	s_sub_co_i32 s17, s12, s10
	s_cmp_ge_u32 s12, s10
	s_cselect_b32 s4, s15, s4
	s_cselect_b32 s12, s17, s12
	s_add_co_i32 s15, s4, 1
	s_wait_alu 0xfffe
	s_cmp_ge_u32 s12, s10
	s_cselect_b32 s4, s15, s4
	s_add_co_i32 s9, s9, -1
	s_mul_i32 s10, s4, s10
	s_delay_alu instid0(SALU_CYCLE_1) | instskip(NEXT) | instid1(SALU_CYCLE_1)
	s_sub_co_i32 s10, s16, s10
	s_mul_i32 s10, s11, s10
	s_delay_alu instid0(SALU_CYCLE_1)
	s_add_co_i32 s5, s10, s5
	s_cmp_gt_u32 s9, 2
	s_cbranch_scc1 .LBB243_3
.LBB243_4:
	s_clause 0x2
	s_load_b64 s[16:17], s[0:1], 0x1c0
	s_load_b64 s[2:3], s[0:1], 0x0
	s_load_b32 s9, s[0:1], 0x6c
	v_and_b32_e32 v21, 0x3ff, v0
	s_add_nc_u64 s[22:23], s[0:1], 0x1c8
	s_mov_b32 s0, 0xffff
	s_mov_b32 s11, 0
	s_delay_alu instid0(VALU_DEP_1) | instskip(SKIP_4) | instid1(SALU_CYCLE_1)
	v_mul_lo_u32 v17, s14, v21
	s_wait_kmcnt 0x0
	s_bitcmp1_b32 s17, 0
	s_mul_i32 s10, s9, s8
	s_cselect_b32 s8, -1, 0
	s_and_b32 s1, s8, exec_lo
	s_cselect_b32 s9, s0, 0x7fff
	v_cmp_gt_u32_e64 s0, s13, v21
	v_mov_b32_e32 v1, s9
	s_lshl_b64 s[10:11], s[10:11], 1
	s_delay_alu instid0(SALU_CYCLE_1)
	s_add_nc_u64 s[18:19], s[2:3], s[10:11]
	s_and_saveexec_b32 s1, s0
	s_cbranch_execz .LBB243_6
; %bb.5:
	v_mov_b32_e32 v18, 0
	s_delay_alu instid0(VALU_DEP_1) | instskip(NEXT) | instid1(VALU_DEP_1)
	v_lshlrev_b64_e32 v[1:2], 1, v[17:18]
	v_add_co_u32 v1, vcc_lo, s18, v1
	s_delay_alu instid0(VALU_DEP_1)
	v_add_co_ci_u32_e64 v2, null, s19, v2, vcc_lo
	global_load_u16 v1, v[1:2], off
.LBB243_6:
	s_or_b32 exec_lo, exec_lo, s1
	v_dual_mov_b32 v2, s9 :: v_dual_add_nc_u32 v9, 32, v21
	s_delay_alu instid0(VALU_DEP_1)
	v_cmp_gt_u32_e64 s1, s13, v9
	s_and_saveexec_b32 s2, s1
	s_cbranch_execz .LBB243_8
; %bb.7:
	v_mul_lo_u32 v2, s14, v9
	v_mov_b32_e32 v3, 0
	s_delay_alu instid0(VALU_DEP_1) | instskip(NEXT) | instid1(VALU_DEP_1)
	v_lshlrev_b64_e32 v[2:3], 1, v[2:3]
	v_add_co_u32 v2, vcc_lo, s18, v2
	s_wait_alu 0xfffd
	s_delay_alu instid0(VALU_DEP_2)
	v_add_co_ci_u32_e64 v3, null, s19, v3, vcc_lo
	global_load_u16 v2, v[2:3], off
.LBB243_8:
	s_or_b32 exec_lo, exec_lo, s2
	v_dual_mov_b32 v3, s9 :: v_dual_add_nc_u32 v10, 64, v21
	s_delay_alu instid0(VALU_DEP_1)
	v_cmp_gt_u32_e64 s2, s13, v10
	s_and_saveexec_b32 s3, s2
	s_cbranch_execz .LBB243_10
; %bb.9:
	v_mul_lo_u32 v3, s14, v10
	v_mov_b32_e32 v4, 0
	s_delay_alu instid0(VALU_DEP_1) | instskip(NEXT) | instid1(VALU_DEP_1)
	v_lshlrev_b64_e32 v[3:4], 1, v[3:4]
	v_add_co_u32 v3, vcc_lo, s18, v3
	s_wait_alu 0xfffd
	s_delay_alu instid0(VALU_DEP_2)
	v_add_co_ci_u32_e64 v4, null, s19, v4, vcc_lo
	global_load_u16 v3, v[3:4], off
.LBB243_10:
	s_or_b32 exec_lo, exec_lo, s3
	s_clause 0x1
	s_load_b32 s10, s[6:7], 0x6c
	s_load_b64 s[6:7], s[6:7], 0x0
	v_dual_mov_b32 v4, s9 :: v_dual_add_nc_u32 v11, 0x60, v21
	s_delay_alu instid0(VALU_DEP_1)
	v_cmp_gt_u32_e64 s3, s13, v11
	s_and_saveexec_b32 s9, s3
	s_cbranch_execz .LBB243_12
; %bb.11:
	v_mul_lo_u32 v4, s14, v11
	v_mov_b32_e32 v5, 0
	s_delay_alu instid0(VALU_DEP_1) | instskip(NEXT) | instid1(VALU_DEP_1)
	v_lshlrev_b64_e32 v[4:5], 1, v[4:5]
	v_add_co_u32 v4, vcc_lo, s18, v4
	s_wait_alu 0xfffd
	s_delay_alu instid0(VALU_DEP_2)
	v_add_co_ci_u32_e64 v5, null, s19, v5, vcc_lo
	global_load_u16 v4, v[4:5], off
.LBB243_12:
	s_wait_alu 0xfffe
	s_or_b32 exec_lo, exec_lo, s9
	v_lshrrev_b32_e32 v5, 4, v21
	v_lshrrev_b32_e32 v6, 4, v9
	v_lshlrev_b32_e32 v7, 1, v21
	v_lshrrev_b32_e32 v8, 4, v10
	v_lshrrev_b32_e32 v13, 2, v21
	v_and_b32_e32 v5, 60, v5
	v_and_b32_e32 v6, 0x7c, v6
	v_lshrrev_b32_e32 v12, 4, v11
	v_and_b32_e32 v8, 0x7c, v8
	s_wait_kmcnt 0x0
	s_mul_i32 s4, s10, s4
	v_add_nc_u32_e32 v32, v5, v7
	v_add_nc_u32_e32 v18, v6, v7
	v_and_b32_e32 v5, 0xfc, v13
	v_and_b32_e32 v12, 0x7c, v12
	v_mul_lo_u32 v19, s16, v21
	s_wait_loadcnt 0x0
	ds_store_b16 v32, v1
	ds_store_b16 v18, v2 offset:64
	v_mov_b32_e32 v1, 0
	v_lshl_add_u32 v35, v21, 3, v5
	v_dual_mov_b32 v2, 0 :: v_dual_add_nc_u32 v33, v8, v7
	v_add_nc_u32_e32 v34, v12, v7
	ds_store_b16 v33, v3 offset:128
	ds_store_b16 v34, v4 offset:192
	s_wait_dscnt 0x0
	; wave barrier
	global_inv scope:SCOPE_SE
	ds_load_2addr_b32 v[22:23], v35 offset1:1
	s_add_co_i32 s4, s4, s5
	s_mov_b32 s5, 0
	v_mov_b32_e32 v3, 0
	v_mov_b32_e32 v4, 0
	s_lshl_b64 s[4:5], s[4:5], 3
	s_wait_loadcnt_dscnt 0x0
	s_add_nc_u64 s[20:21], s[6:7], s[4:5]
	; wave barrier
	global_inv scope:SCOPE_SE
	s_and_saveexec_b32 s4, s0
	s_cbranch_execz .LBB243_14
; %bb.13:
	v_mov_b32_e32 v20, 0
	s_delay_alu instid0(VALU_DEP_1) | instskip(NEXT) | instid1(VALU_DEP_1)
	v_lshlrev_b64_e32 v[3:4], 3, v[19:20]
	v_add_co_u32 v3, vcc_lo, s20, v3
	s_wait_alu 0xfffd
	s_delay_alu instid0(VALU_DEP_2)
	v_add_co_ci_u32_e64 v4, null, s21, v4, vcc_lo
	global_load_b64 v[3:4], v[3:4], off
.LBB243_14:
	s_or_b32 exec_lo, exec_lo, s4
	s_and_saveexec_b32 s4, s1
	s_cbranch_execz .LBB243_16
; %bb.15:
	v_mul_lo_u32 v1, s16, v9
	v_mov_b32_e32 v2, 0
	s_delay_alu instid0(VALU_DEP_1) | instskip(NEXT) | instid1(VALU_DEP_1)
	v_lshlrev_b64_e32 v[1:2], 3, v[1:2]
	v_add_co_u32 v1, vcc_lo, s20, v1
	s_wait_alu 0xfffd
	s_delay_alu instid0(VALU_DEP_2)
	v_add_co_ci_u32_e64 v2, null, s21, v2, vcc_lo
	global_load_b64 v[1:2], v[1:2], off
.LBB243_16:
	s_or_b32 exec_lo, exec_lo, s4
	v_mov_b32_e32 v5, 0
	v_dual_mov_b32 v6, 0 :: v_dual_mov_b32 v7, 0
	v_mov_b32_e32 v8, 0
	s_and_saveexec_b32 s4, s2
	s_cbranch_execz .LBB243_18
; %bb.17:
	v_mul_lo_u32 v7, s16, v10
	v_mov_b32_e32 v8, 0
	s_delay_alu instid0(VALU_DEP_1) | instskip(NEXT) | instid1(VALU_DEP_1)
	v_lshlrev_b64_e32 v[7:8], 3, v[7:8]
	v_add_co_u32 v7, vcc_lo, s20, v7
	s_wait_alu 0xfffd
	s_delay_alu instid0(VALU_DEP_2)
	v_add_co_ci_u32_e64 v8, null, s21, v8, vcc_lo
	global_load_b64 v[7:8], v[7:8], off
.LBB243_18:
	s_or_b32 exec_lo, exec_lo, s4
	v_lshrrev_b32_e32 v12, 5, v21
	v_lshrrev_b32_e32 v9, 5, v9
	v_lshrrev_b32_e32 v10, 5, v10
	v_lshrrev_b32_e32 v13, 5, v11
	v_lshlrev_b32_e32 v41, 2, v21
	v_lshrrev_b32_e32 v14, 3, v21
	s_xor_b32 s6, s8, -1
	s_and_saveexec_b32 s4, s3
	s_cbranch_execz .LBB243_20
; %bb.19:
	v_mul_lo_u32 v5, s16, v11
	v_mov_b32_e32 v6, 0
	s_delay_alu instid0(VALU_DEP_1) | instskip(NEXT) | instid1(VALU_DEP_1)
	v_lshlrev_b64_e32 v[5:6], 3, v[5:6]
	v_add_co_u32 v5, vcc_lo, s20, v5
	s_wait_alu 0xfffd
	s_delay_alu instid0(VALU_DEP_2)
	v_add_co_ci_u32_e64 v6, null, s21, v6, vcc_lo
	global_load_b64 v[5:6], v[5:6], off
.LBB243_20:
	s_or_b32 exec_lo, exec_lo, s4
	v_lshlrev_b32_e32 v11, 3, v21
	v_lshlrev_b32_e32 v40, 3, v41
	v_mbcnt_lo_u32_b32 v44, -1, 0
	v_lshrrev_b32_e32 v48, 16, v22
	v_lshrrev_b32_e32 v47, 16, v23
	v_lshl_add_u32 v36, v12, 3, v11
	v_lshl_add_u32 v39, v14, 3, v40
	;; [unrolled: 1-line block ×5, first 2 shown]
	s_wait_loadcnt 0x0
	ds_store_b64 v36, v[3:4]
	ds_store_b64 v20, v[1:2] offset:256
	ds_store_b64 v37, v[7:8] offset:512
	;; [unrolled: 1-line block ×3, first 2 shown]
	s_wait_dscnt 0x0
	; wave barrier
	global_inv scope:SCOPE_SE
	ds_load_2addr_b64 v[5:8], v39 offset1:1
	ds_load_2addr_b64 v[1:4], v39 offset0:2 offset1:3
	v_and_b32_e32 v43, 3, v44
	v_and_b32_e32 v45, 28, v44
	s_and_b32 vcc_lo, exec_lo, s6
	v_bfe_u32 v46, v0, 10, 10
	v_bfe_u32 v0, v0, 20, 10
	v_cmp_eq_u32_e64 s5, 1, v43
	v_cmp_eq_u32_e64 s4, 2, v43
	;; [unrolled: 1-line block ×3, first 2 shown]
	v_lshlrev_b32_e32 v42, 5, v21
	s_mov_b32 s7, -1
	; wave barrier
	s_wait_loadcnt_dscnt 0x0
	global_inv scope:SCOPE_SE
                                        ; implicit-def: $vgpr14
                                        ; implicit-def: $vgpr13
	s_wait_alu 0xfffe
	s_cbranch_vccz .LBB243_42
; %bb.21:
	v_cmp_lt_i16_e32 vcc_lo, -1, v22
	s_getpc_b64 s[8:9]
	s_wait_alu 0xfffe
	s_sext_i32_i16 s9, s9
	s_add_co_u32 s8, s8, _ZN7rocprim17ROCPRIM_400000_NS16block_radix_sortI12hip_bfloat16Lj32ELj4ElLj1ELj1ELj0ELNS0_26block_radix_rank_algorithmE1ELNS0_18block_padding_hintE2ELNS0_4arch9wavefront6targetE0EE19radix_bits_per_passE@rel32@lo+12
	s_wait_alu 0xfffe
	s_add_co_ci_u32 s9, s9, _ZN7rocprim17ROCPRIM_400000_NS16block_radix_sortI12hip_bfloat16Lj32ELj4ElLj1ELj1ELj0ELNS0_26block_radix_rank_algorithmE1ELNS0_18block_padding_hintE2ELNS0_4arch9wavefront6targetE0EE19radix_bits_per_passE@rel32@hi+24
	s_wait_loadcnt 0x0
	s_load_b32 s13, s[8:9], 0x0
	; wave barrier
	global_inv scope:SCOPE_SE
	v_cndmask_b32_e64 v9, -1, 0xffff8000, vcc_lo
	v_cmp_lt_i16_e32 vcc_lo, -1, v48
	s_load_b32 s9, s[22:23], 0xc
	ds_bpermute_b32 v56, v45, v5
	ds_bpermute_b32 v31, v45, v6
	v_xor_b32_e32 v9, v9, v22
	v_cndmask_b32_e64 v10, -1, 0xffff8000, vcc_lo
	v_cmp_lt_i16_e32 vcc_lo, -1, v23
	ds_bpermute_b32 v49, v45, v7
	ds_bpermute_b32 v28, v45, v8
	v_and_b32_e32 v9, 0xffff, v9
	v_xor_b32_e32 v10, v10, v48
	s_wait_alu 0xfffd
	v_cndmask_b32_e64 v11, -1, 0xffff8000, vcc_lo
	v_cmp_lt_i16_e32 vcc_lo, -1, v47
	ds_bpermute_b32 v29, v45, v1
	ds_bpermute_b32 v13, v45, v9
	v_dual_mov_b32 v83, 0 :: v_dual_and_b32 v10, 0xffff, v10
	s_wait_alu 0xfffd
	v_cndmask_b32_e64 v12, -1, 0xffff8000, vcc_lo
	v_xor_b32_e32 v11, v11, v23
	s_wait_kmcnt 0x0
	s_min_u32 s7, s13, 16
	ds_bpermute_b32 v14, v45, v10
	s_lshl_b32 s7, -1, s7
	v_xor_b32_e32 v12, v12, v47
	v_and_b32_e32 v11, 0xffff, v11
	s_not_b32 s8, s7
	ds_bpermute_b32 v25, v45, v2
	ds_bpermute_b32 v26, v45, v3
	v_and_b32_e32 v12, 0xffff, v12
	ds_bpermute_b32 v15, v45, v11
	ds_bpermute_b32 v27, v45, v4
	ds_bpermute_b32 v63, v45, v5 offset:32
	ds_bpermute_b32 v64, v45, v6 offset:32
	ds_bpermute_b32 v16, v45, v12
	ds_bpermute_b32 v55, v45, v7 offset:32
	ds_bpermute_b32 v57, v45, v8 offset:32
	;; [unrolled: 1-line block ×7, first 2 shown]
	s_wait_dscnt 0xe
	v_cndmask_b32_e64 v13, v13, v14, s5
	ds_bpermute_b32 v66, v45, v6 offset:64
	ds_bpermute_b32 v60, v45, v7 offset:64
	;; [unrolled: 1-line block ×7, first 2 shown]
	s_wait_dscnt 0x12
	v_cndmask_b32_e64 v13, v13, v15, s4
	ds_bpermute_b32 v67, v45, v5 offset:96
	ds_bpermute_b32 v68, v45, v9 offset:32
	;; [unrolled: 1-line block ×4, first 2 shown]
	s_wait_dscnt 0x12
	v_cndmask_b32_e64 v62, v13, v16, s6
	ds_bpermute_b32 v80, v45, v12 offset:32
	ds_bpermute_b32 v14, v45, v10 offset:64
	;; [unrolled: 1-line block ×4, first 2 shown]
	v_and_b32_e32 v13, 0xffff, v62
	v_cmp_ne_u16_e32 vcc_lo, 0x7fff, v62
	ds_bpermute_b32 v12, v45, v12 offset:96
	ds_store_2addr_b32 v42, v83, v83 offset0:1 offset1:2
	ds_store_2addr_b32 v42, v83, v83 offset0:3 offset1:4
	;; [unrolled: 1-line block ×4, first 2 shown]
	; wave barrier
	s_wait_loadcnt_dscnt 0x0
	global_inv scope:SCOPE_SE
	s_wait_alu 0xfffd
	v_cndmask_b32_e32 v13, 0x8000, v13, vcc_lo
	; wave barrier
	s_wait_alu 0xfffe
	s_delay_alu instid0(VALU_DEP_1)
	v_and_b32_e32 v78, s8, v13
	ds_bpermute_b32 v13, v45, v9 offset:64
	ds_bpermute_b32 v9, v45, v9 offset:96
	v_and_b32_e32 v15, 1, v78
	v_lshlrev_b32_e32 v24, 30, v78
	v_lshlrev_b32_e32 v72, 28, v78
	s_delay_alu instid0(VALU_DEP_3)
	v_add_co_u32 v69, s7, v15, -1
	s_wait_alu 0xf1ff
	v_cndmask_b32_e64 v70, 0, 1, s7
	v_not_b32_e32 v71, v24
	v_cmp_gt_i32_e64 s7, 0, v24
	ds_bpermute_b32 v15, v45, v11 offset:64
	ds_bpermute_b32 v11, v45, v11 offset:96
	v_cmp_ne_u32_e32 vcc_lo, 0, v70
	v_lshlrev_b32_e32 v70, 29, v78
	v_ashrrev_i32_e32 v24, 31, v71
	s_wait_alu 0xfffd
	v_xor_b32_e32 v69, vcc_lo, v69
	s_delay_alu instid0(VALU_DEP_3)
	v_not_b32_e32 v71, v70
	s_wait_alu 0xf1ff
	v_xor_b32_e32 v24, s7, v24
	v_cmp_gt_i32_e32 vcc_lo, 0, v70
	s_lshr_b32 s7, s9, 16
	v_and_b32_e32 v69, exec_lo, v69
	v_ashrrev_i32_e32 v70, 31, v71
	v_not_b32_e32 v71, v72
	s_wait_alu 0xfffe
	v_mad_u32_u24 v75, v0, s7, v46
	s_and_b32 s9, s9, 0xffff
	v_and_b32_e32 v24, v69, v24
	v_lshlrev_b32_e32 v69, 27, v78
	s_wait_alu 0xfffd
	v_xor_b32_e32 v70, vcc_lo, v70
	v_cmp_gt_i32_e32 vcc_lo, 0, v72
	v_ashrrev_i32_e32 v72, 31, v71
	s_wait_alu 0xfffe
	v_mad_co_u64_u32 v[81:82], null, v75, s9, v[21:22]
	v_not_b32_e32 v73, v69
	v_and_b32_e32 v24, v24, v70
	v_lshlrev_b32_e32 v70, 26, v78
	s_wait_alu 0xfffd
	v_xor_b32_e32 v72, vcc_lo, v72
	v_cmp_gt_i32_e32 vcc_lo, 0, v69
	v_ashrrev_i32_e32 v73, 31, v73
	ds_bpermute_b32 v71, v45, v6 offset:96
	v_not_b32_e32 v74, v70
	v_and_b32_e32 v24, v24, v72
	v_lshlrev_b32_e32 v72, 25, v78
	s_wait_alu 0xfffd
	v_xor_b32_e32 v73, vcc_lo, v73
	v_cmp_gt_i32_e32 vcc_lo, 0, v70
	v_ashrrev_i32_e32 v70, 31, v74
	ds_bpermute_b32 v69, v45, v7 offset:96
	;; [unrolled: 8-line block ×3, first 2 shown]
	v_not_b32_e32 v74, v73
	v_and_b32_e32 v24, v24, v70
	v_lshrrev_b32_e32 v82, 5, v81
	s_wait_alu 0xfffd
	v_xor_b32_e32 v70, vcc_lo, v72
	v_cmp_gt_i32_e32 vcc_lo, 0, v73
	v_ashrrev_i32_e32 v72, 31, v74
	ds_bpermute_b32 v73, v45, v1 offset:96
	ds_bpermute_b32 v74, v45, v2 offset:96
	v_and_b32_e32 v24, v24, v70
	ds_bpermute_b32 v70, v45, v3 offset:96
	s_wait_alu 0xfffd
	v_xor_b32_e32 v76, vcc_lo, v72
	ds_bpermute_b32 v72, v45, v4 offset:96
	v_and_b32_e32 v81, v24, v76
	v_lshlrev_b32_e32 v24, 2, v82
	s_delay_alu instid0(VALU_DEP_2) | instskip(SKIP_1) | instid1(VALU_DEP_3)
	v_mbcnt_lo_u32_b32 v76, v81, 0
	v_cmp_ne_u32_e64 s7, 0, v81
	v_lshl_add_u32 v78, v78, 2, v24
	s_delay_alu instid0(VALU_DEP_3)
	v_cmp_eq_u32_e32 vcc_lo, 0, v76
	s_and_b32 s9, s7, vcc_lo
	s_wait_alu 0xfffe
	s_and_saveexec_b32 s7, s9
; %bb.22:
	v_bcnt_u32_b32 v81, v81, 0
	ds_store_b32 v78, v81 offset:4
; %bb.23:
	s_wait_alu 0xfffe
	s_or_b32 exec_lo, exec_lo, s7
	v_cndmask_b32_e64 v68, v68, v77, s5
	; wave barrier
	s_delay_alu instid0(VALU_DEP_1) | instskip(NEXT) | instid1(VALU_DEP_1)
	v_cndmask_b32_e64 v68, v68, v79, s4
	v_cndmask_b32_e64 v77, v68, v80, s6
	s_delay_alu instid0(VALU_DEP_1) | instskip(SKIP_2) | instid1(VALU_DEP_2)
	v_and_b32_e32 v68, 0xffff, v77
	v_cmp_ne_u16_e32 vcc_lo, 0x7fff, v77
	s_wait_alu 0xfffd
	v_cndmask_b32_e32 v68, 0x8000, v68, vcc_lo
	s_delay_alu instid0(VALU_DEP_1) | instskip(NEXT) | instid1(VALU_DEP_1)
	v_and_b32_e32 v68, s8, v68
	v_and_b32_e32 v79, 1, v68
	v_lshlrev_b32_e32 v80, 30, v68
	v_lshlrev_b32_e32 v81, 29, v68
	;; [unrolled: 1-line block ×4, first 2 shown]
	v_add_co_u32 v79, s7, v79, -1
	s_wait_alu 0xf1ff
	v_cndmask_b32_e64 v83, 0, 1, s7
	v_not_b32_e32 v87, v80
	v_cmp_gt_i32_e64 s7, 0, v80
	v_not_b32_e32 v80, v81
	v_lshlrev_b32_e32 v85, 26, v68
	v_cmp_ne_u32_e32 vcc_lo, 0, v83
	v_ashrrev_i32_e32 v87, 31, v87
	v_lshlrev_b32_e32 v86, 25, v68
	v_ashrrev_i32_e32 v80, 31, v80
	v_lshlrev_b32_e32 v83, 24, v68
	s_wait_alu 0xfffd
	v_xor_b32_e32 v79, vcc_lo, v79
	v_cmp_gt_i32_e32 vcc_lo, 0, v81
	v_not_b32_e32 v81, v82
	s_wait_alu 0xf1ff
	v_xor_b32_e32 v87, s7, v87
	v_cmp_gt_i32_e64 s7, 0, v82
	v_and_b32_e32 v79, exec_lo, v79
	v_not_b32_e32 v82, v84
	v_ashrrev_i32_e32 v81, 31, v81
	s_wait_alu 0xfffd
	v_xor_b32_e32 v80, vcc_lo, v80
	v_cmp_gt_i32_e32 vcc_lo, 0, v84
	v_and_b32_e32 v79, v79, v87
	v_not_b32_e32 v84, v85
	v_ashrrev_i32_e32 v82, 31, v82
	s_wait_alu 0xf1ff
	v_xor_b32_e32 v81, s7, v81
	v_cmp_gt_i32_e64 s7, 0, v85
	v_and_b32_e32 v79, v79, v80
	v_not_b32_e32 v80, v86
	v_ashrrev_i32_e32 v84, 31, v84
	s_wait_alu 0xfffd
	v_xor_b32_e32 v82, vcc_lo, v82
	v_cmp_gt_i32_e32 vcc_lo, 0, v86
	v_and_b32_e32 v79, v79, v81
	v_not_b32_e32 v81, v83
	v_ashrrev_i32_e32 v80, 31, v80
	s_wait_alu 0xf1ff
	v_xor_b32_e32 v84, s7, v84
	v_cmp_gt_i32_e64 s7, 0, v83
	v_and_b32_e32 v79, v79, v82
	v_ashrrev_i32_e32 v81, 31, v81
	s_wait_alu 0xfffd
	v_xor_b32_e32 v80, vcc_lo, v80
	v_lshl_add_u32 v82, v68, 2, v24
	v_and_b32_e32 v79, v79, v84
	s_wait_alu 0xf1ff
	v_xor_b32_e32 v68, s7, v81
	s_delay_alu instid0(VALU_DEP_2) | instskip(SKIP_2) | instid1(VALU_DEP_1)
	v_and_b32_e32 v80, v79, v80
	ds_load_b32 v79, v82 offset:4
	; wave barrier
	v_and_b32_e32 v68, v80, v68
	v_mbcnt_lo_u32_b32 v80, v68, 0
	v_cmp_ne_u32_e64 s7, 0, v68
	s_delay_alu instid0(VALU_DEP_2)
	v_cmp_eq_u32_e32 vcc_lo, 0, v80
	s_and_b32 s9, s7, vcc_lo
	s_wait_alu 0xfffe
	s_and_saveexec_b32 s7, s9
	s_cbranch_execz .LBB243_25
; %bb.24:
	s_wait_dscnt 0x0
	v_bcnt_u32_b32 v68, v68, v79
	ds_store_b32 v82, v68 offset:4
.LBB243_25:
	s_wait_alu 0xfffe
	s_or_b32 exec_lo, exec_lo, s7
	s_wait_dscnt 0xb
	v_cndmask_b32_e64 v13, v13, v14, s5
	; wave barrier
	s_wait_dscnt 0x9
	s_delay_alu instid0(VALU_DEP_1) | instskip(NEXT) | instid1(VALU_DEP_1)
	v_cndmask_b32_e64 v13, v13, v15, s4
	v_cndmask_b32_e64 v81, v13, v16, s6
	s_delay_alu instid0(VALU_DEP_1) | instskip(SKIP_2) | instid1(VALU_DEP_2)
	v_and_b32_e32 v13, 0xffff, v81
	v_cmp_ne_u16_e32 vcc_lo, 0x7fff, v81
	s_wait_alu 0xfffd
	v_cndmask_b32_e32 v13, 0x8000, v13, vcc_lo
	s_delay_alu instid0(VALU_DEP_1) | instskip(NEXT) | instid1(VALU_DEP_1)
	v_and_b32_e32 v13, s8, v13
	v_and_b32_e32 v14, 1, v13
	v_lshlrev_b32_e32 v15, 30, v13
	v_lshlrev_b32_e32 v16, 29, v13
	;; [unrolled: 1-line block ×4, first 2 shown]
	v_add_co_u32 v14, s7, v14, -1
	s_wait_alu 0xf1ff
	v_cndmask_b32_e64 v83, 0, 1, s7
	v_not_b32_e32 v87, v15
	v_cmp_gt_i32_e64 s7, 0, v15
	v_not_b32_e32 v15, v16
	v_lshlrev_b32_e32 v85, 26, v13
	v_cmp_ne_u32_e32 vcc_lo, 0, v83
	v_ashrrev_i32_e32 v87, 31, v87
	v_lshlrev_b32_e32 v86, 25, v13
	v_ashrrev_i32_e32 v15, 31, v15
	v_lshlrev_b32_e32 v83, 24, v13
	s_wait_alu 0xfffd
	v_xor_b32_e32 v14, vcc_lo, v14
	v_cmp_gt_i32_e32 vcc_lo, 0, v16
	v_not_b32_e32 v16, v68
	s_wait_alu 0xf1ff
	v_xor_b32_e32 v87, s7, v87
	v_cmp_gt_i32_e64 s7, 0, v68
	v_and_b32_e32 v14, exec_lo, v14
	v_not_b32_e32 v68, v84
	v_ashrrev_i32_e32 v16, 31, v16
	s_wait_alu 0xfffd
	v_xor_b32_e32 v15, vcc_lo, v15
	v_cmp_gt_i32_e32 vcc_lo, 0, v84
	v_and_b32_e32 v14, v14, v87
	v_not_b32_e32 v84, v85
	v_ashrrev_i32_e32 v68, 31, v68
	s_wait_alu 0xf1ff
	v_xor_b32_e32 v16, s7, v16
	v_cmp_gt_i32_e64 s7, 0, v85
	v_and_b32_e32 v14, v14, v15
	v_not_b32_e32 v15, v86
	v_ashrrev_i32_e32 v84, 31, v84
	s_wait_alu 0xfffd
	v_xor_b32_e32 v68, vcc_lo, v68
	v_cmp_gt_i32_e32 vcc_lo, 0, v86
	v_and_b32_e32 v14, v14, v16
	v_not_b32_e32 v16, v83
	v_ashrrev_i32_e32 v15, 31, v15
	s_wait_alu 0xf1ff
	v_xor_b32_e32 v84, s7, v84
	v_cmp_gt_i32_e64 s7, 0, v83
	v_and_b32_e32 v14, v14, v68
	v_ashrrev_i32_e32 v16, 31, v16
	s_wait_alu 0xfffd
	v_xor_b32_e32 v15, vcc_lo, v15
	v_lshl_add_u32 v86, v13, 2, v24
	v_and_b32_e32 v14, v14, v84
	s_wait_alu 0xf1ff
	v_xor_b32_e32 v13, s7, v16
	ds_load_b32 v83, v86 offset:4
	v_and_b32_e32 v14, v14, v15
	; wave barrier
	s_delay_alu instid0(VALU_DEP_1) | instskip(NEXT) | instid1(VALU_DEP_1)
	v_and_b32_e32 v13, v14, v13
	v_mbcnt_lo_u32_b32 v84, v13, 0
	v_cmp_ne_u32_e64 s7, 0, v13
	s_delay_alu instid0(VALU_DEP_2)
	v_cmp_eq_u32_e32 vcc_lo, 0, v84
	s_and_b32 s9, s7, vcc_lo
	s_wait_alu 0xfffe
	s_and_saveexec_b32 s7, s9
	s_cbranch_execz .LBB243_27
; %bb.26:
	s_wait_dscnt 0x0
	v_bcnt_u32_b32 v13, v13, v83
	ds_store_b32 v86, v13 offset:4
.LBB243_27:
	s_wait_alu 0xfffe
	s_or_b32 exec_lo, exec_lo, s7
	v_cndmask_b32_e64 v9, v9, v10, s5
	; wave barrier
	v_and_or_b32 v90, 0xf80, v41, v44
	s_wait_dscnt 0x9
	s_delay_alu instid0(VALU_DEP_2) | instskip(NEXT) | instid1(VALU_DEP_1)
	v_cndmask_b32_e64 v9, v9, v11, s4
	v_cndmask_b32_e64 v85, v9, v12, s6
	s_delay_alu instid0(VALU_DEP_1) | instskip(SKIP_2) | instid1(VALU_DEP_2)
	v_and_b32_e32 v9, 0xffff, v85
	v_cmp_ne_u16_e32 vcc_lo, 0x7fff, v85
	s_wait_alu 0xfffd
	v_cndmask_b32_e32 v9, 0x8000, v9, vcc_lo
	s_delay_alu instid0(VALU_DEP_1) | instskip(NEXT) | instid1(VALU_DEP_1)
	v_and_b32_e32 v9, s8, v9
	v_and_b32_e32 v10, 1, v9
	v_lshlrev_b32_e32 v11, 30, v9
	v_lshlrev_b32_e32 v12, 29, v9
	;; [unrolled: 1-line block ×4, first 2 shown]
	v_add_co_u32 v10, s7, v10, -1
	s_wait_alu 0xf1ff
	v_cndmask_b32_e64 v14, 0, 1, s7
	v_not_b32_e32 v87, v11
	v_cmp_gt_i32_e64 s7, 0, v11
	v_not_b32_e32 v11, v12
	v_lshlrev_b32_e32 v16, 26, v9
	v_cmp_ne_u32_e32 vcc_lo, 0, v14
	v_ashrrev_i32_e32 v87, 31, v87
	v_lshlrev_b32_e32 v68, 25, v9
	v_ashrrev_i32_e32 v11, 31, v11
	v_lshlrev_b32_e32 v14, 24, v9
	s_wait_alu 0xfffd
	v_xor_b32_e32 v10, vcc_lo, v10
	v_cmp_gt_i32_e32 vcc_lo, 0, v12
	v_not_b32_e32 v12, v13
	s_wait_alu 0xf1ff
	v_xor_b32_e32 v87, s7, v87
	v_cmp_gt_i32_e64 s7, 0, v13
	v_and_b32_e32 v10, exec_lo, v10
	v_not_b32_e32 v13, v15
	v_ashrrev_i32_e32 v12, 31, v12
	s_wait_alu 0xfffd
	v_xor_b32_e32 v11, vcc_lo, v11
	v_cmp_gt_i32_e32 vcc_lo, 0, v15
	v_and_b32_e32 v10, v10, v87
	v_not_b32_e32 v15, v16
	v_ashrrev_i32_e32 v13, 31, v13
	s_wait_alu 0xf1ff
	v_xor_b32_e32 v12, s7, v12
	v_cmp_gt_i32_e64 s7, 0, v16
	v_and_b32_e32 v10, v10, v11
	v_not_b32_e32 v11, v68
	v_ashrrev_i32_e32 v15, 31, v15
	s_wait_alu 0xfffd
	v_xor_b32_e32 v13, vcc_lo, v13
	v_cmp_gt_i32_e32 vcc_lo, 0, v68
	v_and_b32_e32 v10, v10, v12
	v_not_b32_e32 v12, v14
	v_ashrrev_i32_e32 v11, 31, v11
	s_wait_alu 0xf1ff
	v_xor_b32_e32 v15, s7, v15
	v_cmp_gt_i32_e64 s7, 0, v14
	v_and_b32_e32 v10, v10, v13
	v_ashrrev_i32_e32 v12, 31, v12
	s_wait_alu 0xfffd
	v_xor_b32_e32 v11, vcc_lo, v11
	v_lshl_add_u32 v89, v9, 2, v24
	v_and_b32_e32 v10, v10, v15
	s_wait_alu 0xf1ff
	v_xor_b32_e32 v9, s7, v12
	ds_load_b32 v87, v89 offset:4
	v_and_b32_e32 v10, v10, v11
	; wave barrier
	s_delay_alu instid0(VALU_DEP_1) | instskip(NEXT) | instid1(VALU_DEP_1)
	v_and_b32_e32 v9, v10, v9
	v_mbcnt_lo_u32_b32 v88, v9, 0
	v_cmp_ne_u32_e64 s7, 0, v9
	s_delay_alu instid0(VALU_DEP_2)
	v_cmp_eq_u32_e32 vcc_lo, 0, v88
	s_and_b32 s8, s7, vcc_lo
	s_wait_alu 0xfffe
	s_and_saveexec_b32 s7, s8
	s_cbranch_execz .LBB243_29
; %bb.28:
	s_wait_dscnt 0x0
	v_bcnt_u32_b32 v9, v9, v87
	ds_store_b32 v89, v9 offset:4
.LBB243_29:
	s_wait_alu 0xfffe
	s_or_b32 exec_lo, exec_lo, s7
	; wave barrier
	; wave barrier
	s_wait_loadcnt_dscnt 0x0
	global_inv scope:SCOPE_SE
	ds_load_2addr_b32 v[15:16], v42 offset0:1 offset1:2
	ds_load_2addr_b32 v[13:14], v42 offset0:3 offset1:4
	ds_load_2addr_b32 v[11:12], v42 offset0:5 offset1:6
	ds_load_2addr_b32 v[9:10], v42 offset0:7 offset1:8
	v_and_b32_e32 v92, 16, v44
	v_cmp_eq_u32_e64 s10, 31, v21
	s_delay_alu instid0(VALU_DEP_2) | instskip(SKIP_3) | instid1(VALU_DEP_1)
	v_cmp_eq_u32_e64 s11, 0, v92
	s_wait_dscnt 0x3
	v_add_nc_u32_e32 v68, v16, v15
	s_wait_dscnt 0x2
	v_add3_u32 v68, v68, v13, v14
	s_wait_dscnt 0x1
	s_delay_alu instid0(VALU_DEP_1) | instskip(SKIP_1) | instid1(VALU_DEP_1)
	v_add3_u32 v68, v68, v11, v12
	s_wait_dscnt 0x0
	v_add3_u32 v10, v68, v9, v10
	v_and_b32_e32 v68, 15, v44
	s_delay_alu instid0(VALU_DEP_2) | instskip(NEXT) | instid1(VALU_DEP_2)
	v_mov_b32_dpp v91, v10 row_shr:1 row_mask:0xf bank_mask:0xf
	v_cmp_eq_u32_e32 vcc_lo, 0, v68
	v_cmp_lt_u32_e64 s7, 1, v68
	v_cmp_lt_u32_e64 s8, 3, v68
	;; [unrolled: 1-line block ×3, first 2 shown]
	s_wait_alu 0xfffd
	v_cndmask_b32_e64 v91, v91, 0, vcc_lo
	s_delay_alu instid0(VALU_DEP_1) | instskip(NEXT) | instid1(VALU_DEP_1)
	v_add_nc_u32_e32 v10, v91, v10
	v_mov_b32_dpp v91, v10 row_shr:2 row_mask:0xf bank_mask:0xf
	s_wait_alu 0xf1ff
	s_delay_alu instid0(VALU_DEP_1) | instskip(NEXT) | instid1(VALU_DEP_1)
	v_cndmask_b32_e64 v91, 0, v91, s7
	v_add_nc_u32_e32 v10, v10, v91
	s_delay_alu instid0(VALU_DEP_1) | instskip(NEXT) | instid1(VALU_DEP_1)
	v_mov_b32_dpp v91, v10 row_shr:4 row_mask:0xf bank_mask:0xf
	v_cndmask_b32_e64 v91, 0, v91, s8
	s_delay_alu instid0(VALU_DEP_1) | instskip(NEXT) | instid1(VALU_DEP_1)
	v_add_nc_u32_e32 v10, v10, v91
	v_mov_b32_dpp v91, v10 row_shr:8 row_mask:0xf bank_mask:0xf
	s_delay_alu instid0(VALU_DEP_1) | instskip(NEXT) | instid1(VALU_DEP_1)
	v_cndmask_b32_e64 v68, 0, v91, s9
	v_add_nc_u32_e32 v91, v10, v68
	v_bfe_i32 v68, v44, 4, 1
	ds_swizzle_b32 v10, v91 offset:swizzle(BROADCAST,32,15)
	s_wait_dscnt 0x0
	v_and_b32_e32 v93, v68, v10
	v_sub_co_u32 v68, s15, v44, 1
	v_mul_u32_u24_e32 v10, 6, v90
	s_delay_alu instid0(VALU_DEP_3)
	v_add_nc_u32_e32 v91, v91, v93
	s_and_saveexec_b32 s12, s10
; %bb.30:
	v_mov_b32_e32 v92, 0
	ds_store_b32 v92, v91
; %bb.31:
	s_wait_alu 0xfffe
	s_or_b32 exec_lo, exec_lo, s12
	v_cmp_gt_i32_e64 s12, 0, v68
	; wave barrier
	s_wait_loadcnt_dscnt 0x0
	global_inv scope:SCOPE_SE
	s_min_u32 s13, s13, 8
	s_wait_alu 0xfffe
	s_lshl_b32 s13, -1, s13
	v_cndmask_b32_e64 v68, v68, v44, s12
	v_cmp_eq_u32_e64 s12, 0, v21
	s_wait_alu 0xfffe
	s_not_b32 s13, s13
	v_lshlrev_b32_e32 v68, 2, v68
	s_or_b32 s15, s12, s15
	v_cmp_eq_u32_e64 s12, 0, v43
	ds_bpermute_b32 v91, v68, v91
	s_wait_dscnt 0x0
	s_wait_alu 0xfffe
	v_cndmask_b32_e64 v91, v91, 0, s15
	s_delay_alu instid0(VALU_DEP_1) | instskip(NEXT) | instid1(VALU_DEP_1)
	v_add_nc_u32_e32 v15, v91, v15
	v_add_nc_u32_e32 v16, v15, v16
	s_delay_alu instid0(VALU_DEP_1) | instskip(NEXT) | instid1(VALU_DEP_1)
	v_add_nc_u32_e32 v13, v16, v13
	v_add_nc_u32_e32 v14, v13, v14
	s_delay_alu instid0(VALU_DEP_1) | instskip(NEXT) | instid1(VALU_DEP_1)
	v_add_nc_u32_e32 v11, v14, v11
	v_add_nc_u32_e32 v12, v11, v12
	s_delay_alu instid0(VALU_DEP_1)
	v_add_nc_u32_e32 v9, v12, v9
	ds_store_2addr_b32 v42, v91, v15 offset0:1 offset1:2
	ds_store_2addr_b32 v42, v16, v13 offset0:3 offset1:4
	;; [unrolled: 1-line block ×4, first 2 shown]
	; wave barrier
	s_wait_loadcnt_dscnt 0x0
	global_inv scope:SCOPE_SE
	ds_load_b32 v9, v78 offset:4
	ds_load_b32 v11, v82 offset:4
	;; [unrolled: 1-line block ×4, first 2 shown]
	s_wait_alu 0xf1ff
	v_cndmask_b32_e64 v14, 0, v56, s12
	v_lshlrev_b32_e32 v15, 1, v90
	v_cndmask_b32_e64 v56, 0, v64, s12
	v_cndmask_b32_e64 v64, 0, v66, s12
	;; [unrolled: 1-line block ×9, first 2 shown]
	v_add_nc_u32_e32 v67, v15, v10
	; wave barrier
	s_wait_loadcnt_dscnt 0x0
	global_inv scope:SCOPE_SE
	v_cndmask_b32_e64 v16, v16, v28, s5
	v_cndmask_b32_e64 v28, v56, v57, s5
	v_add_nc_u32_e32 v29, v9, v76
	v_add3_u32 v71, v80, v79, v11
	v_add3_u32 v76, v84, v83, v12
	;; [unrolled: 1-line block ×3, first 2 shown]
	v_cndmask_b32_e64 v31, v31, v55, s5
	v_lshlrev_b32_e32 v9, 1, v29
	v_lshlrev_b32_e32 v10, 1, v71
	;; [unrolled: 1-line block ×4, first 2 shown]
	ds_store_b16 v9, v62
	ds_store_b16 v10, v77
	;; [unrolled: 1-line block ×4, first 2 shown]
	; wave barrier
	s_wait_loadcnt_dscnt 0x0
	global_inv scope:SCOPE_SE
	ds_load_u16 v49, v15
	v_cndmask_b32_e64 v16, v16, v25, s4
	v_cndmask_b32_e64 v55, v64, v61, s5
	v_cndmask_b32_e64 v13, v14, v26, s6
	v_cndmask_b32_e64 v25, v31, v52, s4
	v_cndmask_b32_e64 v26, v28, v53, s4
	v_cndmask_b32_e64 v14, v16, v27, s6
	v_cndmask_b32_e64 v31, v55, v59, s4
	v_cndmask_b32_e64 v56, v63, v60, s5
	v_cndmask_b32_e64 v57, v66, v75, s5
	v_cndmask_b32_e64 v16, v26, v50, s6
	ds_load_u16 v50, v15 offset:64
	ds_load_u16 v52, v15 offset:128
	;; [unrolled: 1-line block ×3, first 2 shown]
	v_cndmask_b32_e64 v15, v25, v30, s6
	v_cndmask_b32_e64 v26, v31, v54, s6
	;; [unrolled: 1-line block ×5, first 2 shown]
	; wave barrier
	s_wait_loadcnt_dscnt 0x0
	global_inv scope:SCOPE_SE
	v_cndmask_b32_e64 v55, v60, v73, s4
	v_lshrrev_b16 v27, 8, v49
	v_cmp_ne_u16_e64 s12, 0x7fff, v49
	v_cndmask_b32_e64 v25, v28, v51, s6
	v_cndmask_b32_e64 v28, v56, v72, s6
	s_wait_alu 0xf1ff
	s_delay_alu instid0(VALU_DEP_3) | instskip(SKIP_1) | instid1(VALU_DEP_2)
	v_cndmask_b32_e64 v30, 0x80, v27, s12
	v_cndmask_b32_e64 v27, v55, v70, s6
	v_and_b32_e32 v31, 0xffff, v30
	v_mad_co_u64_u32 v[29:30], null, v29, 6, v[9:10]
	v_mad_co_u64_u32 v[9:10], null, v71, 6, v[10:11]
	s_delay_alu instid0(VALU_DEP_3) | instskip(SKIP_2) | instid1(VALU_DEP_3)
	v_and_b32_e32 v30, s13, v31
	v_mad_co_u64_u32 v[10:11], null, v76, 6, v[11:12]
	v_mad_co_u64_u32 v[11:12], null, v78, 6, v[12:13]
	v_and_b32_e32 v12, 1, v30
	ds_store_b64 v29, v[13:14]
	v_lshlrev_b32_e32 v13, 30, v30
	v_lshlrev_b32_e32 v14, 29, v30
	;; [unrolled: 1-line block ×3, first 2 shown]
	v_add_co_u32 v12, s6, v12, -1
	s_wait_alu 0xf1ff
	v_cndmask_b32_e64 v31, 0, 1, s6
	v_not_b32_e32 v56, v13
	v_cmp_gt_i32_e64 s12, 0, v13
	v_not_b32_e32 v13, v14
	v_lshlrev_b32_e32 v51, 27, v30
	v_cmp_ne_u32_e64 s6, 0, v31
	v_ashrrev_i32_e32 v56, 31, v56
	v_lshlrev_b32_e32 v54, 26, v30
	v_ashrrev_i32_e32 v13, 31, v13
	v_lshlrev_b32_e32 v55, 25, v30
	s_wait_alu 0xf1ff
	v_xor_b32_e32 v12, s6, v12
	v_cmp_gt_i32_e64 s6, 0, v14
	v_not_b32_e32 v14, v29
	v_xor_b32_e32 v56, s12, v56
	v_cmp_gt_i32_e64 s12, 0, v29
	v_and_b32_e32 v12, exec_lo, v12
	v_not_b32_e32 v29, v51
	v_ashrrev_i32_e32 v14, 31, v14
	s_wait_alu 0xf1ff
	v_xor_b32_e32 v13, s6, v13
	v_cmp_gt_i32_e64 s6, 0, v51
	v_and_b32_e32 v12, v12, v56
	v_not_b32_e32 v51, v54
	v_ashrrev_i32_e32 v29, 31, v29
	v_xor_b32_e32 v14, s12, v14
	v_lshlrev_b32_e32 v31, 24, v30
	v_and_b32_e32 v12, v12, v13
	v_cmp_gt_i32_e64 s12, 0, v54
	v_not_b32_e32 v13, v55
	v_ashrrev_i32_e32 v51, 31, v51
	s_wait_alu 0xf1ff
	v_xor_b32_e32 v29, s6, v29
	v_and_b32_e32 v12, v12, v14
	v_cmp_gt_i32_e64 s6, 0, v55
	v_not_b32_e32 v14, v31
	v_ashrrev_i32_e32 v13, 31, v13
	v_xor_b32_e32 v51, s12, v51
	v_and_b32_e32 v12, v12, v29
	ds_store_b64 v9, v[15:16]
	v_cmp_gt_i32_e64 s12, 0, v31
	v_ashrrev_i32_e32 v9, 31, v14
	s_wait_alu 0xf1ff
	v_xor_b32_e32 v13, s6, v13
	v_and_b32_e32 v12, v12, v51
	ds_store_b64 v10, v[25:26]
	ds_store_b64 v11, v[27:28]
	s_wait_loadcnt_dscnt 0x0
	v_xor_b32_e32 v25, s12, v9
	; wave barrier
	global_inv scope:SCOPE_SE
	v_and_b32_e32 v26, v12, v13
	ds_load_2addr_b64 v[13:16], v67 offset1:32
	ds_load_2addr_b64 v[9:12], v67 offset0:64 offset1:96
	v_lshl_add_u32 v54, v30, 2, v24
	; wave barrier
	s_wait_loadcnt_dscnt 0x0
	global_inv scope:SCOPE_SE
	v_dual_mov_b32 v26, 0 :: v_dual_and_b32 v25, v26, v25
	ds_store_2addr_b32 v42, v26, v26 offset0:1 offset1:2
	ds_store_2addr_b32 v42, v26, v26 offset0:3 offset1:4
	;; [unrolled: 1-line block ×4, first 2 shown]
	v_mbcnt_lo_u32_b32 v51, v25, 0
	v_cmp_ne_u32_e64 s12, 0, v25
	; wave barrier
	s_wait_loadcnt_dscnt 0x0
	global_inv scope:SCOPE_SE
	v_cmp_eq_u32_e64 s6, 0, v51
	; wave barrier
	s_and_b32 s12, s12, s6
	s_wait_alu 0xfffe
	s_and_saveexec_b32 s6, s12
; %bb.32:
	v_bcnt_u32_b32 v25, v25, 0
	ds_store_b32 v54, v25 offset:4
; %bb.33:
	s_wait_alu 0xfffe
	s_or_b32 exec_lo, exec_lo, s6
	v_lshrrev_b16 v25, 8, v50
	v_cmp_ne_u16_e64 s6, 0x7fff, v50
	; wave barrier
	s_wait_alu 0xf1ff
	s_delay_alu instid0(VALU_DEP_1) | instskip(NEXT) | instid1(VALU_DEP_1)
	v_cndmask_b32_e64 v25, 0x80, v25, s6
	v_and_b32_e32 v25, s13, v25
	s_delay_alu instid0(VALU_DEP_1)
	v_and_b32_e32 v26, 1, v25
	v_lshlrev_b32_e32 v27, 30, v25
	v_lshlrev_b32_e32 v28, 29, v25
	;; [unrolled: 1-line block ×4, first 2 shown]
	v_add_co_u32 v26, s6, v26, -1
	s_wait_alu 0xf1ff
	v_cndmask_b32_e64 v30, 0, 1, s6
	v_not_b32_e32 v57, v27
	v_cmp_gt_i32_e64 s12, 0, v27
	v_not_b32_e32 v27, v28
	v_lshlrev_b32_e32 v55, 26, v25
	v_cmp_ne_u32_e64 s6, 0, v30
	v_ashrrev_i32_e32 v57, 31, v57
	v_lshlrev_b32_e32 v56, 25, v25
	v_ashrrev_i32_e32 v27, 31, v27
	v_lshlrev_b32_e32 v30, 24, v25
	s_wait_alu 0xf1ff
	v_xor_b32_e32 v26, s6, v26
	v_cmp_gt_i32_e64 s6, 0, v28
	v_not_b32_e32 v28, v29
	v_xor_b32_e32 v57, s12, v57
	v_cmp_gt_i32_e64 s12, 0, v29
	v_and_b32_e32 v26, exec_lo, v26
	v_not_b32_e32 v29, v31
	v_ashrrev_i32_e32 v28, 31, v28
	s_wait_alu 0xf1ff
	v_xor_b32_e32 v27, s6, v27
	v_cmp_gt_i32_e64 s6, 0, v31
	v_and_b32_e32 v26, v26, v57
	v_not_b32_e32 v31, v55
	v_ashrrev_i32_e32 v29, 31, v29
	v_xor_b32_e32 v28, s12, v28
	v_cmp_gt_i32_e64 s12, 0, v55
	v_and_b32_e32 v26, v26, v27
	v_not_b32_e32 v27, v56
	v_ashrrev_i32_e32 v31, 31, v31
	s_wait_alu 0xf1ff
	v_xor_b32_e32 v29, s6, v29
	v_cmp_gt_i32_e64 s6, 0, v56
	v_and_b32_e32 v26, v26, v28
	v_not_b32_e32 v28, v30
	v_ashrrev_i32_e32 v27, 31, v27
	v_xor_b32_e32 v31, s12, v31
	v_cmp_gt_i32_e64 s12, 0, v30
	v_and_b32_e32 v26, v26, v29
	v_ashrrev_i32_e32 v28, 31, v28
	s_wait_alu 0xf1ff
	v_xor_b32_e32 v27, s6, v27
	v_lshl_add_u32 v57, v25, 2, v24
	v_and_b32_e32 v26, v26, v31
	v_xor_b32_e32 v25, s12, v28
	ds_load_b32 v55, v57 offset:4
	v_and_b32_e32 v26, v26, v27
	; wave barrier
	s_delay_alu instid0(VALU_DEP_1) | instskip(NEXT) | instid1(VALU_DEP_1)
	v_and_b32_e32 v25, v26, v25
	v_mbcnt_lo_u32_b32 v56, v25, 0
	v_cmp_ne_u32_e64 s12, 0, v25
	s_delay_alu instid0(VALU_DEP_2)
	v_cmp_eq_u32_e64 s6, 0, v56
	s_and_b32 s12, s12, s6
	s_wait_alu 0xfffe
	s_and_saveexec_b32 s6, s12
	s_cbranch_execz .LBB243_35
; %bb.34:
	s_wait_dscnt 0x0
	v_bcnt_u32_b32 v25, v25, v55
	ds_store_b32 v57, v25 offset:4
.LBB243_35:
	s_wait_alu 0xfffe
	s_or_b32 exec_lo, exec_lo, s6
	v_lshrrev_b16 v25, 8, v52
	v_cmp_ne_u16_e64 s6, 0x7fff, v52
	; wave barrier
	s_wait_alu 0xf1ff
	s_delay_alu instid0(VALU_DEP_1) | instskip(NEXT) | instid1(VALU_DEP_1)
	v_cndmask_b32_e64 v25, 0x80, v25, s6
	v_and_b32_e32 v25, s13, v25
	s_delay_alu instid0(VALU_DEP_1)
	v_and_b32_e32 v26, 1, v25
	v_lshlrev_b32_e32 v27, 30, v25
	v_lshlrev_b32_e32 v28, 29, v25
	;; [unrolled: 1-line block ×4, first 2 shown]
	v_add_co_u32 v26, s6, v26, -1
	s_wait_alu 0xf1ff
	v_cndmask_b32_e64 v30, 0, 1, s6
	v_not_b32_e32 v60, v27
	v_cmp_gt_i32_e64 s12, 0, v27
	v_not_b32_e32 v27, v28
	v_lshlrev_b32_e32 v58, 26, v25
	v_cmp_ne_u32_e64 s6, 0, v30
	v_ashrrev_i32_e32 v60, 31, v60
	v_lshlrev_b32_e32 v59, 25, v25
	v_ashrrev_i32_e32 v27, 31, v27
	v_lshlrev_b32_e32 v30, 24, v25
	s_wait_alu 0xf1ff
	v_xor_b32_e32 v26, s6, v26
	v_cmp_gt_i32_e64 s6, 0, v28
	v_not_b32_e32 v28, v29
	v_xor_b32_e32 v60, s12, v60
	v_cmp_gt_i32_e64 s12, 0, v29
	v_and_b32_e32 v26, exec_lo, v26
	v_not_b32_e32 v29, v31
	v_ashrrev_i32_e32 v28, 31, v28
	s_wait_alu 0xf1ff
	v_xor_b32_e32 v27, s6, v27
	v_cmp_gt_i32_e64 s6, 0, v31
	v_and_b32_e32 v26, v26, v60
	v_not_b32_e32 v31, v58
	v_ashrrev_i32_e32 v29, 31, v29
	v_xor_b32_e32 v28, s12, v28
	v_cmp_gt_i32_e64 s12, 0, v58
	v_and_b32_e32 v26, v26, v27
	v_not_b32_e32 v27, v59
	v_ashrrev_i32_e32 v31, 31, v31
	s_wait_alu 0xf1ff
	v_xor_b32_e32 v29, s6, v29
	v_cmp_gt_i32_e64 s6, 0, v59
	v_and_b32_e32 v26, v26, v28
	v_not_b32_e32 v28, v30
	v_ashrrev_i32_e32 v27, 31, v27
	v_xor_b32_e32 v31, s12, v31
	v_cmp_gt_i32_e64 s12, 0, v30
	v_and_b32_e32 v26, v26, v29
	v_ashrrev_i32_e32 v28, 31, v28
	s_wait_alu 0xf1ff
	v_xor_b32_e32 v27, s6, v27
	v_lshl_add_u32 v60, v25, 2, v24
	v_and_b32_e32 v26, v26, v31
	v_xor_b32_e32 v25, s12, v28
	ds_load_b32 v58, v60 offset:4
	v_and_b32_e32 v26, v26, v27
	; wave barrier
	s_delay_alu instid0(VALU_DEP_1) | instskip(NEXT) | instid1(VALU_DEP_1)
	v_and_b32_e32 v25, v26, v25
	v_mbcnt_lo_u32_b32 v59, v25, 0
	v_cmp_ne_u32_e64 s12, 0, v25
	s_delay_alu instid0(VALU_DEP_2)
	v_cmp_eq_u32_e64 s6, 0, v59
	s_and_b32 s12, s12, s6
	s_wait_alu 0xfffe
	s_and_saveexec_b32 s6, s12
	s_cbranch_execz .LBB243_37
; %bb.36:
	s_wait_dscnt 0x0
	v_bcnt_u32_b32 v25, v25, v58
	ds_store_b32 v60, v25 offset:4
.LBB243_37:
	s_wait_alu 0xfffe
	s_or_b32 exec_lo, exec_lo, s6
	v_lshrrev_b16 v25, 8, v53
	v_cmp_ne_u16_e64 s6, 0x7fff, v53
	; wave barrier
	s_wait_alu 0xf1ff
	s_delay_alu instid0(VALU_DEP_1) | instskip(NEXT) | instid1(VALU_DEP_1)
	v_cndmask_b32_e64 v25, 0x80, v25, s6
	v_and_b32_e32 v25, s13, v25
	s_delay_alu instid0(VALU_DEP_1)
	v_and_b32_e32 v26, 1, v25
	v_lshlrev_b32_e32 v27, 30, v25
	v_lshlrev_b32_e32 v28, 29, v25
	;; [unrolled: 1-line block ×4, first 2 shown]
	v_add_co_u32 v26, s6, v26, -1
	s_wait_alu 0xf1ff
	v_cndmask_b32_e64 v30, 0, 1, s6
	v_not_b32_e32 v63, v27
	v_cmp_gt_i32_e64 s12, 0, v27
	v_not_b32_e32 v27, v28
	v_lshlrev_b32_e32 v61, 26, v25
	v_cmp_ne_u32_e64 s6, 0, v30
	v_ashrrev_i32_e32 v63, 31, v63
	v_lshlrev_b32_e32 v62, 25, v25
	v_ashrrev_i32_e32 v27, 31, v27
	v_lshlrev_b32_e32 v30, 24, v25
	s_wait_alu 0xf1ff
	v_xor_b32_e32 v26, s6, v26
	v_cmp_gt_i32_e64 s6, 0, v28
	v_not_b32_e32 v28, v29
	v_xor_b32_e32 v63, s12, v63
	v_cmp_gt_i32_e64 s12, 0, v29
	v_and_b32_e32 v26, exec_lo, v26
	v_not_b32_e32 v29, v31
	v_ashrrev_i32_e32 v28, 31, v28
	s_wait_alu 0xf1ff
	v_xor_b32_e32 v27, s6, v27
	v_cmp_gt_i32_e64 s6, 0, v31
	v_and_b32_e32 v26, v26, v63
	v_not_b32_e32 v31, v61
	v_ashrrev_i32_e32 v29, 31, v29
	v_xor_b32_e32 v28, s12, v28
	v_cmp_gt_i32_e64 s12, 0, v61
	v_and_b32_e32 v26, v26, v27
	v_not_b32_e32 v27, v62
	v_ashrrev_i32_e32 v31, 31, v31
	s_wait_alu 0xf1ff
	v_xor_b32_e32 v29, s6, v29
	v_cmp_gt_i32_e64 s6, 0, v62
	v_and_b32_e32 v26, v26, v28
	v_not_b32_e32 v28, v30
	v_ashrrev_i32_e32 v27, 31, v27
	v_xor_b32_e32 v31, s12, v31
	v_cmp_gt_i32_e64 s12, 0, v30
	v_and_b32_e32 v26, v26, v29
	v_ashrrev_i32_e32 v28, 31, v28
	s_wait_alu 0xf1ff
	v_xor_b32_e32 v27, s6, v27
	v_lshl_add_u32 v63, v25, 2, v24
	v_and_b32_e32 v26, v26, v31
	v_xor_b32_e32 v24, s12, v28
	ds_load_b32 v61, v63 offset:4
	v_and_b32_e32 v25, v26, v27
	; wave barrier
	s_delay_alu instid0(VALU_DEP_1) | instskip(NEXT) | instid1(VALU_DEP_1)
	v_and_b32_e32 v24, v25, v24
	v_mbcnt_lo_u32_b32 v62, v24, 0
	v_cmp_ne_u32_e64 s12, 0, v24
	s_delay_alu instid0(VALU_DEP_2)
	v_cmp_eq_u32_e64 s6, 0, v62
	s_and_b32 s12, s12, s6
	s_wait_alu 0xfffe
	s_and_saveexec_b32 s6, s12
	s_cbranch_execz .LBB243_39
; %bb.38:
	s_wait_dscnt 0x0
	v_bcnt_u32_b32 v24, v24, v61
	ds_store_b32 v63, v24 offset:4
.LBB243_39:
	s_wait_alu 0xfffe
	s_or_b32 exec_lo, exec_lo, s6
	; wave barrier
	; wave barrier
	s_wait_loadcnt_dscnt 0x0
	global_inv scope:SCOPE_SE
	ds_load_2addr_b32 v[30:31], v42 offset0:1 offset1:2
	ds_load_2addr_b32 v[28:29], v42 offset0:3 offset1:4
	;; [unrolled: 1-line block ×4, first 2 shown]
	s_wait_dscnt 0x3
	v_add_nc_u32_e32 v64, v31, v30
	s_wait_dscnt 0x2
	s_delay_alu instid0(VALU_DEP_1) | instskip(SKIP_1) | instid1(VALU_DEP_1)
	v_add3_u32 v64, v64, v28, v29
	s_wait_dscnt 0x1
	v_add3_u32 v64, v64, v26, v27
	s_wait_dscnt 0x0
	s_delay_alu instid0(VALU_DEP_1) | instskip(NEXT) | instid1(VALU_DEP_1)
	v_add3_u32 v25, v64, v24, v25
	v_mov_b32_dpp v64, v25 row_shr:1 row_mask:0xf bank_mask:0xf
	s_delay_alu instid0(VALU_DEP_1) | instskip(NEXT) | instid1(VALU_DEP_1)
	v_cndmask_b32_e64 v64, v64, 0, vcc_lo
	v_add_nc_u32_e32 v25, v64, v25
	s_delay_alu instid0(VALU_DEP_1) | instskip(NEXT) | instid1(VALU_DEP_1)
	v_mov_b32_dpp v64, v25 row_shr:2 row_mask:0xf bank_mask:0xf
	v_cndmask_b32_e64 v64, 0, v64, s7
	s_mov_b32 s7, 0
	s_delay_alu instid0(VALU_DEP_1) | instskip(NEXT) | instid1(VALU_DEP_1)
	v_add_nc_u32_e32 v25, v25, v64
	v_mov_b32_dpp v64, v25 row_shr:4 row_mask:0xf bank_mask:0xf
	s_delay_alu instid0(VALU_DEP_1) | instskip(NEXT) | instid1(VALU_DEP_1)
	v_cndmask_b32_e64 v64, 0, v64, s8
	v_add_nc_u32_e32 v25, v25, v64
	s_delay_alu instid0(VALU_DEP_1) | instskip(NEXT) | instid1(VALU_DEP_1)
	v_mov_b32_dpp v64, v25 row_shr:8 row_mask:0xf bank_mask:0xf
	v_cndmask_b32_e64 v64, 0, v64, s9
	s_delay_alu instid0(VALU_DEP_1) | instskip(SKIP_3) | instid1(VALU_DEP_1)
	v_add_nc_u32_e32 v25, v25, v64
	ds_swizzle_b32 v64, v25 offset:swizzle(BROADCAST,32,15)
	s_wait_dscnt 0x0
	v_cndmask_b32_e64 v64, v64, 0, s11
	v_add_nc_u32_e32 v25, v25, v64
	s_and_saveexec_b32 s6, s10
; %bb.40:
	v_mov_b32_e32 v64, 0
	ds_store_b32 v64, v25
; %bb.41:
	s_wait_alu 0xfffe
	s_or_b32 exec_lo, exec_lo, s6
	ds_bpermute_b32 v25, v68, v25
	; wave barrier
	s_wait_loadcnt_dscnt 0x0
	global_inv scope:SCOPE_SE
	v_cndmask_b32_e64 v25, v25, 0, s15
	s_delay_alu instid0(VALU_DEP_1) | instskip(NEXT) | instid1(VALU_DEP_1)
	v_add_nc_u32_e32 v30, v25, v30
	v_add_nc_u32_e32 v31, v30, v31
	s_delay_alu instid0(VALU_DEP_1) | instskip(NEXT) | instid1(VALU_DEP_1)
	v_add_nc_u32_e32 v28, v31, v28
	v_add_nc_u32_e32 v29, v28, v29
	;; [unrolled: 3-line block ×3, first 2 shown]
	s_delay_alu instid0(VALU_DEP_1)
	v_add_nc_u32_e32 v24, v27, v24
	ds_store_2addr_b32 v42, v25, v30 offset0:1 offset1:2
	ds_store_2addr_b32 v42, v31, v28 offset0:3 offset1:4
	;; [unrolled: 1-line block ×4, first 2 shown]
	; wave barrier
	s_wait_loadcnt_dscnt 0x0
	global_inv scope:SCOPE_SE
	ds_load_b32 v24, v54 offset:4
	ds_load_b32 v25, v57 offset:4
	ds_load_b32 v26, v60 offset:4
	ds_load_b32 v27, v63 offset:4
	v_lshlrev_b32_e32 v28, 1, v41
	; wave barrier
	s_wait_loadcnt_dscnt 0x0
	global_inv scope:SCOPE_SE
	v_add_nc_u32_e32 v30, v24, v51
	v_add3_u32 v51, v56, v55, v25
	v_add3_u32 v54, v59, v58, v26
	;; [unrolled: 1-line block ×3, first 2 shown]
	s_delay_alu instid0(VALU_DEP_4) | instskip(NEXT) | instid1(VALU_DEP_4)
	v_lshlrev_b32_e32 v24, 1, v30
	v_lshlrev_b32_e32 v25, 1, v51
	s_delay_alu instid0(VALU_DEP_4) | instskip(NEXT) | instid1(VALU_DEP_4)
	v_lshlrev_b32_e32 v26, 1, v54
	v_lshlrev_b32_e32 v27, 1, v55
	ds_store_b16 v24, v49
	ds_store_b16 v25, v50
	;; [unrolled: 1-line block ×4, first 2 shown]
	; wave barrier
	s_wait_loadcnt_dscnt 0x0
	global_inv scope:SCOPE_SE
	ds_load_b64 v[28:29], v28
	v_mad_co_u64_u32 v[30:31], null, v30, 6, v[24:25]
	v_mad_co_u64_u32 v[24:25], null, v51, 6, v[25:26]
	;; [unrolled: 1-line block ×3, first 2 shown]
	; wave barrier
	s_wait_loadcnt_dscnt 0x0
	global_inv scope:SCOPE_SE
	ds_store_b64 v30, v[13:14]
	ds_store_b64 v24, v[15:16]
	v_cmp_lt_i16_e32 vcc_lo, -1, v28
	v_lshrrev_b32_e32 v26, 16, v28
	v_lshrrev_b32_e32 v49, 16, v29
	s_wait_alu 0xfffd
	v_cndmask_b32_e64 v31, 0xffff8000, -1, vcc_lo
	v_cmp_lt_i16_e32 vcc_lo, -1, v29
	s_wait_alu 0xfffd
	v_cndmask_b32_e64 v50, 0xffff8000, -1, vcc_lo
	v_cmp_lt_i16_e32 vcc_lo, -1, v26
	v_mad_co_u64_u32 v[26:27], null, v55, 6, v[27:28]
	ds_store_b64 v25, v[9:10]
	ds_store_b64 v26, v[11:12]
	s_wait_alu 0xfffd
	v_cndmask_b32_e64 v51, 0xffff8000, -1, vcc_lo
	v_cmp_lt_i16_e32 vcc_lo, -1, v49
	; wave barrier
	s_wait_loadcnt_dscnt 0x0
	global_inv scope:SCOPE_SE
	v_perm_b32 v27, v51, v31, 0x5040100
	s_wait_alu 0xfffd
	v_cndmask_b32_e64 v49, 0xffff8000, -1, vcc_lo
	s_delay_alu instid0(VALU_DEP_2) | instskip(NEXT) | instid1(VALU_DEP_2)
	v_xor_b32_e32 v13, v27, v28
	v_perm_b32 v31, v49, v50, 0x5040100
	s_delay_alu instid0(VALU_DEP_1)
	v_xor_b32_e32 v14, v31, v29
.LBB243_42:
	s_and_b32 vcc_lo, exec_lo, s7
	s_wait_alu 0xfffe
	s_cbranch_vccz .LBB243_64
; %bb.43:
	v_cmp_gt_i16_e32 vcc_lo, 0, v22
	s_getpc_b64 s[6:7]
	s_wait_alu 0xfffe
	s_sext_i32_i16 s7, s7
	s_add_co_u32 s6, s6, _ZN7rocprim17ROCPRIM_400000_NS16block_radix_sortI12hip_bfloat16Lj32ELj4ElLj1ELj1ELj0ELNS0_26block_radix_rank_algorithmE1ELNS0_18block_padding_hintE2ELNS0_4arch9wavefront6targetE0EE19radix_bits_per_passE@rel32@lo+12
	s_wait_alu 0xfffe
	s_add_co_ci_u32 s7, s7, _ZN7rocprim17ROCPRIM_400000_NS16block_radix_sortI12hip_bfloat16Lj32ELj4ElLj1ELj1ELj0ELNS0_26block_radix_rank_algorithmE1ELNS0_18block_padding_hintE2ELNS0_4arch9wavefront6targetE0EE19radix_bits_per_passE@rel32@hi+24
	ds_bpermute_b32 v27, v45, v5
	s_load_b32 s13, s[6:7], 0x0
	ds_bpermute_b32 v50, v45, v5 offset:32
	v_cndmask_b32_e64 v9, 0x7fff, 0, vcc_lo
	v_cmp_gt_i16_e32 vcc_lo, 0, v48
	ds_bpermute_b32 v52, v45, v5 offset:64
	ds_bpermute_b32 v54, v45, v5 offset:96
	ds_bpermute_b32 v15, v45, v6
	v_xor_b32_e32 v9, v9, v22
	s_wait_alu 0xfffd
	v_cndmask_b32_e64 v10, 0x7fff, 0, vcc_lo
	v_cmp_gt_i16_e32 vcc_lo, 0, v23
	ds_bpermute_b32 v51, v45, v6 offset:32
	ds_bpermute_b32 v53, v45, v6 offset:64
	v_and_b32_e32 v55, 0xffff, v9
	v_xor_b32_e32 v10, v10, v48
	s_wait_alu 0xfffd
	v_cndmask_b32_e64 v11, 0x7fff, 0, vcc_lo
	v_cmp_gt_i16_e32 vcc_lo, 0, v47
	s_wait_loadcnt_dscnt 0x0
	ds_bpermute_b32 v14, v45, v55
	ds_bpermute_b32 v61, v45, v55 offset:32
	v_xor_b32_e32 v11, v11, v23
	s_wait_alu 0xfffd
	v_cndmask_b32_e64 v12, 0x7fff, 0, vcc_lo
	v_cmp_eq_u32_e32 vcc_lo, 3, v43
	s_wait_kmcnt 0x0
	s_min_u32 s7, s13, 16
	ds_bpermute_b32 v65, v45, v55 offset:64
	v_and_b32_e32 v57, 0xffff, v11
	v_xor_b32_e32 v9, v12, v47
	; wave barrier
	s_wait_dscnt 0x0
	global_inv scope:SCOPE_SE
	ds_bpermute_b32 v16, v45, v7
	ds_bpermute_b32 v26, v45, v7 offset:32
	ds_bpermute_b32 v23, v45, v57
	v_and_b32_e32 v58, 0xffff, v9
	ds_bpermute_b32 v64, v45, v57 offset:32
	ds_bpermute_b32 v69, v45, v57 offset:64
	;; [unrolled: 1-line block ×4, first 2 shown]
	ds_bpermute_b32 v29, v45, v58
	v_and_b32_e32 v56, 0xffff, v10
	ds_bpermute_b32 v66, v45, v58 offset:32
	ds_bpermute_b32 v72, v45, v58 offset:64
	ds_bpermute_b32 v13, v45, v1
	ds_bpermute_b32 v24, v45, v1 offset:32
	ds_bpermute_b32 v22, v45, v56
	ds_bpermute_b32 v12, v45, v8
	;; [unrolled: 1-line block ×5, first 2 shown]
	ds_bpermute_b32 v28, v45, v8 offset:32
	ds_bpermute_b32 v25, v45, v2 offset:32
	;; [unrolled: 1-line block ×4, first 2 shown]
	s_wait_dscnt 0x8
	v_cndmask_b32_e64 v30, v14, v22, s5
	ds_bpermute_b32 v22, v45, v4 offset:32
	ds_bpermute_b32 v14, v45, v3 offset:32
	v_cndmask_b32_e64 v23, v30, v23, s4
	ds_bpermute_b32 v30, v45, v2 offset:64
	s_wait_alu 0xfffd
	v_cndmask_b32_e32 v49, v23, v29, vcc_lo
	ds_bpermute_b32 v63, v45, v56 offset:32
	ds_bpermute_b32 v67, v45, v56 offset:64
	;; [unrolled: 1-line block ×4, first 2 shown]
	v_and_b32_e32 v59, 0xffff, v49
	v_cmp_ne_u16_e64 s6, 0x8000, v49
	ds_bpermute_b32 v23, v45, v3 offset:64
	s_wait_alu 0xf1ff
	v_cndmask_b32_e64 v5, 0x7fff, v59, s6
	s_wait_alu 0xfffe
	s_lshl_b32 s6, -1, s7
	s_wait_alu 0xfffe
	s_not_b32 s8, s6
	s_wait_alu 0xfffe
	v_and_b32_e32 v62, s8, v5
	s_delay_alu instid0(VALU_DEP_1) | instskip(SKIP_2) | instid1(VALU_DEP_3)
	v_and_b32_e32 v5, 1, v62
	v_lshlrev_b32_e32 v71, 30, v62
	v_lshlrev_b32_e32 v56, 29, v62
	v_add_co_u32 v59, s6, v5, -1
	s_wait_alu 0xf1ff
	v_cndmask_b32_e64 v60, 0, 1, s6
	ds_bpermute_b32 v5, v45, v55 offset:96
	v_not_b32_e32 v55, v71
	v_cmp_gt_i32_e64 s7, 0, v71
	ds_bpermute_b32 v71, v45, v58 offset:96
	v_cmp_ne_u32_e64 s6, 0, v60
	v_not_b32_e32 v58, v56
	v_ashrrev_i32_e32 v55, 31, v55
	s_wait_alu 0xf1ff
	s_delay_alu instid0(VALU_DEP_3) | instskip(SKIP_1) | instid1(VALU_DEP_3)
	v_xor_b32_e32 v57, s6, v59
	v_lshlrev_b32_e32 v59, 28, v62
	v_xor_b32_e32 v55, s7, v55
	v_cmp_gt_i32_e64 s6, 0, v56
	v_ashrrev_i32_e32 v56, 31, v58
	v_and_b32_e32 v57, exec_lo, v57
	v_not_b32_e32 v58, v59
	s_load_b32 s7, s[22:23], 0xc
	s_delay_alu instid0(VALU_DEP_3) | instskip(NEXT) | instid1(VALU_DEP_3)
	v_xor_b32_e32 v60, s6, v56
	v_and_b32_e32 v55, v57, v55
	v_lshlrev_b32_e32 v57, 27, v62
	v_cmp_gt_i32_e64 s6, 0, v59
	v_ashrrev_i32_e32 v58, 31, v58
	ds_bpermute_b32 v56, v45, v6 offset:96
	v_and_b32_e32 v59, v55, v60
	v_not_b32_e32 v6, v57
	v_lshlrev_b32_e32 v60, 26, v62
	s_wait_alu 0xf1ff
	v_xor_b32_e32 v58, s6, v58
	v_cmp_gt_i32_e64 s6, 0, v57
	ds_bpermute_b32 v55, v45, v7 offset:96
	v_ashrrev_i32_e32 v6, 31, v6
	v_not_b32_e32 v7, v60
	v_and_b32_e32 v57, v59, v58
	v_lshlrev_b32_e32 v58, 25, v62
	s_wait_alu 0xf1ff
	v_xor_b32_e32 v6, s6, v6
	v_cmp_gt_i32_e64 s6, 0, v60
	v_ashrrev_i32_e32 v7, 31, v7
	v_not_b32_e32 v59, v58
	s_wait_kmcnt 0x0
	s_lshr_b32 s9, s7, 16
	v_and_b32_e32 v6, v57, v6
	v_lshlrev_b32_e32 v57, 24, v62
	v_xor_b32_e32 v7, s6, v7
	v_cmp_gt_i32_e64 s6, 0, v58
	v_ashrrev_i32_e32 v58, 31, v59
	s_wait_alu 0xfffe
	v_mad_u32_u24 v0, v0, s9, v46
	v_not_b32_e32 v59, v57
	v_and_b32_e32 v46, v6, v7
	s_and_b32 s7, s7, 0xffff
	v_xor_b32_e32 v58, s6, v58
	v_cmp_gt_i32_e64 s6, 0, v57
	v_ashrrev_i32_e32 v60, 31, v59
	s_wait_dscnt 0xb
	s_wait_alu 0xfffe
	v_mad_co_u64_u32 v[6:7], null, v0, s7, v[21:22]
	ds_bpermute_b32 v57, v45, v1 offset:96
	v_and_b32_e32 v0, v46, v58
	s_wait_alu 0xf1ff
	v_xor_b32_e32 v1, s6, v60
	ds_bpermute_b32 v59, v45, v8 offset:96
	ds_bpermute_b32 v58, v45, v2 offset:96
	;; [unrolled: 1-line block ×4, first 2 shown]
	v_and_b32_e32 v0, v0, v1
	v_lshrrev_b32_e32 v2, 5, v6
	v_mov_b32_e32 v1, 0
	ds_store_2addr_b32 v42, v1, v1 offset0:1 offset1:2
	ds_store_2addr_b32 v42, v1, v1 offset0:3 offset1:4
	;; [unrolled: 1-line block ×4, first 2 shown]
	v_mbcnt_lo_u32_b32 v60, v0, 0
	v_lshlrev_b32_e32 v8, 2, v2
	v_cmp_ne_u32_e64 s7, 0, v0
	; wave barrier
	s_wait_loadcnt_dscnt 0x0
	global_inv scope:SCOPE_SE
	v_cmp_eq_u32_e64 s6, 0, v60
	v_lshl_add_u32 v62, v62, 2, v8
	; wave barrier
	s_and_b32 s7, s7, s6
	s_wait_alu 0xfffe
	s_and_saveexec_b32 s6, s7
; %bb.44:
	v_bcnt_u32_b32 v0, v0, 0
	ds_store_b32 v62, v0 offset:4
; %bb.45:
	s_wait_alu 0xfffe
	s_or_b32 exec_lo, exec_lo, s6
	v_cndmask_b32_e64 v0, v61, v63, s5
	; wave barrier
	s_delay_alu instid0(VALU_DEP_1) | instskip(NEXT) | instid1(VALU_DEP_1)
	v_cndmask_b32_e64 v0, v0, v64, s4
	v_cndmask_b32_e32 v61, v0, v66, vcc_lo
	s_delay_alu instid0(VALU_DEP_1) | instskip(SKIP_2) | instid1(VALU_DEP_1)
	v_and_b32_e32 v0, 0xffff, v61
	v_cmp_ne_u16_e64 s6, 0x8000, v61
	s_wait_alu 0xf1ff
	v_cndmask_b32_e64 v0, 0x7fff, v0, s6
	s_delay_alu instid0(VALU_DEP_1) | instskip(NEXT) | instid1(VALU_DEP_1)
	v_and_b32_e32 v0, s8, v0
	v_and_b32_e32 v1, 1, v0
	v_lshlrev_b32_e32 v2, 30, v0
	v_lshlrev_b32_e32 v3, 29, v0
	;; [unrolled: 1-line block ×4, first 2 shown]
	v_add_co_u32 v1, s6, v1, -1
	s_wait_alu 0xf1ff
	v_cndmask_b32_e64 v6, 0, 1, s6
	v_not_b32_e32 v66, v2
	v_cmp_gt_i32_e64 s7, 0, v2
	v_not_b32_e32 v2, v3
	v_lshlrev_b32_e32 v63, 26, v0
	v_cmp_ne_u32_e64 s6, 0, v6
	v_ashrrev_i32_e32 v66, 31, v66
	v_lshlrev_b32_e32 v64, 25, v0
	v_ashrrev_i32_e32 v2, 31, v2
	v_lshlrev_b32_e32 v6, 24, v0
	s_wait_alu 0xf1ff
	v_xor_b32_e32 v1, s6, v1
	v_cmp_gt_i32_e64 s6, 0, v3
	v_not_b32_e32 v3, v4
	v_xor_b32_e32 v66, s7, v66
	v_cmp_gt_i32_e64 s7, 0, v4
	v_and_b32_e32 v1, exec_lo, v1
	v_not_b32_e32 v4, v7
	v_ashrrev_i32_e32 v3, 31, v3
	s_wait_alu 0xf1ff
	v_xor_b32_e32 v2, s6, v2
	v_cmp_gt_i32_e64 s6, 0, v7
	v_and_b32_e32 v1, v1, v66
	v_not_b32_e32 v7, v63
	v_ashrrev_i32_e32 v4, 31, v4
	v_xor_b32_e32 v3, s7, v3
	v_cmp_gt_i32_e64 s7, 0, v63
	v_and_b32_e32 v1, v1, v2
	v_not_b32_e32 v2, v64
	v_ashrrev_i32_e32 v7, 31, v7
	s_wait_alu 0xf1ff
	v_xor_b32_e32 v4, s6, v4
	v_cmp_gt_i32_e64 s6, 0, v64
	v_and_b32_e32 v1, v1, v3
	v_not_b32_e32 v3, v6
	v_ashrrev_i32_e32 v2, 31, v2
	v_xor_b32_e32 v7, s7, v7
	v_cmp_gt_i32_e64 s7, 0, v6
	v_and_b32_e32 v1, v1, v4
	v_ashrrev_i32_e32 v3, 31, v3
	s_wait_alu 0xf1ff
	v_xor_b32_e32 v2, s6, v2
	v_lshl_add_u32 v66, v0, 2, v8
	v_and_b32_e32 v1, v1, v7
	v_xor_b32_e32 v0, s7, v3
	ds_load_b32 v63, v66 offset:4
	v_and_b32_e32 v1, v1, v2
	; wave barrier
	s_delay_alu instid0(VALU_DEP_1) | instskip(NEXT) | instid1(VALU_DEP_1)
	v_and_b32_e32 v0, v1, v0
	v_mbcnt_lo_u32_b32 v64, v0, 0
	v_cmp_ne_u32_e64 s7, 0, v0
	s_delay_alu instid0(VALU_DEP_2)
	v_cmp_eq_u32_e64 s6, 0, v64
	s_and_b32 s7, s7, s6
	s_wait_alu 0xfffe
	s_and_saveexec_b32 s6, s7
	s_cbranch_execz .LBB243_47
; %bb.46:
	s_wait_dscnt 0x0
	v_bcnt_u32_b32 v0, v0, v63
	ds_store_b32 v66, v0 offset:4
.LBB243_47:
	s_wait_alu 0xfffe
	s_or_b32 exec_lo, exec_lo, s6
	v_cndmask_b32_e64 v0, v65, v67, s5
	; wave barrier
	s_delay_alu instid0(VALU_DEP_1) | instskip(NEXT) | instid1(VALU_DEP_1)
	v_cndmask_b32_e64 v0, v0, v69, s4
	v_cndmask_b32_e32 v65, v0, v72, vcc_lo
	s_delay_alu instid0(VALU_DEP_1) | instskip(SKIP_2) | instid1(VALU_DEP_1)
	v_and_b32_e32 v0, 0xffff, v65
	v_cmp_ne_u16_e64 s6, 0x8000, v65
	s_wait_alu 0xf1ff
	v_cndmask_b32_e64 v0, 0x7fff, v0, s6
	s_delay_alu instid0(VALU_DEP_1) | instskip(NEXT) | instid1(VALU_DEP_1)
	v_and_b32_e32 v0, s8, v0
	v_and_b32_e32 v1, 1, v0
	v_lshlrev_b32_e32 v2, 30, v0
	v_lshlrev_b32_e32 v3, 29, v0
	;; [unrolled: 1-line block ×4, first 2 shown]
	v_add_co_u32 v1, s6, v1, -1
	s_wait_alu 0xf1ff
	v_cndmask_b32_e64 v6, 0, 1, s6
	v_not_b32_e32 v72, v2
	v_cmp_gt_i32_e64 s7, 0, v2
	v_not_b32_e32 v2, v3
	v_lshlrev_b32_e32 v67, 26, v0
	v_cmp_ne_u32_e64 s6, 0, v6
	v_ashrrev_i32_e32 v72, 31, v72
	v_lshlrev_b32_e32 v69, 25, v0
	v_ashrrev_i32_e32 v2, 31, v2
	v_lshlrev_b32_e32 v6, 24, v0
	s_wait_alu 0xf1ff
	v_xor_b32_e32 v1, s6, v1
	v_cmp_gt_i32_e64 s6, 0, v3
	v_not_b32_e32 v3, v4
	v_xor_b32_e32 v72, s7, v72
	v_cmp_gt_i32_e64 s7, 0, v4
	v_and_b32_e32 v1, exec_lo, v1
	v_not_b32_e32 v4, v7
	v_ashrrev_i32_e32 v3, 31, v3
	s_wait_alu 0xf1ff
	v_xor_b32_e32 v2, s6, v2
	v_cmp_gt_i32_e64 s6, 0, v7
	v_and_b32_e32 v1, v1, v72
	v_not_b32_e32 v7, v67
	v_ashrrev_i32_e32 v4, 31, v4
	v_xor_b32_e32 v3, s7, v3
	v_cmp_gt_i32_e64 s7, 0, v67
	v_and_b32_e32 v1, v1, v2
	v_not_b32_e32 v2, v69
	v_ashrrev_i32_e32 v7, 31, v7
	s_wait_alu 0xf1ff
	v_xor_b32_e32 v4, s6, v4
	v_cmp_gt_i32_e64 s6, 0, v69
	v_and_b32_e32 v1, v1, v3
	v_not_b32_e32 v3, v6
	v_ashrrev_i32_e32 v2, 31, v2
	v_xor_b32_e32 v7, s7, v7
	v_cmp_gt_i32_e64 s7, 0, v6
	v_and_b32_e32 v1, v1, v4
	v_ashrrev_i32_e32 v3, 31, v3
	s_wait_alu 0xf1ff
	v_xor_b32_e32 v2, s6, v2
	v_lshl_add_u32 v72, v0, 2, v8
	v_and_b32_e32 v1, v1, v7
	v_xor_b32_e32 v0, s7, v3
	ds_load_b32 v67, v72 offset:4
	v_and_b32_e32 v1, v1, v2
	; wave barrier
	s_delay_alu instid0(VALU_DEP_1) | instskip(NEXT) | instid1(VALU_DEP_1)
	v_and_b32_e32 v0, v1, v0
	v_mbcnt_lo_u32_b32 v69, v0, 0
	v_cmp_ne_u32_e64 s7, 0, v0
	s_delay_alu instid0(VALU_DEP_2)
	v_cmp_eq_u32_e64 s6, 0, v69
	s_and_b32 s7, s7, s6
	s_wait_alu 0xfffe
	s_and_saveexec_b32 s6, s7
	s_cbranch_execz .LBB243_49
; %bb.48:
	s_wait_dscnt 0x0
	v_bcnt_u32_b32 v0, v0, v67
	ds_store_b32 v72, v0 offset:4
.LBB243_49:
	s_wait_alu 0xfffe
	s_or_b32 exec_lo, exec_lo, s6
	v_cndmask_b32_e64 v0, v5, v68, s5
	; wave barrier
	v_and_or_b32 v74, 0xf80, v41, v44
	s_delay_alu instid0(VALU_DEP_2) | instskip(NEXT) | instid1(VALU_DEP_1)
	v_cndmask_b32_e64 v0, v0, v70, s4
	v_cndmask_b32_e32 v68, v0, v71, vcc_lo
	s_delay_alu instid0(VALU_DEP_1) | instskip(SKIP_2) | instid1(VALU_DEP_1)
	v_and_b32_e32 v0, 0xffff, v68
	v_cmp_ne_u16_e64 s6, 0x8000, v68
	s_wait_alu 0xf1ff
	v_cndmask_b32_e64 v0, 0x7fff, v0, s6
	s_delay_alu instid0(VALU_DEP_1) | instskip(NEXT) | instid1(VALU_DEP_1)
	v_and_b32_e32 v0, s8, v0
	v_and_b32_e32 v1, 1, v0
	v_lshlrev_b32_e32 v2, 30, v0
	v_lshlrev_b32_e32 v3, 29, v0
	;; [unrolled: 1-line block ×4, first 2 shown]
	v_add_co_u32 v1, s6, v1, -1
	s_wait_alu 0xf1ff
	v_cndmask_b32_e64 v5, 0, 1, s6
	v_not_b32_e32 v71, v2
	v_cmp_gt_i32_e64 s7, 0, v2
	v_not_b32_e32 v2, v3
	v_lshlrev_b32_e32 v7, 26, v0
	v_cmp_ne_u32_e64 s6, 0, v5
	v_ashrrev_i32_e32 v71, 31, v71
	v_lshlrev_b32_e32 v70, 25, v0
	v_ashrrev_i32_e32 v2, 31, v2
	v_lshlrev_b32_e32 v5, 24, v0
	s_wait_alu 0xf1ff
	v_xor_b32_e32 v1, s6, v1
	v_cmp_gt_i32_e64 s6, 0, v3
	v_not_b32_e32 v3, v4
	v_xor_b32_e32 v71, s7, v71
	v_cmp_gt_i32_e64 s7, 0, v4
	v_and_b32_e32 v1, exec_lo, v1
	v_not_b32_e32 v4, v6
	v_ashrrev_i32_e32 v3, 31, v3
	s_wait_alu 0xf1ff
	v_xor_b32_e32 v2, s6, v2
	v_cmp_gt_i32_e64 s6, 0, v6
	v_and_b32_e32 v1, v1, v71
	v_not_b32_e32 v6, v7
	v_ashrrev_i32_e32 v4, 31, v4
	v_xor_b32_e32 v3, s7, v3
	v_cmp_gt_i32_e64 s7, 0, v7
	v_and_b32_e32 v1, v1, v2
	v_not_b32_e32 v2, v70
	v_ashrrev_i32_e32 v6, 31, v6
	s_wait_alu 0xf1ff
	v_xor_b32_e32 v4, s6, v4
	v_cmp_gt_i32_e64 s6, 0, v70
	v_and_b32_e32 v1, v1, v3
	v_not_b32_e32 v3, v5
	v_ashrrev_i32_e32 v2, 31, v2
	v_xor_b32_e32 v6, s7, v6
	v_cmp_gt_i32_e64 s7, 0, v5
	v_and_b32_e32 v1, v1, v4
	v_ashrrev_i32_e32 v3, 31, v3
	s_wait_alu 0xf1ff
	v_xor_b32_e32 v2, s6, v2
	v_lshl_add_u32 v73, v0, 2, v8
	v_and_b32_e32 v1, v1, v6
	v_xor_b32_e32 v0, s7, v3
	ds_load_b32 v70, v73 offset:4
	v_and_b32_e32 v1, v1, v2
	; wave barrier
	s_delay_alu instid0(VALU_DEP_1) | instskip(NEXT) | instid1(VALU_DEP_1)
	v_and_b32_e32 v0, v1, v0
	v_mbcnt_lo_u32_b32 v71, v0, 0
	v_cmp_ne_u32_e64 s7, 0, v0
	s_delay_alu instid0(VALU_DEP_2)
	v_cmp_eq_u32_e64 s6, 0, v71
	s_and_b32 s7, s7, s6
	s_wait_alu 0xfffe
	s_and_saveexec_b32 s6, s7
	s_cbranch_execz .LBB243_51
; %bb.50:
	s_wait_dscnt 0x0
	v_bcnt_u32_b32 v0, v0, v70
	ds_store_b32 v73, v0 offset:4
.LBB243_51:
	s_wait_alu 0xfffe
	s_or_b32 exec_lo, exec_lo, s6
	; wave barrier
	; wave barrier
	s_wait_loadcnt_dscnt 0x0
	global_inv scope:SCOPE_SE
	ds_load_2addr_b32 v[6:7], v42 offset0:1 offset1:2
	ds_load_2addr_b32 v[4:5], v42 offset0:3 offset1:4
	;; [unrolled: 1-line block ×4, first 2 shown]
	v_and_b32_e32 v77, 16, v44
	v_cmp_eq_u32_e64 s10, 31, v21
	s_delay_alu instid0(VALU_DEP_2) | instskip(SKIP_3) | instid1(VALU_DEP_1)
	v_cmp_eq_u32_e64 s11, 0, v77
	s_wait_dscnt 0x3
	v_add_nc_u32_e32 v75, v7, v6
	s_wait_dscnt 0x2
	v_add3_u32 v75, v75, v4, v5
	s_wait_dscnt 0x1
	s_delay_alu instid0(VALU_DEP_1) | instskip(SKIP_1) | instid1(VALU_DEP_1)
	v_add3_u32 v75, v75, v2, v3
	s_wait_dscnt 0x0
	v_add3_u32 v1, v75, v0, v1
	v_and_b32_e32 v75, 15, v44
	s_delay_alu instid0(VALU_DEP_2) | instskip(NEXT) | instid1(VALU_DEP_2)
	v_mov_b32_dpp v76, v1 row_shr:1 row_mask:0xf bank_mask:0xf
	v_cmp_eq_u32_e64 s6, 0, v75
	v_cmp_lt_u32_e64 s7, 1, v75
	v_cmp_lt_u32_e64 s8, 3, v75
	;; [unrolled: 1-line block ×3, first 2 shown]
	s_wait_alu 0xf1ff
	v_cndmask_b32_e64 v76, v76, 0, s6
	s_delay_alu instid0(VALU_DEP_1) | instskip(NEXT) | instid1(VALU_DEP_1)
	v_add_nc_u32_e32 v1, v76, v1
	v_mov_b32_dpp v76, v1 row_shr:2 row_mask:0xf bank_mask:0xf
	s_delay_alu instid0(VALU_DEP_1) | instskip(NEXT) | instid1(VALU_DEP_1)
	v_cndmask_b32_e64 v76, 0, v76, s7
	v_add_nc_u32_e32 v1, v1, v76
	s_delay_alu instid0(VALU_DEP_1) | instskip(NEXT) | instid1(VALU_DEP_1)
	v_mov_b32_dpp v76, v1 row_shr:4 row_mask:0xf bank_mask:0xf
	v_cndmask_b32_e64 v76, 0, v76, s8
	s_delay_alu instid0(VALU_DEP_1) | instskip(NEXT) | instid1(VALU_DEP_1)
	v_add_nc_u32_e32 v1, v1, v76
	v_mov_b32_dpp v76, v1 row_shr:8 row_mask:0xf bank_mask:0xf
	s_delay_alu instid0(VALU_DEP_1) | instskip(SKIP_1) | instid1(VALU_DEP_2)
	v_cndmask_b32_e64 v75, 0, v76, s9
	v_bfe_i32 v76, v44, 4, 1
	v_add_nc_u32_e32 v75, v1, v75
	ds_swizzle_b32 v1, v75 offset:swizzle(BROADCAST,32,15)
	s_wait_dscnt 0x0
	v_and_b32_e32 v78, v76, v1
	v_sub_co_u32 v76, s15, v44, 1
	v_mul_u32_u24_e32 v1, 6, v74
	s_delay_alu instid0(VALU_DEP_3)
	v_add_nc_u32_e32 v75, v75, v78
	s_and_saveexec_b32 s12, s10
; %bb.52:
	v_mov_b32_e32 v77, 0
	ds_store_b32 v77, v75
; %bb.53:
	s_wait_alu 0xfffe
	s_or_b32 exec_lo, exec_lo, s12
	v_cmp_gt_i32_e64 s12, 0, v76
	; wave barrier
	s_wait_loadcnt_dscnt 0x0
	global_inv scope:SCOPE_SE
	s_min_u32 s13, s13, 8
	s_wait_alu 0xfffe
	s_lshl_b32 s13, -1, s13
	v_cndmask_b32_e64 v44, v76, v44, s12
	v_cmp_eq_u32_e64 s12, 0, v21
	s_wait_alu 0xfffe
	s_not_b32 s13, s13
	v_lshlrev_b32_e32 v44, 2, v44
	s_or_b32 s15, s12, s15
	v_cmp_eq_u32_e64 s12, 0, v43
	ds_bpermute_b32 v75, v44, v75
	s_wait_alu 0xf1ff
	v_cndmask_b32_e64 v43, 0, v53, s12
	s_wait_dscnt 0x0
	s_wait_alu 0xfffe
	v_cndmask_b32_e64 v21, v75, 0, s15
	s_delay_alu instid0(VALU_DEP_1) | instskip(NEXT) | instid1(VALU_DEP_1)
	v_add_nc_u32_e32 v6, v21, v6
	v_add_nc_u32_e32 v7, v6, v7
	s_delay_alu instid0(VALU_DEP_1) | instskip(NEXT) | instid1(VALU_DEP_1)
	v_add_nc_u32_e32 v4, v7, v4
	v_add_nc_u32_e32 v5, v4, v5
	;; [unrolled: 3-line block ×3, first 2 shown]
	s_delay_alu instid0(VALU_DEP_1)
	v_add_nc_u32_e32 v0, v3, v0
	ds_store_2addr_b32 v42, v21, v6 offset0:1 offset1:2
	ds_store_2addr_b32 v42, v7, v4 offset0:3 offset1:4
	ds_store_2addr_b32 v42, v5, v2 offset0:5 offset1:6
	ds_store_2addr_b32 v42, v3, v0 offset0:7 offset1:8
	; wave barrier
	s_wait_loadcnt_dscnt 0x0
	global_inv scope:SCOPE_SE
	ds_load_b32 v0, v62 offset:4
	ds_load_b32 v2, v66 offset:4
	;; [unrolled: 1-line block ×4, first 2 shown]
	v_cndmask_b32_e64 v5, 0, v27, s12
	v_cndmask_b32_e64 v7, 0, v15, s12
	;; [unrolled: 1-line block ×13, first 2 shown]
	v_lshlrev_b32_e32 v6, 1, v74
	v_cndmask_b32_e64 v50, 0, v54, s12
	; wave barrier
	s_wait_loadcnt_dscnt 0x0
	global_inv scope:SCOPE_SE
	v_add3_u32 v53, v64, v63, v2
	v_add3_u32 v54, v69, v67, v3
	;; [unrolled: 1-line block ×3, first 2 shown]
	v_cndmask_b32_e32 v4, v5, v10, vcc_lo
	v_cndmask_b32_e64 v10, v12, v25, s4
	v_cndmask_b32_e64 v12, v26, v29, s4
	v_cndmask_b32_e64 v26, v27, v58, s4
	v_add_nc_u32_e32 v13, v0, v60
	v_add_nc_u32_e32 v52, v6, v1
	v_lshlrev_b32_e32 v1, 1, v53
	v_lshlrev_b32_e32 v2, 1, v54
	;; [unrolled: 1-line block ×4, first 2 shown]
	ds_store_b16 v0, v49
	ds_store_b16 v1, v61
	;; [unrolled: 1-line block ×4, first 2 shown]
	; wave barrier
	s_wait_loadcnt_dscnt 0x0
	global_inv scope:SCOPE_SE
	ds_load_u16 v16, v6
	v_cndmask_b32_e64 v21, v43, v47, s5
	v_cndmask_b32_e64 v28, v50, v55, s5
	;; [unrolled: 1-line block ×4, first 2 shown]
	s_delay_alu instid0(VALU_DEP_4) | instskip(NEXT) | instid1(VALU_DEP_4)
	v_cndmask_b32_e64 v15, v21, v30, s4
	v_cndmask_b32_e64 v25, v28, v57, s4
	s_delay_alu instid0(VALU_DEP_4)
	v_cndmask_b32_e32 v5, v7, v11, vcc_lo
	v_cndmask_b32_e32 v7, v10, v22, vcc_lo
	ds_load_u16 v21, v6 offset:64
	ds_load_u16 v22, v6 offset:128
	;; [unrolled: 1-line block ×3, first 2 shown]
	v_cndmask_b32_e32 v6, v9, v14, vcc_lo
	v_dual_cndmask_b32 v10, v15, v48 :: v_dual_cndmask_b32 v9, v12, v23
	v_cndmask_b32_e32 v12, v26, v45, vcc_lo
	; wave barrier
	s_wait_loadcnt_dscnt 0x0
	global_inv scope:SCOPE_SE
	v_lshrrev_b16 v11, 8, v16
	v_cmp_ne_u16_e64 s4, 0x8000, v16
	s_wait_alu 0xf1ff
	s_delay_alu instid0(VALU_DEP_1) | instskip(SKIP_1) | instid1(VALU_DEP_2)
	v_cndmask_b32_e64 v14, 0x7f, v11, s4
	v_cndmask_b32_e32 v11, v25, v46, vcc_lo
	v_and_b32_e32 v15, 0xffff, v14
	v_mad_co_u64_u32 v[13:14], null, v13, 6, v[0:1]
	v_mad_co_u64_u32 v[0:1], null, v53, 6, v[1:2]
	s_delay_alu instid0(VALU_DEP_3) | instskip(SKIP_2) | instid1(VALU_DEP_3)
	v_and_b32_e32 v14, s13, v15
	v_mad_co_u64_u32 v[1:2], null, v54, 6, v[2:3]
	v_mad_co_u64_u32 v[2:3], null, v56, 6, v[3:4]
	v_and_b32_e32 v3, 1, v14
	ds_store_b64 v13, v[4:5]
	v_lshlrev_b32_e32 v4, 30, v14
	v_lshlrev_b32_e32 v5, 29, v14
	v_lshlrev_b32_e32 v13, 28, v14
	v_add_co_u32 v3, s4, v3, -1
	s_wait_alu 0xf1ff
	v_cndmask_b32_e64 v15, 0, 1, s4
	v_not_b32_e32 v27, v4
	v_cmp_gt_i32_e64 s4, 0, v4
	v_not_b32_e32 v4, v5
	v_lshlrev_b32_e32 v23, 27, v14
	v_cmp_ne_u32_e32 vcc_lo, 0, v15
	v_ashrrev_i32_e32 v27, 31, v27
	v_lshlrev_b32_e32 v25, 26, v14
	v_ashrrev_i32_e32 v4, 31, v4
	v_lshlrev_b32_e32 v26, 25, v14
	s_wait_alu 0xfffd
	v_xor_b32_e32 v3, vcc_lo, v3
	v_cmp_gt_i32_e32 vcc_lo, 0, v5
	v_not_b32_e32 v5, v13
	s_wait_alu 0xf1ff
	v_xor_b32_e32 v27, s4, v27
	v_cmp_gt_i32_e64 s4, 0, v13
	v_and_b32_e32 v3, exec_lo, v3
	v_not_b32_e32 v13, v23
	v_ashrrev_i32_e32 v5, 31, v5
	s_wait_alu 0xfffd
	v_xor_b32_e32 v4, vcc_lo, v4
	v_cmp_gt_i32_e32 vcc_lo, 0, v23
	v_and_b32_e32 v3, v3, v27
	v_not_b32_e32 v23, v25
	v_ashrrev_i32_e32 v13, 31, v13
	s_wait_alu 0xf1ff
	v_xor_b32_e32 v5, s4, v5
	v_lshlrev_b32_e32 v15, 24, v14
	v_and_b32_e32 v3, v3, v4
	v_cmp_gt_i32_e64 s4, 0, v25
	v_not_b32_e32 v4, v26
	v_ashrrev_i32_e32 v23, 31, v23
	s_wait_alu 0xfffd
	v_xor_b32_e32 v13, vcc_lo, v13
	v_and_b32_e32 v3, v3, v5
	v_cmp_gt_i32_e32 vcc_lo, 0, v26
	v_not_b32_e32 v5, v15
	v_ashrrev_i32_e32 v4, 31, v4
	s_wait_alu 0xf1ff
	v_xor_b32_e32 v23, s4, v23
	v_and_b32_e32 v3, v3, v13
	ds_store_b64 v0, v[6:7]
	v_cmp_gt_i32_e64 s4, 0, v15
	v_ashrrev_i32_e32 v0, 31, v5
	s_wait_alu 0xfffd
	v_xor_b32_e32 v4, vcc_lo, v4
	v_and_b32_e32 v3, v3, v23
	ds_store_b64 v1, v[9:10]
	ds_store_b64 v2, v[11:12]
	s_wait_loadcnt_dscnt 0x0
	s_wait_alu 0xf1ff
	v_xor_b32_e32 v9, s4, v0
	; wave barrier
	global_inv scope:SCOPE_SE
	v_and_b32_e32 v10, v3, v4
	ds_load_2addr_b64 v[4:7], v52 offset1:32
	ds_load_2addr_b64 v[0:3], v52 offset0:64 offset1:96
	v_lshl_add_u32 v25, v14, 2, v8
	; wave barrier
	s_wait_loadcnt_dscnt 0x0
	global_inv scope:SCOPE_SE
	v_dual_mov_b32 v10, 0 :: v_dual_and_b32 v9, v10, v9
	ds_store_2addr_b32 v42, v10, v10 offset0:1 offset1:2
	ds_store_2addr_b32 v42, v10, v10 offset0:3 offset1:4
	;; [unrolled: 1-line block ×4, first 2 shown]
	v_mbcnt_lo_u32_b32 v23, v9, 0
	v_cmp_ne_u32_e64 s4, 0, v9
	; wave barrier
	s_wait_loadcnt_dscnt 0x0
	global_inv scope:SCOPE_SE
	v_cmp_eq_u32_e32 vcc_lo, 0, v23
	; wave barrier
	s_and_b32 s5, s4, vcc_lo
	s_wait_alu 0xfffe
	s_and_saveexec_b32 s4, s5
; %bb.54:
	v_bcnt_u32_b32 v9, v9, 0
	ds_store_b32 v25, v9 offset:4
; %bb.55:
	s_wait_alu 0xfffe
	s_or_b32 exec_lo, exec_lo, s4
	v_lshrrev_b16 v9, 8, v21
	v_cmp_ne_u16_e32 vcc_lo, 0x8000, v21
	; wave barrier
	s_wait_alu 0xfffd
	s_delay_alu instid0(VALU_DEP_2) | instskip(NEXT) | instid1(VALU_DEP_1)
	v_cndmask_b32_e32 v9, 0x7f, v9, vcc_lo
	v_and_b32_e32 v9, s13, v9
	s_delay_alu instid0(VALU_DEP_1)
	v_and_b32_e32 v10, 1, v9
	v_lshlrev_b32_e32 v11, 30, v9
	v_lshlrev_b32_e32 v12, 29, v9
	;; [unrolled: 1-line block ×4, first 2 shown]
	v_add_co_u32 v10, s4, v10, -1
	s_wait_alu 0xf1ff
	v_cndmask_b32_e64 v14, 0, 1, s4
	v_not_b32_e32 v28, v11
	v_cmp_gt_i32_e64 s4, 0, v11
	v_not_b32_e32 v11, v12
	v_lshlrev_b32_e32 v26, 26, v9
	v_cmp_ne_u32_e32 vcc_lo, 0, v14
	v_ashrrev_i32_e32 v28, 31, v28
	v_lshlrev_b32_e32 v27, 25, v9
	v_ashrrev_i32_e32 v11, 31, v11
	v_lshlrev_b32_e32 v14, 24, v9
	s_wait_alu 0xfffd
	v_xor_b32_e32 v10, vcc_lo, v10
	v_cmp_gt_i32_e32 vcc_lo, 0, v12
	v_not_b32_e32 v12, v13
	s_wait_alu 0xf1ff
	v_xor_b32_e32 v28, s4, v28
	v_cmp_gt_i32_e64 s4, 0, v13
	v_and_b32_e32 v10, exec_lo, v10
	v_not_b32_e32 v13, v15
	v_ashrrev_i32_e32 v12, 31, v12
	s_wait_alu 0xfffd
	v_xor_b32_e32 v11, vcc_lo, v11
	v_cmp_gt_i32_e32 vcc_lo, 0, v15
	v_and_b32_e32 v10, v10, v28
	v_not_b32_e32 v15, v26
	v_ashrrev_i32_e32 v13, 31, v13
	s_wait_alu 0xf1ff
	v_xor_b32_e32 v12, s4, v12
	v_cmp_gt_i32_e64 s4, 0, v26
	v_and_b32_e32 v10, v10, v11
	v_not_b32_e32 v11, v27
	v_ashrrev_i32_e32 v15, 31, v15
	s_wait_alu 0xfffd
	v_xor_b32_e32 v13, vcc_lo, v13
	v_cmp_gt_i32_e32 vcc_lo, 0, v27
	v_and_b32_e32 v10, v10, v12
	v_not_b32_e32 v12, v14
	v_ashrrev_i32_e32 v11, 31, v11
	s_wait_alu 0xf1ff
	v_xor_b32_e32 v15, s4, v15
	v_cmp_gt_i32_e64 s4, 0, v14
	v_and_b32_e32 v10, v10, v13
	v_ashrrev_i32_e32 v12, 31, v12
	s_wait_alu 0xfffd
	v_xor_b32_e32 v11, vcc_lo, v11
	v_lshl_add_u32 v28, v9, 2, v8
	v_and_b32_e32 v10, v10, v15
	s_wait_alu 0xf1ff
	v_xor_b32_e32 v9, s4, v12
	ds_load_b32 v26, v28 offset:4
	v_and_b32_e32 v10, v10, v11
	; wave barrier
	s_delay_alu instid0(VALU_DEP_1) | instskip(NEXT) | instid1(VALU_DEP_1)
	v_and_b32_e32 v9, v10, v9
	v_mbcnt_lo_u32_b32 v27, v9, 0
	v_cmp_ne_u32_e64 s4, 0, v9
	s_delay_alu instid0(VALU_DEP_2)
	v_cmp_eq_u32_e32 vcc_lo, 0, v27
	s_and_b32 s5, s4, vcc_lo
	s_wait_alu 0xfffe
	s_and_saveexec_b32 s4, s5
	s_cbranch_execz .LBB243_57
; %bb.56:
	s_wait_dscnt 0x0
	v_bcnt_u32_b32 v9, v9, v26
	ds_store_b32 v28, v9 offset:4
.LBB243_57:
	s_wait_alu 0xfffe
	s_or_b32 exec_lo, exec_lo, s4
	v_lshrrev_b16 v9, 8, v22
	v_cmp_ne_u16_e32 vcc_lo, 0x8000, v22
	; wave barrier
	s_wait_alu 0xfffd
	s_delay_alu instid0(VALU_DEP_2) | instskip(NEXT) | instid1(VALU_DEP_1)
	v_cndmask_b32_e32 v9, 0x7f, v9, vcc_lo
	v_and_b32_e32 v9, s13, v9
	s_delay_alu instid0(VALU_DEP_1)
	v_and_b32_e32 v10, 1, v9
	v_lshlrev_b32_e32 v11, 30, v9
	v_lshlrev_b32_e32 v12, 29, v9
	;; [unrolled: 1-line block ×4, first 2 shown]
	v_add_co_u32 v10, s4, v10, -1
	s_wait_alu 0xf1ff
	v_cndmask_b32_e64 v14, 0, 1, s4
	v_not_b32_e32 v31, v11
	v_cmp_gt_i32_e64 s4, 0, v11
	v_not_b32_e32 v11, v12
	v_lshlrev_b32_e32 v29, 26, v9
	v_cmp_ne_u32_e32 vcc_lo, 0, v14
	v_ashrrev_i32_e32 v31, 31, v31
	v_lshlrev_b32_e32 v30, 25, v9
	v_ashrrev_i32_e32 v11, 31, v11
	v_lshlrev_b32_e32 v14, 24, v9
	s_wait_alu 0xfffd
	v_xor_b32_e32 v10, vcc_lo, v10
	v_cmp_gt_i32_e32 vcc_lo, 0, v12
	v_not_b32_e32 v12, v13
	s_wait_alu 0xf1ff
	v_xor_b32_e32 v31, s4, v31
	v_cmp_gt_i32_e64 s4, 0, v13
	v_and_b32_e32 v10, exec_lo, v10
	v_not_b32_e32 v13, v15
	v_ashrrev_i32_e32 v12, 31, v12
	s_wait_alu 0xfffd
	v_xor_b32_e32 v11, vcc_lo, v11
	v_cmp_gt_i32_e32 vcc_lo, 0, v15
	v_and_b32_e32 v10, v10, v31
	v_not_b32_e32 v15, v29
	v_ashrrev_i32_e32 v13, 31, v13
	s_wait_alu 0xf1ff
	v_xor_b32_e32 v12, s4, v12
	v_cmp_gt_i32_e64 s4, 0, v29
	v_and_b32_e32 v10, v10, v11
	v_not_b32_e32 v11, v30
	v_ashrrev_i32_e32 v15, 31, v15
	s_wait_alu 0xfffd
	v_xor_b32_e32 v13, vcc_lo, v13
	v_cmp_gt_i32_e32 vcc_lo, 0, v30
	v_and_b32_e32 v10, v10, v12
	v_not_b32_e32 v12, v14
	v_ashrrev_i32_e32 v11, 31, v11
	s_wait_alu 0xf1ff
	v_xor_b32_e32 v15, s4, v15
	v_cmp_gt_i32_e64 s4, 0, v14
	v_and_b32_e32 v10, v10, v13
	v_ashrrev_i32_e32 v12, 31, v12
	s_wait_alu 0xfffd
	v_xor_b32_e32 v11, vcc_lo, v11
	v_lshl_add_u32 v31, v9, 2, v8
	v_and_b32_e32 v10, v10, v15
	s_wait_alu 0xf1ff
	v_xor_b32_e32 v9, s4, v12
	ds_load_b32 v29, v31 offset:4
	v_and_b32_e32 v10, v10, v11
	; wave barrier
	s_delay_alu instid0(VALU_DEP_1) | instskip(NEXT) | instid1(VALU_DEP_1)
	v_and_b32_e32 v9, v10, v9
	v_mbcnt_lo_u32_b32 v30, v9, 0
	v_cmp_ne_u32_e64 s4, 0, v9
	s_delay_alu instid0(VALU_DEP_2)
	v_cmp_eq_u32_e32 vcc_lo, 0, v30
	s_and_b32 s5, s4, vcc_lo
	s_wait_alu 0xfffe
	s_and_saveexec_b32 s4, s5
	s_cbranch_execz .LBB243_59
; %bb.58:
	s_wait_dscnt 0x0
	v_bcnt_u32_b32 v9, v9, v29
	ds_store_b32 v31, v9 offset:4
.LBB243_59:
	s_wait_alu 0xfffe
	s_or_b32 exec_lo, exec_lo, s4
	v_lshrrev_b16 v9, 8, v24
	v_cmp_ne_u16_e32 vcc_lo, 0x8000, v24
	; wave barrier
	s_wait_alu 0xfffd
	s_delay_alu instid0(VALU_DEP_2) | instskip(NEXT) | instid1(VALU_DEP_1)
	v_cndmask_b32_e32 v9, 0x7f, v9, vcc_lo
	v_and_b32_e32 v9, s13, v9
	s_delay_alu instid0(VALU_DEP_1)
	v_and_b32_e32 v10, 1, v9
	v_lshlrev_b32_e32 v11, 30, v9
	v_lshlrev_b32_e32 v12, 29, v9
	;; [unrolled: 1-line block ×4, first 2 shown]
	v_add_co_u32 v10, s4, v10, -1
	s_wait_alu 0xf1ff
	v_cndmask_b32_e64 v14, 0, 1, s4
	v_not_b32_e32 v46, v11
	v_cmp_gt_i32_e64 s4, 0, v11
	v_not_b32_e32 v11, v12
	v_lshlrev_b32_e32 v43, 26, v9
	v_cmp_ne_u32_e32 vcc_lo, 0, v14
	v_ashrrev_i32_e32 v46, 31, v46
	v_lshlrev_b32_e32 v45, 25, v9
	v_ashrrev_i32_e32 v11, 31, v11
	v_lshlrev_b32_e32 v14, 24, v9
	s_wait_alu 0xfffd
	v_xor_b32_e32 v10, vcc_lo, v10
	v_cmp_gt_i32_e32 vcc_lo, 0, v12
	v_not_b32_e32 v12, v13
	s_wait_alu 0xf1ff
	v_xor_b32_e32 v46, s4, v46
	v_cmp_gt_i32_e64 s4, 0, v13
	v_and_b32_e32 v10, exec_lo, v10
	v_not_b32_e32 v13, v15
	v_ashrrev_i32_e32 v12, 31, v12
	s_wait_alu 0xfffd
	v_xor_b32_e32 v11, vcc_lo, v11
	v_cmp_gt_i32_e32 vcc_lo, 0, v15
	v_and_b32_e32 v10, v10, v46
	v_not_b32_e32 v15, v43
	v_ashrrev_i32_e32 v13, 31, v13
	s_wait_alu 0xf1ff
	v_xor_b32_e32 v12, s4, v12
	v_cmp_gt_i32_e64 s4, 0, v43
	v_and_b32_e32 v10, v10, v11
	v_not_b32_e32 v11, v45
	v_ashrrev_i32_e32 v15, 31, v15
	s_wait_alu 0xfffd
	v_xor_b32_e32 v13, vcc_lo, v13
	v_cmp_gt_i32_e32 vcc_lo, 0, v45
	v_and_b32_e32 v10, v10, v12
	v_not_b32_e32 v12, v14
	v_ashrrev_i32_e32 v11, 31, v11
	s_wait_alu 0xf1ff
	v_xor_b32_e32 v15, s4, v15
	v_cmp_gt_i32_e64 s4, 0, v14
	v_and_b32_e32 v10, v10, v13
	v_ashrrev_i32_e32 v12, 31, v12
	s_wait_alu 0xfffd
	v_xor_b32_e32 v11, vcc_lo, v11
	v_lshl_add_u32 v46, v9, 2, v8
	v_and_b32_e32 v10, v10, v15
	s_wait_alu 0xf1ff
	v_xor_b32_e32 v8, s4, v12
	ds_load_b32 v43, v46 offset:4
	v_and_b32_e32 v9, v10, v11
	; wave barrier
	s_delay_alu instid0(VALU_DEP_1) | instskip(NEXT) | instid1(VALU_DEP_1)
	v_and_b32_e32 v8, v9, v8
	v_mbcnt_lo_u32_b32 v45, v8, 0
	v_cmp_ne_u32_e64 s4, 0, v8
	s_delay_alu instid0(VALU_DEP_2)
	v_cmp_eq_u32_e32 vcc_lo, 0, v45
	s_and_b32 s5, s4, vcc_lo
	s_wait_alu 0xfffe
	s_and_saveexec_b32 s4, s5
	s_cbranch_execz .LBB243_61
; %bb.60:
	s_wait_dscnt 0x0
	v_bcnt_u32_b32 v8, v8, v43
	ds_store_b32 v46, v8 offset:4
.LBB243_61:
	s_wait_alu 0xfffe
	s_or_b32 exec_lo, exec_lo, s4
	; wave barrier
	; wave barrier
	s_wait_loadcnt_dscnt 0x0
	global_inv scope:SCOPE_SE
	ds_load_2addr_b32 v[14:15], v42 offset0:1 offset1:2
	ds_load_2addr_b32 v[12:13], v42 offset0:3 offset1:4
	;; [unrolled: 1-line block ×4, first 2 shown]
	s_wait_dscnt 0x3
	v_add_nc_u32_e32 v47, v15, v14
	s_wait_dscnt 0x2
	s_delay_alu instid0(VALU_DEP_1) | instskip(SKIP_1) | instid1(VALU_DEP_1)
	v_add3_u32 v47, v47, v12, v13
	s_wait_dscnt 0x1
	v_add3_u32 v47, v47, v10, v11
	s_wait_dscnt 0x0
	s_delay_alu instid0(VALU_DEP_1) | instskip(NEXT) | instid1(VALU_DEP_1)
	v_add3_u32 v9, v47, v8, v9
	v_mov_b32_dpp v47, v9 row_shr:1 row_mask:0xf bank_mask:0xf
	s_delay_alu instid0(VALU_DEP_1) | instskip(NEXT) | instid1(VALU_DEP_1)
	v_cndmask_b32_e64 v47, v47, 0, s6
	v_add_nc_u32_e32 v9, v47, v9
	s_delay_alu instid0(VALU_DEP_1) | instskip(NEXT) | instid1(VALU_DEP_1)
	v_mov_b32_dpp v47, v9 row_shr:2 row_mask:0xf bank_mask:0xf
	v_cndmask_b32_e64 v47, 0, v47, s7
	s_delay_alu instid0(VALU_DEP_1) | instskip(NEXT) | instid1(VALU_DEP_1)
	v_add_nc_u32_e32 v9, v9, v47
	v_mov_b32_dpp v47, v9 row_shr:4 row_mask:0xf bank_mask:0xf
	s_delay_alu instid0(VALU_DEP_1) | instskip(NEXT) | instid1(VALU_DEP_1)
	v_cndmask_b32_e64 v47, 0, v47, s8
	v_add_nc_u32_e32 v9, v9, v47
	s_delay_alu instid0(VALU_DEP_1) | instskip(NEXT) | instid1(VALU_DEP_1)
	v_mov_b32_dpp v47, v9 row_shr:8 row_mask:0xf bank_mask:0xf
	v_cndmask_b32_e64 v47, 0, v47, s9
	s_delay_alu instid0(VALU_DEP_1) | instskip(SKIP_3) | instid1(VALU_DEP_1)
	v_add_nc_u32_e32 v9, v9, v47
	ds_swizzle_b32 v47, v9 offset:swizzle(BROADCAST,32,15)
	s_wait_dscnt 0x0
	v_cndmask_b32_e64 v47, v47, 0, s11
	v_add_nc_u32_e32 v9, v9, v47
	s_and_saveexec_b32 s4, s10
; %bb.62:
	v_mov_b32_e32 v47, 0
	ds_store_b32 v47, v9
; %bb.63:
	s_wait_alu 0xfffe
	s_or_b32 exec_lo, exec_lo, s4
	ds_bpermute_b32 v9, v44, v9
	; wave barrier
	s_wait_loadcnt_dscnt 0x0
	global_inv scope:SCOPE_SE
	v_cndmask_b32_e64 v9, v9, 0, s15
	s_delay_alu instid0(VALU_DEP_1) | instskip(NEXT) | instid1(VALU_DEP_1)
	v_add_nc_u32_e32 v14, v9, v14
	v_add_nc_u32_e32 v15, v14, v15
	s_delay_alu instid0(VALU_DEP_1) | instskip(NEXT) | instid1(VALU_DEP_1)
	v_add_nc_u32_e32 v12, v15, v12
	v_add_nc_u32_e32 v13, v12, v13
	;; [unrolled: 3-line block ×3, first 2 shown]
	s_delay_alu instid0(VALU_DEP_1)
	v_add_nc_u32_e32 v8, v11, v8
	ds_store_2addr_b32 v42, v9, v14 offset0:1 offset1:2
	ds_store_2addr_b32 v42, v15, v12 offset0:3 offset1:4
	;; [unrolled: 1-line block ×4, first 2 shown]
	; wave barrier
	s_wait_loadcnt_dscnt 0x0
	global_inv scope:SCOPE_SE
	ds_load_b32 v8, v25 offset:4
	ds_load_b32 v9, v28 offset:4
	;; [unrolled: 1-line block ×4, first 2 shown]
	v_lshlrev_b32_e32 v12, 1, v41
	; wave barrier
	s_wait_loadcnt_dscnt 0x0
	global_inv scope:SCOPE_SE
	v_add_nc_u32_e32 v15, v8, v23
	v_add3_u32 v23, v27, v26, v9
	v_add3_u32 v25, v30, v29, v10
	;; [unrolled: 1-line block ×3, first 2 shown]
	s_delay_alu instid0(VALU_DEP_4) | instskip(NEXT) | instid1(VALU_DEP_4)
	v_lshlrev_b32_e32 v8, 1, v15
	v_lshlrev_b32_e32 v9, 1, v23
	s_delay_alu instid0(VALU_DEP_4) | instskip(NEXT) | instid1(VALU_DEP_4)
	v_lshlrev_b32_e32 v10, 1, v25
	v_lshlrev_b32_e32 v11, 1, v26
	ds_store_b16 v8, v16
	ds_store_b16 v9, v21
	;; [unrolled: 1-line block ×4, first 2 shown]
	; wave barrier
	s_wait_loadcnt_dscnt 0x0
	global_inv scope:SCOPE_SE
	ds_load_b64 v[13:14], v12
	v_mad_co_u64_u32 v[15:16], null, v15, 6, v[8:9]
	v_mad_co_u64_u32 v[8:9], null, v23, 6, v[9:10]
	;; [unrolled: 1-line block ×3, first 2 shown]
	; wave barrier
	s_wait_loadcnt_dscnt 0x0
	global_inv scope:SCOPE_SE
	ds_store_b64 v15, v[4:5]
	ds_store_b64 v8, v[6:7]
	v_cmp_gt_i16_e32 vcc_lo, 0, v13
	v_lshrrev_b32_e32 v10, 16, v13
	v_lshrrev_b32_e32 v16, 16, v14
	s_wait_alu 0xfffd
	v_cndmask_b32_e64 v12, 0x7fff, 0, vcc_lo
	v_cmp_gt_i16_e32 vcc_lo, 0, v14
	s_wait_alu 0xfffd
	v_cndmask_b32_e64 v21, 0x7fff, 0, vcc_lo
	v_cmp_gt_i16_e32 vcc_lo, 0, v10
	v_mad_co_u64_u32 v[10:11], null, v26, 6, v[11:12]
	ds_store_b64 v9, v[0:1]
	ds_store_b64 v10, v[2:3]
	s_wait_alu 0xfffd
	v_cndmask_b32_e64 v22, 0x7fff, 0, vcc_lo
	v_cmp_gt_i16_e32 vcc_lo, 0, v16
	; wave barrier
	s_wait_loadcnt_dscnt 0x0
	global_inv scope:SCOPE_SE
	v_perm_b32 v11, v22, v12, 0x5040100
	s_wait_alu 0xfffd
	v_cndmask_b32_e64 v16, 0x7fff, 0, vcc_lo
	s_delay_alu instid0(VALU_DEP_2) | instskip(NEXT) | instid1(VALU_DEP_2)
	v_xor_b32_e32 v13, v11, v13
	v_perm_b32 v12, v16, v21, 0x5040100
	s_delay_alu instid0(VALU_DEP_1)
	v_xor_b32_e32 v14, v12, v14
.LBB243_64:
	ds_load_b128 v[0:3], v40
	ds_load_b128 v[4:7], v40 offset:16
	; wave barrier
	s_wait_loadcnt_dscnt 0x0
	global_inv scope:SCOPE_SE
	ds_store_2addr_b32 v35, v13, v14 offset1:1
	; wave barrier
	s_wait_loadcnt_dscnt 0x0
	global_inv scope:SCOPE_SE
	ds_load_u16 v12, v18 offset:64
	ds_load_u16 v11, v33 offset:128
	;; [unrolled: 1-line block ×3, first 2 shown]
	v_mov_b32_e32 v18, 0
	s_delay_alu instid0(VALU_DEP_1) | instskip(NEXT) | instid1(VALU_DEP_1)
	v_lshlrev_b64_e32 v[8:9], 1, v[17:18]
	v_add_co_u32 v8, vcc_lo, s18, v8
	s_wait_alu 0xfffd
	s_delay_alu instid0(VALU_DEP_2)
	v_add_co_ci_u32_e64 v9, null, s19, v9, vcc_lo
	s_and_saveexec_b32 s4, s0
	s_cbranch_execnz .LBB243_75
; %bb.65:
	s_wait_alu 0xfffe
	s_or_b32 exec_lo, exec_lo, s4
	s_and_saveexec_b32 s4, s1
	s_cbranch_execnz .LBB243_76
.LBB243_66:
	s_wait_alu 0xfffe
	s_or_b32 exec_lo, exec_lo, s4
	s_and_saveexec_b32 s4, s2
	s_cbranch_execnz .LBB243_77
.LBB243_67:
	s_wait_alu 0xfffe
	s_or_b32 exec_lo, exec_lo, s4
	s_and_saveexec_b32 s4, s3
	s_cbranch_execz .LBB243_69
.LBB243_68:
	s_mul_i32 s6, s14, 0x60
	s_mov_b32 s7, 0
	s_wait_alu 0xfffe
	s_lshl_b64 s[6:7], s[6:7], 1
	s_wait_alu 0xfffe
	v_add_co_u32 v8, vcc_lo, v8, s6
	s_wait_alu 0xfffd
	v_add_co_ci_u32_e64 v9, null, s7, v9, vcc_lo
	s_wait_dscnt 0x0
	global_store_b16 v[8:9], v10, off
.LBB243_69:
	s_wait_alu 0xfffe
	s_or_b32 exec_lo, exec_lo, s4
	s_wait_storecnt 0x0
	; wave barrier
	s_wait_loadcnt_dscnt 0x0
	global_inv scope:SCOPE_SE
	ds_store_2addr_b64 v39, v[0:1], v[2:3] offset1:1
	ds_store_2addr_b64 v39, v[4:5], v[6:7] offset0:2 offset1:3
	; wave barrier
	s_wait_loadcnt_dscnt 0x0
	global_inv scope:SCOPE_SE
	ds_load_b64 v[6:7], v20 offset:256
	ds_load_b64 v[4:5], v37 offset:512
	;; [unrolled: 1-line block ×3, first 2 shown]
	v_mov_b32_e32 v20, 0
	s_delay_alu instid0(VALU_DEP_1) | instskip(NEXT) | instid1(VALU_DEP_1)
	v_lshlrev_b64_e32 v[2:3], 3, v[19:20]
	v_add_co_u32 v2, vcc_lo, s20, v2
	s_wait_alu 0xfffd
	s_delay_alu instid0(VALU_DEP_2)
	v_add_co_ci_u32_e64 v3, null, s21, v3, vcc_lo
	s_and_saveexec_b32 s4, s0
	s_cbranch_execnz .LBB243_78
; %bb.70:
	s_wait_alu 0xfffe
	s_or_b32 exec_lo, exec_lo, s4
	s_and_saveexec_b32 s0, s1
	s_cbranch_execnz .LBB243_79
.LBB243_71:
	s_or_b32 exec_lo, exec_lo, s0
	s_and_saveexec_b32 s0, s2
	s_cbranch_execnz .LBB243_80
.LBB243_72:
	s_or_b32 exec_lo, exec_lo, s0
	s_and_saveexec_b32 s0, s3
	s_cbranch_execz .LBB243_74
.LBB243_73:
	s_mul_i32 s0, s16, 0x60
	s_mov_b32 s1, 0
	s_delay_alu instid0(SALU_CYCLE_1) | instskip(NEXT) | instid1(SALU_CYCLE_1)
	s_lshl_b64 s[0:1], s[0:1], 3
	v_add_co_u32 v2, vcc_lo, v2, s0
	s_wait_alu 0xfffd
	v_add_co_ci_u32_e64 v3, null, s1, v3, vcc_lo
	s_wait_dscnt 0x0
	global_store_b64 v[2:3], v[0:1], off
.LBB243_74:
	s_endpgm
.LBB243_75:
	ds_load_u16 v13, v32
	s_wait_dscnt 0x0
	global_store_b16 v[8:9], v13, off
	s_wait_alu 0xfffe
	s_or_b32 exec_lo, exec_lo, s4
	s_and_saveexec_b32 s4, s1
	s_cbranch_execz .LBB243_66
.LBB243_76:
	s_lshl_b32 s6, s14, 5
	s_mov_b32 s7, 0
	s_wait_alu 0xfffe
	s_lshl_b64 s[6:7], s[6:7], 1
	s_wait_alu 0xfffe
	v_add_co_u32 v13, vcc_lo, v8, s6
	s_wait_alu 0xfffd
	v_add_co_ci_u32_e64 v14, null, s7, v9, vcc_lo
	s_wait_dscnt 0x2
	global_store_b16 v[13:14], v12, off
	s_or_b32 exec_lo, exec_lo, s4
	s_and_saveexec_b32 s4, s2
	s_cbranch_execz .LBB243_67
.LBB243_77:
	s_lshl_b32 s6, s14, 6
	s_mov_b32 s7, 0
	s_wait_alu 0xfffe
	s_lshl_b64 s[6:7], s[6:7], 1
	s_wait_dscnt 0x2
	s_wait_alu 0xfffe
	v_add_co_u32 v12, vcc_lo, v8, s6
	s_wait_alu 0xfffd
	v_add_co_ci_u32_e64 v13, null, s7, v9, vcc_lo
	s_wait_dscnt 0x1
	global_store_b16 v[12:13], v11, off
	s_or_b32 exec_lo, exec_lo, s4
	s_and_saveexec_b32 s4, s3
	s_cbranch_execnz .LBB243_68
	s_branch .LBB243_69
.LBB243_78:
	ds_load_b64 v[8:9], v36
	s_wait_dscnt 0x0
	global_store_b64 v[2:3], v[8:9], off
	s_wait_alu 0xfffe
	s_or_b32 exec_lo, exec_lo, s4
	s_and_saveexec_b32 s0, s1
	s_cbranch_execz .LBB243_71
.LBB243_79:
	s_lshl_b32 s4, s16, 5
	s_mov_b32 s5, 0
	s_wait_alu 0xfffe
	s_lshl_b64 s[4:5], s[4:5], 3
	s_wait_alu 0xfffe
	v_add_co_u32 v8, vcc_lo, v2, s4
	s_wait_alu 0xfffd
	v_add_co_ci_u32_e64 v9, null, s5, v3, vcc_lo
	s_wait_dscnt 0x2
	global_store_b64 v[8:9], v[6:7], off
	s_or_b32 exec_lo, exec_lo, s0
	s_and_saveexec_b32 s0, s2
	s_cbranch_execz .LBB243_72
.LBB243_80:
	s_lshl_b32 s4, s16, 6
	s_mov_b32 s5, 0
	s_wait_alu 0xfffe
	s_lshl_b64 s[4:5], s[4:5], 3
	s_wait_dscnt 0x2
	s_wait_alu 0xfffe
	v_add_co_u32 v6, vcc_lo, v2, s4
	s_wait_alu 0xfffd
	v_add_co_ci_u32_e64 v7, null, s5, v3, vcc_lo
	s_wait_dscnt 0x1
	global_store_b64 v[6:7], v[4:5], off
	s_or_b32 exec_lo, exec_lo, s0
	s_and_saveexec_b32 s0, s3
	s_cbranch_execnz .LBB243_73
	s_branch .LBB243_74
	.section	.rodata,"a",@progbits
	.p2align	6, 0x0
	.amdhsa_kernel _ZN2at6native18radixSortKVInPlaceILin2ELin1ELi32ELi4EN3c108BFloat16EljEEvNS_4cuda6detail10TensorInfoIT3_T5_EES8_S8_S8_NS6_IT4_S8_EES8_b
		.amdhsa_group_segment_fixed_size 1056
		.amdhsa_private_segment_fixed_size 0
		.amdhsa_kernarg_size 712
		.amdhsa_user_sgpr_count 2
		.amdhsa_user_sgpr_dispatch_ptr 0
		.amdhsa_user_sgpr_queue_ptr 0
		.amdhsa_user_sgpr_kernarg_segment_ptr 1
		.amdhsa_user_sgpr_dispatch_id 0
		.amdhsa_user_sgpr_private_segment_size 0
		.amdhsa_wavefront_size32 1
		.amdhsa_uses_dynamic_stack 0
		.amdhsa_enable_private_segment 0
		.amdhsa_system_sgpr_workgroup_id_x 1
		.amdhsa_system_sgpr_workgroup_id_y 1
		.amdhsa_system_sgpr_workgroup_id_z 1
		.amdhsa_system_sgpr_workgroup_info 0
		.amdhsa_system_vgpr_workitem_id 2
		.amdhsa_next_free_vgpr 94
		.amdhsa_next_free_sgpr 24
		.amdhsa_reserve_vcc 1
		.amdhsa_float_round_mode_32 0
		.amdhsa_float_round_mode_16_64 0
		.amdhsa_float_denorm_mode_32 3
		.amdhsa_float_denorm_mode_16_64 3
		.amdhsa_fp16_overflow 0
		.amdhsa_workgroup_processor_mode 1
		.amdhsa_memory_ordered 1
		.amdhsa_forward_progress 1
		.amdhsa_inst_pref_size 109
		.amdhsa_round_robin_scheduling 0
		.amdhsa_exception_fp_ieee_invalid_op 0
		.amdhsa_exception_fp_denorm_src 0
		.amdhsa_exception_fp_ieee_div_zero 0
		.amdhsa_exception_fp_ieee_overflow 0
		.amdhsa_exception_fp_ieee_underflow 0
		.amdhsa_exception_fp_ieee_inexact 0
		.amdhsa_exception_int_div_zero 0
	.end_amdhsa_kernel
	.section	.text._ZN2at6native18radixSortKVInPlaceILin2ELin1ELi32ELi4EN3c108BFloat16EljEEvNS_4cuda6detail10TensorInfoIT3_T5_EES8_S8_S8_NS6_IT4_S8_EES8_b,"axG",@progbits,_ZN2at6native18radixSortKVInPlaceILin2ELin1ELi32ELi4EN3c108BFloat16EljEEvNS_4cuda6detail10TensorInfoIT3_T5_EES8_S8_S8_NS6_IT4_S8_EES8_b,comdat
.Lfunc_end243:
	.size	_ZN2at6native18radixSortKVInPlaceILin2ELin1ELi32ELi4EN3c108BFloat16EljEEvNS_4cuda6detail10TensorInfoIT3_T5_EES8_S8_S8_NS6_IT4_S8_EES8_b, .Lfunc_end243-_ZN2at6native18radixSortKVInPlaceILin2ELin1ELi32ELi4EN3c108BFloat16EljEEvNS_4cuda6detail10TensorInfoIT3_T5_EES8_S8_S8_NS6_IT4_S8_EES8_b
                                        ; -- End function
	.set _ZN2at6native18radixSortKVInPlaceILin2ELin1ELi32ELi4EN3c108BFloat16EljEEvNS_4cuda6detail10TensorInfoIT3_T5_EES8_S8_S8_NS6_IT4_S8_EES8_b.num_vgpr, 94
	.set _ZN2at6native18radixSortKVInPlaceILin2ELin1ELi32ELi4EN3c108BFloat16EljEEvNS_4cuda6detail10TensorInfoIT3_T5_EES8_S8_S8_NS6_IT4_S8_EES8_b.num_agpr, 0
	.set _ZN2at6native18radixSortKVInPlaceILin2ELin1ELi32ELi4EN3c108BFloat16EljEEvNS_4cuda6detail10TensorInfoIT3_T5_EES8_S8_S8_NS6_IT4_S8_EES8_b.numbered_sgpr, 24
	.set _ZN2at6native18radixSortKVInPlaceILin2ELin1ELi32ELi4EN3c108BFloat16EljEEvNS_4cuda6detail10TensorInfoIT3_T5_EES8_S8_S8_NS6_IT4_S8_EES8_b.num_named_barrier, 0
	.set _ZN2at6native18radixSortKVInPlaceILin2ELin1ELi32ELi4EN3c108BFloat16EljEEvNS_4cuda6detail10TensorInfoIT3_T5_EES8_S8_S8_NS6_IT4_S8_EES8_b.private_seg_size, 0
	.set _ZN2at6native18radixSortKVInPlaceILin2ELin1ELi32ELi4EN3c108BFloat16EljEEvNS_4cuda6detail10TensorInfoIT3_T5_EES8_S8_S8_NS6_IT4_S8_EES8_b.uses_vcc, 1
	.set _ZN2at6native18radixSortKVInPlaceILin2ELin1ELi32ELi4EN3c108BFloat16EljEEvNS_4cuda6detail10TensorInfoIT3_T5_EES8_S8_S8_NS6_IT4_S8_EES8_b.uses_flat_scratch, 0
	.set _ZN2at6native18radixSortKVInPlaceILin2ELin1ELi32ELi4EN3c108BFloat16EljEEvNS_4cuda6detail10TensorInfoIT3_T5_EES8_S8_S8_NS6_IT4_S8_EES8_b.has_dyn_sized_stack, 0
	.set _ZN2at6native18radixSortKVInPlaceILin2ELin1ELi32ELi4EN3c108BFloat16EljEEvNS_4cuda6detail10TensorInfoIT3_T5_EES8_S8_S8_NS6_IT4_S8_EES8_b.has_recursion, 0
	.set _ZN2at6native18radixSortKVInPlaceILin2ELin1ELi32ELi4EN3c108BFloat16EljEEvNS_4cuda6detail10TensorInfoIT3_T5_EES8_S8_S8_NS6_IT4_S8_EES8_b.has_indirect_call, 0
	.section	.AMDGPU.csdata,"",@progbits
; Kernel info:
; codeLenInByte = 13916
; TotalNumSgprs: 26
; NumVgprs: 94
; ScratchSize: 0
; MemoryBound: 0
; FloatMode: 240
; IeeeMode: 1
; LDSByteSize: 1056 bytes/workgroup (compile time only)
; SGPRBlocks: 0
; VGPRBlocks: 11
; NumSGPRsForWavesPerEU: 26
; NumVGPRsForWavesPerEU: 94
; Occupancy: 16
; WaveLimiterHint : 1
; COMPUTE_PGM_RSRC2:SCRATCH_EN: 0
; COMPUTE_PGM_RSRC2:USER_SGPR: 2
; COMPUTE_PGM_RSRC2:TRAP_HANDLER: 0
; COMPUTE_PGM_RSRC2:TGID_X_EN: 1
; COMPUTE_PGM_RSRC2:TGID_Y_EN: 1
; COMPUTE_PGM_RSRC2:TGID_Z_EN: 1
; COMPUTE_PGM_RSRC2:TIDIG_COMP_CNT: 2
	.section	.text._ZN2at6native18radixSortKVInPlaceILin2ELin1ELi16ELi2EN3c108BFloat16EljEEvNS_4cuda6detail10TensorInfoIT3_T5_EES8_S8_S8_NS6_IT4_S8_EES8_b,"axG",@progbits,_ZN2at6native18radixSortKVInPlaceILin2ELin1ELi16ELi2EN3c108BFloat16EljEEvNS_4cuda6detail10TensorInfoIT3_T5_EES8_S8_S8_NS6_IT4_S8_EES8_b,comdat
	.protected	_ZN2at6native18radixSortKVInPlaceILin2ELin1ELi16ELi2EN3c108BFloat16EljEEvNS_4cuda6detail10TensorInfoIT3_T5_EES8_S8_S8_NS6_IT4_S8_EES8_b ; -- Begin function _ZN2at6native18radixSortKVInPlaceILin2ELin1ELi16ELi2EN3c108BFloat16EljEEvNS_4cuda6detail10TensorInfoIT3_T5_EES8_S8_S8_NS6_IT4_S8_EES8_b
	.globl	_ZN2at6native18radixSortKVInPlaceILin2ELin1ELi16ELi2EN3c108BFloat16EljEEvNS_4cuda6detail10TensorInfoIT3_T5_EES8_S8_S8_NS6_IT4_S8_EES8_b
	.p2align	8
	.type	_ZN2at6native18radixSortKVInPlaceILin2ELin1ELi16ELi2EN3c108BFloat16EljEEvNS_4cuda6detail10TensorInfoIT3_T5_EES8_S8_S8_NS6_IT4_S8_EES8_b,@function
_ZN2at6native18radixSortKVInPlaceILin2ELin1ELi16ELi2EN3c108BFloat16EljEEvNS_4cuda6detail10TensorInfoIT3_T5_EES8_S8_S8_NS6_IT4_S8_EES8_b: ; @_ZN2at6native18radixSortKVInPlaceILin2ELin1ELi16ELi2EN3c108BFloat16EljEEvNS_4cuda6detail10TensorInfoIT3_T5_EES8_S8_S8_NS6_IT4_S8_EES8_b
; %bb.0:
	s_clause 0x1
	s_load_b64 s[2:3], s[0:1], 0x1c8
	s_load_b96 s[8:10], s[0:1], 0xd8
	s_lshr_b32 s4, ttmp7, 16
	s_wait_kmcnt 0x0
	s_mul_i32 s3, s3, s4
	s_and_b32 s4, ttmp7, 0xffff
	s_delay_alu instid0(SALU_CYCLE_1) | instskip(NEXT) | instid1(SALU_CYCLE_1)
	s_add_co_i32 s3, s3, s4
	s_mul_i32 s11, s3, s2
	s_delay_alu instid0(SALU_CYCLE_1) | instskip(NEXT) | instid1(SALU_CYCLE_1)
	s_add_co_i32 s11, s11, ttmp9
	s_cmp_ge_u32 s11, s8
	s_cbranch_scc1 .LBB244_112
; %bb.1:
	s_load_b32 s6, s[0:1], 0x1b8
	s_add_nc_u64 s[4:5], s[0:1], 0xe8
	s_mov_b32 s3, 0
	s_mov_b32 s2, s11
	s_wait_kmcnt 0x0
	s_cmp_lt_i32 s6, 2
	s_cbranch_scc1 .LBB244_4
; %bb.2:
	s_add_co_i32 s2, s6, -1
	s_add_co_i32 s8, s6, 1
	s_lshl_b64 s[12:13], s[2:3], 2
	s_mov_b32 s2, s11
	s_add_nc_u64 s[12:13], s[4:5], s[12:13]
	s_delay_alu instid0(SALU_CYCLE_1)
	s_add_nc_u64 s[6:7], s[12:13], 8
.LBB244_3:                              ; =>This Inner Loop Header: Depth=1
	s_clause 0x1
	s_load_b32 s12, s[6:7], 0x0
	s_load_b32 s13, s[6:7], 0x64
	s_mov_b32 s16, s2
	s_add_nc_u64 s[6:7], s[6:7], -4
	s_wait_kmcnt 0x0
	s_cvt_f32_u32 s14, s12
	s_sub_co_i32 s15, 0, s12
	s_wait_alu 0xfffe
	s_delay_alu instid0(SALU_CYCLE_1) | instskip(NEXT) | instid1(TRANS32_DEP_1)
	v_rcp_iflag_f32_e32 v1, s14
	v_readfirstlane_b32 s14, v1
	s_mul_f32 s14, s14, 0x4f7ffffe
	s_wait_alu 0xfffe
	s_delay_alu instid0(SALU_CYCLE_2) | instskip(SKIP_1) | instid1(SALU_CYCLE_2)
	s_cvt_u32_f32 s14, s14
	s_wait_alu 0xfffe
	s_mul_i32 s15, s15, s14
	s_wait_alu 0xfffe
	s_mul_hi_u32 s15, s14, s15
	s_wait_alu 0xfffe
	s_add_co_i32 s14, s14, s15
	s_wait_alu 0xfffe
	s_mul_hi_u32 s2, s2, s14
	s_delay_alu instid0(SALU_CYCLE_1)
	s_mul_i32 s14, s2, s12
	s_add_co_i32 s15, s2, 1
	s_wait_alu 0xfffe
	s_sub_co_i32 s14, s16, s14
	s_wait_alu 0xfffe
	s_sub_co_i32 s17, s14, s12
	s_cmp_ge_u32 s14, s12
	s_cselect_b32 s2, s15, s2
	s_cselect_b32 s14, s17, s14
	s_add_co_i32 s15, s2, 1
	s_wait_alu 0xfffe
	s_cmp_ge_u32 s14, s12
	s_cselect_b32 s2, s15, s2
	s_add_co_i32 s8, s8, -1
	s_mul_i32 s12, s2, s12
	s_delay_alu instid0(SALU_CYCLE_1) | instskip(NEXT) | instid1(SALU_CYCLE_1)
	s_sub_co_i32 s12, s16, s12
	s_mul_i32 s12, s13, s12
	s_delay_alu instid0(SALU_CYCLE_1)
	s_add_co_i32 s3, s12, s3
	s_cmp_gt_u32 s8, 2
	s_cbranch_scc1 .LBB244_3
.LBB244_4:
	s_clause 0x2
	s_load_b64 s[6:7], s[0:1], 0x0
	s_load_b32 s8, s[0:1], 0x6c
	s_load_b64 s[12:13], s[0:1], 0x1c0
	s_mov_b32 s0, 0xffff
	v_mul_lo_u32 v20, s10, v0
	s_mov_b32 s15, 0
	s_wait_kmcnt 0x0
	s_mul_i32 s14, s8, s11
	s_bitcmp1_b32 s13, 0
	s_cselect_b32 s11, -1, 0
	s_wait_alu 0xfffe
	s_and_b32 s1, s11, exec_lo
	s_cselect_b32 s8, s0, 0x7fff
	v_cmp_gt_u32_e64 s0, s9, v0
	v_mov_b32_e32 v1, s8
	s_lshl_b64 s[14:15], s[14:15], 1
	s_wait_alu 0xfffe
	s_add_nc_u64 s[14:15], s[6:7], s[14:15]
	s_and_saveexec_b32 s1, s0
	s_cbranch_execz .LBB244_6
; %bb.5:
	v_mov_b32_e32 v21, 0
	s_delay_alu instid0(VALU_DEP_1) | instskip(SKIP_1) | instid1(VALU_DEP_1)
	v_lshlrev_b64_e32 v[1:2], 1, v[20:21]
	s_wait_alu 0xfffe
	v_add_co_u32 v1, vcc_lo, s14, v1
	s_delay_alu instid0(VALU_DEP_1)
	v_add_co_ci_u32_e64 v2, null, s15, v2, vcc_lo
	global_load_u16 v1, v[1:2], off
.LBB244_6:
	s_or_b32 exec_lo, exec_lo, s1
	s_clause 0x1
	s_load_b32 s6, s[4:5], 0x6c
	s_load_b64 s[4:5], s[4:5], 0x0
	v_or_b32_e32 v3, 16, v0
	v_mov_b32_e32 v2, s8
	s_delay_alu instid0(VALU_DEP_2)
	v_cmp_gt_u32_e64 s1, s9, v3
	s_and_saveexec_b32 s7, s1
	s_cbranch_execz .LBB244_8
; %bb.7:
	v_mul_lo_u32 v4, s10, v3
	v_mov_b32_e32 v5, 0
	s_delay_alu instid0(VALU_DEP_1) | instskip(NEXT) | instid1(VALU_DEP_1)
	v_lshlrev_b64_e32 v[4:5], 1, v[4:5]
	v_add_co_u32 v4, vcc_lo, s14, v4
	s_wait_alu 0xfffd
	s_delay_alu instid0(VALU_DEP_2)
	v_add_co_ci_u32_e64 v5, null, s15, v5, vcc_lo
	global_load_u16 v2, v[4:5], off
.LBB244_8:
	s_or_b32 exec_lo, exec_lo, s7
	v_lshlrev_b32_e32 v22, 1, v0
	v_dual_mov_b32 v18, 0 :: v_dual_lshlrev_b32 v21, 2, v0
	s_wait_kmcnt 0x0
	s_mul_i32 s2, s6, s2
	v_mul_lo_u32 v17, s12, v0
	s_wait_loadcnt 0x0
	ds_store_b16 v22, v1
	ds_store_b16 v22, v2 offset:32
	s_wait_dscnt 0x0
	; wave barrier
	global_inv scope:SCOPE_SE
	ds_load_b32 v27, v21
	s_add_co_i32 s2, s2, s3
	s_mov_b32 s3, 0
	v_mov_b32_e32 v1, 0
	v_dual_mov_b32 v2, 0 :: v_dual_mov_b32 v19, v18
	s_lshl_b64 s[2:3], s[2:3], 3
	s_wait_loadcnt_dscnt 0x0
	s_add_nc_u64 s[8:9], s[4:5], s[2:3]
	; wave barrier
	global_inv scope:SCOPE_SE
	s_and_saveexec_b32 s2, s0
	s_cbranch_execz .LBB244_10
; %bb.9:
	v_lshlrev_b64_e32 v[1:2], 3, v[17:18]
	v_mov_b32_e32 v19, v18
	s_wait_alu 0xfffe
	s_delay_alu instid0(VALU_DEP_2) | instskip(SKIP_1) | instid1(VALU_DEP_3)
	v_add_co_u32 v1, vcc_lo, s8, v1
	s_wait_alu 0xfffd
	v_add_co_ci_u32_e64 v2, null, s9, v2, vcc_lo
	global_load_b64 v[1:2], v[1:2], off
.LBB244_10:
	s_or_b32 exec_lo, exec_lo, s2
	s_xor_b32 s16, s11, -1
	s_and_saveexec_b32 s2, s1
	s_cbranch_execz .LBB244_12
; %bb.11:
	v_mul_lo_u32 v3, s12, v3
	v_mov_b32_e32 v4, 0
	s_delay_alu instid0(VALU_DEP_1) | instskip(SKIP_1) | instid1(VALU_DEP_1)
	v_lshlrev_b64_e32 v[3:4], 3, v[3:4]
	s_wait_alu 0xfffe
	v_add_co_u32 v3, vcc_lo, s8, v3
	s_wait_alu 0xfffd
	s_delay_alu instid0(VALU_DEP_2)
	v_add_co_ci_u32_e64 v4, null, s9, v4, vcc_lo
	global_load_b64 v[18:19], v[3:4], off
.LBB244_12:
	s_or_b32 exec_lo, exec_lo, s2
	v_mbcnt_lo_u32_b32 v5, -1, 0
	v_lshlrev_b32_e32 v23, 3, v0
	s_getpc_b64 s[2:3]
	s_sext_i32_i16 s3, s3
	s_add_co_u32 s2, s2, _ZN7rocprim17ROCPRIM_400000_NS16block_radix_sortI12hip_bfloat16Lj16ELj2ElLj1ELj1ELj0ELNS0_26block_radix_rank_algorithmE1ELNS0_18block_padding_hintE2ELNS0_4arch9wavefront6targetE0EE19radix_bits_per_passE@rel32@lo+8
	s_add_co_ci_u32 s3, s3, _ZN7rocprim17ROCPRIM_400000_NS16block_radix_sortI12hip_bfloat16Lj16ELj2ElLj1ELj1ELj0ELNS0_26block_radix_rank_algorithmE1ELNS0_18block_padding_hintE2ELNS0_4arch9wavefront6targetE0EE19radix_bits_per_passE@rel32@hi+16
	v_lshlrev_b32_e32 v25, 5, v0
	s_load_b32 s13, s[2:3], 0x0
	v_sub_co_u32 v7, s11, v5, 1
	v_and_b32_e32 v8, 16, v5
	s_wait_loadcnt 0x0
	ds_store_2addr_b64 v23, v[1:2], v[18:19] offset1:16
	s_wait_dscnt 0x0
	; wave barrier
	global_inv scope:SCOPE_SE
	v_and_b32_e32 v6, 15, v5
	v_cmp_lt_i32_e32 vcc_lo, v7, v8
	v_lshlrev_b32_e32 v24, 3, v22
	v_mad_i32_i24 v19, 0xffffffe4, v0, v25
	v_lshrrev_b32_e32 v28, 16, v27
	v_cmp_gt_u32_e64 s7, 0x80, v0
	s_wait_alu 0xfffd
	v_cndmask_b32_e32 v5, v7, v5, vcc_lo
	ds_load_2addr_b64 v[1:4], v24 offset1:1
	v_cmp_eq_u32_e64 s5, 0, v6
	v_cmp_lt_u32_e64 s3, 1, v6
	v_cmp_lt_u32_e64 s6, 3, v6
	;; [unrolled: 1-line block ×3, first 2 shown]
	v_cmp_eq_u32_e64 s2, 15, v0
	v_lshlrev_b32_e32 v26, 2, v5
	v_mad_u32_u24 v18, v0, 12, v19
	s_and_b32 vcc_lo, exec_lo, s16
	s_mov_b32 s16, -1
	; wave barrier
	s_wait_loadcnt_dscnt 0x0
	global_inv scope:SCOPE_SE
	s_wait_alu 0xfffe
	s_cbranch_vccz .LBB244_58
; %bb.13:
	s_and_saveexec_b32 s16, s7
	s_cbranch_execz .LBB244_22
; %bb.14:
	v_mov_b32_e32 v5, 0
	v_cmp_gt_u32_e32 vcc_lo, 0x70, v0
	ds_store_b32 v21, v5
	s_and_b32 exec_lo, exec_lo, vcc_lo
	s_cbranch_execz .LBB244_22
; %bb.15:
	v_cmp_gt_u32_e32 vcc_lo, 0x60, v0
	ds_store_b32 v21, v5 offset:64
	s_and_b32 exec_lo, exec_lo, vcc_lo
	s_cbranch_execz .LBB244_22
; %bb.16:
	v_mov_b32_e32 v5, 0
	v_cmp_gt_u32_e32 vcc_lo, 0x50, v0
	ds_store_b32 v21, v5 offset:128
	s_and_b32 exec_lo, exec_lo, vcc_lo
	s_cbranch_execz .LBB244_22
; %bb.17:
	v_cmp_gt_u32_e32 vcc_lo, 64, v0
	ds_store_b32 v21, v5 offset:192
	s_and_b32 exec_lo, exec_lo, vcc_lo
	s_cbranch_execz .LBB244_22
; %bb.18:
	v_mov_b32_e32 v5, 0
	v_cmp_gt_u32_e32 vcc_lo, 48, v0
	ds_store_b32 v21, v5 offset:256
	;; [unrolled: 11-line block ×3, first 2 shown]
	s_and_b32 exec_lo, exec_lo, vcc_lo
; %bb.21:
	ds_store_b32 v21, v5 offset:448
.LBB244_22:
	s_or_b32 exec_lo, exec_lo, s16
	v_cmp_lt_i16_e32 vcc_lo, -1, v27
	s_wait_kmcnt 0x0
	s_min_u32 s16, s13, 16
	s_delay_alu instid0(SALU_CYCLE_1) | instskip(NEXT) | instid1(SALU_CYCLE_1)
	s_lshl_b32 s16, -1, s16
	s_not_b32 s16, s16
	s_wait_alu 0xfffd
	v_cndmask_b32_e64 v5, -1, 0xffff8000, vcc_lo
	s_delay_alu instid0(VALU_DEP_1) | instskip(NEXT) | instid1(VALU_DEP_1)
	v_xor_b32_e32 v13, v5, v27
	v_cmp_ne_u16_e32 vcc_lo, 0x7fff, v13
	s_wait_alu 0xfffd
	v_cndmask_b32_e32 v5, 0xffff8000, v13, vcc_lo
	v_cmp_lt_i16_e32 vcc_lo, -1, v28
	s_delay_alu instid0(VALU_DEP_2) | instskip(SKIP_2) | instid1(VALU_DEP_2)
	v_and_b32_e32 v5, 0xffff, v5
	s_wait_alu 0xfffd
	v_cndmask_b32_e64 v7, -1, 0xffff8000, vcc_lo
	v_and_b32_e32 v5, s16, v5
	s_delay_alu instid0(VALU_DEP_2) | instskip(NEXT) | instid1(VALU_DEP_1)
	v_xor_b32_e32 v14, v7, v28
	v_cmp_ne_u16_e32 vcc_lo, 0x7fff, v14
	s_delay_alu instid0(VALU_DEP_3) | instskip(SKIP_1) | instid1(VALU_DEP_2)
	v_lshlrev_b32_e32 v6, 4, v5
	v_lshrrev_b32_e32 v5, 2, v5
	v_and_or_b32 v6, 0x70, v6, v0
	s_delay_alu instid0(VALU_DEP_2) | instskip(NEXT) | instid1(VALU_DEP_1)
	v_and_b32_e32 v5, 0x3ffe, v5
	v_lshl_add_u32 v15, v6, 2, v5
	s_wait_alu 0xfffd
	v_cndmask_b32_e32 v5, 0xffff8000, v14, vcc_lo
	ds_load_u16 v16, v15
	v_and_b32_e32 v5, 0xffff, v5
	s_delay_alu instid0(VALU_DEP_1) | instskip(NEXT) | instid1(VALU_DEP_1)
	v_and_b32_e32 v5, s16, v5
	v_lshlrev_b32_e32 v6, 4, v5
	v_lshrrev_b32_e32 v5, 2, v5
	s_delay_alu instid0(VALU_DEP_2) | instskip(NEXT) | instid1(VALU_DEP_2)
	v_and_or_b32 v6, 0x70, v6, v0
	v_and_b32_e32 v5, 0x3ffe, v5
	s_wait_dscnt 0x0
	v_add_nc_u16 v7, v16, 1
	s_delay_alu instid0(VALU_DEP_2)
	v_lshl_add_u32 v29, v6, 2, v5
	ds_store_b16 v15, v7
	ds_load_u16 v31, v29
	s_wait_dscnt 0x0
	v_add_nc_u16 v5, v31, 1
	ds_store_b16 v29, v5
	; wave barrier
	s_wait_loadcnt_dscnt 0x0
	global_inv scope:SCOPE_SE
	ds_load_b128 v[9:12], v25
	ds_load_b128 v[5:8], v25 offset:16
	s_wait_dscnt 0x1
	v_add_nc_u32_e32 v30, v10, v9
	s_delay_alu instid0(VALU_DEP_1) | instskip(SKIP_1) | instid1(VALU_DEP_1)
	v_add3_u32 v30, v30, v11, v12
	s_wait_dscnt 0x0
	v_add3_u32 v30, v30, v5, v6
	s_delay_alu instid0(VALU_DEP_1) | instskip(NEXT) | instid1(VALU_DEP_1)
	v_add3_u32 v8, v30, v7, v8
	v_mov_b32_dpp v30, v8 row_shr:1 row_mask:0xf bank_mask:0xf
	s_delay_alu instid0(VALU_DEP_1) | instskip(NEXT) | instid1(VALU_DEP_1)
	v_cndmask_b32_e64 v30, v30, 0, s5
	v_add_nc_u32_e32 v8, v30, v8
	s_delay_alu instid0(VALU_DEP_1) | instskip(NEXT) | instid1(VALU_DEP_1)
	v_mov_b32_dpp v30, v8 row_shr:2 row_mask:0xf bank_mask:0xf
	v_cndmask_b32_e64 v30, 0, v30, s3
	s_delay_alu instid0(VALU_DEP_1) | instskip(NEXT) | instid1(VALU_DEP_1)
	v_add_nc_u32_e32 v8, v8, v30
	v_mov_b32_dpp v30, v8 row_shr:4 row_mask:0xf bank_mask:0xf
	s_delay_alu instid0(VALU_DEP_1) | instskip(NEXT) | instid1(VALU_DEP_1)
	v_cndmask_b32_e64 v30, 0, v30, s6
	v_add_nc_u32_e32 v8, v8, v30
	s_delay_alu instid0(VALU_DEP_1) | instskip(NEXT) | instid1(VALU_DEP_1)
	v_mov_b32_dpp v30, v8 row_shr:8 row_mask:0xf bank_mask:0xf
	v_cndmask_b32_e64 v30, 0, v30, s4
	s_delay_alu instid0(VALU_DEP_1)
	v_add_nc_u32_e32 v8, v8, v30
	s_and_saveexec_b32 s16, s2
; %bb.23:
	v_mov_b32_e32 v30, 0
	ds_store_b32 v30, v8 offset:512
; %bb.24:
	s_wait_alu 0xfffe
	s_or_b32 exec_lo, exec_lo, s16
	ds_bpermute_b32 v8, v26, v8
	v_mov_b32_e32 v30, 0
	; wave barrier
	s_wait_loadcnt_dscnt 0x0
	global_inv scope:SCOPE_SE
	ds_load_b32 v32, v30 offset:512
	v_cndmask_b32_e64 v8, v8, 0, s11
	s_wait_dscnt 0x0
	s_delay_alu instid0(VALU_DEP_1) | instskip(NEXT) | instid1(VALU_DEP_1)
	v_lshl_add_u32 v8, v32, 16, v8
	v_add_nc_u32_e32 v9, v8, v9
	s_delay_alu instid0(VALU_DEP_1) | instskip(NEXT) | instid1(VALU_DEP_1)
	v_add_nc_u32_e32 v10, v9, v10
	v_add_nc_u32_e32 v11, v10, v11
	s_delay_alu instid0(VALU_DEP_1) | instskip(NEXT) | instid1(VALU_DEP_1)
	v_add_nc_u32_e32 v32, v11, v12
	;; [unrolled: 3-line block ×3, first 2 shown]
	v_add_nc_u32_e32 v35, v34, v7
	v_and_b32_e32 v7, 0xffff, v16
	ds_store_b128 v25, v[8:11]
	ds_store_b128 v25, v[32:35] offset:16
	; wave barrier
	s_wait_loadcnt_dscnt 0x0
	global_inv scope:SCOPE_SE
	ds_load_u16 v5, v15
	ds_load_u16 v6, v29
	v_and_b32_e32 v8, 0xffff, v31
	; wave barrier
	s_wait_loadcnt_dscnt 0x0
	global_inv scope:SCOPE_SE
	v_add_nc_u32_e32 v5, v5, v7
	v_add_nc_u32_e32 v6, v6, v8
	s_delay_alu instid0(VALU_DEP_2) | instskip(NEXT) | instid1(VALU_DEP_2)
	v_lshlrev_b32_e32 v7, 1, v5
	v_lshlrev_b32_e32 v8, 1, v6
	ds_store_b16 v7, v13
	ds_store_b16 v8, v14
	v_mad_u32_u24 v5, v5, 6, v7
	v_mad_u32_u24 v6, v6, 6, v8
	; wave barrier
	s_wait_loadcnt_dscnt 0x0
	global_inv scope:SCOPE_SE
	ds_load_b32 v29, v19
	; wave barrier
	s_wait_loadcnt_dscnt 0x0
	global_inv scope:SCOPE_SE
	ds_store_b64 v5, v[1:2]
	ds_store_b64 v6, v[3:4]
	; wave barrier
	s_wait_loadcnt_dscnt 0x0
	global_inv scope:SCOPE_SE
	ds_load_b128 v[5:8], v18
	; wave barrier
	s_wait_loadcnt_dscnt 0x0
	global_inv scope:SCOPE_SE
	s_and_saveexec_b32 s16, s7
	s_cbranch_execz .LBB244_33
; %bb.25:
	v_cmp_gt_u32_e32 vcc_lo, 0x70, v0
	ds_store_b32 v21, v30
	s_and_b32 exec_lo, exec_lo, vcc_lo
	s_cbranch_execz .LBB244_33
; %bb.26:
	v_mov_b32_e32 v9, 0
	v_cmp_gt_u32_e32 vcc_lo, 0x60, v0
	ds_store_b32 v21, v9 offset:64
	s_and_b32 exec_lo, exec_lo, vcc_lo
	s_cbranch_execz .LBB244_33
; %bb.27:
	v_cmp_gt_u32_e32 vcc_lo, 0x50, v0
	ds_store_b32 v21, v9 offset:128
	s_and_b32 exec_lo, exec_lo, vcc_lo
	s_cbranch_execz .LBB244_33
; %bb.28:
	v_mov_b32_e32 v9, 0
	v_cmp_gt_u32_e32 vcc_lo, 64, v0
	ds_store_b32 v21, v9 offset:192
	s_and_b32 exec_lo, exec_lo, vcc_lo
	s_cbranch_execz .LBB244_33
; %bb.29:
	v_cmp_gt_u32_e32 vcc_lo, 48, v0
	ds_store_b32 v21, v9 offset:256
	;; [unrolled: 11-line block ×3, first 2 shown]
	s_and_b32 exec_lo, exec_lo, vcc_lo
; %bb.32:
	v_mov_b32_e32 v9, 0
	ds_store_b32 v21, v9 offset:448
.LBB244_33:
	s_wait_alu 0xfffe
	s_or_b32 exec_lo, exec_lo, s16
	v_lshrrev_b16 v9, 4, v29
	v_cmp_ne_u16_e32 vcc_lo, 0x7fff, v29
	s_min_u32 s16, s13, 12
	v_lshrrev_b32_e32 v30, 16, v29
	s_wait_alu 0xfffe
	s_lshl_b32 s16, -1, s16
	v_lshrrev_b32_e32 v11, 20, v29
	s_wait_alu 0xfffd
	v_cndmask_b32_e32 v9, 0x800, v9, vcc_lo
	s_wait_alu 0xfffe
	s_not_b32 s16, s16
	v_cmp_ne_u16_e32 vcc_lo, 0x7fff, v30
	s_delay_alu instid0(VALU_DEP_2) | instskip(SKIP_1) | instid1(VALU_DEP_1)
	v_and_b32_e32 v9, 0xffff, v9
	s_wait_alu 0xfffe
	v_and_b32_e32 v9, s16, v9
	s_delay_alu instid0(VALU_DEP_1) | instskip(SKIP_1) | instid1(VALU_DEP_2)
	v_lshlrev_b32_e32 v10, 4, v9
	v_lshrrev_b32_e32 v9, 2, v9
	v_and_or_b32 v10, 0x70, v10, v0
	s_delay_alu instid0(VALU_DEP_2) | instskip(NEXT) | instid1(VALU_DEP_1)
	v_and_b32_e32 v9, 0x3fe, v9
	v_lshl_add_u32 v31, v10, 2, v9
	s_wait_alu 0xfffd
	v_cndmask_b32_e32 v9, 0x800, v11, vcc_lo
	ds_load_u16 v32, v31
	v_and_b32_e32 v9, 0xffff, v9
	s_delay_alu instid0(VALU_DEP_1) | instskip(NEXT) | instid1(VALU_DEP_1)
	v_and_b32_e32 v9, s16, v9
	v_lshlrev_b32_e32 v10, 4, v9
	v_lshrrev_b32_e32 v9, 2, v9
	s_delay_alu instid0(VALU_DEP_2) | instskip(NEXT) | instid1(VALU_DEP_2)
	v_and_or_b32 v10, 0x70, v10, v0
	v_and_b32_e32 v9, 0x3fe, v9
	s_wait_dscnt 0x0
	v_add_nc_u16 v11, v32, 1
	s_delay_alu instid0(VALU_DEP_2)
	v_lshl_add_u32 v33, v10, 2, v9
	ds_store_b16 v31, v11
	ds_load_u16 v34, v33
	s_wait_dscnt 0x0
	v_add_nc_u16 v9, v34, 1
	ds_store_b16 v33, v9
	; wave barrier
	s_wait_loadcnt_dscnt 0x0
	global_inv scope:SCOPE_SE
	ds_load_b128 v[13:16], v25
	ds_load_b128 v[9:12], v25 offset:16
	s_wait_dscnt 0x1
	v_add_nc_u32_e32 v35, v14, v13
	s_delay_alu instid0(VALU_DEP_1) | instskip(SKIP_1) | instid1(VALU_DEP_1)
	v_add3_u32 v35, v35, v15, v16
	s_wait_dscnt 0x0
	v_add3_u32 v35, v35, v9, v10
	s_delay_alu instid0(VALU_DEP_1) | instskip(NEXT) | instid1(VALU_DEP_1)
	v_add3_u32 v12, v35, v11, v12
	v_mov_b32_dpp v35, v12 row_shr:1 row_mask:0xf bank_mask:0xf
	s_delay_alu instid0(VALU_DEP_1) | instskip(NEXT) | instid1(VALU_DEP_1)
	v_cndmask_b32_e64 v35, v35, 0, s5
	v_add_nc_u32_e32 v12, v35, v12
	s_delay_alu instid0(VALU_DEP_1) | instskip(NEXT) | instid1(VALU_DEP_1)
	v_mov_b32_dpp v35, v12 row_shr:2 row_mask:0xf bank_mask:0xf
	v_cndmask_b32_e64 v35, 0, v35, s3
	s_delay_alu instid0(VALU_DEP_1) | instskip(NEXT) | instid1(VALU_DEP_1)
	v_add_nc_u32_e32 v12, v12, v35
	v_mov_b32_dpp v35, v12 row_shr:4 row_mask:0xf bank_mask:0xf
	s_delay_alu instid0(VALU_DEP_1) | instskip(NEXT) | instid1(VALU_DEP_1)
	v_cndmask_b32_e64 v35, 0, v35, s6
	v_add_nc_u32_e32 v12, v12, v35
	s_delay_alu instid0(VALU_DEP_1) | instskip(NEXT) | instid1(VALU_DEP_1)
	v_mov_b32_dpp v35, v12 row_shr:8 row_mask:0xf bank_mask:0xf
	v_cndmask_b32_e64 v35, 0, v35, s4
	s_delay_alu instid0(VALU_DEP_1)
	v_add_nc_u32_e32 v12, v12, v35
	s_and_saveexec_b32 s16, s2
; %bb.34:
	v_mov_b32_e32 v35, 0
	ds_store_b32 v35, v12 offset:512
; %bb.35:
	s_wait_alu 0xfffe
	s_or_b32 exec_lo, exec_lo, s16
	ds_bpermute_b32 v35, v26, v12
	v_mov_b32_e32 v12, 0
	; wave barrier
	s_wait_loadcnt_dscnt 0x0
	global_inv scope:SCOPE_SE
	ds_load_b32 v36, v12 offset:512
	v_cndmask_b32_e64 v35, v35, 0, s11
	s_wait_dscnt 0x0
	s_delay_alu instid0(VALU_DEP_1) | instskip(NEXT) | instid1(VALU_DEP_1)
	v_lshl_add_u32 v35, v36, 16, v35
	v_add_nc_u32_e32 v36, v35, v13
	s_delay_alu instid0(VALU_DEP_1) | instskip(NEXT) | instid1(VALU_DEP_1)
	v_add_nc_u32_e32 v37, v36, v14
	v_add_nc_u32_e32 v38, v37, v15
	s_delay_alu instid0(VALU_DEP_1) | instskip(NEXT) | instid1(VALU_DEP_1)
	v_add_nc_u32_e32 v13, v38, v16
	;; [unrolled: 3-line block ×3, first 2 shown]
	v_add_nc_u32_e32 v16, v15, v11
	v_and_b32_e32 v11, 0xffff, v32
	ds_store_b128 v25, v[35:38]
	ds_store_b128 v25, v[13:16] offset:16
	; wave barrier
	s_wait_loadcnt_dscnt 0x0
	global_inv scope:SCOPE_SE
	ds_load_u16 v9, v31
	ds_load_u16 v10, v33
	v_and_b32_e32 v13, 0xffff, v34
	; wave barrier
	s_wait_loadcnt_dscnt 0x0
	global_inv scope:SCOPE_SE
	v_add_nc_u32_e32 v9, v9, v11
	v_add_nc_u32_e32 v10, v10, v13
	s_delay_alu instid0(VALU_DEP_2) | instskip(NEXT) | instid1(VALU_DEP_2)
	v_lshlrev_b32_e32 v11, 1, v9
	v_lshlrev_b32_e32 v13, 1, v10
	ds_store_b16 v11, v29
	ds_store_b16 v13, v30
	v_mad_u32_u24 v9, v9, 6, v11
	v_mad_u32_u24 v10, v10, 6, v13
	; wave barrier
	s_wait_loadcnt_dscnt 0x0
	global_inv scope:SCOPE_SE
	ds_load_b32 v29, v19
	; wave barrier
	s_wait_loadcnt_dscnt 0x0
	global_inv scope:SCOPE_SE
	ds_store_b64 v9, v[5:6]
	ds_store_b64 v10, v[7:8]
	; wave barrier
	s_wait_loadcnt_dscnt 0x0
	global_inv scope:SCOPE_SE
	ds_load_b128 v[5:8], v18
	; wave barrier
	s_wait_loadcnt_dscnt 0x0
	global_inv scope:SCOPE_SE
	s_and_saveexec_b32 s16, s7
	s_cbranch_execz .LBB244_44
; %bb.36:
	v_cmp_gt_u32_e32 vcc_lo, 0x70, v0
	ds_store_b32 v21, v12
	s_and_b32 exec_lo, exec_lo, vcc_lo
	s_cbranch_execz .LBB244_44
; %bb.37:
	v_mov_b32_e32 v9, 0
	v_cmp_gt_u32_e32 vcc_lo, 0x60, v0
	ds_store_b32 v21, v9 offset:64
	s_and_b32 exec_lo, exec_lo, vcc_lo
	s_cbranch_execz .LBB244_44
; %bb.38:
	v_cmp_gt_u32_e32 vcc_lo, 0x50, v0
	ds_store_b32 v21, v9 offset:128
	s_and_b32 exec_lo, exec_lo, vcc_lo
	s_cbranch_execz .LBB244_44
; %bb.39:
	v_mov_b32_e32 v9, 0
	v_cmp_gt_u32_e32 vcc_lo, 64, v0
	ds_store_b32 v21, v9 offset:192
	s_and_b32 exec_lo, exec_lo, vcc_lo
	s_cbranch_execz .LBB244_44
; %bb.40:
	v_cmp_gt_u32_e32 vcc_lo, 48, v0
	ds_store_b32 v21, v9 offset:256
	;; [unrolled: 11-line block ×3, first 2 shown]
	s_and_b32 exec_lo, exec_lo, vcc_lo
; %bb.43:
	v_mov_b32_e32 v9, 0
	ds_store_b32 v21, v9 offset:448
.LBB244_44:
	s_wait_alu 0xfffe
	s_or_b32 exec_lo, exec_lo, s16
	v_lshrrev_b16 v9, 8, v29
	v_cmp_ne_u16_e32 vcc_lo, 0x7fff, v29
	s_min_u32 s16, s13, 8
	v_lshrrev_b32_e32 v30, 16, v29
	s_wait_alu 0xfffe
	s_lshl_b32 s16, -1, s16
	v_lshrrev_b32_e32 v11, 24, v29
	s_wait_alu 0xfffd
	v_cndmask_b32_e32 v9, 0x80, v9, vcc_lo
	s_wait_alu 0xfffe
	s_not_b32 s16, s16
	v_cmp_ne_u16_e32 vcc_lo, 0x7fff, v30
	s_delay_alu instid0(VALU_DEP_2) | instskip(SKIP_1) | instid1(VALU_DEP_1)
	v_and_b32_e32 v9, 0xffff, v9
	s_wait_alu 0xfffe
	v_and_b32_e32 v9, s16, v9
	s_delay_alu instid0(VALU_DEP_1) | instskip(SKIP_1) | instid1(VALU_DEP_2)
	v_lshlrev_b32_e32 v10, 4, v9
	v_lshrrev_b32_e32 v9, 2, v9
	v_and_or_b32 v10, 0x70, v10, v0
	s_delay_alu instid0(VALU_DEP_2) | instskip(NEXT) | instid1(VALU_DEP_1)
	v_and_b32_e32 v9, 62, v9
	v_lshl_add_u32 v31, v10, 2, v9
	s_wait_alu 0xfffd
	v_cndmask_b32_e32 v9, 0x80, v11, vcc_lo
	ds_load_u16 v32, v31
	v_and_b32_e32 v9, 0xffff, v9
	s_delay_alu instid0(VALU_DEP_1) | instskip(NEXT) | instid1(VALU_DEP_1)
	v_and_b32_e32 v9, s16, v9
	v_lshlrev_b32_e32 v10, 4, v9
	v_lshrrev_b32_e32 v9, 2, v9
	s_delay_alu instid0(VALU_DEP_2) | instskip(NEXT) | instid1(VALU_DEP_2)
	v_and_or_b32 v10, 0x70, v10, v0
	v_and_b32_e32 v9, 62, v9
	s_wait_dscnt 0x0
	v_add_nc_u16 v11, v32, 1
	s_delay_alu instid0(VALU_DEP_2)
	v_lshl_add_u32 v33, v10, 2, v9
	ds_store_b16 v31, v11
	ds_load_u16 v34, v33
	s_wait_dscnt 0x0
	v_add_nc_u16 v9, v34, 1
	ds_store_b16 v33, v9
	; wave barrier
	s_wait_loadcnt_dscnt 0x0
	global_inv scope:SCOPE_SE
	ds_load_b128 v[13:16], v25
	ds_load_b128 v[9:12], v25 offset:16
	s_wait_dscnt 0x1
	v_add_nc_u32_e32 v35, v14, v13
	s_delay_alu instid0(VALU_DEP_1) | instskip(SKIP_1) | instid1(VALU_DEP_1)
	v_add3_u32 v35, v35, v15, v16
	s_wait_dscnt 0x0
	v_add3_u32 v35, v35, v9, v10
	s_delay_alu instid0(VALU_DEP_1) | instskip(NEXT) | instid1(VALU_DEP_1)
	v_add3_u32 v12, v35, v11, v12
	v_mov_b32_dpp v35, v12 row_shr:1 row_mask:0xf bank_mask:0xf
	s_delay_alu instid0(VALU_DEP_1) | instskip(NEXT) | instid1(VALU_DEP_1)
	v_cndmask_b32_e64 v35, v35, 0, s5
	v_add_nc_u32_e32 v12, v35, v12
	s_delay_alu instid0(VALU_DEP_1) | instskip(NEXT) | instid1(VALU_DEP_1)
	v_mov_b32_dpp v35, v12 row_shr:2 row_mask:0xf bank_mask:0xf
	v_cndmask_b32_e64 v35, 0, v35, s3
	s_delay_alu instid0(VALU_DEP_1) | instskip(NEXT) | instid1(VALU_DEP_1)
	v_add_nc_u32_e32 v12, v12, v35
	v_mov_b32_dpp v35, v12 row_shr:4 row_mask:0xf bank_mask:0xf
	s_delay_alu instid0(VALU_DEP_1) | instskip(NEXT) | instid1(VALU_DEP_1)
	v_cndmask_b32_e64 v35, 0, v35, s6
	v_add_nc_u32_e32 v12, v12, v35
	s_delay_alu instid0(VALU_DEP_1) | instskip(NEXT) | instid1(VALU_DEP_1)
	v_mov_b32_dpp v35, v12 row_shr:8 row_mask:0xf bank_mask:0xf
	v_cndmask_b32_e64 v35, 0, v35, s4
	s_delay_alu instid0(VALU_DEP_1)
	v_add_nc_u32_e32 v12, v12, v35
	s_and_saveexec_b32 s16, s2
; %bb.45:
	v_mov_b32_e32 v35, 0
	ds_store_b32 v35, v12 offset:512
; %bb.46:
	s_wait_alu 0xfffe
	s_or_b32 exec_lo, exec_lo, s16
	ds_bpermute_b32 v35, v26, v12
	v_mov_b32_e32 v12, 0
	; wave barrier
	s_wait_loadcnt_dscnt 0x0
	global_inv scope:SCOPE_SE
	ds_load_b32 v36, v12 offset:512
	v_cndmask_b32_e64 v35, v35, 0, s11
	s_wait_dscnt 0x0
	s_delay_alu instid0(VALU_DEP_1) | instskip(NEXT) | instid1(VALU_DEP_1)
	v_lshl_add_u32 v35, v36, 16, v35
	v_add_nc_u32_e32 v36, v35, v13
	s_delay_alu instid0(VALU_DEP_1) | instskip(NEXT) | instid1(VALU_DEP_1)
	v_add_nc_u32_e32 v37, v36, v14
	v_add_nc_u32_e32 v38, v37, v15
	s_delay_alu instid0(VALU_DEP_1) | instskip(NEXT) | instid1(VALU_DEP_1)
	v_add_nc_u32_e32 v13, v38, v16
	;; [unrolled: 3-line block ×3, first 2 shown]
	v_add_nc_u32_e32 v16, v15, v11
	v_and_b32_e32 v11, 0xffff, v32
	ds_store_b128 v25, v[35:38]
	ds_store_b128 v25, v[13:16] offset:16
	; wave barrier
	s_wait_loadcnt_dscnt 0x0
	global_inv scope:SCOPE_SE
	ds_load_u16 v9, v31
	ds_load_u16 v10, v33
	v_and_b32_e32 v13, 0xffff, v34
	; wave barrier
	s_wait_loadcnt_dscnt 0x0
	global_inv scope:SCOPE_SE
	v_add_nc_u32_e32 v9, v9, v11
	v_add_nc_u32_e32 v10, v10, v13
	s_delay_alu instid0(VALU_DEP_2) | instskip(NEXT) | instid1(VALU_DEP_2)
	v_lshlrev_b32_e32 v11, 1, v9
	v_lshlrev_b32_e32 v13, 1, v10
	ds_store_b16 v11, v29
	ds_store_b16 v13, v30
	v_mad_u32_u24 v9, v9, 6, v11
	v_mad_u32_u24 v10, v10, 6, v13
	; wave barrier
	s_wait_loadcnt_dscnt 0x0
	global_inv scope:SCOPE_SE
	ds_load_b32 v29, v19
	; wave barrier
	s_wait_loadcnt_dscnt 0x0
	global_inv scope:SCOPE_SE
	ds_store_b64 v9, v[5:6]
	ds_store_b64 v10, v[7:8]
	; wave barrier
	s_wait_loadcnt_dscnt 0x0
	global_inv scope:SCOPE_SE
	ds_load_b128 v[5:8], v18
	; wave barrier
	s_wait_loadcnt_dscnt 0x0
	global_inv scope:SCOPE_SE
	s_and_saveexec_b32 s16, s7
	s_cbranch_execz .LBB244_55
; %bb.47:
	v_cmp_gt_u32_e32 vcc_lo, 0x70, v0
	ds_store_b32 v21, v12
	s_and_b32 exec_lo, exec_lo, vcc_lo
	s_cbranch_execz .LBB244_55
; %bb.48:
	v_mov_b32_e32 v9, 0
	v_cmp_gt_u32_e32 vcc_lo, 0x60, v0
	ds_store_b32 v21, v9 offset:64
	s_and_b32 exec_lo, exec_lo, vcc_lo
	s_cbranch_execz .LBB244_55
; %bb.49:
	v_cmp_gt_u32_e32 vcc_lo, 0x50, v0
	ds_store_b32 v21, v9 offset:128
	s_and_b32 exec_lo, exec_lo, vcc_lo
	s_cbranch_execz .LBB244_55
; %bb.50:
	v_mov_b32_e32 v9, 0
	v_cmp_gt_u32_e32 vcc_lo, 64, v0
	ds_store_b32 v21, v9 offset:192
	s_and_b32 exec_lo, exec_lo, vcc_lo
	s_cbranch_execz .LBB244_55
; %bb.51:
	v_cmp_gt_u32_e32 vcc_lo, 48, v0
	ds_store_b32 v21, v9 offset:256
	;; [unrolled: 11-line block ×3, first 2 shown]
	s_and_b32 exec_lo, exec_lo, vcc_lo
; %bb.54:
	v_mov_b32_e32 v9, 0
	ds_store_b32 v21, v9 offset:448
.LBB244_55:
	s_wait_alu 0xfffe
	s_or_b32 exec_lo, exec_lo, s16
	v_lshrrev_b16 v9, 12, v29
	v_cmp_ne_u16_e32 vcc_lo, 0x7fff, v29
	s_min_u32 s16, s13, 4
	v_lshrrev_b32_e32 v30, 16, v29
	s_wait_alu 0xfffe
	s_lshl_b32 s16, -1, s16
	v_lshrrev_b32_e32 v11, 28, v29
	s_wait_alu 0xfffd
	v_cndmask_b32_e32 v9, 8, v9, vcc_lo
	s_wait_alu 0xfffe
	s_not_b32 s16, s16
	v_cmp_ne_u16_e32 vcc_lo, 0x7fff, v30
	s_delay_alu instid0(VALU_DEP_2) | instskip(SKIP_1) | instid1(VALU_DEP_1)
	v_and_b32_e32 v9, 0xffff, v9
	s_wait_alu 0xfffe
	v_and_b32_e32 v9, s16, v9
	s_delay_alu instid0(VALU_DEP_1) | instskip(SKIP_1) | instid1(VALU_DEP_2)
	v_lshlrev_b32_e32 v10, 4, v9
	v_lshrrev_b32_e32 v9, 2, v9
	v_and_or_b32 v10, 0x70, v10, v0
	s_delay_alu instid0(VALU_DEP_2) | instskip(NEXT) | instid1(VALU_DEP_1)
	v_and_b32_e32 v9, 2, v9
	v_lshl_or_b32 v31, v10, 2, v9
	s_wait_alu 0xfffd
	v_cndmask_b32_e32 v9, 8, v11, vcc_lo
	ds_load_u16 v32, v31
	v_and_b32_e32 v9, 0xffff, v9
	s_delay_alu instid0(VALU_DEP_1) | instskip(SKIP_1) | instid1(VALU_DEP_1)
	v_and_b32_e32 v9, s16, v9
	s_mov_b32 s16, 0
	v_lshlrev_b32_e32 v10, 4, v9
	v_lshrrev_b32_e32 v9, 2, v9
	s_delay_alu instid0(VALU_DEP_2) | instskip(NEXT) | instid1(VALU_DEP_2)
	v_and_or_b32 v10, 0x70, v10, v0
	v_and_b32_e32 v9, 2, v9
	s_wait_dscnt 0x0
	v_add_nc_u16 v11, v32, 1
	s_delay_alu instid0(VALU_DEP_2)
	v_lshl_or_b32 v33, v10, 2, v9
	ds_store_b16 v31, v11
	ds_load_u16 v34, v33
	s_wait_dscnt 0x0
	v_add_nc_u16 v9, v34, 1
	ds_store_b16 v33, v9
	; wave barrier
	s_wait_loadcnt_dscnt 0x0
	global_inv scope:SCOPE_SE
	ds_load_b128 v[13:16], v25
	ds_load_b128 v[9:12], v25 offset:16
	s_wait_dscnt 0x1
	v_add_nc_u32_e32 v35, v14, v13
	s_delay_alu instid0(VALU_DEP_1) | instskip(SKIP_1) | instid1(VALU_DEP_1)
	v_add3_u32 v35, v35, v15, v16
	s_wait_dscnt 0x0
	v_add3_u32 v35, v35, v9, v10
	s_delay_alu instid0(VALU_DEP_1) | instskip(NEXT) | instid1(VALU_DEP_1)
	v_add3_u32 v12, v35, v11, v12
	v_mov_b32_dpp v35, v12 row_shr:1 row_mask:0xf bank_mask:0xf
	s_delay_alu instid0(VALU_DEP_1) | instskip(NEXT) | instid1(VALU_DEP_1)
	v_cndmask_b32_e64 v35, v35, 0, s5
	v_add_nc_u32_e32 v12, v35, v12
	s_delay_alu instid0(VALU_DEP_1) | instskip(NEXT) | instid1(VALU_DEP_1)
	v_mov_b32_dpp v35, v12 row_shr:2 row_mask:0xf bank_mask:0xf
	v_cndmask_b32_e64 v35, 0, v35, s3
	s_delay_alu instid0(VALU_DEP_1) | instskip(NEXT) | instid1(VALU_DEP_1)
	v_add_nc_u32_e32 v12, v12, v35
	v_mov_b32_dpp v35, v12 row_shr:4 row_mask:0xf bank_mask:0xf
	s_delay_alu instid0(VALU_DEP_1) | instskip(NEXT) | instid1(VALU_DEP_1)
	v_cndmask_b32_e64 v35, 0, v35, s6
	v_add_nc_u32_e32 v12, v12, v35
	s_delay_alu instid0(VALU_DEP_1) | instskip(NEXT) | instid1(VALU_DEP_1)
	v_mov_b32_dpp v35, v12 row_shr:8 row_mask:0xf bank_mask:0xf
	v_cndmask_b32_e64 v35, 0, v35, s4
	s_delay_alu instid0(VALU_DEP_1)
	v_add_nc_u32_e32 v12, v12, v35
	s_and_saveexec_b32 s17, s2
; %bb.56:
	v_mov_b32_e32 v35, 0
	ds_store_b32 v35, v12 offset:512
; %bb.57:
	s_wait_alu 0xfffe
	s_or_b32 exec_lo, exec_lo, s17
	ds_bpermute_b32 v12, v26, v12
	v_mov_b32_e32 v35, 0
	; wave barrier
	s_wait_loadcnt_dscnt 0x0
	global_inv scope:SCOPE_SE
	ds_load_b32 v35, v35 offset:512
	v_cndmask_b32_e64 v12, v12, 0, s11
	s_wait_dscnt 0x0
	s_delay_alu instid0(VALU_DEP_1) | instskip(NEXT) | instid1(VALU_DEP_1)
	v_lshl_add_u32 v12, v35, 16, v12
	v_add_nc_u32_e32 v13, v12, v13
	s_delay_alu instid0(VALU_DEP_1) | instskip(NEXT) | instid1(VALU_DEP_1)
	v_add_nc_u32_e32 v14, v13, v14
	v_add_nc_u32_e32 v15, v14, v15
	s_delay_alu instid0(VALU_DEP_1) | instskip(NEXT) | instid1(VALU_DEP_1)
	v_add_nc_u32_e32 v35, v15, v16
	;; [unrolled: 3-line block ×3, first 2 shown]
	v_add_nc_u32_e32 v38, v37, v11
	v_and_b32_e32 v11, 0xffff, v32
	ds_store_b128 v25, v[12:15]
	ds_store_b128 v25, v[35:38] offset:16
	; wave barrier
	s_wait_loadcnt_dscnt 0x0
	global_inv scope:SCOPE_SE
	ds_load_u16 v9, v31
	ds_load_u16 v10, v33
	v_and_b32_e32 v12, 0xffff, v34
	; wave barrier
	s_wait_loadcnt_dscnt 0x0
	global_inv scope:SCOPE_SE
	v_add_nc_u32_e32 v9, v9, v11
	v_add_nc_u32_e32 v10, v10, v12
	s_delay_alu instid0(VALU_DEP_2) | instskip(NEXT) | instid1(VALU_DEP_2)
	v_lshlrev_b32_e32 v11, 1, v9
	v_lshlrev_b32_e32 v12, 1, v10
	ds_store_b16 v11, v29
	ds_store_b16 v12, v30
	; wave barrier
	s_wait_loadcnt_dscnt 0x0
	global_inv scope:SCOPE_SE
	ds_load_b32 v13, v19
	v_mad_u32_u24 v9, v9, 6, v11
	v_mad_u32_u24 v10, v10, 6, v12
	; wave barrier
	s_wait_loadcnt_dscnt 0x0
	global_inv scope:SCOPE_SE
	ds_store_b64 v9, v[5:6]
	ds_store_b64 v10, v[7:8]
	; wave barrier
	s_wait_loadcnt_dscnt 0x0
	global_inv scope:SCOPE_SE
	ds_load_b128 v[5:8], v18
	v_lshrrev_b32_e32 v9, 16, v13
	v_cmp_lt_i16_e32 vcc_lo, -1, v13
	s_wait_alu 0xfffd
	v_cndmask_b32_e64 v10, 0xffff8000, -1, vcc_lo
	s_delay_alu instid0(VALU_DEP_3) | instskip(SKIP_2) | instid1(VALU_DEP_1)
	v_cmp_lt_i16_e32 vcc_lo, -1, v9
	s_wait_alu 0xfffd
	v_cndmask_b32_e64 v9, 0xffff8000, -1, vcc_lo
	v_perm_b32 v9, v9, v10, 0x5040100
	s_delay_alu instid0(VALU_DEP_1)
	v_xor_b32_e32 v9, v9, v13
	s_and_b32 vcc_lo, exec_lo, s16
	s_wait_alu 0xfffe
	s_cbranch_vccnz .LBB244_59
	s_branch .LBB244_104
.LBB244_58:
                                        ; implicit-def: $vgpr7_vgpr8
                                        ; implicit-def: $vgpr9
	s_and_b32 vcc_lo, exec_lo, s16
	s_wait_alu 0xfffe
	s_cbranch_vccz .LBB244_104
.LBB244_59:
	s_and_saveexec_b32 s16, s7
	s_cbranch_execz .LBB244_68
; %bb.60:
	s_wait_dscnt 0x0
	v_mad_i32_i24 v5, v0, -12, v18
	v_mov_b32_e32 v6, 0
	v_cmp_gt_u32_e32 vcc_lo, 0x70, v0
	ds_store_b32 v5, v6
	s_and_b32 exec_lo, exec_lo, vcc_lo
	s_cbranch_execz .LBB244_68
; %bb.61:
	v_mul_i32_i24_e32 v5, -12, v0
	v_cmp_gt_u32_e32 vcc_lo, 0x60, v0
	s_delay_alu instid0(VALU_DEP_2)
	v_add_nc_u32_e32 v5, v18, v5
	ds_store_b32 v5, v6 offset:64
	s_and_b32 exec_lo, exec_lo, vcc_lo
	s_cbranch_execz .LBB244_68
; %bb.62:
	v_mov_b32_e32 v6, 0
	v_cmp_gt_u32_e32 vcc_lo, 0x50, v0
	ds_store_b32 v5, v6 offset:128
	s_and_b32 exec_lo, exec_lo, vcc_lo
	s_cbranch_execz .LBB244_68
; %bb.63:
	v_cmp_gt_u32_e32 vcc_lo, 64, v0
	ds_store_b32 v5, v6 offset:192
	s_and_b32 exec_lo, exec_lo, vcc_lo
	s_cbranch_execz .LBB244_68
; %bb.64:
	v_mov_b32_e32 v6, 0
	v_cmp_gt_u32_e32 vcc_lo, 48, v0
	ds_store_b32 v5, v6 offset:256
	s_and_b32 exec_lo, exec_lo, vcc_lo
	s_cbranch_execz .LBB244_68
; %bb.65:
	v_cmp_gt_u32_e32 vcc_lo, 32, v0
	ds_store_b32 v5, v6 offset:320
	s_and_b32 exec_lo, exec_lo, vcc_lo
	s_cbranch_execz .LBB244_68
; %bb.66:
	v_mov_b32_e32 v6, 0
	v_cmp_gt_u32_e32 vcc_lo, 16, v0
	ds_store_b32 v5, v6 offset:384
	s_and_b32 exec_lo, exec_lo, vcc_lo
; %bb.67:
	ds_store_b32 v5, v6 offset:448
.LBB244_68:
	s_wait_alu 0xfffe
	s_or_b32 exec_lo, exec_lo, s16
	v_cmp_gt_i16_e32 vcc_lo, 0, v27
	s_wait_kmcnt 0x0
	s_min_u32 s16, s13, 16
	s_wait_alu 0xfffe
	s_lshl_b32 s16, -1, s16
	s_wait_alu 0xfffe
	s_not_b32 s16, s16
	s_wait_dscnt 0x0
	s_wait_alu 0xfffd
	v_cndmask_b32_e64 v5, 0x7fff, 0, vcc_lo
	s_delay_alu instid0(VALU_DEP_1) | instskip(NEXT) | instid1(VALU_DEP_1)
	v_xor_b32_e32 v13, v5, v27
	v_cmp_ne_u16_e32 vcc_lo, 0x8000, v13
	s_wait_alu 0xfffd
	v_cndmask_b32_e32 v5, 0x7fff, v13, vcc_lo
	v_cmp_gt_i16_e32 vcc_lo, 0, v28
	s_delay_alu instid0(VALU_DEP_2) | instskip(SKIP_3) | instid1(VALU_DEP_2)
	v_and_b32_e32 v5, 0xffff, v5
	s_wait_alu 0xfffd
	v_cndmask_b32_e64 v7, 0x7fff, 0, vcc_lo
	s_wait_alu 0xfffe
	v_and_b32_e32 v5, s16, v5
	s_delay_alu instid0(VALU_DEP_2) | instskip(NEXT) | instid1(VALU_DEP_1)
	v_xor_b32_e32 v14, v7, v28
	v_cmp_ne_u16_e32 vcc_lo, 0x8000, v14
	s_delay_alu instid0(VALU_DEP_3) | instskip(SKIP_1) | instid1(VALU_DEP_2)
	v_lshlrev_b32_e32 v6, 4, v5
	v_lshrrev_b32_e32 v5, 2, v5
	v_and_or_b32 v6, 0x70, v6, v0
	s_delay_alu instid0(VALU_DEP_2) | instskip(NEXT) | instid1(VALU_DEP_1)
	v_and_b32_e32 v5, 0x3ffe, v5
	v_lshl_add_u32 v15, v6, 2, v5
	s_wait_alu 0xfffd
	v_cndmask_b32_e32 v5, 0x7fff, v14, vcc_lo
	ds_load_u16 v16, v15
	v_and_b32_e32 v5, 0xffff, v5
	s_delay_alu instid0(VALU_DEP_1) | instskip(NEXT) | instid1(VALU_DEP_1)
	v_and_b32_e32 v5, s16, v5
	v_lshlrev_b32_e32 v6, 4, v5
	v_lshrrev_b32_e32 v5, 2, v5
	s_delay_alu instid0(VALU_DEP_2) | instskip(NEXT) | instid1(VALU_DEP_2)
	v_and_or_b32 v6, 0x70, v6, v0
	v_and_b32_e32 v5, 0x3ffe, v5
	s_wait_dscnt 0x0
	v_add_nc_u16 v7, v16, 1
	s_delay_alu instid0(VALU_DEP_2)
	v_lshl_add_u32 v27, v6, 2, v5
	ds_store_b16 v15, v7
	ds_load_u16 v28, v27
	s_wait_dscnt 0x0
	v_add_nc_u16 v5, v28, 1
	ds_store_b16 v27, v5
	; wave barrier
	s_wait_loadcnt_dscnt 0x0
	global_inv scope:SCOPE_SE
	ds_load_b128 v[9:12], v25
	ds_load_b128 v[5:8], v25 offset:16
	s_wait_dscnt 0x1
	v_add_nc_u32_e32 v29, v10, v9
	s_delay_alu instid0(VALU_DEP_1) | instskip(SKIP_1) | instid1(VALU_DEP_1)
	v_add3_u32 v29, v29, v11, v12
	s_wait_dscnt 0x0
	v_add3_u32 v29, v29, v5, v6
	s_delay_alu instid0(VALU_DEP_1) | instskip(NEXT) | instid1(VALU_DEP_1)
	v_add3_u32 v8, v29, v7, v8
	v_mov_b32_dpp v29, v8 row_shr:1 row_mask:0xf bank_mask:0xf
	s_delay_alu instid0(VALU_DEP_1) | instskip(NEXT) | instid1(VALU_DEP_1)
	v_cndmask_b32_e64 v29, v29, 0, s5
	v_add_nc_u32_e32 v8, v29, v8
	s_delay_alu instid0(VALU_DEP_1) | instskip(NEXT) | instid1(VALU_DEP_1)
	v_mov_b32_dpp v29, v8 row_shr:2 row_mask:0xf bank_mask:0xf
	v_cndmask_b32_e64 v29, 0, v29, s3
	s_delay_alu instid0(VALU_DEP_1) | instskip(NEXT) | instid1(VALU_DEP_1)
	v_add_nc_u32_e32 v8, v8, v29
	v_mov_b32_dpp v29, v8 row_shr:4 row_mask:0xf bank_mask:0xf
	s_delay_alu instid0(VALU_DEP_1) | instskip(NEXT) | instid1(VALU_DEP_1)
	v_cndmask_b32_e64 v29, 0, v29, s6
	v_add_nc_u32_e32 v8, v8, v29
	s_delay_alu instid0(VALU_DEP_1) | instskip(NEXT) | instid1(VALU_DEP_1)
	v_mov_b32_dpp v29, v8 row_shr:8 row_mask:0xf bank_mask:0xf
	v_cndmask_b32_e64 v29, 0, v29, s4
	s_delay_alu instid0(VALU_DEP_1)
	v_add_nc_u32_e32 v8, v8, v29
	s_and_saveexec_b32 s16, s2
; %bb.69:
	v_mov_b32_e32 v29, 0
	ds_store_b32 v29, v8 offset:512
; %bb.70:
	s_wait_alu 0xfffe
	s_or_b32 exec_lo, exec_lo, s16
	ds_bpermute_b32 v29, v26, v8
	v_mov_b32_e32 v8, 0
	; wave barrier
	s_wait_loadcnt_dscnt 0x0
	global_inv scope:SCOPE_SE
	ds_load_b32 v30, v8 offset:512
	v_cndmask_b32_e64 v29, v29, 0, s11
	s_wait_dscnt 0x0
	s_delay_alu instid0(VALU_DEP_1) | instskip(NEXT) | instid1(VALU_DEP_1)
	v_lshl_add_u32 v29, v30, 16, v29
	v_add_nc_u32_e32 v30, v29, v9
	s_delay_alu instid0(VALU_DEP_1) | instskip(NEXT) | instid1(VALU_DEP_1)
	v_add_nc_u32_e32 v31, v30, v10
	v_add_nc_u32_e32 v32, v31, v11
	s_delay_alu instid0(VALU_DEP_1) | instskip(NEXT) | instid1(VALU_DEP_1)
	v_add_nc_u32_e32 v9, v32, v12
	;; [unrolled: 3-line block ×3, first 2 shown]
	v_add_nc_u32_e32 v12, v11, v7
	v_and_b32_e32 v7, 0xffff, v16
	ds_store_b128 v25, v[29:32]
	ds_store_b128 v25, v[9:12] offset:16
	; wave barrier
	s_wait_loadcnt_dscnt 0x0
	global_inv scope:SCOPE_SE
	ds_load_u16 v5, v15
	ds_load_u16 v6, v27
	v_and_b32_e32 v9, 0xffff, v28
	; wave barrier
	s_wait_loadcnt_dscnt 0x0
	global_inv scope:SCOPE_SE
	v_add_nc_u32_e32 v5, v5, v7
	v_add_nc_u32_e32 v6, v6, v9
	s_delay_alu instid0(VALU_DEP_2) | instskip(NEXT) | instid1(VALU_DEP_2)
	v_lshlrev_b32_e32 v7, 1, v5
	v_lshlrev_b32_e32 v9, 1, v6
	ds_store_b16 v7, v13
	ds_store_b16 v9, v14
	v_mad_u32_u24 v5, v5, 6, v7
	v_mad_u32_u24 v6, v6, 6, v9
	; wave barrier
	s_wait_loadcnt_dscnt 0x0
	global_inv scope:SCOPE_SE
	ds_load_b32 v13, v19
	; wave barrier
	s_wait_loadcnt_dscnt 0x0
	global_inv scope:SCOPE_SE
	ds_store_b64 v5, v[1:2]
	ds_store_b64 v6, v[3:4]
	; wave barrier
	s_wait_loadcnt_dscnt 0x0
	global_inv scope:SCOPE_SE
	ds_load_b128 v[1:4], v18
	; wave barrier
	s_wait_loadcnt_dscnt 0x0
	global_inv scope:SCOPE_SE
	s_and_saveexec_b32 s16, s7
	s_cbranch_execz .LBB244_79
; %bb.71:
	v_cmp_gt_u32_e32 vcc_lo, 0x70, v0
	ds_store_b32 v21, v8
	s_and_b32 exec_lo, exec_lo, vcc_lo
	s_cbranch_execz .LBB244_79
; %bb.72:
	v_mov_b32_e32 v5, 0
	v_cmp_gt_u32_e32 vcc_lo, 0x60, v0
	ds_store_b32 v21, v5 offset:64
	s_and_b32 exec_lo, exec_lo, vcc_lo
	s_cbranch_execz .LBB244_79
; %bb.73:
	v_cmp_gt_u32_e32 vcc_lo, 0x50, v0
	ds_store_b32 v21, v5 offset:128
	s_and_b32 exec_lo, exec_lo, vcc_lo
	s_cbranch_execz .LBB244_79
; %bb.74:
	v_mov_b32_e32 v5, 0
	v_cmp_gt_u32_e32 vcc_lo, 64, v0
	ds_store_b32 v21, v5 offset:192
	s_and_b32 exec_lo, exec_lo, vcc_lo
	s_cbranch_execz .LBB244_79
; %bb.75:
	v_cmp_gt_u32_e32 vcc_lo, 48, v0
	ds_store_b32 v21, v5 offset:256
	s_and_b32 exec_lo, exec_lo, vcc_lo
	s_cbranch_execz .LBB244_79
; %bb.76:
	v_mov_b32_e32 v5, 0
	v_cmp_gt_u32_e32 vcc_lo, 32, v0
	ds_store_b32 v21, v5 offset:320
	s_and_b32 exec_lo, exec_lo, vcc_lo
	s_cbranch_execz .LBB244_79
; %bb.77:
	v_cmp_gt_u32_e32 vcc_lo, 16, v0
	ds_store_b32 v21, v5 offset:384
	s_and_b32 exec_lo, exec_lo, vcc_lo
; %bb.78:
	v_mov_b32_e32 v5, 0
	ds_store_b32 v21, v5 offset:448
.LBB244_79:
	s_wait_alu 0xfffe
	s_or_b32 exec_lo, exec_lo, s16
	v_lshrrev_b16 v5, 4, v13
	v_cmp_ne_u16_e32 vcc_lo, 0x8000, v13
	s_min_u32 s16, s13, 12
	v_lshrrev_b32_e32 v14, 16, v13
	s_wait_alu 0xfffe
	s_lshl_b32 s16, -1, s16
	v_lshrrev_b32_e32 v7, 20, v13
	s_wait_alu 0xfffd
	v_cndmask_b32_e32 v5, 0x7ff, v5, vcc_lo
	s_wait_alu 0xfffe
	s_not_b32 s16, s16
	v_cmp_ne_u16_e32 vcc_lo, 0x8000, v14
	s_delay_alu instid0(VALU_DEP_2) | instskip(SKIP_1) | instid1(VALU_DEP_1)
	v_and_b32_e32 v5, 0xffff, v5
	s_wait_alu 0xfffe
	v_and_b32_e32 v5, s16, v5
	s_delay_alu instid0(VALU_DEP_1) | instskip(SKIP_1) | instid1(VALU_DEP_2)
	v_lshlrev_b32_e32 v6, 4, v5
	v_lshrrev_b32_e32 v5, 2, v5
	v_and_or_b32 v6, 0x70, v6, v0
	s_delay_alu instid0(VALU_DEP_2) | instskip(NEXT) | instid1(VALU_DEP_1)
	v_and_b32_e32 v5, 0x3fe, v5
	v_lshl_add_u32 v15, v6, 2, v5
	s_wait_alu 0xfffd
	v_cndmask_b32_e32 v5, 0x7ff, v7, vcc_lo
	ds_load_u16 v16, v15
	v_and_b32_e32 v5, 0xffff, v5
	s_delay_alu instid0(VALU_DEP_1) | instskip(NEXT) | instid1(VALU_DEP_1)
	v_and_b32_e32 v5, s16, v5
	v_lshlrev_b32_e32 v6, 4, v5
	v_lshrrev_b32_e32 v5, 2, v5
	s_delay_alu instid0(VALU_DEP_2) | instskip(NEXT) | instid1(VALU_DEP_2)
	v_and_or_b32 v6, 0x70, v6, v0
	v_and_b32_e32 v5, 0x3fe, v5
	s_wait_dscnt 0x0
	v_add_nc_u16 v7, v16, 1
	s_delay_alu instid0(VALU_DEP_2)
	v_lshl_add_u32 v27, v6, 2, v5
	ds_store_b16 v15, v7
	ds_load_u16 v28, v27
	s_wait_dscnt 0x0
	v_add_nc_u16 v5, v28, 1
	ds_store_b16 v27, v5
	; wave barrier
	s_wait_loadcnt_dscnt 0x0
	global_inv scope:SCOPE_SE
	ds_load_b128 v[9:12], v25
	ds_load_b128 v[5:8], v25 offset:16
	s_wait_dscnt 0x1
	v_add_nc_u32_e32 v29, v10, v9
	s_delay_alu instid0(VALU_DEP_1) | instskip(SKIP_1) | instid1(VALU_DEP_1)
	v_add3_u32 v29, v29, v11, v12
	s_wait_dscnt 0x0
	v_add3_u32 v29, v29, v5, v6
	s_delay_alu instid0(VALU_DEP_1) | instskip(NEXT) | instid1(VALU_DEP_1)
	v_add3_u32 v8, v29, v7, v8
	v_mov_b32_dpp v29, v8 row_shr:1 row_mask:0xf bank_mask:0xf
	s_delay_alu instid0(VALU_DEP_1) | instskip(NEXT) | instid1(VALU_DEP_1)
	v_cndmask_b32_e64 v29, v29, 0, s5
	v_add_nc_u32_e32 v8, v29, v8
	s_delay_alu instid0(VALU_DEP_1) | instskip(NEXT) | instid1(VALU_DEP_1)
	v_mov_b32_dpp v29, v8 row_shr:2 row_mask:0xf bank_mask:0xf
	v_cndmask_b32_e64 v29, 0, v29, s3
	s_delay_alu instid0(VALU_DEP_1) | instskip(NEXT) | instid1(VALU_DEP_1)
	v_add_nc_u32_e32 v8, v8, v29
	v_mov_b32_dpp v29, v8 row_shr:4 row_mask:0xf bank_mask:0xf
	s_delay_alu instid0(VALU_DEP_1) | instskip(NEXT) | instid1(VALU_DEP_1)
	v_cndmask_b32_e64 v29, 0, v29, s6
	v_add_nc_u32_e32 v8, v8, v29
	s_delay_alu instid0(VALU_DEP_1) | instskip(NEXT) | instid1(VALU_DEP_1)
	v_mov_b32_dpp v29, v8 row_shr:8 row_mask:0xf bank_mask:0xf
	v_cndmask_b32_e64 v29, 0, v29, s4
	s_delay_alu instid0(VALU_DEP_1)
	v_add_nc_u32_e32 v8, v8, v29
	s_and_saveexec_b32 s16, s2
; %bb.80:
	v_mov_b32_e32 v29, 0
	ds_store_b32 v29, v8 offset:512
; %bb.81:
	s_wait_alu 0xfffe
	s_or_b32 exec_lo, exec_lo, s16
	ds_bpermute_b32 v29, v26, v8
	v_mov_b32_e32 v8, 0
	; wave barrier
	s_wait_loadcnt_dscnt 0x0
	global_inv scope:SCOPE_SE
	ds_load_b32 v30, v8 offset:512
	v_cndmask_b32_e64 v29, v29, 0, s11
	s_wait_dscnt 0x0
	s_delay_alu instid0(VALU_DEP_1) | instskip(NEXT) | instid1(VALU_DEP_1)
	v_lshl_add_u32 v29, v30, 16, v29
	v_add_nc_u32_e32 v30, v29, v9
	s_delay_alu instid0(VALU_DEP_1) | instskip(NEXT) | instid1(VALU_DEP_1)
	v_add_nc_u32_e32 v31, v30, v10
	v_add_nc_u32_e32 v32, v31, v11
	s_delay_alu instid0(VALU_DEP_1) | instskip(NEXT) | instid1(VALU_DEP_1)
	v_add_nc_u32_e32 v9, v32, v12
	;; [unrolled: 3-line block ×3, first 2 shown]
	v_add_nc_u32_e32 v12, v11, v7
	v_and_b32_e32 v7, 0xffff, v16
	ds_store_b128 v25, v[29:32]
	ds_store_b128 v25, v[9:12] offset:16
	; wave barrier
	s_wait_loadcnt_dscnt 0x0
	global_inv scope:SCOPE_SE
	ds_load_u16 v5, v15
	ds_load_u16 v6, v27
	v_and_b32_e32 v9, 0xffff, v28
	; wave barrier
	s_wait_loadcnt_dscnt 0x0
	global_inv scope:SCOPE_SE
	v_add_nc_u32_e32 v5, v5, v7
	v_add_nc_u32_e32 v6, v6, v9
	s_delay_alu instid0(VALU_DEP_2) | instskip(NEXT) | instid1(VALU_DEP_2)
	v_lshlrev_b32_e32 v7, 1, v5
	v_lshlrev_b32_e32 v9, 1, v6
	ds_store_b16 v7, v13
	ds_store_b16 v9, v14
	v_mad_u32_u24 v5, v5, 6, v7
	v_mad_u32_u24 v6, v6, 6, v9
	; wave barrier
	s_wait_loadcnt_dscnt 0x0
	global_inv scope:SCOPE_SE
	ds_load_b32 v13, v19
	; wave barrier
	s_wait_loadcnt_dscnt 0x0
	global_inv scope:SCOPE_SE
	ds_store_b64 v5, v[1:2]
	ds_store_b64 v6, v[3:4]
	; wave barrier
	s_wait_loadcnt_dscnt 0x0
	global_inv scope:SCOPE_SE
	ds_load_b128 v[1:4], v18
	; wave barrier
	s_wait_loadcnt_dscnt 0x0
	global_inv scope:SCOPE_SE
	s_and_saveexec_b32 s16, s7
	s_cbranch_execz .LBB244_90
; %bb.82:
	v_cmp_gt_u32_e32 vcc_lo, 0x70, v0
	ds_store_b32 v21, v8
	s_and_b32 exec_lo, exec_lo, vcc_lo
	s_cbranch_execz .LBB244_90
; %bb.83:
	v_mov_b32_e32 v5, 0
	v_cmp_gt_u32_e32 vcc_lo, 0x60, v0
	ds_store_b32 v21, v5 offset:64
	s_and_b32 exec_lo, exec_lo, vcc_lo
	s_cbranch_execz .LBB244_90
; %bb.84:
	v_cmp_gt_u32_e32 vcc_lo, 0x50, v0
	ds_store_b32 v21, v5 offset:128
	s_and_b32 exec_lo, exec_lo, vcc_lo
	s_cbranch_execz .LBB244_90
; %bb.85:
	v_mov_b32_e32 v5, 0
	v_cmp_gt_u32_e32 vcc_lo, 64, v0
	ds_store_b32 v21, v5 offset:192
	s_and_b32 exec_lo, exec_lo, vcc_lo
	s_cbranch_execz .LBB244_90
; %bb.86:
	v_cmp_gt_u32_e32 vcc_lo, 48, v0
	ds_store_b32 v21, v5 offset:256
	;; [unrolled: 11-line block ×3, first 2 shown]
	s_and_b32 exec_lo, exec_lo, vcc_lo
; %bb.89:
	v_mov_b32_e32 v5, 0
	ds_store_b32 v21, v5 offset:448
.LBB244_90:
	s_wait_alu 0xfffe
	s_or_b32 exec_lo, exec_lo, s16
	v_lshrrev_b16 v5, 8, v13
	v_cmp_ne_u16_e32 vcc_lo, 0x8000, v13
	s_min_u32 s16, s13, 8
	v_lshrrev_b32_e32 v14, 16, v13
	s_wait_alu 0xfffe
	s_lshl_b32 s16, -1, s16
	v_lshrrev_b32_e32 v7, 24, v13
	s_wait_alu 0xfffd
	v_cndmask_b32_e32 v5, 0x7f, v5, vcc_lo
	s_wait_alu 0xfffe
	s_not_b32 s16, s16
	v_cmp_ne_u16_e32 vcc_lo, 0x8000, v14
	s_delay_alu instid0(VALU_DEP_2) | instskip(SKIP_1) | instid1(VALU_DEP_1)
	v_and_b32_e32 v5, 0xffff, v5
	s_wait_alu 0xfffe
	v_and_b32_e32 v5, s16, v5
	s_delay_alu instid0(VALU_DEP_1) | instskip(SKIP_1) | instid1(VALU_DEP_2)
	v_lshlrev_b32_e32 v6, 4, v5
	v_lshrrev_b32_e32 v5, 2, v5
	v_and_or_b32 v6, 0x70, v6, v0
	s_delay_alu instid0(VALU_DEP_2) | instskip(NEXT) | instid1(VALU_DEP_1)
	v_and_b32_e32 v5, 62, v5
	v_lshl_add_u32 v15, v6, 2, v5
	s_wait_alu 0xfffd
	v_cndmask_b32_e32 v5, 0x7f, v7, vcc_lo
	ds_load_u16 v16, v15
	v_and_b32_e32 v5, 0xffff, v5
	s_delay_alu instid0(VALU_DEP_1) | instskip(NEXT) | instid1(VALU_DEP_1)
	v_and_b32_e32 v5, s16, v5
	v_lshlrev_b32_e32 v6, 4, v5
	v_lshrrev_b32_e32 v5, 2, v5
	s_delay_alu instid0(VALU_DEP_2) | instskip(NEXT) | instid1(VALU_DEP_2)
	v_and_or_b32 v6, 0x70, v6, v0
	v_and_b32_e32 v5, 62, v5
	s_wait_dscnt 0x0
	v_add_nc_u16 v7, v16, 1
	s_delay_alu instid0(VALU_DEP_2)
	v_lshl_add_u32 v27, v6, 2, v5
	ds_store_b16 v15, v7
	ds_load_u16 v28, v27
	s_wait_dscnt 0x0
	v_add_nc_u16 v5, v28, 1
	ds_store_b16 v27, v5
	; wave barrier
	s_wait_loadcnt_dscnt 0x0
	global_inv scope:SCOPE_SE
	ds_load_b128 v[9:12], v25
	ds_load_b128 v[5:8], v25 offset:16
	s_wait_dscnt 0x1
	v_add_nc_u32_e32 v29, v10, v9
	s_delay_alu instid0(VALU_DEP_1) | instskip(SKIP_1) | instid1(VALU_DEP_1)
	v_add3_u32 v29, v29, v11, v12
	s_wait_dscnt 0x0
	v_add3_u32 v29, v29, v5, v6
	s_delay_alu instid0(VALU_DEP_1) | instskip(NEXT) | instid1(VALU_DEP_1)
	v_add3_u32 v8, v29, v7, v8
	v_mov_b32_dpp v29, v8 row_shr:1 row_mask:0xf bank_mask:0xf
	s_delay_alu instid0(VALU_DEP_1) | instskip(NEXT) | instid1(VALU_DEP_1)
	v_cndmask_b32_e64 v29, v29, 0, s5
	v_add_nc_u32_e32 v8, v29, v8
	s_delay_alu instid0(VALU_DEP_1) | instskip(NEXT) | instid1(VALU_DEP_1)
	v_mov_b32_dpp v29, v8 row_shr:2 row_mask:0xf bank_mask:0xf
	v_cndmask_b32_e64 v29, 0, v29, s3
	s_delay_alu instid0(VALU_DEP_1) | instskip(NEXT) | instid1(VALU_DEP_1)
	v_add_nc_u32_e32 v8, v8, v29
	v_mov_b32_dpp v29, v8 row_shr:4 row_mask:0xf bank_mask:0xf
	s_delay_alu instid0(VALU_DEP_1) | instskip(NEXT) | instid1(VALU_DEP_1)
	v_cndmask_b32_e64 v29, 0, v29, s6
	v_add_nc_u32_e32 v8, v8, v29
	s_delay_alu instid0(VALU_DEP_1) | instskip(NEXT) | instid1(VALU_DEP_1)
	v_mov_b32_dpp v29, v8 row_shr:8 row_mask:0xf bank_mask:0xf
	v_cndmask_b32_e64 v29, 0, v29, s4
	s_delay_alu instid0(VALU_DEP_1)
	v_add_nc_u32_e32 v8, v8, v29
	s_and_saveexec_b32 s16, s2
; %bb.91:
	v_mov_b32_e32 v29, 0
	ds_store_b32 v29, v8 offset:512
; %bb.92:
	s_wait_alu 0xfffe
	s_or_b32 exec_lo, exec_lo, s16
	ds_bpermute_b32 v29, v26, v8
	v_mov_b32_e32 v8, 0
	; wave barrier
	s_wait_loadcnt_dscnt 0x0
	global_inv scope:SCOPE_SE
	ds_load_b32 v30, v8 offset:512
	v_cndmask_b32_e64 v29, v29, 0, s11
	s_wait_dscnt 0x0
	s_delay_alu instid0(VALU_DEP_1) | instskip(NEXT) | instid1(VALU_DEP_1)
	v_lshl_add_u32 v29, v30, 16, v29
	v_add_nc_u32_e32 v30, v29, v9
	s_delay_alu instid0(VALU_DEP_1) | instskip(NEXT) | instid1(VALU_DEP_1)
	v_add_nc_u32_e32 v31, v30, v10
	v_add_nc_u32_e32 v32, v31, v11
	s_delay_alu instid0(VALU_DEP_1) | instskip(NEXT) | instid1(VALU_DEP_1)
	v_add_nc_u32_e32 v9, v32, v12
	v_add_nc_u32_e32 v10, v9, v5
	s_delay_alu instid0(VALU_DEP_1) | instskip(NEXT) | instid1(VALU_DEP_1)
	v_add_nc_u32_e32 v11, v10, v6
	v_add_nc_u32_e32 v12, v11, v7
	v_and_b32_e32 v7, 0xffff, v16
	ds_store_b128 v25, v[29:32]
	ds_store_b128 v25, v[9:12] offset:16
	; wave barrier
	s_wait_loadcnt_dscnt 0x0
	global_inv scope:SCOPE_SE
	ds_load_u16 v5, v15
	ds_load_u16 v6, v27
	v_and_b32_e32 v9, 0xffff, v28
	; wave barrier
	s_wait_loadcnt_dscnt 0x0
	global_inv scope:SCOPE_SE
	v_add_nc_u32_e32 v5, v5, v7
	v_add_nc_u32_e32 v6, v6, v9
	s_delay_alu instid0(VALU_DEP_2) | instskip(NEXT) | instid1(VALU_DEP_2)
	v_lshlrev_b32_e32 v7, 1, v5
	v_lshlrev_b32_e32 v9, 1, v6
	ds_store_b16 v7, v13
	ds_store_b16 v9, v14
	v_mad_u32_u24 v5, v5, 6, v7
	v_mad_u32_u24 v6, v6, 6, v9
	; wave barrier
	s_wait_loadcnt_dscnt 0x0
	global_inv scope:SCOPE_SE
	ds_load_b32 v13, v19
	; wave barrier
	s_wait_loadcnt_dscnt 0x0
	global_inv scope:SCOPE_SE
	ds_store_b64 v5, v[1:2]
	ds_store_b64 v6, v[3:4]
	; wave barrier
	s_wait_loadcnt_dscnt 0x0
	global_inv scope:SCOPE_SE
	ds_load_b128 v[1:4], v18
	; wave barrier
	s_wait_loadcnt_dscnt 0x0
	global_inv scope:SCOPE_SE
	s_and_saveexec_b32 s16, s7
	s_cbranch_execz .LBB244_101
; %bb.93:
	v_cmp_gt_u32_e32 vcc_lo, 0x70, v0
	ds_store_b32 v21, v8
	s_and_b32 exec_lo, exec_lo, vcc_lo
	s_cbranch_execz .LBB244_101
; %bb.94:
	v_mov_b32_e32 v5, 0
	v_cmp_gt_u32_e32 vcc_lo, 0x60, v0
	ds_store_b32 v21, v5 offset:64
	s_and_b32 exec_lo, exec_lo, vcc_lo
	s_cbranch_execz .LBB244_101
; %bb.95:
	v_cmp_gt_u32_e32 vcc_lo, 0x50, v0
	ds_store_b32 v21, v5 offset:128
	s_and_b32 exec_lo, exec_lo, vcc_lo
	s_cbranch_execz .LBB244_101
; %bb.96:
	v_mov_b32_e32 v5, 0
	v_cmp_gt_u32_e32 vcc_lo, 64, v0
	ds_store_b32 v21, v5 offset:192
	s_and_b32 exec_lo, exec_lo, vcc_lo
	s_cbranch_execz .LBB244_101
; %bb.97:
	v_cmp_gt_u32_e32 vcc_lo, 48, v0
	ds_store_b32 v21, v5 offset:256
	;; [unrolled: 11-line block ×3, first 2 shown]
	s_and_b32 exec_lo, exec_lo, vcc_lo
; %bb.100:
	v_mov_b32_e32 v5, 0
	ds_store_b32 v21, v5 offset:448
.LBB244_101:
	s_wait_alu 0xfffe
	s_or_b32 exec_lo, exec_lo, s16
	v_lshrrev_b16 v5, 12, v13
	v_cmp_ne_u16_e32 vcc_lo, 0x8000, v13
	s_min_u32 s7, s13, 4
	v_lshrrev_b32_e32 v14, 16, v13
	s_wait_alu 0xfffe
	s_lshl_b32 s7, -1, s7
	v_lshrrev_b32_e32 v7, 28, v13
	s_wait_alu 0xfffd
	v_cndmask_b32_e32 v5, 7, v5, vcc_lo
	s_wait_alu 0xfffe
	s_not_b32 s7, s7
	v_cmp_ne_u16_e32 vcc_lo, 0x8000, v14
	s_delay_alu instid0(VALU_DEP_2) | instskip(SKIP_1) | instid1(VALU_DEP_1)
	v_and_b32_e32 v5, 0xffff, v5
	s_wait_alu 0xfffe
	v_and_b32_e32 v5, s7, v5
	s_delay_alu instid0(VALU_DEP_1) | instskip(SKIP_1) | instid1(VALU_DEP_2)
	v_lshlrev_b32_e32 v6, 4, v5
	v_lshrrev_b32_e32 v5, 2, v5
	v_and_or_b32 v6, 0x70, v6, v0
	s_delay_alu instid0(VALU_DEP_2) | instskip(NEXT) | instid1(VALU_DEP_1)
	v_and_b32_e32 v5, 2, v5
	v_lshl_or_b32 v15, v6, 2, v5
	s_wait_alu 0xfffd
	v_cndmask_b32_e32 v5, 7, v7, vcc_lo
	ds_load_u16 v16, v15
	v_and_b32_e32 v5, 0xffff, v5
	s_delay_alu instid0(VALU_DEP_1) | instskip(NEXT) | instid1(VALU_DEP_1)
	v_and_b32_e32 v5, s7, v5
	v_lshlrev_b32_e32 v6, 4, v5
	v_lshrrev_b32_e32 v5, 2, v5
	s_delay_alu instid0(VALU_DEP_2) | instskip(NEXT) | instid1(VALU_DEP_2)
	v_and_or_b32 v0, 0x70, v6, v0
	v_and_b32_e32 v5, 2, v5
	s_wait_dscnt 0x0
	v_add_nc_u16 v6, v16, 1
	s_delay_alu instid0(VALU_DEP_2)
	v_lshl_or_b32 v0, v0, 2, v5
	ds_store_b16 v15, v6
	ds_load_u16 v27, v0
	s_wait_dscnt 0x0
	v_add_nc_u16 v5, v27, 1
	ds_store_b16 v0, v5
	; wave barrier
	s_wait_loadcnt_dscnt 0x0
	global_inv scope:SCOPE_SE
	ds_load_b128 v[9:12], v25
	ds_load_b128 v[5:8], v25 offset:16
	s_wait_dscnt 0x1
	v_add_nc_u32_e32 v28, v10, v9
	s_delay_alu instid0(VALU_DEP_1) | instskip(SKIP_1) | instid1(VALU_DEP_1)
	v_add3_u32 v28, v28, v11, v12
	s_wait_dscnt 0x0
	v_add3_u32 v28, v28, v5, v6
	s_delay_alu instid0(VALU_DEP_1) | instskip(NEXT) | instid1(VALU_DEP_1)
	v_add3_u32 v8, v28, v7, v8
	v_mov_b32_dpp v28, v8 row_shr:1 row_mask:0xf bank_mask:0xf
	s_delay_alu instid0(VALU_DEP_1) | instskip(NEXT) | instid1(VALU_DEP_1)
	v_cndmask_b32_e64 v28, v28, 0, s5
	v_add_nc_u32_e32 v8, v28, v8
	s_delay_alu instid0(VALU_DEP_1) | instskip(NEXT) | instid1(VALU_DEP_1)
	v_mov_b32_dpp v28, v8 row_shr:2 row_mask:0xf bank_mask:0xf
	v_cndmask_b32_e64 v28, 0, v28, s3
	s_delay_alu instid0(VALU_DEP_1) | instskip(NEXT) | instid1(VALU_DEP_1)
	v_add_nc_u32_e32 v8, v8, v28
	v_mov_b32_dpp v28, v8 row_shr:4 row_mask:0xf bank_mask:0xf
	s_delay_alu instid0(VALU_DEP_1) | instskip(NEXT) | instid1(VALU_DEP_1)
	v_cndmask_b32_e64 v28, 0, v28, s6
	v_add_nc_u32_e32 v8, v8, v28
	s_delay_alu instid0(VALU_DEP_1) | instskip(NEXT) | instid1(VALU_DEP_1)
	v_mov_b32_dpp v28, v8 row_shr:8 row_mask:0xf bank_mask:0xf
	v_cndmask_b32_e64 v28, 0, v28, s4
	s_delay_alu instid0(VALU_DEP_1)
	v_add_nc_u32_e32 v8, v8, v28
	s_and_saveexec_b32 s3, s2
; %bb.102:
	v_mov_b32_e32 v28, 0
	ds_store_b32 v28, v8 offset:512
; %bb.103:
	s_wait_alu 0xfffe
	s_or_b32 exec_lo, exec_lo, s3
	ds_bpermute_b32 v8, v26, v8
	v_mov_b32_e32 v26, 0
	; wave barrier
	s_wait_loadcnt_dscnt 0x0
	global_inv scope:SCOPE_SE
	ds_load_b32 v26, v26 offset:512
	v_cndmask_b32_e64 v8, v8, 0, s11
	s_wait_dscnt 0x0
	s_delay_alu instid0(VALU_DEP_1) | instskip(NEXT) | instid1(VALU_DEP_1)
	v_lshl_add_u32 v8, v26, 16, v8
	v_add_nc_u32_e32 v9, v8, v9
	s_delay_alu instid0(VALU_DEP_1) | instskip(NEXT) | instid1(VALU_DEP_1)
	v_add_nc_u32_e32 v10, v9, v10
	v_add_nc_u32_e32 v11, v10, v11
	s_delay_alu instid0(VALU_DEP_1) | instskip(NEXT) | instid1(VALU_DEP_1)
	v_add_nc_u32_e32 v28, v11, v12
	v_add_nc_u32_e32 v29, v28, v5
	s_delay_alu instid0(VALU_DEP_1) | instskip(SKIP_1) | instid1(VALU_DEP_2)
	v_add_nc_u32_e32 v30, v29, v6
	v_and_b32_e32 v6, 0xffff, v16
	v_add_nc_u32_e32 v31, v30, v7
	v_and_b32_e32 v7, 0xffff, v27
	ds_store_b128 v25, v[8:11]
	ds_store_b128 v25, v[28:31] offset:16
	; wave barrier
	s_wait_loadcnt_dscnt 0x0
	global_inv scope:SCOPE_SE
	ds_load_u16 v5, v15
	ds_load_u16 v0, v0
	; wave barrier
	s_wait_loadcnt_dscnt 0x0
	global_inv scope:SCOPE_SE
	v_add_nc_u32_e32 v5, v5, v6
	v_add_nc_u32_e32 v0, v0, v7
	s_delay_alu instid0(VALU_DEP_2) | instskip(NEXT) | instid1(VALU_DEP_2)
	v_lshlrev_b32_e32 v6, 1, v5
	v_lshlrev_b32_e32 v7, 1, v0
	ds_store_b16 v6, v13
	ds_store_b16 v7, v14
	; wave barrier
	s_wait_loadcnt_dscnt 0x0
	global_inv scope:SCOPE_SE
	ds_load_b32 v9, v19
	v_mad_u32_u24 v5, v5, 6, v6
	v_mad_u32_u24 v0, v0, 6, v7
	; wave barrier
	s_wait_loadcnt_dscnt 0x0
	global_inv scope:SCOPE_SE
	ds_store_b64 v5, v[1:2]
	ds_store_b64 v0, v[3:4]
	; wave barrier
	s_wait_loadcnt_dscnt 0x0
	global_inv scope:SCOPE_SE
	ds_load_b128 v[5:8], v18
	v_lshrrev_b32_e32 v0, 16, v9
	v_cmp_gt_i16_e32 vcc_lo, 0, v9
	s_wait_alu 0xfffd
	v_cndmask_b32_e64 v1, 0x7fff, 0, vcc_lo
	s_delay_alu instid0(VALU_DEP_3) | instskip(SKIP_2) | instid1(VALU_DEP_1)
	v_cmp_gt_i16_e32 vcc_lo, 0, v0
	s_wait_alu 0xfffd
	v_cndmask_b32_e64 v0, 0x7fff, 0, vcc_lo
	v_perm_b32 v0, v0, v1, 0x5040100
	s_delay_alu instid0(VALU_DEP_1)
	v_xor_b32_e32 v9, v0, v9
.LBB244_104:
	; wave barrier
	s_wait_loadcnt_dscnt 0x0
	global_inv scope:SCOPE_SE
	ds_store_b32 v21, v9
	; wave barrier
	s_wait_loadcnt_dscnt 0x0
	global_inv scope:SCOPE_SE
	ds_load_u16 v2, v22 offset:32
	v_mov_b32_e32 v21, 0
	s_delay_alu instid0(VALU_DEP_1) | instskip(NEXT) | instid1(VALU_DEP_1)
	v_lshlrev_b64_e32 v[0:1], 1, v[20:21]
	v_add_co_u32 v0, vcc_lo, s14, v0
	s_wait_alu 0xfffd
	s_delay_alu instid0(VALU_DEP_2)
	v_add_co_ci_u32_e64 v1, null, s15, v1, vcc_lo
	s_and_saveexec_b32 s2, s0
	s_cbranch_execz .LBB244_106
; %bb.105:
	ds_load_u16 v3, v22
	s_wait_dscnt 0x0
	global_store_b16 v[0:1], v3, off
.LBB244_106:
	s_wait_alu 0xfffe
	s_or_b32 exec_lo, exec_lo, s2
	s_and_saveexec_b32 s2, s1
	s_cbranch_execz .LBB244_108
; %bb.107:
	s_lshl_b32 s4, s10, 4
	s_mov_b32 s5, 0
	s_wait_alu 0xfffe
	s_lshl_b64 s[4:5], s[4:5], 1
	s_wait_alu 0xfffe
	v_add_co_u32 v0, vcc_lo, v0, s4
	s_wait_alu 0xfffd
	v_add_co_ci_u32_e64 v1, null, s5, v1, vcc_lo
	s_wait_dscnt 0x0
	global_store_b16 v[0:1], v2, off
.LBB244_108:
	s_wait_alu 0xfffe
	s_or_b32 exec_lo, exec_lo, s2
	s_wait_storecnt 0x0
	; wave barrier
	s_wait_loadcnt_dscnt 0x0
	global_inv scope:SCOPE_SE
	ds_store_2addr_b64 v24, v[5:6], v[7:8] offset1:1
	; wave barrier
	s_wait_loadcnt_dscnt 0x0
	global_inv scope:SCOPE_SE
	ds_load_b64 v[0:1], v23 offset:128
	v_mov_b32_e32 v18, 0
	s_delay_alu instid0(VALU_DEP_1) | instskip(NEXT) | instid1(VALU_DEP_1)
	v_lshlrev_b64_e32 v[2:3], 3, v[17:18]
	v_add_co_u32 v2, vcc_lo, s8, v2
	s_wait_alu 0xfffd
	s_delay_alu instid0(VALU_DEP_2)
	v_add_co_ci_u32_e64 v3, null, s9, v3, vcc_lo
	s_and_saveexec_b32 s2, s0
	s_cbranch_execz .LBB244_110
; %bb.109:
	ds_load_b64 v[4:5], v23
	s_wait_dscnt 0x0
	global_store_b64 v[2:3], v[4:5], off
.LBB244_110:
	s_wait_alu 0xfffe
	s_or_b32 exec_lo, exec_lo, s2
	s_and_saveexec_b32 s0, s1
	s_cbranch_execz .LBB244_112
; %bb.111:
	s_lshl_b32 s0, s12, 4
	s_mov_b32 s1, 0
	s_delay_alu instid0(SALU_CYCLE_1) | instskip(NEXT) | instid1(SALU_CYCLE_1)
	s_lshl_b64 s[0:1], s[0:1], 3
	v_add_co_u32 v2, vcc_lo, v2, s0
	s_wait_alu 0xfffd
	v_add_co_ci_u32_e64 v3, null, s1, v3, vcc_lo
	s_wait_dscnt 0x0
	global_store_b64 v[2:3], v[0:1], off
.LBB244_112:
	s_endpgm
	.section	.rodata,"a",@progbits
	.p2align	6, 0x0
	.amdhsa_kernel _ZN2at6native18radixSortKVInPlaceILin2ELin1ELi16ELi2EN3c108BFloat16EljEEvNS_4cuda6detail10TensorInfoIT3_T5_EES8_S8_S8_NS6_IT4_S8_EES8_b
		.amdhsa_group_segment_fixed_size 528
		.amdhsa_private_segment_fixed_size 0
		.amdhsa_kernarg_size 712
		.amdhsa_user_sgpr_count 2
		.amdhsa_user_sgpr_dispatch_ptr 0
		.amdhsa_user_sgpr_queue_ptr 0
		.amdhsa_user_sgpr_kernarg_segment_ptr 1
		.amdhsa_user_sgpr_dispatch_id 0
		.amdhsa_user_sgpr_private_segment_size 0
		.amdhsa_wavefront_size32 1
		.amdhsa_uses_dynamic_stack 0
		.amdhsa_enable_private_segment 0
		.amdhsa_system_sgpr_workgroup_id_x 1
		.amdhsa_system_sgpr_workgroup_id_y 1
		.amdhsa_system_sgpr_workgroup_id_z 1
		.amdhsa_system_sgpr_workgroup_info 0
		.amdhsa_system_vgpr_workitem_id 0
		.amdhsa_next_free_vgpr 39
		.amdhsa_next_free_sgpr 18
		.amdhsa_reserve_vcc 1
		.amdhsa_float_round_mode_32 0
		.amdhsa_float_round_mode_16_64 0
		.amdhsa_float_denorm_mode_32 3
		.amdhsa_float_denorm_mode_16_64 3
		.amdhsa_fp16_overflow 0
		.amdhsa_workgroup_processor_mode 1
		.amdhsa_memory_ordered 1
		.amdhsa_forward_progress 1
		.amdhsa_inst_pref_size 74
		.amdhsa_round_robin_scheduling 0
		.amdhsa_exception_fp_ieee_invalid_op 0
		.amdhsa_exception_fp_denorm_src 0
		.amdhsa_exception_fp_ieee_div_zero 0
		.amdhsa_exception_fp_ieee_overflow 0
		.amdhsa_exception_fp_ieee_underflow 0
		.amdhsa_exception_fp_ieee_inexact 0
		.amdhsa_exception_int_div_zero 0
	.end_amdhsa_kernel
	.section	.text._ZN2at6native18radixSortKVInPlaceILin2ELin1ELi16ELi2EN3c108BFloat16EljEEvNS_4cuda6detail10TensorInfoIT3_T5_EES8_S8_S8_NS6_IT4_S8_EES8_b,"axG",@progbits,_ZN2at6native18radixSortKVInPlaceILin2ELin1ELi16ELi2EN3c108BFloat16EljEEvNS_4cuda6detail10TensorInfoIT3_T5_EES8_S8_S8_NS6_IT4_S8_EES8_b,comdat
.Lfunc_end244:
	.size	_ZN2at6native18radixSortKVInPlaceILin2ELin1ELi16ELi2EN3c108BFloat16EljEEvNS_4cuda6detail10TensorInfoIT3_T5_EES8_S8_S8_NS6_IT4_S8_EES8_b, .Lfunc_end244-_ZN2at6native18radixSortKVInPlaceILin2ELin1ELi16ELi2EN3c108BFloat16EljEEvNS_4cuda6detail10TensorInfoIT3_T5_EES8_S8_S8_NS6_IT4_S8_EES8_b
                                        ; -- End function
	.set _ZN2at6native18radixSortKVInPlaceILin2ELin1ELi16ELi2EN3c108BFloat16EljEEvNS_4cuda6detail10TensorInfoIT3_T5_EES8_S8_S8_NS6_IT4_S8_EES8_b.num_vgpr, 39
	.set _ZN2at6native18radixSortKVInPlaceILin2ELin1ELi16ELi2EN3c108BFloat16EljEEvNS_4cuda6detail10TensorInfoIT3_T5_EES8_S8_S8_NS6_IT4_S8_EES8_b.num_agpr, 0
	.set _ZN2at6native18radixSortKVInPlaceILin2ELin1ELi16ELi2EN3c108BFloat16EljEEvNS_4cuda6detail10TensorInfoIT3_T5_EES8_S8_S8_NS6_IT4_S8_EES8_b.numbered_sgpr, 18
	.set _ZN2at6native18radixSortKVInPlaceILin2ELin1ELi16ELi2EN3c108BFloat16EljEEvNS_4cuda6detail10TensorInfoIT3_T5_EES8_S8_S8_NS6_IT4_S8_EES8_b.num_named_barrier, 0
	.set _ZN2at6native18radixSortKVInPlaceILin2ELin1ELi16ELi2EN3c108BFloat16EljEEvNS_4cuda6detail10TensorInfoIT3_T5_EES8_S8_S8_NS6_IT4_S8_EES8_b.private_seg_size, 0
	.set _ZN2at6native18radixSortKVInPlaceILin2ELin1ELi16ELi2EN3c108BFloat16EljEEvNS_4cuda6detail10TensorInfoIT3_T5_EES8_S8_S8_NS6_IT4_S8_EES8_b.uses_vcc, 1
	.set _ZN2at6native18radixSortKVInPlaceILin2ELin1ELi16ELi2EN3c108BFloat16EljEEvNS_4cuda6detail10TensorInfoIT3_T5_EES8_S8_S8_NS6_IT4_S8_EES8_b.uses_flat_scratch, 0
	.set _ZN2at6native18radixSortKVInPlaceILin2ELin1ELi16ELi2EN3c108BFloat16EljEEvNS_4cuda6detail10TensorInfoIT3_T5_EES8_S8_S8_NS6_IT4_S8_EES8_b.has_dyn_sized_stack, 0
	.set _ZN2at6native18radixSortKVInPlaceILin2ELin1ELi16ELi2EN3c108BFloat16EljEEvNS_4cuda6detail10TensorInfoIT3_T5_EES8_S8_S8_NS6_IT4_S8_EES8_b.has_recursion, 0
	.set _ZN2at6native18radixSortKVInPlaceILin2ELin1ELi16ELi2EN3c108BFloat16EljEEvNS_4cuda6detail10TensorInfoIT3_T5_EES8_S8_S8_NS6_IT4_S8_EES8_b.has_indirect_call, 0
	.section	.AMDGPU.csdata,"",@progbits
; Kernel info:
; codeLenInByte = 9472
; TotalNumSgprs: 20
; NumVgprs: 39
; ScratchSize: 0
; MemoryBound: 0
; FloatMode: 240
; IeeeMode: 1
; LDSByteSize: 528 bytes/workgroup (compile time only)
; SGPRBlocks: 0
; VGPRBlocks: 4
; NumSGPRsForWavesPerEU: 20
; NumVGPRsForWavesPerEU: 39
; Occupancy: 16
; WaveLimiterHint : 1
; COMPUTE_PGM_RSRC2:SCRATCH_EN: 0
; COMPUTE_PGM_RSRC2:USER_SGPR: 2
; COMPUTE_PGM_RSRC2:TRAP_HANDLER: 0
; COMPUTE_PGM_RSRC2:TGID_X_EN: 1
; COMPUTE_PGM_RSRC2:TGID_Y_EN: 1
; COMPUTE_PGM_RSRC2:TGID_Z_EN: 1
; COMPUTE_PGM_RSRC2:TIDIG_COMP_CNT: 0
	.section	.text._ZN2at6native18radixSortKVInPlaceILi2ELin1ELi512ELi8EN3c108BFloat16EljEEvNS_4cuda6detail10TensorInfoIT3_T5_EES8_S8_S8_NS6_IT4_S8_EES8_b,"axG",@progbits,_ZN2at6native18radixSortKVInPlaceILi2ELin1ELi512ELi8EN3c108BFloat16EljEEvNS_4cuda6detail10TensorInfoIT3_T5_EES8_S8_S8_NS6_IT4_S8_EES8_b,comdat
	.protected	_ZN2at6native18radixSortKVInPlaceILi2ELin1ELi512ELi8EN3c108BFloat16EljEEvNS_4cuda6detail10TensorInfoIT3_T5_EES8_S8_S8_NS6_IT4_S8_EES8_b ; -- Begin function _ZN2at6native18radixSortKVInPlaceILi2ELin1ELi512ELi8EN3c108BFloat16EljEEvNS_4cuda6detail10TensorInfoIT3_T5_EES8_S8_S8_NS6_IT4_S8_EES8_b
	.globl	_ZN2at6native18radixSortKVInPlaceILi2ELin1ELi512ELi8EN3c108BFloat16EljEEvNS_4cuda6detail10TensorInfoIT3_T5_EES8_S8_S8_NS6_IT4_S8_EES8_b
	.p2align	8
	.type	_ZN2at6native18radixSortKVInPlaceILi2ELin1ELi512ELi8EN3c108BFloat16EljEEvNS_4cuda6detail10TensorInfoIT3_T5_EES8_S8_S8_NS6_IT4_S8_EES8_b,@function
_ZN2at6native18radixSortKVInPlaceILi2ELin1ELi512ELi8EN3c108BFloat16EljEEvNS_4cuda6detail10TensorInfoIT3_T5_EES8_S8_S8_NS6_IT4_S8_EES8_b: ; @_ZN2at6native18radixSortKVInPlaceILi2ELin1ELi512ELi8EN3c108BFloat16EljEEvNS_4cuda6detail10TensorInfoIT3_T5_EES8_S8_S8_NS6_IT4_S8_EES8_b
; %bb.0:
	s_clause 0x1
	s_load_b64 s[2:3], s[0:1], 0x1c8
	s_load_b96 s[24:26], s[0:1], 0xd8
	s_lshr_b32 s4, ttmp7, 16
	s_wait_kmcnt 0x0
	s_mul_i32 s3, s3, s4
	s_and_b32 s4, ttmp7, 0xffff
	s_delay_alu instid0(SALU_CYCLE_1) | instskip(NEXT) | instid1(SALU_CYCLE_1)
	s_add_co_i32 s3, s3, s4
	s_mul_i32 s2, s3, s2
	s_delay_alu instid0(SALU_CYCLE_1) | instskip(NEXT) | instid1(SALU_CYCLE_1)
	s_add_co_i32 s2, s2, ttmp9
	s_cmp_ge_u32 s2, s24
	s_cbranch_scc1 .LBB245_146
; %bb.1:
	s_clause 0x2
	s_load_b32 s15, s[0:1], 0xc
	s_load_b64 s[4:5], s[0:1], 0x6c
	s_load_b32 s12, s[0:1], 0x1b8
	s_add_nc_u64 s[10:11], s[0:1], 0xe8
	s_mov_b32 s14, s2
	s_wait_kmcnt 0x0
	s_cvt_f32_u32 s3, s15
	s_delay_alu instid0(SALU_CYCLE_3) | instskip(NEXT) | instid1(TRANS32_DEP_1)
	v_rcp_iflag_f32_e32 v1, s3
	v_readfirstlane_b32 s3, v1
	s_mul_f32 s3, s3, 0x4f7ffffe
	s_wait_alu 0xfffe
	s_delay_alu instid0(SALU_CYCLE_2) | instskip(SKIP_2) | instid1(SALU_CYCLE_1)
	s_cvt_u32_f32 s6, s3
	s_sub_co_i32 s3, 0, s15
	s_wait_alu 0xfffe
	s_mul_i32 s7, s3, s6
	s_mov_b32 s3, 0
	s_mul_hi_u32 s8, s6, s7
	s_wait_alu 0xfffe
	s_mov_b32 s7, s3
	s_add_co_i32 s6, s6, s8
	s_cmp_lt_i32 s12, 2
	s_mov_b32 s9, s3
	s_cbranch_scc1 .LBB245_4
; %bb.2:
	s_add_co_i32 s8, s12, -1
	s_mov_b32 s9, 0
	s_mov_b32 s14, s2
	s_lshl_b64 s[16:17], s[8:9], 2
	s_add_co_i32 s8, s12, 1
	s_add_nc_u64 s[16:17], s[10:11], s[16:17]
	s_delay_alu instid0(SALU_CYCLE_1)
	s_add_nc_u64 s[12:13], s[16:17], 8
.LBB245_3:                              ; =>This Inner Loop Header: Depth=1
	s_clause 0x1
	s_load_b32 s16, s[12:13], 0x0
	s_load_b32 s17, s[12:13], 0x64
	s_mov_b32 s20, s14
	s_add_nc_u64 s[12:13], s[12:13], -4
	s_wait_kmcnt 0x0
	s_cvt_f32_u32 s18, s16
	s_sub_co_i32 s19, 0, s16
	s_wait_alu 0xfffe
	s_delay_alu instid0(SALU_CYCLE_1) | instskip(NEXT) | instid1(TRANS32_DEP_1)
	v_rcp_iflag_f32_e32 v1, s18
	v_readfirstlane_b32 s18, v1
	s_mul_f32 s18, s18, 0x4f7ffffe
	s_wait_alu 0xfffe
	s_delay_alu instid0(SALU_CYCLE_2) | instskip(SKIP_1) | instid1(SALU_CYCLE_2)
	s_cvt_u32_f32 s18, s18
	s_wait_alu 0xfffe
	s_mul_i32 s19, s19, s18
	s_wait_alu 0xfffe
	s_mul_hi_u32 s19, s18, s19
	s_wait_alu 0xfffe
	s_add_co_i32 s18, s18, s19
	s_wait_alu 0xfffe
	s_mul_hi_u32 s14, s14, s18
	s_delay_alu instid0(SALU_CYCLE_1)
	s_mul_i32 s18, s14, s16
	s_add_co_i32 s19, s14, 1
	s_wait_alu 0xfffe
	s_sub_co_i32 s18, s20, s18
	s_wait_alu 0xfffe
	s_sub_co_i32 s21, s18, s16
	s_cmp_ge_u32 s18, s16
	s_cselect_b32 s14, s19, s14
	s_cselect_b32 s18, s21, s18
	s_add_co_i32 s19, s14, 1
	s_wait_alu 0xfffe
	s_cmp_ge_u32 s18, s16
	s_cselect_b32 s14, s19, s14
	s_add_co_i32 s8, s8, -1
	s_mul_i32 s16, s14, s16
	s_delay_alu instid0(SALU_CYCLE_1) | instskip(NEXT) | instid1(SALU_CYCLE_1)
	s_sub_co_i32 s16, s20, s16
	s_mul_i32 s16, s17, s16
	s_delay_alu instid0(SALU_CYCLE_1)
	s_add_co_i32 s9, s16, s9
	s_cmp_gt_u32 s8, 2
	s_cbranch_scc1 .LBB245_3
.LBB245_4:
	s_mul_u64 s[6:7], s[2:3], s[6:7]
	s_clause 0x1
	s_load_b64 s[12:13], s[0:1], 0x0
	s_load_b64 s[28:29], s[0:1], 0x1c0
	s_mul_i32 s3, s7, s15
	s_add_nc_u64 s[34:35], s[0:1], 0x1c8
	s_wait_alu 0xfffe
	s_sub_co_i32 s0, s2, s3
	s_add_co_i32 s1, s7, 1
	s_sub_co_i32 s3, s0, s15
	s_cmp_ge_u32 s0, s15
	s_cselect_b32 s1, s1, s7
	s_wait_alu 0xfffe
	s_cselect_b32 s0, s3, s0
	s_add_co_i32 s3, s1, 1
	s_cmp_ge_u32 s0, s15
	s_wait_alu 0xfffe
	s_cselect_b32 s0, s3, s1
	s_mov_b32 s3, 0
	s_mul_i32 s1, s0, s15
	s_mul_i32 s0, s0, s4
	s_sub_co_i32 s1, s2, s1
	s_delay_alu instid0(SALU_CYCLE_1) | instskip(NEXT) | instid1(SALU_CYCLE_1)
	s_mul_i32 s1, s1, s5
	s_add_co_i32 s2, s0, s1
	s_wait_kmcnt 0x0
	s_bitcmp1_b32 s29, 0
	s_mov_b32 s0, 0xffff
	s_cselect_b32 s8, -1, 0
	s_delay_alu instid0(SALU_CYCLE_1) | instskip(SKIP_1) | instid1(SALU_CYCLE_1)
	s_and_b32 s1, s8, exec_lo
	s_cselect_b32 s15, s0, 0x7fff
	v_dual_mov_b32 v1, s15 :: v_dual_and_b32 v46, 0x3ff, v0
	s_wait_alu 0xfffe
	s_lshl_b64 s[2:3], s[2:3], 1
	s_wait_alu 0xfffe
	s_add_nc_u64 s[30:31], s[12:13], s[2:3]
	v_mul_lo_u32 v44, s26, v46
	v_cmp_gt_u32_e64 s0, s25, v46
	s_and_saveexec_b32 s1, s0
	s_cbranch_execz .LBB245_6
; %bb.5:
	v_mov_b32_e32 v45, 0
	s_delay_alu instid0(VALU_DEP_1) | instskip(NEXT) | instid1(VALU_DEP_1)
	v_lshlrev_b64_e32 v[1:2], 1, v[44:45]
	v_add_co_u32 v1, vcc_lo, s30, v1
	s_delay_alu instid0(VALU_DEP_1)
	v_add_co_ci_u32_e64 v2, null, s31, v2, vcc_lo
	global_load_u16 v1, v[1:2], off
.LBB245_6:
	s_or_b32 exec_lo, exec_lo, s1
	v_dual_mov_b32 v2, s15 :: v_dual_add_nc_u32 v15, 0x200, v46
	s_delay_alu instid0(VALU_DEP_1)
	v_cmp_gt_u32_e64 s1, s25, v15
	s_and_saveexec_b32 s2, s1
	s_cbranch_execz .LBB245_8
; %bb.7:
	v_mul_lo_u32 v2, s26, v15
	v_mov_b32_e32 v3, 0
	s_delay_alu instid0(VALU_DEP_1) | instskip(NEXT) | instid1(VALU_DEP_1)
	v_lshlrev_b64_e32 v[2:3], 1, v[2:3]
	v_add_co_u32 v2, vcc_lo, s30, v2
	s_wait_alu 0xfffd
	s_delay_alu instid0(VALU_DEP_2)
	v_add_co_ci_u32_e64 v3, null, s31, v3, vcc_lo
	global_load_u16 v2, v[2:3], off
.LBB245_8:
	s_wait_alu 0xfffe
	s_or_b32 exec_lo, exec_lo, s2
	v_or_b32_e32 v16, 0x400, v46
	v_mov_b32_e32 v3, s15
	s_delay_alu instid0(VALU_DEP_2)
	v_cmp_gt_u32_e64 s2, s25, v16
	s_and_saveexec_b32 s3, s2
	s_cbranch_execz .LBB245_10
; %bb.9:
	v_mul_lo_u32 v3, s26, v16
	v_mov_b32_e32 v4, 0
	s_delay_alu instid0(VALU_DEP_1) | instskip(NEXT) | instid1(VALU_DEP_1)
	v_lshlrev_b64_e32 v[3:4], 1, v[3:4]
	v_add_co_u32 v3, vcc_lo, s30, v3
	s_wait_alu 0xfffd
	s_delay_alu instid0(VALU_DEP_2)
	v_add_co_ci_u32_e64 v4, null, s31, v4, vcc_lo
	global_load_u16 v3, v[3:4], off
.LBB245_10:
	s_wait_alu 0xfffe
	s_or_b32 exec_lo, exec_lo, s3
	v_dual_mov_b32 v4, s15 :: v_dual_add_nc_u32 v17, 0x600, v46
	s_delay_alu instid0(VALU_DEP_1)
	v_cmp_gt_u32_e64 s3, s25, v17
	s_and_saveexec_b32 s4, s3
	s_cbranch_execz .LBB245_12
; %bb.11:
	v_mul_lo_u32 v4, s26, v17
	v_mov_b32_e32 v5, 0
	s_delay_alu instid0(VALU_DEP_1) | instskip(NEXT) | instid1(VALU_DEP_1)
	v_lshlrev_b64_e32 v[4:5], 1, v[4:5]
	v_add_co_u32 v4, vcc_lo, s30, v4
	s_wait_alu 0xfffd
	s_delay_alu instid0(VALU_DEP_2)
	v_add_co_ci_u32_e64 v5, null, s31, v5, vcc_lo
	global_load_u16 v4, v[4:5], off
.LBB245_12:
	s_or_b32 exec_lo, exec_lo, s4
	v_or_b32_e32 v18, 0x800, v46
	v_mov_b32_e32 v5, s15
	s_delay_alu instid0(VALU_DEP_2)
	v_cmp_gt_u32_e64 s4, s25, v18
	s_and_saveexec_b32 s5, s4
	s_cbranch_execz .LBB245_14
; %bb.13:
	v_mul_lo_u32 v5, s26, v18
	v_mov_b32_e32 v6, 0
	s_delay_alu instid0(VALU_DEP_1) | instskip(NEXT) | instid1(VALU_DEP_1)
	v_lshlrev_b64_e32 v[5:6], 1, v[5:6]
	v_add_co_u32 v5, vcc_lo, s30, v5
	s_wait_alu 0xfffd
	s_delay_alu instid0(VALU_DEP_2)
	v_add_co_ci_u32_e64 v6, null, s31, v6, vcc_lo
	global_load_u16 v5, v[5:6], off
.LBB245_14:
	s_or_b32 exec_lo, exec_lo, s5
	v_dual_mov_b32 v6, s15 :: v_dual_add_nc_u32 v19, 0xa00, v46
	s_delay_alu instid0(VALU_DEP_1)
	v_cmp_gt_u32_e64 s5, s25, v19
	s_and_saveexec_b32 s6, s5
	s_cbranch_execz .LBB245_16
; %bb.15:
	v_mul_lo_u32 v6, s26, v19
	v_mov_b32_e32 v7, 0
	s_delay_alu instid0(VALU_DEP_1) | instskip(NEXT) | instid1(VALU_DEP_1)
	v_lshlrev_b64_e32 v[6:7], 1, v[6:7]
	v_add_co_u32 v6, vcc_lo, s30, v6
	s_wait_alu 0xfffd
	s_delay_alu instid0(VALU_DEP_2)
	v_add_co_ci_u32_e64 v7, null, s31, v7, vcc_lo
	global_load_u16 v6, v[6:7], off
.LBB245_16:
	s_or_b32 exec_lo, exec_lo, s6
	v_or_b32_e32 v20, 0xc00, v46
	v_mov_b32_e32 v7, s15
	s_delay_alu instid0(VALU_DEP_2)
	v_cmp_gt_u32_e64 s6, s25, v20
	s_and_saveexec_b32 s7, s6
	s_cbranch_execz .LBB245_18
; %bb.17:
	v_mul_lo_u32 v7, s26, v20
	v_mov_b32_e32 v8, 0
	s_delay_alu instid0(VALU_DEP_1) | instskip(NEXT) | instid1(VALU_DEP_1)
	v_lshlrev_b64_e32 v[7:8], 1, v[7:8]
	v_add_co_u32 v7, vcc_lo, s30, v7
	s_wait_alu 0xfffd
	s_delay_alu instid0(VALU_DEP_2)
	v_add_co_ci_u32_e64 v8, null, s31, v8, vcc_lo
	global_load_u16 v7, v[7:8], off
.LBB245_18:
	s_or_b32 exec_lo, exec_lo, s7
	s_clause 0x1
	s_load_b32 s12, s[10:11], 0x6c
	s_load_b64 s[10:11], s[10:11], 0x0
	v_dual_mov_b32 v8, s15 :: v_dual_add_nc_u32 v21, 0xe00, v46
	s_delay_alu instid0(VALU_DEP_1)
	v_cmp_gt_u32_e64 s7, s25, v21
	s_and_saveexec_b32 s13, s7
	s_cbranch_execz .LBB245_20
; %bb.19:
	v_mul_lo_u32 v8, s26, v21
	v_mov_b32_e32 v9, 0
	s_delay_alu instid0(VALU_DEP_1) | instskip(NEXT) | instid1(VALU_DEP_1)
	v_lshlrev_b64_e32 v[8:9], 1, v[8:9]
	v_add_co_u32 v8, vcc_lo, s30, v8
	s_wait_alu 0xfffd
	s_delay_alu instid0(VALU_DEP_2)
	v_add_co_ci_u32_e64 v9, null, s31, v9, vcc_lo
	global_load_u16 v8, v[8:9], off
.LBB245_20:
	s_or_b32 exec_lo, exec_lo, s13
	v_lshrrev_b32_e32 v9, 4, v46
	v_lshrrev_b32_e32 v10, 4, v15
	v_lshrrev_b32_e32 v11, 4, v16
	v_lshrrev_b32_e32 v13, 4, v17
	v_lshrrev_b32_e32 v14, 4, v21
	v_dual_mov_b32 v42, 0 :: v_dual_and_b32 v9, 60, v9
	v_lshlrev_b32_e32 v12, 1, v46
	v_and_b32_e32 v10, 0x7c, v10
	v_and_b32_e32 v11, 0x7c, v11
	s_wait_kmcnt 0x0
	s_mul_i32 s12, s12, s14
	v_mov_b32_e32 v43, v42
	v_add_nc_u32_e32 v51, v9, v12
	v_add_nc_u32_e32 v45, v10, v12
	;; [unrolled: 1-line block ×3, first 2 shown]
	v_and_b32_e32 v9, 0xfc, v13
	v_lshrrev_b32_e32 v10, 4, v18
	v_lshrrev_b32_e32 v11, 4, v19
	;; [unrolled: 1-line block ×3, first 2 shown]
	v_mul_lo_u32 v41, s28, v46
	v_add_nc_u32_e32 v53, v9, v12
	v_and_b32_e32 v9, 0xbc, v10
	v_and_b32_e32 v10, 0xfc, v11
	;; [unrolled: 1-line block ×4, first 2 shown]
	v_lshrrev_b32_e32 v14, 1, v46
	v_add_nc_u32_e32 v54, v9, v12
	v_add_nc_u32_e32 v55, v10, v12
	;; [unrolled: 1-line block ×4, first 2 shown]
	v_and_b32_e32 v9, 0x1fc, v14
	v_mov_b32_e32 v13, 0
	v_dual_mov_b32 v11, v42 :: v_dual_mov_b32 v12, v42
	v_mov_b32_e32 v14, 0
	s_delay_alu instid0(VALU_DEP_4)
	v_lshl_add_u32 v58, v46, 4, v9
	s_wait_loadcnt 0x0
	ds_store_b16 v51, v1
	ds_store_b16 v45, v2 offset:1024
	ds_store_b16 v52, v3 offset:2048
	;; [unrolled: 1-line block ×7, first 2 shown]
	s_wait_dscnt 0x0
	s_barrier_signal -1
	s_barrier_wait -1
	global_inv scope:SCOPE_SE
	ds_load_2addr_b32 v[49:50], v58 offset1:1
	ds_load_2addr_b32 v[47:48], v58 offset0:2 offset1:3
	s_add_co_i32 s12, s12, s9
	s_mov_b32 s13, 0
	v_dual_mov_b32 v9, v42 :: v_dual_mov_b32 v10, v42
	v_dual_mov_b32 v1, v42 :: v_dual_mov_b32 v2, v42
	v_dual_mov_b32 v3, v42 :: v_dual_mov_b32 v4, v42
	v_dual_mov_b32 v5, v42 :: v_dual_mov_b32 v6, v42
	v_dual_mov_b32 v7, v42 :: v_dual_mov_b32 v8, v42
	s_lshl_b64 s[12:13], s[12:13], 3
	s_wait_loadcnt_dscnt 0x0
	s_add_nc_u64 s[24:25], s[10:11], s[12:13]
	s_barrier_signal -1
	s_barrier_wait -1
	global_inv scope:SCOPE_SE
	s_and_saveexec_b32 s9, s0
	s_cbranch_execnz .LBB245_76
; %bb.21:
	s_or_b32 exec_lo, exec_lo, s9
	s_and_saveexec_b32 s9, s1
	s_cbranch_execnz .LBB245_77
.LBB245_22:
	s_or_b32 exec_lo, exec_lo, s9
	s_and_saveexec_b32 s9, s2
	s_cbranch_execnz .LBB245_78
.LBB245_23:
	s_or_b32 exec_lo, exec_lo, s9
	s_and_saveexec_b32 s9, s3
	s_cbranch_execnz .LBB245_79
.LBB245_24:
	s_or_b32 exec_lo, exec_lo, s9
	s_and_saveexec_b32 s9, s4
	s_cbranch_execnz .LBB245_80
.LBB245_25:
	s_or_b32 exec_lo, exec_lo, s9
	s_and_saveexec_b32 s9, s5
	s_cbranch_execnz .LBB245_81
.LBB245_26:
	s_or_b32 exec_lo, exec_lo, s9
	s_and_saveexec_b32 s9, s6
	s_cbranch_execz .LBB245_28
.LBB245_27:
	v_mul_lo_u32 v5, s28, v20
	v_mov_b32_e32 v6, 0
	s_delay_alu instid0(VALU_DEP_1) | instskip(SKIP_1) | instid1(VALU_DEP_1)
	v_lshlrev_b64_e32 v[5:6], 3, v[5:6]
	s_wait_alu 0xfffe
	v_add_co_u32 v5, vcc_lo, s24, v5
	s_wait_alu 0xfffd
	s_delay_alu instid0(VALU_DEP_2)
	v_add_co_ci_u32_e64 v6, null, s25, v6, vcc_lo
	global_load_b64 v[5:6], v[5:6], off
.LBB245_28:
	s_or_b32 exec_lo, exec_lo, s9
	v_lshrrev_b32_e32 v68, 5, v46
	v_lshrrev_b32_e32 v25, 5, v15
	v_lshrrev_b32_e32 v24, 5, v16
	v_lshrrev_b32_e32 v23, 5, v17
	v_lshrrev_b32_e32 v22, 5, v18
	v_lshrrev_b32_e32 v18, 5, v19
	v_lshrrev_b32_e32 v17, 5, v20
	v_lshrrev_b32_e32 v16, 5, v21
	v_lshlrev_b32_e32 v66, 3, v46
	v_lshrrev_b32_e32 v15, 2, v46
	s_xor_b32 s8, s8, -1
	s_and_saveexec_b32 s9, s7
	s_cbranch_execz .LBB245_30
; %bb.29:
	v_mul_lo_u32 v7, s28, v21
	v_mov_b32_e32 v8, 0
	s_delay_alu instid0(VALU_DEP_1) | instskip(SKIP_1) | instid1(VALU_DEP_1)
	v_lshlrev_b64_e32 v[7:8], 3, v[7:8]
	s_wait_alu 0xfffe
	v_add_co_u32 v7, vcc_lo, s24, v7
	s_wait_alu 0xfffd
	s_delay_alu instid0(VALU_DEP_2)
	v_add_co_ci_u32_e64 v8, null, s25, v8, vcc_lo
	global_load_b64 v[7:8], v[7:8], off
.LBB245_30:
	s_or_b32 exec_lo, exec_lo, s9
	v_lshl_add_u32 v59, v68, 3, v66
	v_lshl_add_u32 v60, v25, 3, v66
	;; [unrolled: 1-line block ×5, first 2 shown]
	s_wait_loadcnt 0x0
	ds_store_b64 v59, v[13:14]
	ds_store_b64 v60, v[42:43] offset:4096
	ds_store_b64 v61, v[9:10] offset:8192
	;; [unrolled: 1-line block ×3, first 2 shown]
	v_lshlrev_b32_e32 v9, 3, v66
	v_lshl_add_u32 v42, v22, 3, v66
	v_lshl_add_u32 v43, v18, 3, v66
	;; [unrolled: 1-line block ×3, first 2 shown]
	ds_store_b64 v42, v[1:2] offset:16384
	ds_store_b64 v43, v[3:4] offset:20480
	;; [unrolled: 1-line block ×4, first 2 shown]
	v_lshl_add_u32 v65, v15, 3, v9
	s_wait_dscnt 0x0
	s_barrier_signal -1
	s_barrier_wait -1
	global_inv scope:SCOPE_SE
	ds_load_2addr_b64 v[13:16], v65 offset1:1
	ds_load_2addr_b64 v[9:12], v65 offset0:2 offset1:3
	ds_load_2addr_b64 v[5:8], v65 offset0:4 offset1:5
	;; [unrolled: 1-line block ×3, first 2 shown]
	v_bfe_u32 v71, v0, 10, 10
	v_bfe_u32 v72, v0, 20, 10
	v_mbcnt_lo_u32_b32 v69, -1, 0
	v_and_b32_e32 v70, 0x3e0, v46
	v_lshlrev_b32_e32 v67, 2, v66
	s_and_b32 vcc_lo, exec_lo, s8
	s_wait_loadcnt_dscnt 0x0
	s_barrier_signal -1
	s_barrier_wait -1
	global_inv scope:SCOPE_SE
	s_wait_alu 0xfffe
	s_cbranch_vccz .LBB245_82
; %bb.31:
	v_pk_ashrrev_i16 v0, 15, v49 op_sel_hi:[0,1]
	v_pk_ashrrev_i16 v17, 15, v50 op_sel_hi:[0,1]
	;; [unrolled: 1-line block ×4, first 2 shown]
	v_or_b32_e32 v21, v69, v70
	v_or_b32_e32 v0, 0x80008000, v0
	;; [unrolled: 1-line block ×5, first 2 shown]
	v_and_or_b32 v84, 0x1f00, v66, v69
	s_mov_b32 s12, 0
	v_xor_b32_e32 v17, v0, v49
	v_xor_b32_e32 v18, v20, v50
	;; [unrolled: 1-line block ×4, first 2 shown]
	s_mov_b32 s13, s12
	s_mov_b32 s14, s12
	;; [unrolled: 1-line block ×3, first 2 shown]
	v_lshlrev_b32_e32 v23, 4, v21
	v_lshlrev_b32_e32 v73, 1, v84
	s_getpc_b64 s[8:9]
	s_sext_i32_i16 s9, s9
	s_add_co_u32 s8, s8, _ZN7rocprim17ROCPRIM_400000_NS16block_radix_sortI12hip_bfloat16Lj512ELj8ElLj1ELj1ELj0ELNS0_26block_radix_rank_algorithmE1ELNS0_18block_padding_hintE2ELNS0_4arch9wavefront6targetE0EE19radix_bits_per_passE@rel32@lo+8
	s_add_co_ci_u32 s9, s9, _ZN7rocprim17ROCPRIM_400000_NS16block_radix_sortI12hip_bfloat16Lj512ELj8ElLj1ELj1ELj0ELNS0_26block_radix_rank_algorithmE1ELNS0_18block_padding_hintE2ELNS0_4arch9wavefront6targetE0EE19radix_bits_per_passE@rel32@hi+16
	s_load_b32 s17, s[8:9], 0x0
	ds_store_b128 v23, v[17:20]
	; wave barrier
	ds_load_u16 v74, v73
	v_mad_u32_u24 v0, v21, 48, v23
	ds_load_u16 v75, v73 offset:64
	ds_load_u16 v76, v73 offset:128
	;; [unrolled: 1-line block ×7, first 2 shown]
	s_wait_loadcnt_dscnt 0x0
	s_barrier_signal -1
	s_barrier_wait -1
	global_inv scope:SCOPE_SE
	ds_store_b128 v0, v[13:16]
	ds_store_b128 v0, v[9:12] offset:16
	ds_store_b128 v0, v[5:8] offset:32
	;; [unrolled: 1-line block ×3, first 2 shown]
	v_mad_u32_u24 v29, v84, 6, v73
	; wave barrier
	s_wait_kmcnt 0x0
	s_min_u32 s8, s17, 16
	s_delay_alu instid0(SALU_CYCLE_1) | instskip(SKIP_4) | instid1(VALU_DEP_1)
	s_lshl_b32 s8, -1, s8
	v_cmp_ne_u16_e32 vcc_lo, 0x7fff, v74
	s_not_b32 s9, s8
	s_wait_alu 0xfffd
	v_cndmask_b32_e32 v17, 0xffff8000, v74, vcc_lo
	v_and_b32_e32 v17, 0xffff, v17
	s_delay_alu instid0(VALU_DEP_1)
	v_and_b32_e32 v40, s9, v17
	ds_load_2addr_b64 v[17:20], v29 offset1:32
	ds_load_2addr_b64 v[25:28], v29 offset0:64 offset1:96
	ds_load_2addr_b64 v[21:24], v29 offset0:128 offset1:160
	;; [unrolled: 1-line block ×3, first 2 shown]
	s_wait_loadcnt_dscnt 0x0
	v_and_b32_e32 v0, 1, v40
	v_lshlrev_b32_e32 v33, 30, v40
	v_lshlrev_b32_e32 v36, 28, v40
	s_barrier_signal -1
	s_barrier_wait -1
	v_add_co_u32 v0, s8, v0, -1
	s_wait_alu 0xf1ff
	v_cndmask_b32_e64 v34, 0, 1, s8
	v_not_b32_e32 v35, v33
	v_cmp_gt_i32_e64 s8, 0, v33
	global_inv scope:SCOPE_SE
	v_cmp_ne_u32_e32 vcc_lo, 0, v34
	v_lshlrev_b32_e32 v34, 29, v40
	v_ashrrev_i32_e32 v33, 31, v35
	s_wait_alu 0xfffd
	v_xor_b32_e32 v0, vcc_lo, v0
	s_delay_alu instid0(VALU_DEP_3)
	v_not_b32_e32 v35, v34
	s_wait_alu 0xf1ff
	v_xor_b32_e32 v33, s8, v33
	v_cmp_gt_i32_e32 vcc_lo, 0, v34
	s_load_b32 s8, s[34:35], 0xc
	v_and_b32_e32 v0, exec_lo, v0
	v_ashrrev_i32_e32 v34, 31, v35
	v_not_b32_e32 v35, v36
	s_delay_alu instid0(VALU_DEP_3) | instskip(SKIP_1) | instid1(VALU_DEP_4)
	v_and_b32_e32 v0, v0, v33
	v_lshlrev_b32_e32 v33, 27, v40
	v_xor_b32_e32 v34, vcc_lo, v34
	v_cmp_gt_i32_e32 vcc_lo, 0, v36
	v_ashrrev_i32_e32 v35, 31, v35
	s_delay_alu instid0(VALU_DEP_4) | instskip(NEXT) | instid1(VALU_DEP_4)
	v_not_b32_e32 v36, v33
	v_and_b32_e32 v0, v0, v34
	v_lshlrev_b32_e32 v34, 26, v40
	s_wait_alu 0xfffd
	v_xor_b32_e32 v35, vcc_lo, v35
	v_cmp_gt_i32_e32 vcc_lo, 0, v33
	v_ashrrev_i32_e32 v33, 31, v36
	v_not_b32_e32 v36, v34
	s_delay_alu instid0(VALU_DEP_4)
	v_and_b32_e32 v0, v0, v35
	v_lshlrev_b32_e32 v35, 25, v40
	s_wait_alu 0xfffd
	v_xor_b32_e32 v33, vcc_lo, v33
	v_cmp_gt_i32_e32 vcc_lo, 0, v34
	v_ashrrev_i32_e32 v34, 31, v36
	s_wait_kmcnt 0x0
	s_lshr_b32 s10, s8, 16
	v_not_b32_e32 v36, v35
	v_and_b32_e32 v0, v0, v33
	v_lshlrev_b32_e32 v33, 24, v40
	s_wait_alu 0xfffd
	v_xor_b32_e32 v34, vcc_lo, v34
	v_cmp_gt_i32_e32 vcc_lo, 0, v35
	v_ashrrev_i32_e32 v35, 31, v36
	v_mad_u32_u24 v37, v72, s10, v71
	v_not_b32_e32 v36, v33
	v_and_b32_e32 v0, v0, v34
	s_and_b32 s8, s8, 0xffff
	s_wait_alu 0xfffd
	v_xor_b32_e32 v34, vcc_lo, v35
	v_cmp_gt_i32_e32 vcc_lo, 0, v33
	v_ashrrev_i32_e32 v33, 31, v36
	s_wait_alu 0xfffe
	v_mad_co_u64_u32 v[38:39], null, v37, s8, v[46:47]
	v_dual_mov_b32 v37, s15 :: v_dual_and_b32 v0, v0, v34
	s_wait_alu 0xfffd
	v_xor_b32_e32 v33, vcc_lo, v33
	v_dual_mov_b32 v36, s14 :: v_dual_mov_b32 v35, s13
	v_mov_b32_e32 v34, s12
	ds_store_b128 v67, v[34:37] offset:64
	ds_store_b128 v67, v[34:37] offset:80
	v_and_b32_e32 v33, v0, v33
	v_lshrrev_b32_e32 v0, 5, v38
	v_lshlrev_b32_e32 v34, 6, v40
	s_wait_loadcnt_dscnt 0x0
	s_barrier_signal -1
	v_mbcnt_lo_u32_b32 v86, v33, 0
	v_lshlrev_b32_e32 v0, 2, v0
	v_cmp_ne_u32_e64 s8, 0, v33
	s_barrier_wait -1
	global_inv scope:SCOPE_SE
	v_cmp_eq_u32_e32 vcc_lo, 0, v86
	v_add_nc_u32_e32 v87, v0, v34
	; wave barrier
	s_and_b32 s10, s8, vcc_lo
	s_wait_alu 0xfffe
	s_and_saveexec_b32 s8, s10
; %bb.32:
	v_bcnt_u32_b32 v33, v33, 0
	ds_store_b32 v87, v33 offset:64
; %bb.33:
	s_wait_alu 0xfffe
	s_or_b32 exec_lo, exec_lo, s8
	v_cmp_ne_u16_e32 vcc_lo, 0x7fff, v75
	; wave barrier
	s_wait_alu 0xfffd
	v_cndmask_b32_e32 v33, 0xffff8000, v75, vcc_lo
	s_delay_alu instid0(VALU_DEP_1) | instskip(NEXT) | instid1(VALU_DEP_1)
	v_and_b32_e32 v33, 0xffff, v33
	v_and_b32_e32 v33, s9, v33
	s_delay_alu instid0(VALU_DEP_1)
	v_and_b32_e32 v34, 1, v33
	v_lshlrev_b32_e32 v35, 30, v33
	v_lshlrev_b32_e32 v36, 29, v33
	;; [unrolled: 1-line block ×4, first 2 shown]
	v_add_co_u32 v34, s8, v34, -1
	s_wait_alu 0xf1ff
	v_cndmask_b32_e64 v38, 0, 1, s8
	v_not_b32_e32 v83, v35
	v_cmp_gt_i32_e64 s8, 0, v35
	v_not_b32_e32 v35, v36
	v_lshlrev_b32_e32 v40, 26, v33
	v_cmp_ne_u32_e32 vcc_lo, 0, v38
	v_ashrrev_i32_e32 v83, 31, v83
	v_lshlrev_b32_e32 v82, 25, v33
	v_ashrrev_i32_e32 v35, 31, v35
	v_lshlrev_b32_e32 v38, 24, v33
	s_wait_alu 0xfffd
	v_xor_b32_e32 v34, vcc_lo, v34
	v_cmp_gt_i32_e32 vcc_lo, 0, v36
	v_not_b32_e32 v36, v37
	s_wait_alu 0xf1ff
	v_xor_b32_e32 v83, s8, v83
	v_cmp_gt_i32_e64 s8, 0, v37
	v_and_b32_e32 v34, exec_lo, v34
	v_not_b32_e32 v37, v39
	v_ashrrev_i32_e32 v36, 31, v36
	s_wait_alu 0xfffd
	v_xor_b32_e32 v35, vcc_lo, v35
	v_cmp_gt_i32_e32 vcc_lo, 0, v39
	v_and_b32_e32 v34, v34, v83
	v_not_b32_e32 v39, v40
	v_ashrrev_i32_e32 v37, 31, v37
	s_wait_alu 0xf1ff
	v_xor_b32_e32 v36, s8, v36
	v_cmp_gt_i32_e64 s8, 0, v40
	v_and_b32_e32 v34, v34, v35
	v_not_b32_e32 v35, v82
	v_ashrrev_i32_e32 v39, 31, v39
	s_wait_alu 0xfffd
	v_xor_b32_e32 v37, vcc_lo, v37
	v_cmp_gt_i32_e32 vcc_lo, 0, v82
	v_and_b32_e32 v34, v34, v36
	v_not_b32_e32 v36, v38
	v_ashrrev_i32_e32 v35, 31, v35
	s_wait_alu 0xf1ff
	v_xor_b32_e32 v39, s8, v39
	v_lshlrev_b32_e32 v33, 6, v33
	v_and_b32_e32 v34, v34, v37
	v_cmp_gt_i32_e64 s8, 0, v38
	v_ashrrev_i32_e32 v36, 31, v36
	s_wait_alu 0xfffd
	v_xor_b32_e32 v35, vcc_lo, v35
	v_add_nc_u32_e32 v90, v0, v33
	v_and_b32_e32 v34, v34, v39
	s_wait_alu 0xf1ff
	v_xor_b32_e32 v33, s8, v36
	ds_load_b32 v88, v90 offset:64
	v_and_b32_e32 v34, v34, v35
	; wave barrier
	s_delay_alu instid0(VALU_DEP_1) | instskip(NEXT) | instid1(VALU_DEP_1)
	v_and_b32_e32 v33, v34, v33
	v_mbcnt_lo_u32_b32 v89, v33, 0
	v_cmp_ne_u32_e64 s8, 0, v33
	s_delay_alu instid0(VALU_DEP_2)
	v_cmp_eq_u32_e32 vcc_lo, 0, v89
	s_and_b32 s10, s8, vcc_lo
	s_wait_alu 0xfffe
	s_and_saveexec_b32 s8, s10
	s_cbranch_execz .LBB245_35
; %bb.34:
	s_wait_dscnt 0x0
	v_bcnt_u32_b32 v33, v33, v88
	ds_store_b32 v90, v33 offset:64
.LBB245_35:
	s_wait_alu 0xfffe
	s_or_b32 exec_lo, exec_lo, s8
	v_cmp_ne_u16_e32 vcc_lo, 0x7fff, v76
	; wave barrier
	s_wait_alu 0xfffd
	v_cndmask_b32_e32 v33, 0xffff8000, v76, vcc_lo
	s_delay_alu instid0(VALU_DEP_1) | instskip(NEXT) | instid1(VALU_DEP_1)
	v_and_b32_e32 v33, 0xffff, v33
	v_and_b32_e32 v33, s9, v33
	s_delay_alu instid0(VALU_DEP_1)
	v_and_b32_e32 v34, 1, v33
	v_lshlrev_b32_e32 v35, 30, v33
	v_lshlrev_b32_e32 v36, 29, v33
	;; [unrolled: 1-line block ×4, first 2 shown]
	v_add_co_u32 v34, s8, v34, -1
	s_wait_alu 0xf1ff
	v_cndmask_b32_e64 v38, 0, 1, s8
	v_not_b32_e32 v83, v35
	v_cmp_gt_i32_e64 s8, 0, v35
	v_not_b32_e32 v35, v36
	v_lshlrev_b32_e32 v40, 26, v33
	v_cmp_ne_u32_e32 vcc_lo, 0, v38
	v_ashrrev_i32_e32 v83, 31, v83
	v_lshlrev_b32_e32 v82, 25, v33
	v_ashrrev_i32_e32 v35, 31, v35
	v_lshlrev_b32_e32 v38, 24, v33
	s_wait_alu 0xfffd
	v_xor_b32_e32 v34, vcc_lo, v34
	v_cmp_gt_i32_e32 vcc_lo, 0, v36
	v_not_b32_e32 v36, v37
	s_wait_alu 0xf1ff
	v_xor_b32_e32 v83, s8, v83
	v_cmp_gt_i32_e64 s8, 0, v37
	v_and_b32_e32 v34, exec_lo, v34
	v_not_b32_e32 v37, v39
	v_ashrrev_i32_e32 v36, 31, v36
	s_wait_alu 0xfffd
	v_xor_b32_e32 v35, vcc_lo, v35
	v_cmp_gt_i32_e32 vcc_lo, 0, v39
	v_and_b32_e32 v34, v34, v83
	v_not_b32_e32 v39, v40
	v_ashrrev_i32_e32 v37, 31, v37
	s_wait_alu 0xf1ff
	v_xor_b32_e32 v36, s8, v36
	v_cmp_gt_i32_e64 s8, 0, v40
	v_and_b32_e32 v34, v34, v35
	v_not_b32_e32 v35, v82
	v_ashrrev_i32_e32 v39, 31, v39
	s_wait_alu 0xfffd
	v_xor_b32_e32 v37, vcc_lo, v37
	v_cmp_gt_i32_e32 vcc_lo, 0, v82
	v_and_b32_e32 v34, v34, v36
	v_not_b32_e32 v36, v38
	v_ashrrev_i32_e32 v35, 31, v35
	s_wait_alu 0xf1ff
	v_xor_b32_e32 v39, s8, v39
	v_lshlrev_b32_e32 v33, 6, v33
	v_and_b32_e32 v34, v34, v37
	v_cmp_gt_i32_e64 s8, 0, v38
	v_ashrrev_i32_e32 v36, 31, v36
	s_wait_alu 0xfffd
	v_xor_b32_e32 v35, vcc_lo, v35
	v_add_nc_u32_e32 v93, v0, v33
	v_and_b32_e32 v34, v34, v39
	s_wait_alu 0xf1ff
	v_xor_b32_e32 v33, s8, v36
	ds_load_b32 v91, v93 offset:64
	v_and_b32_e32 v34, v34, v35
	; wave barrier
	s_delay_alu instid0(VALU_DEP_1) | instskip(NEXT) | instid1(VALU_DEP_1)
	v_and_b32_e32 v33, v34, v33
	v_mbcnt_lo_u32_b32 v92, v33, 0
	v_cmp_ne_u32_e64 s8, 0, v33
	s_delay_alu instid0(VALU_DEP_2)
	v_cmp_eq_u32_e32 vcc_lo, 0, v92
	s_and_b32 s10, s8, vcc_lo
	s_wait_alu 0xfffe
	s_and_saveexec_b32 s8, s10
	s_cbranch_execz .LBB245_37
; %bb.36:
	s_wait_dscnt 0x0
	v_bcnt_u32_b32 v33, v33, v91
	ds_store_b32 v93, v33 offset:64
.LBB245_37:
	s_wait_alu 0xfffe
	s_or_b32 exec_lo, exec_lo, s8
	v_cmp_ne_u16_e32 vcc_lo, 0x7fff, v77
	; wave barrier
	s_wait_alu 0xfffd
	v_cndmask_b32_e32 v33, 0xffff8000, v77, vcc_lo
	s_delay_alu instid0(VALU_DEP_1) | instskip(NEXT) | instid1(VALU_DEP_1)
	v_and_b32_e32 v33, 0xffff, v33
	v_and_b32_e32 v33, s9, v33
	s_delay_alu instid0(VALU_DEP_1)
	v_and_b32_e32 v34, 1, v33
	v_lshlrev_b32_e32 v35, 30, v33
	v_lshlrev_b32_e32 v36, 29, v33
	;; [unrolled: 1-line block ×4, first 2 shown]
	v_add_co_u32 v34, s8, v34, -1
	s_wait_alu 0xf1ff
	v_cndmask_b32_e64 v38, 0, 1, s8
	v_not_b32_e32 v83, v35
	v_cmp_gt_i32_e64 s8, 0, v35
	v_not_b32_e32 v35, v36
	v_lshlrev_b32_e32 v40, 26, v33
	v_cmp_ne_u32_e32 vcc_lo, 0, v38
	v_ashrrev_i32_e32 v83, 31, v83
	v_lshlrev_b32_e32 v82, 25, v33
	v_ashrrev_i32_e32 v35, 31, v35
	v_lshlrev_b32_e32 v38, 24, v33
	s_wait_alu 0xfffd
	v_xor_b32_e32 v34, vcc_lo, v34
	v_cmp_gt_i32_e32 vcc_lo, 0, v36
	v_not_b32_e32 v36, v37
	s_wait_alu 0xf1ff
	v_xor_b32_e32 v83, s8, v83
	v_cmp_gt_i32_e64 s8, 0, v37
	v_and_b32_e32 v34, exec_lo, v34
	v_not_b32_e32 v37, v39
	v_ashrrev_i32_e32 v36, 31, v36
	s_wait_alu 0xfffd
	v_xor_b32_e32 v35, vcc_lo, v35
	v_cmp_gt_i32_e32 vcc_lo, 0, v39
	v_and_b32_e32 v34, v34, v83
	v_not_b32_e32 v39, v40
	v_ashrrev_i32_e32 v37, 31, v37
	s_wait_alu 0xf1ff
	v_xor_b32_e32 v36, s8, v36
	v_cmp_gt_i32_e64 s8, 0, v40
	v_and_b32_e32 v34, v34, v35
	v_not_b32_e32 v35, v82
	v_ashrrev_i32_e32 v39, 31, v39
	s_wait_alu 0xfffd
	v_xor_b32_e32 v37, vcc_lo, v37
	v_cmp_gt_i32_e32 vcc_lo, 0, v82
	v_and_b32_e32 v34, v34, v36
	v_not_b32_e32 v36, v38
	v_ashrrev_i32_e32 v35, 31, v35
	s_wait_alu 0xf1ff
	v_xor_b32_e32 v39, s8, v39
	v_lshlrev_b32_e32 v33, 6, v33
	v_and_b32_e32 v34, v34, v37
	v_cmp_gt_i32_e64 s8, 0, v38
	v_ashrrev_i32_e32 v36, 31, v36
	s_wait_alu 0xfffd
	v_xor_b32_e32 v35, vcc_lo, v35
	v_add_nc_u32_e32 v96, v0, v33
	v_and_b32_e32 v34, v34, v39
	s_wait_alu 0xf1ff
	v_xor_b32_e32 v33, s8, v36
	ds_load_b32 v94, v96 offset:64
	v_and_b32_e32 v34, v34, v35
	; wave barrier
	s_delay_alu instid0(VALU_DEP_1) | instskip(NEXT) | instid1(VALU_DEP_1)
	v_and_b32_e32 v33, v34, v33
	v_mbcnt_lo_u32_b32 v95, v33, 0
	v_cmp_ne_u32_e64 s8, 0, v33
	s_delay_alu instid0(VALU_DEP_2)
	v_cmp_eq_u32_e32 vcc_lo, 0, v95
	s_and_b32 s10, s8, vcc_lo
	s_wait_alu 0xfffe
	s_and_saveexec_b32 s8, s10
	s_cbranch_execz .LBB245_39
; %bb.38:
	s_wait_dscnt 0x0
	v_bcnt_u32_b32 v33, v33, v94
	ds_store_b32 v96, v33 offset:64
.LBB245_39:
	s_wait_alu 0xfffe
	s_or_b32 exec_lo, exec_lo, s8
	v_cmp_ne_u16_e32 vcc_lo, 0x7fff, v78
	; wave barrier
	s_wait_alu 0xfffd
	v_cndmask_b32_e32 v33, 0xffff8000, v78, vcc_lo
	s_delay_alu instid0(VALU_DEP_1) | instskip(NEXT) | instid1(VALU_DEP_1)
	v_and_b32_e32 v33, 0xffff, v33
	v_and_b32_e32 v33, s9, v33
	s_delay_alu instid0(VALU_DEP_1)
	v_and_b32_e32 v34, 1, v33
	v_lshlrev_b32_e32 v35, 30, v33
	v_lshlrev_b32_e32 v36, 29, v33
	;; [unrolled: 1-line block ×4, first 2 shown]
	v_add_co_u32 v34, s8, v34, -1
	s_wait_alu 0xf1ff
	v_cndmask_b32_e64 v38, 0, 1, s8
	v_not_b32_e32 v83, v35
	v_cmp_gt_i32_e64 s8, 0, v35
	v_not_b32_e32 v35, v36
	v_lshlrev_b32_e32 v40, 26, v33
	v_cmp_ne_u32_e32 vcc_lo, 0, v38
	v_ashrrev_i32_e32 v83, 31, v83
	v_lshlrev_b32_e32 v82, 25, v33
	v_ashrrev_i32_e32 v35, 31, v35
	v_lshlrev_b32_e32 v38, 24, v33
	s_wait_alu 0xfffd
	v_xor_b32_e32 v34, vcc_lo, v34
	v_cmp_gt_i32_e32 vcc_lo, 0, v36
	v_not_b32_e32 v36, v37
	s_wait_alu 0xf1ff
	v_xor_b32_e32 v83, s8, v83
	v_cmp_gt_i32_e64 s8, 0, v37
	v_and_b32_e32 v34, exec_lo, v34
	v_not_b32_e32 v37, v39
	v_ashrrev_i32_e32 v36, 31, v36
	s_wait_alu 0xfffd
	v_xor_b32_e32 v35, vcc_lo, v35
	v_cmp_gt_i32_e32 vcc_lo, 0, v39
	v_and_b32_e32 v34, v34, v83
	v_not_b32_e32 v39, v40
	v_ashrrev_i32_e32 v37, 31, v37
	s_wait_alu 0xf1ff
	v_xor_b32_e32 v36, s8, v36
	v_cmp_gt_i32_e64 s8, 0, v40
	v_and_b32_e32 v34, v34, v35
	v_not_b32_e32 v35, v82
	v_ashrrev_i32_e32 v39, 31, v39
	s_wait_alu 0xfffd
	v_xor_b32_e32 v37, vcc_lo, v37
	v_cmp_gt_i32_e32 vcc_lo, 0, v82
	v_and_b32_e32 v34, v34, v36
	v_not_b32_e32 v36, v38
	v_ashrrev_i32_e32 v35, 31, v35
	s_wait_alu 0xf1ff
	v_xor_b32_e32 v39, s8, v39
	v_lshlrev_b32_e32 v33, 6, v33
	v_and_b32_e32 v34, v34, v37
	v_cmp_gt_i32_e64 s8, 0, v38
	v_ashrrev_i32_e32 v36, 31, v36
	s_wait_alu 0xfffd
	v_xor_b32_e32 v35, vcc_lo, v35
	v_add_nc_u32_e32 v99, v0, v33
	v_and_b32_e32 v34, v34, v39
	s_wait_alu 0xf1ff
	v_xor_b32_e32 v33, s8, v36
	ds_load_b32 v97, v99 offset:64
	v_and_b32_e32 v34, v34, v35
	; wave barrier
	s_delay_alu instid0(VALU_DEP_1) | instskip(NEXT) | instid1(VALU_DEP_1)
	v_and_b32_e32 v33, v34, v33
	v_mbcnt_lo_u32_b32 v98, v33, 0
	v_cmp_ne_u32_e64 s8, 0, v33
	s_delay_alu instid0(VALU_DEP_2)
	v_cmp_eq_u32_e32 vcc_lo, 0, v98
	s_and_b32 s10, s8, vcc_lo
	s_wait_alu 0xfffe
	s_and_saveexec_b32 s8, s10
	s_cbranch_execz .LBB245_41
; %bb.40:
	s_wait_dscnt 0x0
	v_bcnt_u32_b32 v33, v33, v97
	ds_store_b32 v99, v33 offset:64
.LBB245_41:
	s_wait_alu 0xfffe
	s_or_b32 exec_lo, exec_lo, s8
	v_cmp_ne_u16_e32 vcc_lo, 0x7fff, v79
	; wave barrier
	s_wait_alu 0xfffd
	v_cndmask_b32_e32 v33, 0xffff8000, v79, vcc_lo
	s_delay_alu instid0(VALU_DEP_1) | instskip(NEXT) | instid1(VALU_DEP_1)
	v_and_b32_e32 v33, 0xffff, v33
	v_and_b32_e32 v33, s9, v33
	s_delay_alu instid0(VALU_DEP_1)
	v_and_b32_e32 v34, 1, v33
	v_lshlrev_b32_e32 v35, 30, v33
	v_lshlrev_b32_e32 v36, 29, v33
	;; [unrolled: 1-line block ×4, first 2 shown]
	v_add_co_u32 v34, s8, v34, -1
	s_wait_alu 0xf1ff
	v_cndmask_b32_e64 v38, 0, 1, s8
	v_not_b32_e32 v83, v35
	v_cmp_gt_i32_e64 s8, 0, v35
	v_not_b32_e32 v35, v36
	v_lshlrev_b32_e32 v40, 26, v33
	v_cmp_ne_u32_e32 vcc_lo, 0, v38
	v_ashrrev_i32_e32 v83, 31, v83
	v_lshlrev_b32_e32 v82, 25, v33
	v_ashrrev_i32_e32 v35, 31, v35
	v_lshlrev_b32_e32 v38, 24, v33
	s_wait_alu 0xfffd
	v_xor_b32_e32 v34, vcc_lo, v34
	v_cmp_gt_i32_e32 vcc_lo, 0, v36
	v_not_b32_e32 v36, v37
	s_wait_alu 0xf1ff
	v_xor_b32_e32 v83, s8, v83
	v_cmp_gt_i32_e64 s8, 0, v37
	v_and_b32_e32 v34, exec_lo, v34
	v_not_b32_e32 v37, v39
	v_ashrrev_i32_e32 v36, 31, v36
	s_wait_alu 0xfffd
	v_xor_b32_e32 v35, vcc_lo, v35
	v_cmp_gt_i32_e32 vcc_lo, 0, v39
	v_and_b32_e32 v34, v34, v83
	v_not_b32_e32 v39, v40
	v_ashrrev_i32_e32 v37, 31, v37
	s_wait_alu 0xf1ff
	v_xor_b32_e32 v36, s8, v36
	v_cmp_gt_i32_e64 s8, 0, v40
	v_and_b32_e32 v34, v34, v35
	v_not_b32_e32 v35, v82
	v_ashrrev_i32_e32 v39, 31, v39
	s_wait_alu 0xfffd
	v_xor_b32_e32 v37, vcc_lo, v37
	v_cmp_gt_i32_e32 vcc_lo, 0, v82
	v_and_b32_e32 v34, v34, v36
	v_not_b32_e32 v36, v38
	v_ashrrev_i32_e32 v35, 31, v35
	s_wait_alu 0xf1ff
	v_xor_b32_e32 v39, s8, v39
	v_lshlrev_b32_e32 v33, 6, v33
	v_and_b32_e32 v34, v34, v37
	v_cmp_gt_i32_e64 s8, 0, v38
	v_ashrrev_i32_e32 v36, 31, v36
	s_wait_alu 0xfffd
	v_xor_b32_e32 v35, vcc_lo, v35
	v_add_nc_u32_e32 v102, v0, v33
	v_and_b32_e32 v34, v34, v39
	s_wait_alu 0xf1ff
	v_xor_b32_e32 v33, s8, v36
	ds_load_b32 v100, v102 offset:64
	v_and_b32_e32 v34, v34, v35
	; wave barrier
	s_delay_alu instid0(VALU_DEP_1) | instskip(NEXT) | instid1(VALU_DEP_1)
	v_and_b32_e32 v33, v34, v33
	v_mbcnt_lo_u32_b32 v101, v33, 0
	v_cmp_ne_u32_e64 s8, 0, v33
	s_delay_alu instid0(VALU_DEP_2)
	v_cmp_eq_u32_e32 vcc_lo, 0, v101
	s_and_b32 s10, s8, vcc_lo
	s_wait_alu 0xfffe
	s_and_saveexec_b32 s8, s10
	s_cbranch_execz .LBB245_43
; %bb.42:
	s_wait_dscnt 0x0
	v_bcnt_u32_b32 v33, v33, v100
	ds_store_b32 v102, v33 offset:64
.LBB245_43:
	s_wait_alu 0xfffe
	s_or_b32 exec_lo, exec_lo, s8
	v_cmp_ne_u16_e32 vcc_lo, 0x7fff, v80
	; wave barrier
	s_wait_alu 0xfffd
	v_cndmask_b32_e32 v33, 0xffff8000, v80, vcc_lo
	s_delay_alu instid0(VALU_DEP_1) | instskip(NEXT) | instid1(VALU_DEP_1)
	v_and_b32_e32 v33, 0xffff, v33
	v_and_b32_e32 v33, s9, v33
	s_delay_alu instid0(VALU_DEP_1)
	v_and_b32_e32 v34, 1, v33
	v_lshlrev_b32_e32 v35, 30, v33
	v_lshlrev_b32_e32 v36, 29, v33
	;; [unrolled: 1-line block ×4, first 2 shown]
	v_add_co_u32 v34, s8, v34, -1
	s_wait_alu 0xf1ff
	v_cndmask_b32_e64 v38, 0, 1, s8
	v_not_b32_e32 v83, v35
	v_cmp_gt_i32_e64 s8, 0, v35
	v_not_b32_e32 v35, v36
	v_lshlrev_b32_e32 v40, 26, v33
	v_cmp_ne_u32_e32 vcc_lo, 0, v38
	v_ashrrev_i32_e32 v83, 31, v83
	v_lshlrev_b32_e32 v82, 25, v33
	v_ashrrev_i32_e32 v35, 31, v35
	v_lshlrev_b32_e32 v38, 24, v33
	s_wait_alu 0xfffd
	v_xor_b32_e32 v34, vcc_lo, v34
	v_cmp_gt_i32_e32 vcc_lo, 0, v36
	v_not_b32_e32 v36, v37
	s_wait_alu 0xf1ff
	v_xor_b32_e32 v83, s8, v83
	v_cmp_gt_i32_e64 s8, 0, v37
	v_and_b32_e32 v34, exec_lo, v34
	v_not_b32_e32 v37, v39
	v_ashrrev_i32_e32 v36, 31, v36
	s_wait_alu 0xfffd
	v_xor_b32_e32 v35, vcc_lo, v35
	v_cmp_gt_i32_e32 vcc_lo, 0, v39
	v_and_b32_e32 v34, v34, v83
	v_not_b32_e32 v39, v40
	v_ashrrev_i32_e32 v37, 31, v37
	s_wait_alu 0xf1ff
	v_xor_b32_e32 v36, s8, v36
	v_cmp_gt_i32_e64 s8, 0, v40
	v_and_b32_e32 v34, v34, v35
	v_not_b32_e32 v35, v82
	v_ashrrev_i32_e32 v39, 31, v39
	s_wait_alu 0xfffd
	v_xor_b32_e32 v37, vcc_lo, v37
	v_cmp_gt_i32_e32 vcc_lo, 0, v82
	v_and_b32_e32 v34, v34, v36
	v_not_b32_e32 v36, v38
	v_ashrrev_i32_e32 v35, 31, v35
	s_wait_alu 0xf1ff
	v_xor_b32_e32 v39, s8, v39
	v_lshlrev_b32_e32 v33, 6, v33
	v_and_b32_e32 v34, v34, v37
	v_cmp_gt_i32_e64 s8, 0, v38
	v_ashrrev_i32_e32 v36, 31, v36
	s_wait_alu 0xfffd
	v_xor_b32_e32 v35, vcc_lo, v35
	v_add_nc_u32_e32 v105, v0, v33
	v_and_b32_e32 v34, v34, v39
	s_wait_alu 0xf1ff
	v_xor_b32_e32 v33, s8, v36
	ds_load_b32 v103, v105 offset:64
	v_and_b32_e32 v34, v34, v35
	; wave barrier
	s_delay_alu instid0(VALU_DEP_1) | instskip(NEXT) | instid1(VALU_DEP_1)
	v_and_b32_e32 v33, v34, v33
	v_mbcnt_lo_u32_b32 v104, v33, 0
	v_cmp_ne_u32_e64 s8, 0, v33
	s_delay_alu instid0(VALU_DEP_2)
	v_cmp_eq_u32_e32 vcc_lo, 0, v104
	s_and_b32 s10, s8, vcc_lo
	s_wait_alu 0xfffe
	s_and_saveexec_b32 s8, s10
	s_cbranch_execz .LBB245_45
; %bb.44:
	s_wait_dscnt 0x0
	v_bcnt_u32_b32 v33, v33, v103
	ds_store_b32 v105, v33 offset:64
.LBB245_45:
	s_wait_alu 0xfffe
	s_or_b32 exec_lo, exec_lo, s8
	v_cmp_ne_u16_e32 vcc_lo, 0x7fff, v81
	; wave barrier
	s_wait_alu 0xfffd
	v_cndmask_b32_e32 v33, 0xffff8000, v81, vcc_lo
	s_delay_alu instid0(VALU_DEP_1) | instskip(NEXT) | instid1(VALU_DEP_1)
	v_and_b32_e32 v33, 0xffff, v33
	v_and_b32_e32 v33, s9, v33
	s_delay_alu instid0(VALU_DEP_1)
	v_and_b32_e32 v34, 1, v33
	v_lshlrev_b32_e32 v35, 30, v33
	v_lshlrev_b32_e32 v36, 29, v33
	;; [unrolled: 1-line block ×4, first 2 shown]
	v_add_co_u32 v34, s8, v34, -1
	s_wait_alu 0xf1ff
	v_cndmask_b32_e64 v38, 0, 1, s8
	v_not_b32_e32 v83, v35
	v_cmp_gt_i32_e64 s8, 0, v35
	v_not_b32_e32 v35, v36
	v_lshlrev_b32_e32 v40, 26, v33
	v_cmp_ne_u32_e32 vcc_lo, 0, v38
	v_ashrrev_i32_e32 v83, 31, v83
	v_lshlrev_b32_e32 v82, 25, v33
	v_ashrrev_i32_e32 v35, 31, v35
	v_lshlrev_b32_e32 v38, 24, v33
	s_wait_alu 0xfffd
	v_xor_b32_e32 v34, vcc_lo, v34
	v_cmp_gt_i32_e32 vcc_lo, 0, v36
	v_not_b32_e32 v36, v37
	s_wait_alu 0xf1ff
	v_xor_b32_e32 v83, s8, v83
	v_cmp_gt_i32_e64 s8, 0, v37
	v_and_b32_e32 v34, exec_lo, v34
	v_not_b32_e32 v37, v39
	v_ashrrev_i32_e32 v36, 31, v36
	s_wait_alu 0xfffd
	v_xor_b32_e32 v35, vcc_lo, v35
	v_cmp_gt_i32_e32 vcc_lo, 0, v39
	v_and_b32_e32 v34, v34, v83
	v_not_b32_e32 v39, v40
	v_ashrrev_i32_e32 v37, 31, v37
	s_wait_alu 0xf1ff
	v_xor_b32_e32 v36, s8, v36
	v_cmp_gt_i32_e64 s8, 0, v40
	v_and_b32_e32 v34, v34, v35
	v_not_b32_e32 v35, v82
	v_ashrrev_i32_e32 v39, 31, v39
	s_wait_alu 0xfffd
	v_xor_b32_e32 v37, vcc_lo, v37
	v_cmp_gt_i32_e32 vcc_lo, 0, v82
	v_and_b32_e32 v34, v34, v36
	v_not_b32_e32 v36, v38
	v_ashrrev_i32_e32 v35, 31, v35
	s_wait_alu 0xf1ff
	v_xor_b32_e32 v39, s8, v39
	v_lshlrev_b32_e32 v33, 6, v33
	v_and_b32_e32 v34, v34, v37
	v_cmp_gt_i32_e64 s8, 0, v38
	v_ashrrev_i32_e32 v36, 31, v36
	s_wait_alu 0xfffd
	v_xor_b32_e32 v35, vcc_lo, v35
	v_add_nc_u32_e32 v108, v0, v33
	v_and_b32_e32 v34, v34, v39
	v_min_u32_e32 v82, 0x1e0, v70
	s_wait_alu 0xf1ff
	v_xor_b32_e32 v33, s8, v36
	ds_load_b32 v106, v108 offset:64
	v_and_b32_e32 v34, v34, v35
	; wave barrier
	s_delay_alu instid0(VALU_DEP_1) | instskip(NEXT) | instid1(VALU_DEP_1)
	v_and_b32_e32 v33, v34, v33
	v_mbcnt_lo_u32_b32 v107, v33, 0
	v_cmp_ne_u32_e64 s8, 0, v33
	s_delay_alu instid0(VALU_DEP_2)
	v_cmp_eq_u32_e32 vcc_lo, 0, v107
	s_and_b32 s9, s8, vcc_lo
	s_wait_alu 0xfffe
	s_and_saveexec_b32 s8, s9
	s_cbranch_execz .LBB245_47
; %bb.46:
	s_wait_dscnt 0x0
	v_bcnt_u32_b32 v33, v33, v106
	ds_store_b32 v108, v33 offset:64
.LBB245_47:
	s_wait_alu 0xfffe
	s_or_b32 exec_lo, exec_lo, s8
	; wave barrier
	s_wait_loadcnt_dscnt 0x0
	s_barrier_signal -1
	s_barrier_wait -1
	global_inv scope:SCOPE_SE
	ds_load_b128 v[37:40], v67 offset:64
	ds_load_b128 v[33:36], v67 offset:80
	v_and_b32_e32 v109, 16, v69
	v_or_b32_e32 v82, 31, v82
	s_delay_alu instid0(VALU_DEP_2) | instskip(NEXT) | instid1(VALU_DEP_2)
	v_cmp_eq_u32_e64 s15, 0, v109
	v_cmp_eq_u32_e64 s13, v46, v82
	s_wait_dscnt 0x1
	v_add_nc_u32_e32 v83, v38, v37
	s_delay_alu instid0(VALU_DEP_1) | instskip(SKIP_1) | instid1(VALU_DEP_1)
	v_add3_u32 v83, v83, v39, v40
	s_wait_dscnt 0x0
	v_add3_u32 v83, v83, v33, v34
	s_delay_alu instid0(VALU_DEP_1) | instskip(SKIP_1) | instid1(VALU_DEP_2)
	v_add3_u32 v36, v83, v35, v36
	v_and_b32_e32 v83, 15, v69
	v_mov_b32_dpp v85, v36 row_shr:1 row_mask:0xf bank_mask:0xf
	s_delay_alu instid0(VALU_DEP_2)
	v_cmp_eq_u32_e32 vcc_lo, 0, v83
	v_cmp_lt_u32_e64 s8, 1, v83
	v_cmp_lt_u32_e64 s9, 3, v83
	;; [unrolled: 1-line block ×3, first 2 shown]
	s_wait_alu 0xfffd
	v_cndmask_b32_e64 v85, v85, 0, vcc_lo
	s_delay_alu instid0(VALU_DEP_1) | instskip(NEXT) | instid1(VALU_DEP_1)
	v_add_nc_u32_e32 v36, v85, v36
	v_mov_b32_dpp v85, v36 row_shr:2 row_mask:0xf bank_mask:0xf
	s_wait_alu 0xf1ff
	s_delay_alu instid0(VALU_DEP_1) | instskip(NEXT) | instid1(VALU_DEP_1)
	v_cndmask_b32_e64 v85, 0, v85, s8
	v_add_nc_u32_e32 v36, v36, v85
	s_delay_alu instid0(VALU_DEP_1) | instskip(NEXT) | instid1(VALU_DEP_1)
	v_mov_b32_dpp v85, v36 row_shr:4 row_mask:0xf bank_mask:0xf
	v_cndmask_b32_e64 v85, 0, v85, s9
	s_delay_alu instid0(VALU_DEP_1) | instskip(NEXT) | instid1(VALU_DEP_1)
	v_add_nc_u32_e32 v36, v36, v85
	v_mov_b32_dpp v85, v36 row_shr:8 row_mask:0xf bank_mask:0xf
	s_delay_alu instid0(VALU_DEP_1) | instskip(NEXT) | instid1(VALU_DEP_1)
	v_cndmask_b32_e64 v83, 0, v85, s10
	v_add_nc_u32_e32 v85, v36, v83
	v_bfe_i32 v83, v69, 4, 1
	ds_swizzle_b32 v36, v85 offset:swizzle(BROADCAST,32,15)
	s_wait_dscnt 0x0
	v_and_b32_e32 v110, v83, v36
	v_mul_i32_i24_e32 v36, 0xffffffe4, v46
	v_lshlrev_b32_e32 v83, 2, v68
	s_delay_alu instid0(VALU_DEP_3)
	v_add_nc_u32_e32 v85, v85, v110
	s_and_saveexec_b32 s11, s13
; %bb.48:
	ds_store_b32 v83, v85
; %bb.49:
	s_wait_alu 0xfffe
	s_or_b32 exec_lo, exec_lo, s11
	v_cmp_gt_u32_e64 s12, 16, v46
	v_add_nc_u32_e32 v82, v67, v36
	s_wait_loadcnt_dscnt 0x0
	s_barrier_signal -1
	s_barrier_wait -1
	global_inv scope:SCOPE_SE
	s_and_saveexec_b32 s11, s12
	s_cbranch_execz .LBB245_51
; %bb.50:
	ds_load_b32 v36, v82
	s_wait_dscnt 0x0
	v_mov_b32_dpp v109, v36 row_shr:1 row_mask:0xf bank_mask:0xf
	s_delay_alu instid0(VALU_DEP_1) | instskip(NEXT) | instid1(VALU_DEP_1)
	v_cndmask_b32_e64 v109, v109, 0, vcc_lo
	v_add_nc_u32_e32 v36, v109, v36
	s_delay_alu instid0(VALU_DEP_1) | instskip(NEXT) | instid1(VALU_DEP_1)
	v_mov_b32_dpp v109, v36 row_shr:2 row_mask:0xf bank_mask:0xf
	v_cndmask_b32_e64 v109, 0, v109, s8
	s_delay_alu instid0(VALU_DEP_1) | instskip(NEXT) | instid1(VALU_DEP_1)
	v_add_nc_u32_e32 v36, v36, v109
	v_mov_b32_dpp v109, v36 row_shr:4 row_mask:0xf bank_mask:0xf
	s_delay_alu instid0(VALU_DEP_1) | instskip(NEXT) | instid1(VALU_DEP_1)
	v_cndmask_b32_e64 v109, 0, v109, s9
	v_add_nc_u32_e32 v36, v36, v109
	s_delay_alu instid0(VALU_DEP_1) | instskip(NEXT) | instid1(VALU_DEP_1)
	v_mov_b32_dpp v109, v36 row_shr:8 row_mask:0xf bank_mask:0xf
	v_cndmask_b32_e64 v109, 0, v109, s10
	s_delay_alu instid0(VALU_DEP_1)
	v_add_nc_u32_e32 v36, v36, v109
	ds_store_b32 v82, v36
.LBB245_51:
	s_wait_alu 0xfffe
	s_or_b32 exec_lo, exec_lo, s11
	v_mul_u32_u24_e32 v36, 6, v84
	v_sub_co_u32 v109, s11, v69, 1
	v_cmp_lt_u32_e64 s14, 31, v46
	v_add_nc_u32_e32 v84, -4, v83
	v_mov_b32_e32 v110, 0
	s_wait_loadcnt_dscnt 0x0
	s_barrier_signal -1
	s_barrier_wait -1
	global_inv scope:SCOPE_SE
	s_and_saveexec_b32 s16, s14
; %bb.52:
	ds_load_b32 v110, v84
; %bb.53:
	s_or_b32 exec_lo, exec_lo, s16
	v_cmp_gt_i32_e64 s16, 0, v109
	s_mov_b32 s20, 0
	s_min_u32 s17, s17, 8
	s_mov_b32 s21, s20
	s_mov_b32 s22, s20
	v_cndmask_b32_e64 v109, v109, v69, s16
	s_mov_b32 s23, s20
	s_wait_dscnt 0x0
	v_add_nc_u32_e32 v111, v110, v85
	v_cmp_eq_u32_e64 s16, 0, v46
	s_lshl_b32 s17, -1, s17
	v_lshlrev_b32_e32 v85, 2, v109
	s_wait_alu 0xfffe
	s_not_b32 s19, s17
	ds_bpermute_b32 v109, v85, v111
	s_wait_dscnt 0x0
	v_cndmask_b32_e64 v109, v109, v110, s11
	s_delay_alu instid0(VALU_DEP_1) | instskip(NEXT) | instid1(VALU_DEP_1)
	v_cndmask_b32_e64 v109, v109, 0, s16
	v_add_nc_u32_e32 v110, v109, v37
	s_delay_alu instid0(VALU_DEP_1) | instskip(NEXT) | instid1(VALU_DEP_1)
	v_add_nc_u32_e32 v111, v110, v38
	v_add_nc_u32_e32 v112, v111, v39
	s_delay_alu instid0(VALU_DEP_1) | instskip(NEXT) | instid1(VALU_DEP_1)
	v_add_nc_u32_e32 v37, v112, v40
	;; [unrolled: 3-line block ×3, first 2 shown]
	v_add_nc_u32_e32 v40, v39, v35
	ds_store_b128 v67, v[109:112] offset:64
	ds_store_b128 v67, v[37:40] offset:80
	s_wait_loadcnt_dscnt 0x0
	s_barrier_signal -1
	s_barrier_wait -1
	global_inv scope:SCOPE_SE
	ds_load_b32 v33, v87 offset:64
	ds_load_b32 v34, v90 offset:64
	;; [unrolled: 1-line block ×8, first 2 shown]
	v_add_nc_u32_e32 v90, v73, v36
	s_wait_loadcnt_dscnt 0x0
	s_barrier_signal -1
	s_barrier_wait -1
	global_inv scope:SCOPE_SE
	v_add_nc_u32_e32 v86, v33, v86
	v_add3_u32 v88, v89, v88, v34
	v_add3_u32 v89, v92, v91, v35
	;; [unrolled: 1-line block ×7, first 2 shown]
	v_lshlrev_b32_e32 v33, 1, v86
	v_lshlrev_b32_e32 v34, 1, v88
	;; [unrolled: 1-line block ×8, first 2 shown]
	ds_store_b16 v33, v74
	ds_store_b16 v34, v75
	;; [unrolled: 1-line block ×8, first 2 shown]
	s_wait_loadcnt_dscnt 0x0
	s_barrier_signal -1
	s_barrier_wait -1
	global_inv scope:SCOPE_SE
	ds_load_u16 v74, v73
	ds_load_u16 v75, v73 offset:64
	ds_load_u16 v76, v73 offset:128
	;; [unrolled: 1-line block ×7, first 2 shown]
	v_mad_co_u64_u32 v[86:87], null, v86, 6, v[33:34]
	v_mad_co_u64_u32 v[33:34], null, v88, 6, v[34:35]
	;; [unrolled: 1-line block ×3, first 2 shown]
	s_wait_loadcnt_dscnt 0x0
	s_barrier_signal -1
	s_barrier_wait -1
	global_inv scope:SCOPE_SE
	v_mad_co_u64_u32 v[35:36], null, v91, 6, v[36:37]
	v_lshrrev_b16 v81, 8, v74
	v_cmp_ne_u16_e64 s17, 0x7fff, v74
	ds_store_b64 v86, v[17:18]
	v_mad_co_u64_u32 v[36:37], null, v92, 6, v[37:38]
	v_mad_co_u64_u32 v[37:38], null, v93, 6, v[38:39]
	s_wait_alu 0xf1ff
	v_cndmask_b32_e64 v81, 0x80, v81, s17
	v_mad_co_u64_u32 v[38:39], null, v94, 6, v[39:40]
	v_mad_co_u64_u32 v[39:40], null, v95, 6, v[40:41]
	s_delay_alu instid0(VALU_DEP_3)
	v_and_b32_e32 v17, 0xffff, v81
	ds_store_b64 v33, v[19:20]
	ds_store_b64 v34, v[25:26]
	;; [unrolled: 1-line block ×7, first 2 shown]
	s_wait_alu 0xfffe
	v_and_b32_e32 v40, s19, v17
	s_wait_loadcnt_dscnt 0x0
	s_barrier_signal -1
	s_barrier_wait -1
	global_inv scope:SCOPE_SE
	v_and_b32_e32 v17, 1, v40
	v_lshlrev_b32_e32 v18, 30, v40
	v_lshlrev_b32_e32 v19, 29, v40
	;; [unrolled: 1-line block ×4, first 2 shown]
	v_add_co_u32 v17, s17, v17, -1
	s_wait_alu 0xf1ff
	v_cndmask_b32_e64 v21, 0, 1, s17
	v_not_b32_e32 v25, v18
	v_cmp_gt_i32_e64 s18, 0, v18
	v_not_b32_e32 v18, v19
	v_lshlrev_b32_e32 v23, 26, v40
	v_cmp_ne_u32_e64 s17, 0, v21
	v_ashrrev_i32_e32 v25, 31, v25
	v_lshlrev_b32_e32 v24, 25, v40
	v_ashrrev_i32_e32 v18, 31, v18
	v_lshlrev_b32_e32 v21, 24, v40
	s_wait_alu 0xf1ff
	v_xor_b32_e32 v17, s17, v17
	v_cmp_gt_i32_e64 s17, 0, v19
	v_not_b32_e32 v19, v20
	v_xor_b32_e32 v25, s18, v25
	v_cmp_gt_i32_e64 s18, 0, v20
	v_and_b32_e32 v17, exec_lo, v17
	v_not_b32_e32 v20, v22
	v_ashrrev_i32_e32 v19, 31, v19
	s_wait_alu 0xf1ff
	v_xor_b32_e32 v18, s17, v18
	v_cmp_gt_i32_e64 s17, 0, v22
	v_and_b32_e32 v17, v17, v25
	v_not_b32_e32 v22, v23
	v_ashrrev_i32_e32 v20, 31, v20
	v_xor_b32_e32 v19, s18, v19
	v_cmp_gt_i32_e64 s18, 0, v23
	v_and_b32_e32 v17, v17, v18
	v_not_b32_e32 v18, v24
	v_ashrrev_i32_e32 v22, 31, v22
	s_wait_alu 0xf1ff
	v_xor_b32_e32 v20, s17, v20
	v_cmp_gt_i32_e64 s17, 0, v24
	v_and_b32_e32 v17, v17, v19
	v_not_b32_e32 v19, v21
	v_ashrrev_i32_e32 v18, 31, v18
	v_xor_b32_e32 v22, s18, v22
	v_cmp_gt_i32_e64 s18, 0, v21
	v_and_b32_e32 v17, v17, v20
	v_ashrrev_i32_e32 v19, 31, v19
	s_wait_alu 0xf1ff
	v_xor_b32_e32 v18, s17, v18
	v_dual_mov_b32 v37, s23 :: v_dual_mov_b32 v36, s22
	v_and_b32_e32 v17, v17, v22
	v_xor_b32_e32 v33, s18, v19
	ds_load_2addr_b64 v[21:24], v90 offset1:32
	v_dual_mov_b32 v35, s21 :: v_dual_mov_b32 v34, s20
	v_and_b32_e32 v38, v17, v18
	ds_load_2addr_b64 v[29:32], v90 offset0:64 offset1:96
	ds_load_2addr_b64 v[25:28], v90 offset0:128 offset1:160
	;; [unrolled: 1-line block ×3, first 2 shown]
	v_lshl_add_u32 v86, v40, 6, v0
	s_wait_loadcnt_dscnt 0x0
	s_barrier_signal -1
	v_and_b32_e32 v33, v38, v33
	s_barrier_wait -1
	global_inv scope:SCOPE_SE
	ds_store_b128 v67, v[34:37] offset:64
	ds_store_b128 v67, v[34:37] offset:80
	s_wait_loadcnt_dscnt 0x0
	v_mbcnt_lo_u32_b32 v81, v33, 0
	v_cmp_ne_u32_e64 s18, 0, v33
	s_barrier_signal -1
	s_barrier_wait -1
	global_inv scope:SCOPE_SE
	v_cmp_eq_u32_e64 s17, 0, v81
	; wave barrier
	s_and_b32 s18, s18, s17
	s_wait_alu 0xfffe
	s_and_saveexec_b32 s17, s18
; %bb.54:
	v_bcnt_u32_b32 v33, v33, 0
	ds_store_b32 v86, v33 offset:64
; %bb.55:
	s_wait_alu 0xfffe
	s_or_b32 exec_lo, exec_lo, s17
	v_lshrrev_b16 v33, 8, v75
	v_cmp_ne_u16_e64 s17, 0x7fff, v75
	; wave barrier
	s_wait_alu 0xf1ff
	s_delay_alu instid0(VALU_DEP_1) | instskip(NEXT) | instid1(VALU_DEP_1)
	v_cndmask_b32_e64 v33, 0x80, v33, s17
	v_and_b32_e32 v33, s19, v33
	s_delay_alu instid0(VALU_DEP_1)
	v_and_b32_e32 v34, 1, v33
	v_lshlrev_b32_e32 v35, 30, v33
	v_lshlrev_b32_e32 v36, 29, v33
	;; [unrolled: 1-line block ×4, first 2 shown]
	v_add_co_u32 v34, s17, v34, -1
	s_wait_alu 0xf1ff
	v_cndmask_b32_e64 v38, 0, 1, s17
	v_not_b32_e32 v88, v35
	v_cmp_gt_i32_e64 s18, 0, v35
	v_not_b32_e32 v35, v36
	v_lshlrev_b32_e32 v40, 26, v33
	v_cmp_ne_u32_e64 s17, 0, v38
	v_ashrrev_i32_e32 v88, 31, v88
	v_lshlrev_b32_e32 v87, 25, v33
	v_ashrrev_i32_e32 v35, 31, v35
	v_lshlrev_b32_e32 v38, 24, v33
	s_wait_alu 0xf1ff
	v_xor_b32_e32 v34, s17, v34
	v_cmp_gt_i32_e64 s17, 0, v36
	v_not_b32_e32 v36, v37
	v_xor_b32_e32 v88, s18, v88
	v_cmp_gt_i32_e64 s18, 0, v37
	v_and_b32_e32 v34, exec_lo, v34
	v_not_b32_e32 v37, v39
	v_ashrrev_i32_e32 v36, 31, v36
	s_wait_alu 0xf1ff
	v_xor_b32_e32 v35, s17, v35
	v_cmp_gt_i32_e64 s17, 0, v39
	v_and_b32_e32 v34, v34, v88
	v_not_b32_e32 v39, v40
	v_ashrrev_i32_e32 v37, 31, v37
	v_xor_b32_e32 v36, s18, v36
	v_cmp_gt_i32_e64 s18, 0, v40
	v_and_b32_e32 v34, v34, v35
	v_not_b32_e32 v35, v87
	v_ashrrev_i32_e32 v39, 31, v39
	s_wait_alu 0xf1ff
	v_xor_b32_e32 v37, s17, v37
	v_cmp_gt_i32_e64 s17, 0, v87
	v_and_b32_e32 v34, v34, v36
	v_not_b32_e32 v36, v38
	v_ashrrev_i32_e32 v35, 31, v35
	v_xor_b32_e32 v39, s18, v39
	v_cmp_gt_i32_e64 s18, 0, v38
	v_and_b32_e32 v34, v34, v37
	v_ashrrev_i32_e32 v36, 31, v36
	s_wait_alu 0xf1ff
	v_xor_b32_e32 v35, s17, v35
	v_lshl_add_u32 v89, v33, 6, v0
	v_and_b32_e32 v34, v34, v39
	v_xor_b32_e32 v33, s18, v36
	ds_load_b32 v87, v89 offset:64
	v_and_b32_e32 v34, v34, v35
	; wave barrier
	s_delay_alu instid0(VALU_DEP_1) | instskip(NEXT) | instid1(VALU_DEP_1)
	v_and_b32_e32 v33, v34, v33
	v_mbcnt_lo_u32_b32 v88, v33, 0
	v_cmp_ne_u32_e64 s18, 0, v33
	s_delay_alu instid0(VALU_DEP_2)
	v_cmp_eq_u32_e64 s17, 0, v88
	s_and_b32 s18, s18, s17
	s_wait_alu 0xfffe
	s_and_saveexec_b32 s17, s18
	s_cbranch_execz .LBB245_57
; %bb.56:
	s_wait_dscnt 0x0
	v_bcnt_u32_b32 v33, v33, v87
	ds_store_b32 v89, v33 offset:64
.LBB245_57:
	s_wait_alu 0xfffe
	s_or_b32 exec_lo, exec_lo, s17
	v_lshrrev_b16 v33, 8, v76
	v_cmp_ne_u16_e64 s17, 0x7fff, v76
	; wave barrier
	s_wait_alu 0xf1ff
	s_delay_alu instid0(VALU_DEP_1) | instskip(NEXT) | instid1(VALU_DEP_1)
	v_cndmask_b32_e64 v33, 0x80, v33, s17
	v_and_b32_e32 v33, s19, v33
	s_delay_alu instid0(VALU_DEP_1)
	v_and_b32_e32 v34, 1, v33
	v_lshlrev_b32_e32 v35, 30, v33
	v_lshlrev_b32_e32 v36, 29, v33
	;; [unrolled: 1-line block ×4, first 2 shown]
	v_add_co_u32 v34, s17, v34, -1
	s_wait_alu 0xf1ff
	v_cndmask_b32_e64 v38, 0, 1, s17
	v_not_b32_e32 v91, v35
	v_cmp_gt_i32_e64 s18, 0, v35
	v_not_b32_e32 v35, v36
	v_lshlrev_b32_e32 v40, 26, v33
	v_cmp_ne_u32_e64 s17, 0, v38
	v_ashrrev_i32_e32 v91, 31, v91
	v_lshlrev_b32_e32 v90, 25, v33
	v_ashrrev_i32_e32 v35, 31, v35
	v_lshlrev_b32_e32 v38, 24, v33
	s_wait_alu 0xf1ff
	v_xor_b32_e32 v34, s17, v34
	v_cmp_gt_i32_e64 s17, 0, v36
	v_not_b32_e32 v36, v37
	v_xor_b32_e32 v91, s18, v91
	v_cmp_gt_i32_e64 s18, 0, v37
	v_and_b32_e32 v34, exec_lo, v34
	v_not_b32_e32 v37, v39
	v_ashrrev_i32_e32 v36, 31, v36
	s_wait_alu 0xf1ff
	v_xor_b32_e32 v35, s17, v35
	v_cmp_gt_i32_e64 s17, 0, v39
	v_and_b32_e32 v34, v34, v91
	v_not_b32_e32 v39, v40
	v_ashrrev_i32_e32 v37, 31, v37
	v_xor_b32_e32 v36, s18, v36
	v_cmp_gt_i32_e64 s18, 0, v40
	v_and_b32_e32 v34, v34, v35
	v_not_b32_e32 v35, v90
	v_ashrrev_i32_e32 v39, 31, v39
	s_wait_alu 0xf1ff
	v_xor_b32_e32 v37, s17, v37
	v_cmp_gt_i32_e64 s17, 0, v90
	v_and_b32_e32 v34, v34, v36
	v_not_b32_e32 v36, v38
	v_ashrrev_i32_e32 v35, 31, v35
	v_xor_b32_e32 v39, s18, v39
	v_cmp_gt_i32_e64 s18, 0, v38
	v_and_b32_e32 v34, v34, v37
	v_ashrrev_i32_e32 v36, 31, v36
	s_wait_alu 0xf1ff
	v_xor_b32_e32 v35, s17, v35
	v_lshl_add_u32 v92, v33, 6, v0
	v_and_b32_e32 v34, v34, v39
	v_xor_b32_e32 v33, s18, v36
	ds_load_b32 v90, v92 offset:64
	v_and_b32_e32 v34, v34, v35
	; wave barrier
	s_delay_alu instid0(VALU_DEP_1) | instskip(NEXT) | instid1(VALU_DEP_1)
	v_and_b32_e32 v33, v34, v33
	v_mbcnt_lo_u32_b32 v91, v33, 0
	v_cmp_ne_u32_e64 s18, 0, v33
	s_delay_alu instid0(VALU_DEP_2)
	v_cmp_eq_u32_e64 s17, 0, v91
	s_and_b32 s18, s18, s17
	s_wait_alu 0xfffe
	s_and_saveexec_b32 s17, s18
	s_cbranch_execz .LBB245_59
; %bb.58:
	s_wait_dscnt 0x0
	v_bcnt_u32_b32 v33, v33, v90
	ds_store_b32 v92, v33 offset:64
.LBB245_59:
	s_wait_alu 0xfffe
	s_or_b32 exec_lo, exec_lo, s17
	v_lshrrev_b16 v33, 8, v77
	v_cmp_ne_u16_e64 s17, 0x7fff, v77
	; wave barrier
	s_wait_alu 0xf1ff
	s_delay_alu instid0(VALU_DEP_1) | instskip(NEXT) | instid1(VALU_DEP_1)
	v_cndmask_b32_e64 v33, 0x80, v33, s17
	v_and_b32_e32 v33, s19, v33
	s_delay_alu instid0(VALU_DEP_1)
	v_and_b32_e32 v34, 1, v33
	v_lshlrev_b32_e32 v35, 30, v33
	v_lshlrev_b32_e32 v36, 29, v33
	;; [unrolled: 1-line block ×4, first 2 shown]
	v_add_co_u32 v34, s17, v34, -1
	s_wait_alu 0xf1ff
	v_cndmask_b32_e64 v38, 0, 1, s17
	v_not_b32_e32 v94, v35
	v_cmp_gt_i32_e64 s18, 0, v35
	v_not_b32_e32 v35, v36
	v_lshlrev_b32_e32 v40, 26, v33
	v_cmp_ne_u32_e64 s17, 0, v38
	v_ashrrev_i32_e32 v94, 31, v94
	v_lshlrev_b32_e32 v93, 25, v33
	v_ashrrev_i32_e32 v35, 31, v35
	v_lshlrev_b32_e32 v38, 24, v33
	s_wait_alu 0xf1ff
	v_xor_b32_e32 v34, s17, v34
	v_cmp_gt_i32_e64 s17, 0, v36
	v_not_b32_e32 v36, v37
	v_xor_b32_e32 v94, s18, v94
	v_cmp_gt_i32_e64 s18, 0, v37
	v_and_b32_e32 v34, exec_lo, v34
	v_not_b32_e32 v37, v39
	v_ashrrev_i32_e32 v36, 31, v36
	s_wait_alu 0xf1ff
	v_xor_b32_e32 v35, s17, v35
	v_cmp_gt_i32_e64 s17, 0, v39
	v_and_b32_e32 v34, v34, v94
	v_not_b32_e32 v39, v40
	v_ashrrev_i32_e32 v37, 31, v37
	v_xor_b32_e32 v36, s18, v36
	v_cmp_gt_i32_e64 s18, 0, v40
	v_and_b32_e32 v34, v34, v35
	v_not_b32_e32 v35, v93
	v_ashrrev_i32_e32 v39, 31, v39
	s_wait_alu 0xf1ff
	v_xor_b32_e32 v37, s17, v37
	v_cmp_gt_i32_e64 s17, 0, v93
	v_and_b32_e32 v34, v34, v36
	v_not_b32_e32 v36, v38
	v_ashrrev_i32_e32 v35, 31, v35
	v_xor_b32_e32 v39, s18, v39
	v_cmp_gt_i32_e64 s18, 0, v38
	v_and_b32_e32 v34, v34, v37
	v_ashrrev_i32_e32 v36, 31, v36
	s_wait_alu 0xf1ff
	v_xor_b32_e32 v35, s17, v35
	v_lshl_add_u32 v95, v33, 6, v0
	v_and_b32_e32 v34, v34, v39
	v_xor_b32_e32 v33, s18, v36
	ds_load_b32 v93, v95 offset:64
	v_and_b32_e32 v34, v34, v35
	; wave barrier
	s_delay_alu instid0(VALU_DEP_1) | instskip(NEXT) | instid1(VALU_DEP_1)
	v_and_b32_e32 v33, v34, v33
	v_mbcnt_lo_u32_b32 v94, v33, 0
	v_cmp_ne_u32_e64 s18, 0, v33
	s_delay_alu instid0(VALU_DEP_2)
	v_cmp_eq_u32_e64 s17, 0, v94
	s_and_b32 s18, s18, s17
	s_wait_alu 0xfffe
	s_and_saveexec_b32 s17, s18
	s_cbranch_execz .LBB245_61
; %bb.60:
	s_wait_dscnt 0x0
	v_bcnt_u32_b32 v33, v33, v93
	ds_store_b32 v95, v33 offset:64
.LBB245_61:
	s_wait_alu 0xfffe
	s_or_b32 exec_lo, exec_lo, s17
	v_lshrrev_b16 v33, 8, v78
	v_cmp_ne_u16_e64 s17, 0x7fff, v78
	; wave barrier
	s_wait_alu 0xf1ff
	s_delay_alu instid0(VALU_DEP_1) | instskip(NEXT) | instid1(VALU_DEP_1)
	v_cndmask_b32_e64 v33, 0x80, v33, s17
	v_and_b32_e32 v33, s19, v33
	s_delay_alu instid0(VALU_DEP_1)
	v_and_b32_e32 v34, 1, v33
	v_lshlrev_b32_e32 v35, 30, v33
	v_lshlrev_b32_e32 v36, 29, v33
	;; [unrolled: 1-line block ×4, first 2 shown]
	v_add_co_u32 v34, s17, v34, -1
	s_wait_alu 0xf1ff
	v_cndmask_b32_e64 v38, 0, 1, s17
	v_not_b32_e32 v97, v35
	v_cmp_gt_i32_e64 s18, 0, v35
	v_not_b32_e32 v35, v36
	v_lshlrev_b32_e32 v40, 26, v33
	v_cmp_ne_u32_e64 s17, 0, v38
	v_ashrrev_i32_e32 v97, 31, v97
	v_lshlrev_b32_e32 v96, 25, v33
	v_ashrrev_i32_e32 v35, 31, v35
	v_lshlrev_b32_e32 v38, 24, v33
	s_wait_alu 0xf1ff
	v_xor_b32_e32 v34, s17, v34
	v_cmp_gt_i32_e64 s17, 0, v36
	v_not_b32_e32 v36, v37
	v_xor_b32_e32 v97, s18, v97
	v_cmp_gt_i32_e64 s18, 0, v37
	v_and_b32_e32 v34, exec_lo, v34
	v_not_b32_e32 v37, v39
	v_ashrrev_i32_e32 v36, 31, v36
	s_wait_alu 0xf1ff
	v_xor_b32_e32 v35, s17, v35
	v_cmp_gt_i32_e64 s17, 0, v39
	v_and_b32_e32 v34, v34, v97
	v_not_b32_e32 v39, v40
	v_ashrrev_i32_e32 v37, 31, v37
	v_xor_b32_e32 v36, s18, v36
	v_cmp_gt_i32_e64 s18, 0, v40
	v_and_b32_e32 v34, v34, v35
	v_not_b32_e32 v35, v96
	v_ashrrev_i32_e32 v39, 31, v39
	s_wait_alu 0xf1ff
	v_xor_b32_e32 v37, s17, v37
	v_cmp_gt_i32_e64 s17, 0, v96
	v_and_b32_e32 v34, v34, v36
	v_not_b32_e32 v36, v38
	v_ashrrev_i32_e32 v35, 31, v35
	v_xor_b32_e32 v39, s18, v39
	v_cmp_gt_i32_e64 s18, 0, v38
	v_and_b32_e32 v34, v34, v37
	v_ashrrev_i32_e32 v36, 31, v36
	s_wait_alu 0xf1ff
	v_xor_b32_e32 v35, s17, v35
	v_lshl_add_u32 v98, v33, 6, v0
	v_and_b32_e32 v34, v34, v39
	v_xor_b32_e32 v33, s18, v36
	ds_load_b32 v96, v98 offset:64
	v_and_b32_e32 v34, v34, v35
	; wave barrier
	s_delay_alu instid0(VALU_DEP_1) | instskip(NEXT) | instid1(VALU_DEP_1)
	v_and_b32_e32 v33, v34, v33
	v_mbcnt_lo_u32_b32 v97, v33, 0
	v_cmp_ne_u32_e64 s18, 0, v33
	s_delay_alu instid0(VALU_DEP_2)
	v_cmp_eq_u32_e64 s17, 0, v97
	s_and_b32 s18, s18, s17
	s_wait_alu 0xfffe
	s_and_saveexec_b32 s17, s18
	s_cbranch_execz .LBB245_63
; %bb.62:
	s_wait_dscnt 0x0
	v_bcnt_u32_b32 v33, v33, v96
	ds_store_b32 v98, v33 offset:64
.LBB245_63:
	s_wait_alu 0xfffe
	s_or_b32 exec_lo, exec_lo, s17
	v_lshrrev_b16 v33, 8, v79
	v_cmp_ne_u16_e64 s17, 0x7fff, v79
	; wave barrier
	s_wait_alu 0xf1ff
	s_delay_alu instid0(VALU_DEP_1) | instskip(NEXT) | instid1(VALU_DEP_1)
	v_cndmask_b32_e64 v33, 0x80, v33, s17
	v_and_b32_e32 v33, s19, v33
	s_delay_alu instid0(VALU_DEP_1)
	v_and_b32_e32 v34, 1, v33
	v_lshlrev_b32_e32 v35, 30, v33
	v_lshlrev_b32_e32 v36, 29, v33
	;; [unrolled: 1-line block ×4, first 2 shown]
	v_add_co_u32 v34, s17, v34, -1
	s_wait_alu 0xf1ff
	v_cndmask_b32_e64 v38, 0, 1, s17
	v_not_b32_e32 v100, v35
	v_cmp_gt_i32_e64 s18, 0, v35
	v_not_b32_e32 v35, v36
	v_lshlrev_b32_e32 v40, 26, v33
	v_cmp_ne_u32_e64 s17, 0, v38
	v_ashrrev_i32_e32 v100, 31, v100
	v_lshlrev_b32_e32 v99, 25, v33
	v_ashrrev_i32_e32 v35, 31, v35
	v_lshlrev_b32_e32 v38, 24, v33
	s_wait_alu 0xf1ff
	v_xor_b32_e32 v34, s17, v34
	v_cmp_gt_i32_e64 s17, 0, v36
	v_not_b32_e32 v36, v37
	v_xor_b32_e32 v100, s18, v100
	v_cmp_gt_i32_e64 s18, 0, v37
	v_and_b32_e32 v34, exec_lo, v34
	v_not_b32_e32 v37, v39
	v_ashrrev_i32_e32 v36, 31, v36
	s_wait_alu 0xf1ff
	v_xor_b32_e32 v35, s17, v35
	v_cmp_gt_i32_e64 s17, 0, v39
	v_and_b32_e32 v34, v34, v100
	v_not_b32_e32 v39, v40
	v_ashrrev_i32_e32 v37, 31, v37
	v_xor_b32_e32 v36, s18, v36
	v_cmp_gt_i32_e64 s18, 0, v40
	v_and_b32_e32 v34, v34, v35
	v_not_b32_e32 v35, v99
	v_ashrrev_i32_e32 v39, 31, v39
	s_wait_alu 0xf1ff
	v_xor_b32_e32 v37, s17, v37
	v_cmp_gt_i32_e64 s17, 0, v99
	v_and_b32_e32 v34, v34, v36
	v_not_b32_e32 v36, v38
	v_ashrrev_i32_e32 v35, 31, v35
	v_xor_b32_e32 v39, s18, v39
	v_cmp_gt_i32_e64 s18, 0, v38
	v_and_b32_e32 v34, v34, v37
	v_ashrrev_i32_e32 v36, 31, v36
	s_wait_alu 0xf1ff
	v_xor_b32_e32 v35, s17, v35
	v_lshl_add_u32 v101, v33, 6, v0
	v_and_b32_e32 v34, v34, v39
	v_xor_b32_e32 v33, s18, v36
	ds_load_b32 v99, v101 offset:64
	v_and_b32_e32 v34, v34, v35
	; wave barrier
	s_delay_alu instid0(VALU_DEP_1) | instskip(NEXT) | instid1(VALU_DEP_1)
	v_and_b32_e32 v33, v34, v33
	v_mbcnt_lo_u32_b32 v100, v33, 0
	v_cmp_ne_u32_e64 s18, 0, v33
	s_delay_alu instid0(VALU_DEP_2)
	v_cmp_eq_u32_e64 s17, 0, v100
	s_and_b32 s18, s18, s17
	s_wait_alu 0xfffe
	s_and_saveexec_b32 s17, s18
	s_cbranch_execz .LBB245_65
; %bb.64:
	s_wait_dscnt 0x0
	v_bcnt_u32_b32 v33, v33, v99
	ds_store_b32 v101, v33 offset:64
.LBB245_65:
	s_wait_alu 0xfffe
	s_or_b32 exec_lo, exec_lo, s17
	v_lshrrev_b16 v33, 8, v80
	v_cmp_ne_u16_e64 s17, 0x7fff, v80
	; wave barrier
	s_wait_alu 0xf1ff
	s_delay_alu instid0(VALU_DEP_1) | instskip(NEXT) | instid1(VALU_DEP_1)
	v_cndmask_b32_e64 v33, 0x80, v33, s17
	v_and_b32_e32 v33, s19, v33
	s_delay_alu instid0(VALU_DEP_1)
	v_and_b32_e32 v34, 1, v33
	v_lshlrev_b32_e32 v35, 30, v33
	v_lshlrev_b32_e32 v36, 29, v33
	;; [unrolled: 1-line block ×4, first 2 shown]
	v_add_co_u32 v34, s17, v34, -1
	s_wait_alu 0xf1ff
	v_cndmask_b32_e64 v38, 0, 1, s17
	v_not_b32_e32 v103, v35
	v_cmp_gt_i32_e64 s18, 0, v35
	v_not_b32_e32 v35, v36
	v_lshlrev_b32_e32 v40, 26, v33
	v_cmp_ne_u32_e64 s17, 0, v38
	v_ashrrev_i32_e32 v103, 31, v103
	v_lshlrev_b32_e32 v102, 25, v33
	v_ashrrev_i32_e32 v35, 31, v35
	v_lshlrev_b32_e32 v38, 24, v33
	s_wait_alu 0xf1ff
	v_xor_b32_e32 v34, s17, v34
	v_cmp_gt_i32_e64 s17, 0, v36
	v_not_b32_e32 v36, v37
	v_xor_b32_e32 v103, s18, v103
	v_cmp_gt_i32_e64 s18, 0, v37
	v_and_b32_e32 v34, exec_lo, v34
	v_not_b32_e32 v37, v39
	v_ashrrev_i32_e32 v36, 31, v36
	s_wait_alu 0xf1ff
	v_xor_b32_e32 v35, s17, v35
	v_cmp_gt_i32_e64 s17, 0, v39
	v_and_b32_e32 v34, v34, v103
	v_not_b32_e32 v39, v40
	v_ashrrev_i32_e32 v37, 31, v37
	v_xor_b32_e32 v36, s18, v36
	v_cmp_gt_i32_e64 s18, 0, v40
	v_and_b32_e32 v34, v34, v35
	v_not_b32_e32 v35, v102
	v_ashrrev_i32_e32 v39, 31, v39
	s_wait_alu 0xf1ff
	v_xor_b32_e32 v37, s17, v37
	v_cmp_gt_i32_e64 s17, 0, v102
	v_and_b32_e32 v34, v34, v36
	v_not_b32_e32 v36, v38
	v_ashrrev_i32_e32 v35, 31, v35
	v_xor_b32_e32 v39, s18, v39
	v_cmp_gt_i32_e64 s18, 0, v38
	v_and_b32_e32 v34, v34, v37
	v_ashrrev_i32_e32 v36, 31, v36
	s_wait_alu 0xf1ff
	v_xor_b32_e32 v35, s17, v35
	v_lshl_add_u32 v104, v33, 6, v0
	v_and_b32_e32 v34, v34, v39
	v_xor_b32_e32 v33, s18, v36
	ds_load_b32 v102, v104 offset:64
	v_and_b32_e32 v34, v34, v35
	; wave barrier
	s_delay_alu instid0(VALU_DEP_1) | instskip(NEXT) | instid1(VALU_DEP_1)
	v_and_b32_e32 v33, v34, v33
	v_mbcnt_lo_u32_b32 v103, v33, 0
	v_cmp_ne_u32_e64 s18, 0, v33
	s_delay_alu instid0(VALU_DEP_2)
	v_cmp_eq_u32_e64 s17, 0, v103
	s_and_b32 s18, s18, s17
	s_wait_alu 0xfffe
	s_and_saveexec_b32 s17, s18
	s_cbranch_execz .LBB245_67
; %bb.66:
	s_wait_dscnt 0x0
	v_bcnt_u32_b32 v33, v33, v102
	ds_store_b32 v104, v33 offset:64
.LBB245_67:
	s_wait_alu 0xfffe
	s_or_b32 exec_lo, exec_lo, s17
	v_lshrrev_b16 v33, 8, v73
	v_cmp_ne_u16_e64 s17, 0x7fff, v73
	; wave barrier
	s_wait_alu 0xf1ff
	s_delay_alu instid0(VALU_DEP_1) | instskip(NEXT) | instid1(VALU_DEP_1)
	v_cndmask_b32_e64 v33, 0x80, v33, s17
	v_and_b32_e32 v33, s19, v33
	s_delay_alu instid0(VALU_DEP_1)
	v_and_b32_e32 v34, 1, v33
	v_lshlrev_b32_e32 v35, 30, v33
	v_lshlrev_b32_e32 v36, 29, v33
	v_lshlrev_b32_e32 v37, 28, v33
	v_lshlrev_b32_e32 v39, 27, v33
	v_add_co_u32 v34, s17, v34, -1
	s_wait_alu 0xf1ff
	v_cndmask_b32_e64 v38, 0, 1, s17
	v_not_b32_e32 v106, v35
	v_cmp_gt_i32_e64 s18, 0, v35
	v_not_b32_e32 v35, v36
	v_lshlrev_b32_e32 v40, 26, v33
	v_cmp_ne_u32_e64 s17, 0, v38
	v_ashrrev_i32_e32 v106, 31, v106
	v_lshlrev_b32_e32 v105, 25, v33
	v_ashrrev_i32_e32 v35, 31, v35
	v_lshlrev_b32_e32 v38, 24, v33
	s_wait_alu 0xf1ff
	v_xor_b32_e32 v34, s17, v34
	v_cmp_gt_i32_e64 s17, 0, v36
	v_not_b32_e32 v36, v37
	v_xor_b32_e32 v106, s18, v106
	v_cmp_gt_i32_e64 s18, 0, v37
	v_and_b32_e32 v34, exec_lo, v34
	v_not_b32_e32 v37, v39
	v_ashrrev_i32_e32 v36, 31, v36
	s_wait_alu 0xf1ff
	v_xor_b32_e32 v35, s17, v35
	v_cmp_gt_i32_e64 s17, 0, v39
	v_and_b32_e32 v34, v34, v106
	v_not_b32_e32 v39, v40
	v_ashrrev_i32_e32 v37, 31, v37
	v_xor_b32_e32 v36, s18, v36
	v_cmp_gt_i32_e64 s18, 0, v40
	v_and_b32_e32 v34, v34, v35
	v_not_b32_e32 v35, v105
	v_ashrrev_i32_e32 v39, 31, v39
	s_wait_alu 0xf1ff
	v_xor_b32_e32 v37, s17, v37
	v_cmp_gt_i32_e64 s17, 0, v105
	v_and_b32_e32 v34, v34, v36
	v_not_b32_e32 v36, v38
	v_ashrrev_i32_e32 v35, 31, v35
	v_xor_b32_e32 v39, s18, v39
	v_cmp_gt_i32_e64 s18, 0, v38
	v_and_b32_e32 v34, v34, v37
	v_ashrrev_i32_e32 v36, 31, v36
	s_wait_alu 0xf1ff
	v_xor_b32_e32 v35, s17, v35
	v_lshl_add_u32 v106, v33, 6, v0
	v_and_b32_e32 v34, v34, v39
	v_xor_b32_e32 v33, s18, v36
	ds_load_b32 v0, v106 offset:64
	v_and_b32_e32 v34, v34, v35
	; wave barrier
	s_delay_alu instid0(VALU_DEP_1) | instskip(NEXT) | instid1(VALU_DEP_1)
	v_and_b32_e32 v33, v34, v33
	v_mbcnt_lo_u32_b32 v105, v33, 0
	v_cmp_ne_u32_e64 s18, 0, v33
	s_delay_alu instid0(VALU_DEP_2)
	v_cmp_eq_u32_e64 s17, 0, v105
	s_and_b32 s18, s18, s17
	s_wait_alu 0xfffe
	s_and_saveexec_b32 s17, s18
	s_cbranch_execz .LBB245_69
; %bb.68:
	s_wait_dscnt 0x0
	v_bcnt_u32_b32 v33, v33, v0
	ds_store_b32 v106, v33 offset:64
.LBB245_69:
	s_wait_alu 0xfffe
	s_or_b32 exec_lo, exec_lo, s17
	; wave barrier
	s_wait_loadcnt_dscnt 0x0
	s_barrier_signal -1
	s_barrier_wait -1
	global_inv scope:SCOPE_SE
	ds_load_b128 v[37:40], v67 offset:64
	ds_load_b128 v[33:36], v67 offset:80
	s_wait_dscnt 0x1
	v_add_nc_u32_e32 v107, v38, v37
	s_delay_alu instid0(VALU_DEP_1) | instskip(SKIP_1) | instid1(VALU_DEP_1)
	v_add3_u32 v107, v107, v39, v40
	s_wait_dscnt 0x0
	v_add3_u32 v107, v107, v33, v34
	s_delay_alu instid0(VALU_DEP_1) | instskip(NEXT) | instid1(VALU_DEP_1)
	v_add3_u32 v36, v107, v35, v36
	v_mov_b32_dpp v107, v36 row_shr:1 row_mask:0xf bank_mask:0xf
	s_delay_alu instid0(VALU_DEP_1) | instskip(NEXT) | instid1(VALU_DEP_1)
	v_cndmask_b32_e64 v107, v107, 0, vcc_lo
	v_add_nc_u32_e32 v36, v107, v36
	s_delay_alu instid0(VALU_DEP_1) | instskip(NEXT) | instid1(VALU_DEP_1)
	v_mov_b32_dpp v107, v36 row_shr:2 row_mask:0xf bank_mask:0xf
	v_cndmask_b32_e64 v107, 0, v107, s8
	s_delay_alu instid0(VALU_DEP_1) | instskip(NEXT) | instid1(VALU_DEP_1)
	v_add_nc_u32_e32 v36, v36, v107
	v_mov_b32_dpp v107, v36 row_shr:4 row_mask:0xf bank_mask:0xf
	s_delay_alu instid0(VALU_DEP_1) | instskip(NEXT) | instid1(VALU_DEP_1)
	v_cndmask_b32_e64 v107, 0, v107, s9
	v_add_nc_u32_e32 v36, v36, v107
	s_delay_alu instid0(VALU_DEP_1) | instskip(NEXT) | instid1(VALU_DEP_1)
	v_mov_b32_dpp v107, v36 row_shr:8 row_mask:0xf bank_mask:0xf
	v_cndmask_b32_e64 v107, 0, v107, s10
	s_delay_alu instid0(VALU_DEP_1) | instskip(SKIP_3) | instid1(VALU_DEP_1)
	v_add_nc_u32_e32 v36, v36, v107
	ds_swizzle_b32 v107, v36 offset:swizzle(BROADCAST,32,15)
	s_wait_dscnt 0x0
	v_cndmask_b32_e64 v107, v107, 0, s15
	v_add_nc_u32_e32 v36, v36, v107
	s_and_saveexec_b32 s15, s13
; %bb.70:
	ds_store_b32 v83, v36
; %bb.71:
	s_wait_alu 0xfffe
	s_or_b32 exec_lo, exec_lo, s15
	s_wait_loadcnt_dscnt 0x0
	s_barrier_signal -1
	s_barrier_wait -1
	global_inv scope:SCOPE_SE
	s_and_saveexec_b32 s13, s12
	s_cbranch_execz .LBB245_73
; %bb.72:
	ds_load_b32 v83, v82
	s_wait_dscnt 0x0
	v_mov_b32_dpp v107, v83 row_shr:1 row_mask:0xf bank_mask:0xf
	s_delay_alu instid0(VALU_DEP_1) | instskip(NEXT) | instid1(VALU_DEP_1)
	v_cndmask_b32_e64 v107, v107, 0, vcc_lo
	v_add_nc_u32_e32 v83, v107, v83
	s_delay_alu instid0(VALU_DEP_1) | instskip(NEXT) | instid1(VALU_DEP_1)
	v_mov_b32_dpp v107, v83 row_shr:2 row_mask:0xf bank_mask:0xf
	v_cndmask_b32_e64 v107, 0, v107, s8
	s_delay_alu instid0(VALU_DEP_1) | instskip(NEXT) | instid1(VALU_DEP_1)
	v_add_nc_u32_e32 v83, v83, v107
	v_mov_b32_dpp v107, v83 row_shr:4 row_mask:0xf bank_mask:0xf
	s_delay_alu instid0(VALU_DEP_1) | instskip(NEXT) | instid1(VALU_DEP_1)
	v_cndmask_b32_e64 v107, 0, v107, s9
	v_add_nc_u32_e32 v83, v83, v107
	s_delay_alu instid0(VALU_DEP_1) | instskip(NEXT) | instid1(VALU_DEP_1)
	v_mov_b32_dpp v107, v83 row_shr:8 row_mask:0xf bank_mask:0xf
	v_cndmask_b32_e64 v107, 0, v107, s10
	s_delay_alu instid0(VALU_DEP_1)
	v_add_nc_u32_e32 v83, v83, v107
	ds_store_b32 v82, v83
.LBB245_73:
	s_wait_alu 0xfffe
	s_or_b32 exec_lo, exec_lo, s13
	v_mov_b32_e32 v82, 0
	s_wait_loadcnt_dscnt 0x0
	s_barrier_signal -1
	s_barrier_wait -1
	global_inv scope:SCOPE_SE
	s_and_saveexec_b32 s8, s14
; %bb.74:
	ds_load_b32 v82, v84
; %bb.75:
	s_wait_alu 0xfffe
	s_or_b32 exec_lo, exec_lo, s8
	s_wait_dscnt 0x0
	v_add_nc_u32_e32 v36, v82, v36
	ds_bpermute_b32 v36, v85, v36
	s_wait_dscnt 0x0
	v_cndmask_b32_e64 v36, v36, v82, s11
	s_delay_alu instid0(VALU_DEP_1) | instskip(NEXT) | instid1(VALU_DEP_1)
	v_cndmask_b32_e64 v36, v36, 0, s16
	v_add_nc_u32_e32 v37, v36, v37
	s_delay_alu instid0(VALU_DEP_1) | instskip(NEXT) | instid1(VALU_DEP_1)
	v_add_nc_u32_e32 v38, v37, v38
	v_add_nc_u32_e32 v39, v38, v39
	s_delay_alu instid0(VALU_DEP_1) | instskip(NEXT) | instid1(VALU_DEP_1)
	v_add_nc_u32_e32 v82, v39, v40
	v_add_nc_u32_e32 v83, v82, v33
	s_delay_alu instid0(VALU_DEP_1) | instskip(NEXT) | instid1(VALU_DEP_1)
	v_add_nc_u32_e32 v84, v83, v34
	v_add_nc_u32_e32 v85, v84, v35
	ds_store_b128 v67, v[36:39] offset:64
	ds_store_b128 v67, v[82:85] offset:80
	s_wait_loadcnt_dscnt 0x0
	s_barrier_signal -1
	s_barrier_wait -1
	global_inv scope:SCOPE_SE
	ds_load_b32 v33, v106 offset:64
	ds_load_b32 v34, v104 offset:64
	;; [unrolled: 1-line block ×8, first 2 shown]
	v_lshlrev_b32_e32 v82, 1, v66
	s_wait_loadcnt_dscnt 0x0
	s_barrier_signal -1
	s_barrier_wait -1
	global_inv scope:SCOPE_SE
	v_mad_u32_u24 v83, v46, 48, v82
	v_add3_u32 v84, v105, v0, v33
	v_add3_u32 v85, v103, v102, v34
	;; [unrolled: 1-line block ×3, first 2 shown]
	v_add_nc_u32_e32 v81, v36, v81
	v_add3_u32 v87, v88, v87, v37
	v_add3_u32 v88, v91, v90, v38
	;; [unrolled: 1-line block ×4, first 2 shown]
	v_lshlrev_b32_e32 v0, 1, v81
	v_lshlrev_b32_e32 v33, 1, v87
	;; [unrolled: 1-line block ×8, first 2 shown]
	ds_store_b16 v0, v74
	ds_store_b16 v33, v75
	ds_store_b16 v34, v76
	ds_store_b16 v35, v77
	ds_store_b16 v36, v78
	ds_store_b16 v37, v79
	ds_store_b16 v38, v80
	ds_store_b16 v39, v73
	v_mad_co_u64_u32 v[73:74], null, v81, 6, v[0:1]
	v_mad_co_u64_u32 v[74:75], null, v87, 6, v[33:34]
	;; [unrolled: 1-line block ×4, first 2 shown]
	s_wait_loadcnt_dscnt 0x0
	s_barrier_signal -1
	s_barrier_wait -1
	global_inv scope:SCOPE_SE
	v_mad_co_u64_u32 v[77:78], null, v40, 6, v[36:37]
	ds_load_b128 v[33:36], v82
	v_mad_co_u64_u32 v[78:79], null, v86, 6, v[37:38]
	v_mad_co_u64_u32 v[37:38], null, v85, 6, v[38:39]
	;; [unrolled: 1-line block ×3, first 2 shown]
	s_wait_loadcnt_dscnt 0x0
	s_barrier_signal -1
	s_barrier_wait -1
	global_inv scope:SCOPE_SE
	ds_store_b64 v73, v[21:22]
	ds_store_b64 v74, v[23:24]
	;; [unrolled: 1-line block ×8, first 2 shown]
	s_wait_loadcnt_dscnt 0x0
	s_barrier_signal -1
	s_barrier_wait -1
	global_inv scope:SCOPE_SE
	ds_load_b128 v[29:32], v83
	ds_load_b128 v[25:28], v83 offset:16
	ds_load_b128 v[21:24], v83 offset:32
	;; [unrolled: 1-line block ×3, first 2 shown]
	v_cmp_lt_i16_e32 vcc_lo, -1, v33
	v_lshrrev_b32_e32 v0, 16, v33
	v_lshrrev_b32_e32 v38, 16, v34
	;; [unrolled: 1-line block ×4, first 2 shown]
	s_wait_alu 0xfffd
	v_cndmask_b32_e64 v37, 0xffff8000, -1, vcc_lo
	v_cmp_lt_i16_e32 vcc_lo, -1, v34
	s_wait_alu 0xfffd
	v_cndmask_b32_e64 v39, 0xffff8000, -1, vcc_lo
	v_cmp_lt_i16_e32 vcc_lo, -1, v35
	;; [unrolled: 3-line block ×5, first 2 shown]
	s_delay_alu instid0(VALU_DEP_2) | instskip(SKIP_3) | instid1(VALU_DEP_3)
	v_perm_b32 v0, v0, v37, 0x5040100
	s_wait_alu 0xfffd
	v_cndmask_b32_e64 v38, 0xffff8000, -1, vcc_lo
	v_cmp_lt_i16_e32 vcc_lo, -1, v40
	v_xor_b32_e32 v0, v0, v33
	s_delay_alu instid0(VALU_DEP_3) | instskip(SKIP_3) | instid1(VALU_DEP_3)
	v_perm_b32 v37, v38, v39, 0x5040100
	s_wait_alu 0xfffd
	v_cndmask_b32_e64 v40, 0xffff8000, -1, vcc_lo
	v_cmp_lt_i16_e32 vcc_lo, -1, v74
	v_xor_b32_e32 v34, v37, v34
	s_delay_alu instid0(VALU_DEP_3) | instskip(SKIP_2) | instid1(VALU_DEP_2)
	v_perm_b32 v38, v40, v73, 0x5040100
	s_wait_alu 0xfffd
	v_cndmask_b32_e64 v74, 0xffff8000, -1, vcc_lo
	v_xor_b32_e32 v33, v38, v35
	s_delay_alu instid0(VALU_DEP_2) | instskip(NEXT) | instid1(VALU_DEP_1)
	v_perm_b32 v39, v74, v75, 0x5040100
	v_xor_b32_e32 v35, v39, v36
	s_branch .LBB245_128
.LBB245_76:
	v_lshlrev_b64_e32 v[1:2], 3, v[41:42]
	v_dual_mov_b32 v43, v42 :: v_dual_mov_b32 v10, v42
	v_dual_mov_b32 v9, v42 :: v_dual_mov_b32 v12, v42
	v_mov_b32_e32 v11, v42
	s_wait_alu 0xfffe
	s_delay_alu instid0(VALU_DEP_4)
	v_add_co_u32 v1, vcc_lo, s24, v1
	s_wait_alu 0xfffd
	v_add_co_ci_u32_e64 v2, null, s25, v2, vcc_lo
	v_dual_mov_b32 v3, v42 :: v_dual_mov_b32 v6, v42
	v_dual_mov_b32 v5, v42 :: v_dual_mov_b32 v8, v42
	global_load_b64 v[13:14], v[1:2], off
	v_dual_mov_b32 v1, v42 :: v_dual_mov_b32 v4, v42
	v_dual_mov_b32 v2, v42 :: v_dual_mov_b32 v7, v42
	s_or_b32 exec_lo, exec_lo, s9
	s_and_saveexec_b32 s9, s1
	s_cbranch_execz .LBB245_22
.LBB245_77:
	v_mul_lo_u32 v22, s28, v15
	v_mov_b32_e32 v23, 0
	s_delay_alu instid0(VALU_DEP_1) | instskip(SKIP_1) | instid1(VALU_DEP_1)
	v_lshlrev_b64_e32 v[22:23], 3, v[22:23]
	s_wait_alu 0xfffe
	v_add_co_u32 v22, vcc_lo, s24, v22
	s_wait_alu 0xfffd
	s_delay_alu instid0(VALU_DEP_2)
	v_add_co_ci_u32_e64 v23, null, s25, v23, vcc_lo
	global_load_b64 v[42:43], v[22:23], off
	s_or_b32 exec_lo, exec_lo, s9
	s_and_saveexec_b32 s9, s2
	s_cbranch_execz .LBB245_23
.LBB245_78:
	v_mul_lo_u32 v9, s28, v16
	v_mov_b32_e32 v10, 0
	s_delay_alu instid0(VALU_DEP_1) | instskip(SKIP_1) | instid1(VALU_DEP_1)
	v_lshlrev_b64_e32 v[9:10], 3, v[9:10]
	s_wait_alu 0xfffe
	v_add_co_u32 v9, vcc_lo, s24, v9
	s_wait_alu 0xfffd
	s_delay_alu instid0(VALU_DEP_2)
	v_add_co_ci_u32_e64 v10, null, s25, v10, vcc_lo
	global_load_b64 v[9:10], v[9:10], off
	s_or_b32 exec_lo, exec_lo, s9
	s_and_saveexec_b32 s9, s3
	s_cbranch_execz .LBB245_24
.LBB245_79:
	v_mul_lo_u32 v11, s28, v17
	v_mov_b32_e32 v12, 0
	s_delay_alu instid0(VALU_DEP_1) | instskip(SKIP_1) | instid1(VALU_DEP_1)
	v_lshlrev_b64_e32 v[11:12], 3, v[11:12]
	s_wait_alu 0xfffe
	v_add_co_u32 v11, vcc_lo, s24, v11
	s_wait_alu 0xfffd
	s_delay_alu instid0(VALU_DEP_2)
	v_add_co_ci_u32_e64 v12, null, s25, v12, vcc_lo
	global_load_b64 v[11:12], v[11:12], off
	s_or_b32 exec_lo, exec_lo, s9
	s_and_saveexec_b32 s9, s4
	s_cbranch_execz .LBB245_25
.LBB245_80:
	v_mul_lo_u32 v1, s28, v18
	v_mov_b32_e32 v2, 0
	s_delay_alu instid0(VALU_DEP_1) | instskip(SKIP_1) | instid1(VALU_DEP_1)
	v_lshlrev_b64_e32 v[1:2], 3, v[1:2]
	s_wait_alu 0xfffe
	v_add_co_u32 v1, vcc_lo, s24, v1
	s_wait_alu 0xfffd
	s_delay_alu instid0(VALU_DEP_2)
	v_add_co_ci_u32_e64 v2, null, s25, v2, vcc_lo
	global_load_b64 v[1:2], v[1:2], off
	s_or_b32 exec_lo, exec_lo, s9
	s_and_saveexec_b32 s9, s5
	s_cbranch_execz .LBB245_26
.LBB245_81:
	v_mul_lo_u32 v3, s28, v19
	v_mov_b32_e32 v4, 0
	s_delay_alu instid0(VALU_DEP_1) | instskip(SKIP_1) | instid1(VALU_DEP_1)
	v_lshlrev_b64_e32 v[3:4], 3, v[3:4]
	s_wait_alu 0xfffe
	v_add_co_u32 v3, vcc_lo, s24, v3
	s_wait_alu 0xfffd
	s_delay_alu instid0(VALU_DEP_2)
	v_add_co_ci_u32_e64 v4, null, s25, v4, vcc_lo
	global_load_b64 v[3:4], v[3:4], off
	s_or_b32 exec_lo, exec_lo, s9
	s_and_saveexec_b32 s9, s6
	s_cbranch_execnz .LBB245_27
	s_branch .LBB245_28
.LBB245_82:
                                        ; implicit-def: $vgpr19_vgpr20
                                        ; implicit-def: $vgpr23_vgpr24
                                        ; implicit-def: $vgpr27_vgpr28
                                        ; implicit-def: $vgpr31_vgpr32
                                        ; implicit-def: $vgpr35
                                        ; implicit-def: $vgpr33
                                        ; implicit-def: $vgpr34
                                        ; implicit-def: $vgpr0
	s_cbranch_execz .LBB245_128
; %bb.83:
	v_lshrrev_b32_e32 v0, 16, v49
	v_cmp_gt_i16_e32 vcc_lo, 0, v49
	s_wait_dscnt 0x0
	v_lshrrev_b32_e32 v17, 16, v50
	v_lshrrev_b32_e32 v18, 16, v47
	v_lshrrev_b32_e32 v19, 16, v48
	v_or_b32_e32 v21, v69, v70
	s_wait_alu 0xfffd
	v_cndmask_b32_e64 v20, 0x7fff, 0, vcc_lo
	v_cmp_gt_i16_e32 vcc_lo, 0, v0
	v_and_or_b32 v36, 0x1f00, v66, v69
	s_mov_b32 s12, 0
	s_getpc_b64 s[8:9]
	s_sext_i32_i16 s9, s9
	s_add_co_u32 s8, s8, _ZN7rocprim17ROCPRIM_400000_NS16block_radix_sortI12hip_bfloat16Lj512ELj8ElLj1ELj1ELj0ELNS0_26block_radix_rank_algorithmE1ELNS0_18block_padding_hintE2ELNS0_4arch9wavefront6targetE0EE19radix_bits_per_passE@rel32@lo+8
	s_add_co_ci_u32 s9, s9, _ZN7rocprim17ROCPRIM_400000_NS16block_radix_sortI12hip_bfloat16Lj512ELj8ElLj1ELj1ELj0ELNS0_26block_radix_rank_algorithmE1ELNS0_18block_padding_hintE2ELNS0_4arch9wavefront6targetE0EE19radix_bits_per_passE@rel32@hi+16
	s_mov_b32 s13, s12
	s_wait_alu 0xfffd
	v_cndmask_b32_e64 v0, 0x7fff, 0, vcc_lo
	v_cmp_gt_i16_e32 vcc_lo, 0, v50
	s_mov_b32 s14, s12
	s_mov_b32 s15, s12
	v_lshlrev_b32_e32 v25, 1, v36
	v_perm_b32 v0, v0, v20, 0x5040100
	s_wait_alu 0xfffd
	v_cndmask_b32_e64 v22, 0x7fff, 0, vcc_lo
	v_cmp_gt_i16_e32 vcc_lo, 0, v17
	s_load_b32 s17, s[8:9], 0x0
	v_cndmask_b32_e64 v17, 0x7fff, 0, vcc_lo
	v_cmp_gt_i16_e32 vcc_lo, 0, v47
	s_delay_alu instid0(VALU_DEP_2)
	v_perm_b32 v20, v17, v22, 0x5040100
	s_wait_alu 0xfffd
	v_cndmask_b32_e64 v23, 0x7fff, 0, vcc_lo
	v_cmp_gt_i16_e32 vcc_lo, 0, v18
	v_xor_b32_e32 v17, v0, v49
	s_wait_alu 0xfffd
	v_cndmask_b32_e64 v18, 0x7fff, 0, vcc_lo
	v_cmp_gt_i16_e32 vcc_lo, 0, v48
	s_wait_kmcnt 0x0
	s_min_u32 s8, s17, 16
	s_delay_alu instid0(VALU_DEP_2)
	v_perm_b32 v22, v18, v23, 0x5040100
	s_wait_alu 0xfffd
	v_cndmask_b32_e64 v24, 0x7fff, 0, vcc_lo
	v_cmp_gt_i16_e32 vcc_lo, 0, v19
	v_lshlrev_b32_e32 v23, 4, v21
	v_xor_b32_e32 v18, v20, v50
	s_lshl_b32 s8, -1, s8
	s_wait_alu 0xfffd
	v_cndmask_b32_e64 v19, 0x7fff, 0, vcc_lo
	s_not_b32 s9, s8
	s_delay_alu instid0(VALU_DEP_1) | instskip(SKIP_1) | instid1(VALU_DEP_2)
	v_perm_b32 v24, v19, v24, 0x5040100
	v_xor_b32_e32 v19, v22, v47
	v_xor_b32_e32 v20, v24, v48
	ds_store_b128 v23, v[17:20]
	; wave barrier
	ds_load_u16 v26, v25
	ds_load_u16 v27, v25 offset:64
	ds_load_u16 v28, v25 offset:128
	;; [unrolled: 1-line block ×7, first 2 shown]
	s_wait_loadcnt_dscnt 0x0
	s_barrier_signal -1
	s_barrier_wait -1
	global_inv scope:SCOPE_SE
	v_cmp_ne_u16_e32 vcc_lo, 0x8000, v26
	s_wait_alu 0xfffd
	v_cndmask_b32_e32 v0, 0x7fff, v26, vcc_lo
	v_mad_u32_u24 v17, v21, 48, v23
	ds_store_b128 v17, v[13:16]
	ds_store_b128 v17, v[9:12] offset:16
	v_and_b32_e32 v0, 0xffff, v0
	ds_store_b128 v17, v[5:8] offset:32
	ds_store_b128 v17, v[1:4] offset:48
	v_mad_u32_u24 v12, v36, 6, v25
	; wave barrier
	v_and_b32_e32 v23, s9, v0
	ds_load_2addr_b64 v[8:11], v12 offset1:32
	ds_load_2addr_b64 v[0:3], v12 offset0:64 offset1:96
	v_and_b32_e32 v4, 1, v23
	v_lshlrev_b32_e32 v18, 30, v23
	v_lshlrev_b32_e32 v19, 29, v23
	;; [unrolled: 1-line block ×3, first 2 shown]
	s_delay_alu instid0(VALU_DEP_4)
	v_add_co_u32 v16, s8, v4, -1
	s_wait_alu 0xf1ff
	v_cndmask_b32_e64 v17, 0, 1, s8
	ds_load_2addr_b64 v[4:7], v12 offset0:128 offset1:160
	ds_load_2addr_b64 v[12:15], v12 offset0:192 offset1:224
	s_wait_loadcnt_dscnt 0x0
	s_barrier_signal -1
	v_cmp_ne_u32_e32 vcc_lo, 0, v17
	v_not_b32_e32 v17, v18
	s_barrier_wait -1
	global_inv scope:SCOPE_SE
	s_load_b32 s8, s[34:35], 0xc
	v_xor_b32_e32 v16, vcc_lo, v16
	v_cmp_gt_i32_e32 vcc_lo, 0, v18
	v_ashrrev_i32_e32 v17, 31, v17
	v_not_b32_e32 v18, v19
	s_delay_alu instid0(VALU_DEP_4) | instskip(SKIP_1) | instid1(VALU_DEP_3)
	v_and_b32_e32 v16, exec_lo, v16
	s_wait_alu 0xfffd
	v_xor_b32_e32 v17, vcc_lo, v17
	v_cmp_gt_i32_e32 vcc_lo, 0, v19
	v_ashrrev_i32_e32 v18, 31, v18
	v_not_b32_e32 v19, v20
	s_delay_alu instid0(VALU_DEP_4)
	v_and_b32_e32 v16, v16, v17
	v_lshlrev_b32_e32 v17, 27, v23
	s_wait_alu 0xfffd
	v_xor_b32_e32 v18, vcc_lo, v18
	v_cmp_gt_i32_e32 vcc_lo, 0, v20
	v_ashrrev_i32_e32 v19, 31, v19
	v_not_b32_e32 v20, v17
	s_delay_alu instid0(VALU_DEP_4)
	v_and_b32_e32 v16, v16, v18
	v_lshlrev_b32_e32 v18, 26, v23
	s_wait_alu 0xfffd
	v_xor_b32_e32 v19, vcc_lo, v19
	v_cmp_gt_i32_e32 vcc_lo, 0, v17
	v_ashrrev_i32_e32 v17, 31, v20
	s_wait_kmcnt 0x0
	s_lshr_b32 s10, s8, 16
	v_not_b32_e32 v20, v18
	v_and_b32_e32 v16, v16, v19
	v_lshlrev_b32_e32 v19, 25, v23
	s_wait_alu 0xfffd
	v_xor_b32_e32 v17, vcc_lo, v17
	v_cmp_gt_i32_e32 vcc_lo, 0, v18
	v_ashrrev_i32_e32 v18, 31, v20
	v_mad_u32_u24 v21, v72, s10, v71
	v_not_b32_e32 v20, v19
	v_and_b32_e32 v16, v16, v17
	v_lshlrev_b32_e32 v17, 24, v23
	s_wait_alu 0xfffd
	v_xor_b32_e32 v18, vcc_lo, v18
	v_cmp_gt_i32_e32 vcc_lo, 0, v19
	v_ashrrev_i32_e32 v19, 31, v20
	s_and_b32 s8, s8, 0xffff
	v_not_b32_e32 v20, v17
	v_and_b32_e32 v16, v16, v18
	s_wait_alu 0xfffe
	v_mad_co_u64_u32 v[21:22], null, v21, s8, v[46:47]
	s_wait_alu 0xfffd
	v_xor_b32_e32 v18, vcc_lo, v19
	v_cmp_gt_i32_e32 vcc_lo, 0, v17
	v_ashrrev_i32_e32 v17, 31, v20
	s_delay_alu instid0(VALU_DEP_3) | instskip(SKIP_2) | instid1(VALU_DEP_3)
	v_and_b32_e32 v16, v16, v18
	v_lshrrev_b32_e32 v21, 5, v21
	s_wait_alu 0xfffd
	v_xor_b32_e32 v22, vcc_lo, v17
	v_dual_mov_b32 v20, s15 :: v_dual_mov_b32 v19, s14
	v_dual_mov_b32 v18, s13 :: v_dual_mov_b32 v17, s12
	s_delay_alu instid0(VALU_DEP_3)
	v_and_b32_e32 v16, v16, v22
	ds_store_b128 v67, v[17:20] offset:64
	ds_store_b128 v67, v[17:20] offset:80
	v_mbcnt_lo_u32_b32 v38, v16, 0
	v_lshlrev_b32_e32 v24, 2, v21
	v_lshlrev_b32_e32 v17, 6, v23
	v_cmp_ne_u32_e64 s8, 0, v16
	s_wait_loadcnt_dscnt 0x0
	v_cmp_eq_u32_e32 vcc_lo, 0, v38
	s_barrier_signal -1
	v_add_nc_u32_e32 v39, v24, v17
	s_barrier_wait -1
	global_inv scope:SCOPE_SE
	s_and_b32 s10, s8, vcc_lo
	; wave barrier
	s_wait_alu 0xfffe
	s_and_saveexec_b32 s8, s10
; %bb.84:
	v_bcnt_u32_b32 v16, v16, 0
	ds_store_b32 v39, v16 offset:64
; %bb.85:
	s_wait_alu 0xfffe
	s_or_b32 exec_lo, exec_lo, s8
	v_cmp_ne_u16_e32 vcc_lo, 0x8000, v27
	; wave barrier
	s_wait_alu 0xfffd
	v_cndmask_b32_e32 v16, 0x7fff, v27, vcc_lo
	s_delay_alu instid0(VALU_DEP_1) | instskip(NEXT) | instid1(VALU_DEP_1)
	v_and_b32_e32 v16, 0xffff, v16
	v_and_b32_e32 v16, s9, v16
	s_delay_alu instid0(VALU_DEP_1)
	v_and_b32_e32 v17, 1, v16
	v_lshlrev_b32_e32 v18, 30, v16
	v_lshlrev_b32_e32 v19, 29, v16
	;; [unrolled: 1-line block ×4, first 2 shown]
	v_add_co_u32 v17, s8, v17, -1
	s_wait_alu 0xf1ff
	v_cndmask_b32_e64 v21, 0, 1, s8
	v_not_b32_e32 v35, v18
	v_cmp_gt_i32_e64 s8, 0, v18
	v_not_b32_e32 v18, v19
	v_lshlrev_b32_e32 v23, 26, v16
	v_cmp_ne_u32_e32 vcc_lo, 0, v21
	v_ashrrev_i32_e32 v35, 31, v35
	v_lshlrev_b32_e32 v34, 25, v16
	v_ashrrev_i32_e32 v18, 31, v18
	v_lshlrev_b32_e32 v21, 24, v16
	s_wait_alu 0xfffd
	v_xor_b32_e32 v17, vcc_lo, v17
	v_cmp_gt_i32_e32 vcc_lo, 0, v19
	v_not_b32_e32 v19, v20
	s_wait_alu 0xf1ff
	v_xor_b32_e32 v35, s8, v35
	v_cmp_gt_i32_e64 s8, 0, v20
	v_and_b32_e32 v17, exec_lo, v17
	v_not_b32_e32 v20, v22
	v_ashrrev_i32_e32 v19, 31, v19
	s_wait_alu 0xfffd
	v_xor_b32_e32 v18, vcc_lo, v18
	v_cmp_gt_i32_e32 vcc_lo, 0, v22
	v_and_b32_e32 v17, v17, v35
	v_not_b32_e32 v22, v23
	v_ashrrev_i32_e32 v20, 31, v20
	s_wait_alu 0xf1ff
	v_xor_b32_e32 v19, s8, v19
	v_cmp_gt_i32_e64 s8, 0, v23
	v_and_b32_e32 v17, v17, v18
	v_not_b32_e32 v18, v34
	v_ashrrev_i32_e32 v22, 31, v22
	s_wait_alu 0xfffd
	v_xor_b32_e32 v20, vcc_lo, v20
	v_cmp_gt_i32_e32 vcc_lo, 0, v34
	v_and_b32_e32 v17, v17, v19
	v_not_b32_e32 v19, v21
	v_ashrrev_i32_e32 v18, 31, v18
	s_wait_alu 0xf1ff
	v_xor_b32_e32 v22, s8, v22
	v_lshlrev_b32_e32 v16, 6, v16
	v_and_b32_e32 v17, v17, v20
	v_cmp_gt_i32_e64 s8, 0, v21
	v_ashrrev_i32_e32 v19, 31, v19
	s_wait_alu 0xfffd
	v_xor_b32_e32 v18, vcc_lo, v18
	v_add_nc_u32_e32 v48, v24, v16
	v_and_b32_e32 v17, v17, v22
	s_wait_alu 0xf1ff
	v_xor_b32_e32 v16, s8, v19
	ds_load_b32 v40, v48 offset:64
	v_and_b32_e32 v17, v17, v18
	; wave barrier
	s_delay_alu instid0(VALU_DEP_1) | instskip(NEXT) | instid1(VALU_DEP_1)
	v_and_b32_e32 v16, v17, v16
	v_mbcnt_lo_u32_b32 v47, v16, 0
	v_cmp_ne_u32_e64 s8, 0, v16
	s_delay_alu instid0(VALU_DEP_2)
	v_cmp_eq_u32_e32 vcc_lo, 0, v47
	s_and_b32 s10, s8, vcc_lo
	s_wait_alu 0xfffe
	s_and_saveexec_b32 s8, s10
	s_cbranch_execz .LBB245_87
; %bb.86:
	s_wait_dscnt 0x0
	v_bcnt_u32_b32 v16, v16, v40
	ds_store_b32 v48, v16 offset:64
.LBB245_87:
	s_wait_alu 0xfffe
	s_or_b32 exec_lo, exec_lo, s8
	v_cmp_ne_u16_e32 vcc_lo, 0x8000, v28
	; wave barrier
	s_wait_alu 0xfffd
	v_cndmask_b32_e32 v16, 0x7fff, v28, vcc_lo
	s_delay_alu instid0(VALU_DEP_1) | instskip(NEXT) | instid1(VALU_DEP_1)
	v_and_b32_e32 v16, 0xffff, v16
	v_and_b32_e32 v16, s9, v16
	s_delay_alu instid0(VALU_DEP_1)
	v_and_b32_e32 v17, 1, v16
	v_lshlrev_b32_e32 v18, 30, v16
	v_lshlrev_b32_e32 v19, 29, v16
	v_lshlrev_b32_e32 v20, 28, v16
	v_lshlrev_b32_e32 v22, 27, v16
	v_add_co_u32 v17, s8, v17, -1
	s_wait_alu 0xf1ff
	v_cndmask_b32_e64 v21, 0, 1, s8
	v_not_b32_e32 v35, v18
	v_cmp_gt_i32_e64 s8, 0, v18
	v_not_b32_e32 v18, v19
	v_lshlrev_b32_e32 v23, 26, v16
	v_cmp_ne_u32_e32 vcc_lo, 0, v21
	v_ashrrev_i32_e32 v35, 31, v35
	v_lshlrev_b32_e32 v34, 25, v16
	v_ashrrev_i32_e32 v18, 31, v18
	v_lshlrev_b32_e32 v21, 24, v16
	s_wait_alu 0xfffd
	v_xor_b32_e32 v17, vcc_lo, v17
	v_cmp_gt_i32_e32 vcc_lo, 0, v19
	v_not_b32_e32 v19, v20
	s_wait_alu 0xf1ff
	v_xor_b32_e32 v35, s8, v35
	v_cmp_gt_i32_e64 s8, 0, v20
	v_and_b32_e32 v17, exec_lo, v17
	v_not_b32_e32 v20, v22
	v_ashrrev_i32_e32 v19, 31, v19
	s_wait_alu 0xfffd
	v_xor_b32_e32 v18, vcc_lo, v18
	v_cmp_gt_i32_e32 vcc_lo, 0, v22
	v_and_b32_e32 v17, v17, v35
	v_not_b32_e32 v22, v23
	v_ashrrev_i32_e32 v20, 31, v20
	s_wait_alu 0xf1ff
	v_xor_b32_e32 v19, s8, v19
	v_cmp_gt_i32_e64 s8, 0, v23
	v_and_b32_e32 v17, v17, v18
	v_not_b32_e32 v18, v34
	v_ashrrev_i32_e32 v22, 31, v22
	s_wait_alu 0xfffd
	v_xor_b32_e32 v20, vcc_lo, v20
	v_cmp_gt_i32_e32 vcc_lo, 0, v34
	v_and_b32_e32 v17, v17, v19
	v_not_b32_e32 v19, v21
	v_ashrrev_i32_e32 v18, 31, v18
	s_wait_alu 0xf1ff
	v_xor_b32_e32 v22, s8, v22
	v_lshlrev_b32_e32 v16, 6, v16
	v_and_b32_e32 v17, v17, v20
	v_cmp_gt_i32_e64 s8, 0, v21
	v_ashrrev_i32_e32 v19, 31, v19
	s_wait_alu 0xfffd
	v_xor_b32_e32 v18, vcc_lo, v18
	v_add_nc_u32_e32 v71, v24, v16
	v_and_b32_e32 v17, v17, v22
	s_wait_alu 0xf1ff
	v_xor_b32_e32 v16, s8, v19
	ds_load_b32 v49, v71 offset:64
	v_and_b32_e32 v17, v17, v18
	; wave barrier
	s_delay_alu instid0(VALU_DEP_1) | instskip(NEXT) | instid1(VALU_DEP_1)
	v_and_b32_e32 v16, v17, v16
	v_mbcnt_lo_u32_b32 v50, v16, 0
	v_cmp_ne_u32_e64 s8, 0, v16
	s_delay_alu instid0(VALU_DEP_2)
	v_cmp_eq_u32_e32 vcc_lo, 0, v50
	s_and_b32 s10, s8, vcc_lo
	s_wait_alu 0xfffe
	s_and_saveexec_b32 s8, s10
	s_cbranch_execz .LBB245_89
; %bb.88:
	s_wait_dscnt 0x0
	v_bcnt_u32_b32 v16, v16, v49
	ds_store_b32 v71, v16 offset:64
.LBB245_89:
	s_wait_alu 0xfffe
	s_or_b32 exec_lo, exec_lo, s8
	v_cmp_ne_u16_e32 vcc_lo, 0x8000, v29
	; wave barrier
	s_wait_alu 0xfffd
	v_cndmask_b32_e32 v16, 0x7fff, v29, vcc_lo
	s_delay_alu instid0(VALU_DEP_1) | instskip(NEXT) | instid1(VALU_DEP_1)
	v_and_b32_e32 v16, 0xffff, v16
	v_and_b32_e32 v16, s9, v16
	s_delay_alu instid0(VALU_DEP_1)
	v_and_b32_e32 v17, 1, v16
	v_lshlrev_b32_e32 v18, 30, v16
	v_lshlrev_b32_e32 v19, 29, v16
	;; [unrolled: 1-line block ×4, first 2 shown]
	v_add_co_u32 v17, s8, v17, -1
	s_wait_alu 0xf1ff
	v_cndmask_b32_e64 v21, 0, 1, s8
	v_not_b32_e32 v35, v18
	v_cmp_gt_i32_e64 s8, 0, v18
	v_not_b32_e32 v18, v19
	v_lshlrev_b32_e32 v23, 26, v16
	v_cmp_ne_u32_e32 vcc_lo, 0, v21
	v_ashrrev_i32_e32 v35, 31, v35
	v_lshlrev_b32_e32 v34, 25, v16
	v_ashrrev_i32_e32 v18, 31, v18
	v_lshlrev_b32_e32 v21, 24, v16
	s_wait_alu 0xfffd
	v_xor_b32_e32 v17, vcc_lo, v17
	v_cmp_gt_i32_e32 vcc_lo, 0, v19
	v_not_b32_e32 v19, v20
	s_wait_alu 0xf1ff
	v_xor_b32_e32 v35, s8, v35
	v_cmp_gt_i32_e64 s8, 0, v20
	v_and_b32_e32 v17, exec_lo, v17
	v_not_b32_e32 v20, v22
	v_ashrrev_i32_e32 v19, 31, v19
	s_wait_alu 0xfffd
	v_xor_b32_e32 v18, vcc_lo, v18
	v_cmp_gt_i32_e32 vcc_lo, 0, v22
	v_and_b32_e32 v17, v17, v35
	v_not_b32_e32 v22, v23
	v_ashrrev_i32_e32 v20, 31, v20
	s_wait_alu 0xf1ff
	v_xor_b32_e32 v19, s8, v19
	v_cmp_gt_i32_e64 s8, 0, v23
	v_and_b32_e32 v17, v17, v18
	v_not_b32_e32 v18, v34
	v_ashrrev_i32_e32 v22, 31, v22
	s_wait_alu 0xfffd
	v_xor_b32_e32 v20, vcc_lo, v20
	v_cmp_gt_i32_e32 vcc_lo, 0, v34
	v_and_b32_e32 v17, v17, v19
	v_not_b32_e32 v19, v21
	v_ashrrev_i32_e32 v18, 31, v18
	s_wait_alu 0xf1ff
	v_xor_b32_e32 v22, s8, v22
	v_lshlrev_b32_e32 v16, 6, v16
	v_and_b32_e32 v17, v17, v20
	v_cmp_gt_i32_e64 s8, 0, v21
	v_ashrrev_i32_e32 v19, 31, v19
	s_wait_alu 0xfffd
	v_xor_b32_e32 v18, vcc_lo, v18
	v_add_nc_u32_e32 v74, v24, v16
	v_and_b32_e32 v17, v17, v22
	s_wait_alu 0xf1ff
	v_xor_b32_e32 v16, s8, v19
	ds_load_b32 v72, v74 offset:64
	v_and_b32_e32 v17, v17, v18
	; wave barrier
	s_delay_alu instid0(VALU_DEP_1) | instskip(NEXT) | instid1(VALU_DEP_1)
	v_and_b32_e32 v16, v17, v16
	v_mbcnt_lo_u32_b32 v73, v16, 0
	v_cmp_ne_u32_e64 s8, 0, v16
	s_delay_alu instid0(VALU_DEP_2)
	v_cmp_eq_u32_e32 vcc_lo, 0, v73
	s_and_b32 s10, s8, vcc_lo
	s_wait_alu 0xfffe
	s_and_saveexec_b32 s8, s10
	s_cbranch_execz .LBB245_91
; %bb.90:
	s_wait_dscnt 0x0
	v_bcnt_u32_b32 v16, v16, v72
	ds_store_b32 v74, v16 offset:64
.LBB245_91:
	s_wait_alu 0xfffe
	s_or_b32 exec_lo, exec_lo, s8
	v_cmp_ne_u16_e32 vcc_lo, 0x8000, v30
	; wave barrier
	s_wait_alu 0xfffd
	v_cndmask_b32_e32 v16, 0x7fff, v30, vcc_lo
	s_delay_alu instid0(VALU_DEP_1) | instskip(NEXT) | instid1(VALU_DEP_1)
	v_and_b32_e32 v16, 0xffff, v16
	v_and_b32_e32 v16, s9, v16
	s_delay_alu instid0(VALU_DEP_1)
	v_and_b32_e32 v17, 1, v16
	v_lshlrev_b32_e32 v18, 30, v16
	v_lshlrev_b32_e32 v19, 29, v16
	;; [unrolled: 1-line block ×4, first 2 shown]
	v_add_co_u32 v17, s8, v17, -1
	s_wait_alu 0xf1ff
	v_cndmask_b32_e64 v21, 0, 1, s8
	v_not_b32_e32 v35, v18
	v_cmp_gt_i32_e64 s8, 0, v18
	v_not_b32_e32 v18, v19
	v_lshlrev_b32_e32 v23, 26, v16
	v_cmp_ne_u32_e32 vcc_lo, 0, v21
	v_ashrrev_i32_e32 v35, 31, v35
	v_lshlrev_b32_e32 v34, 25, v16
	v_ashrrev_i32_e32 v18, 31, v18
	v_lshlrev_b32_e32 v21, 24, v16
	s_wait_alu 0xfffd
	v_xor_b32_e32 v17, vcc_lo, v17
	v_cmp_gt_i32_e32 vcc_lo, 0, v19
	v_not_b32_e32 v19, v20
	s_wait_alu 0xf1ff
	v_xor_b32_e32 v35, s8, v35
	v_cmp_gt_i32_e64 s8, 0, v20
	v_and_b32_e32 v17, exec_lo, v17
	v_not_b32_e32 v20, v22
	v_ashrrev_i32_e32 v19, 31, v19
	s_wait_alu 0xfffd
	v_xor_b32_e32 v18, vcc_lo, v18
	v_cmp_gt_i32_e32 vcc_lo, 0, v22
	v_and_b32_e32 v17, v17, v35
	v_not_b32_e32 v22, v23
	v_ashrrev_i32_e32 v20, 31, v20
	s_wait_alu 0xf1ff
	v_xor_b32_e32 v19, s8, v19
	v_cmp_gt_i32_e64 s8, 0, v23
	v_and_b32_e32 v17, v17, v18
	v_not_b32_e32 v18, v34
	v_ashrrev_i32_e32 v22, 31, v22
	s_wait_alu 0xfffd
	v_xor_b32_e32 v20, vcc_lo, v20
	v_cmp_gt_i32_e32 vcc_lo, 0, v34
	v_and_b32_e32 v17, v17, v19
	v_not_b32_e32 v19, v21
	v_ashrrev_i32_e32 v18, 31, v18
	s_wait_alu 0xf1ff
	v_xor_b32_e32 v22, s8, v22
	v_lshlrev_b32_e32 v16, 6, v16
	v_and_b32_e32 v17, v17, v20
	v_cmp_gt_i32_e64 s8, 0, v21
	v_ashrrev_i32_e32 v19, 31, v19
	s_wait_alu 0xfffd
	v_xor_b32_e32 v18, vcc_lo, v18
	v_add_nc_u32_e32 v77, v24, v16
	v_and_b32_e32 v17, v17, v22
	s_wait_alu 0xf1ff
	v_xor_b32_e32 v16, s8, v19
	ds_load_b32 v75, v77 offset:64
	v_and_b32_e32 v17, v17, v18
	; wave barrier
	s_delay_alu instid0(VALU_DEP_1) | instskip(NEXT) | instid1(VALU_DEP_1)
	v_and_b32_e32 v16, v17, v16
	v_mbcnt_lo_u32_b32 v76, v16, 0
	v_cmp_ne_u32_e64 s8, 0, v16
	s_delay_alu instid0(VALU_DEP_2)
	v_cmp_eq_u32_e32 vcc_lo, 0, v76
	s_and_b32 s10, s8, vcc_lo
	s_wait_alu 0xfffe
	s_and_saveexec_b32 s8, s10
	s_cbranch_execz .LBB245_93
; %bb.92:
	s_wait_dscnt 0x0
	v_bcnt_u32_b32 v16, v16, v75
	ds_store_b32 v77, v16 offset:64
.LBB245_93:
	s_wait_alu 0xfffe
	s_or_b32 exec_lo, exec_lo, s8
	v_cmp_ne_u16_e32 vcc_lo, 0x8000, v31
	; wave barrier
	s_wait_alu 0xfffd
	v_cndmask_b32_e32 v16, 0x7fff, v31, vcc_lo
	s_delay_alu instid0(VALU_DEP_1) | instskip(NEXT) | instid1(VALU_DEP_1)
	v_and_b32_e32 v16, 0xffff, v16
	v_and_b32_e32 v16, s9, v16
	s_delay_alu instid0(VALU_DEP_1)
	v_and_b32_e32 v17, 1, v16
	v_lshlrev_b32_e32 v18, 30, v16
	v_lshlrev_b32_e32 v19, 29, v16
	;; [unrolled: 1-line block ×4, first 2 shown]
	v_add_co_u32 v17, s8, v17, -1
	s_wait_alu 0xf1ff
	v_cndmask_b32_e64 v21, 0, 1, s8
	v_not_b32_e32 v35, v18
	v_cmp_gt_i32_e64 s8, 0, v18
	v_not_b32_e32 v18, v19
	v_lshlrev_b32_e32 v23, 26, v16
	v_cmp_ne_u32_e32 vcc_lo, 0, v21
	v_ashrrev_i32_e32 v35, 31, v35
	v_lshlrev_b32_e32 v34, 25, v16
	v_ashrrev_i32_e32 v18, 31, v18
	v_lshlrev_b32_e32 v21, 24, v16
	s_wait_alu 0xfffd
	v_xor_b32_e32 v17, vcc_lo, v17
	v_cmp_gt_i32_e32 vcc_lo, 0, v19
	v_not_b32_e32 v19, v20
	s_wait_alu 0xf1ff
	v_xor_b32_e32 v35, s8, v35
	v_cmp_gt_i32_e64 s8, 0, v20
	v_and_b32_e32 v17, exec_lo, v17
	v_not_b32_e32 v20, v22
	v_ashrrev_i32_e32 v19, 31, v19
	s_wait_alu 0xfffd
	v_xor_b32_e32 v18, vcc_lo, v18
	v_cmp_gt_i32_e32 vcc_lo, 0, v22
	v_and_b32_e32 v17, v17, v35
	v_not_b32_e32 v22, v23
	v_ashrrev_i32_e32 v20, 31, v20
	s_wait_alu 0xf1ff
	v_xor_b32_e32 v19, s8, v19
	v_cmp_gt_i32_e64 s8, 0, v23
	v_and_b32_e32 v17, v17, v18
	v_not_b32_e32 v18, v34
	v_ashrrev_i32_e32 v22, 31, v22
	s_wait_alu 0xfffd
	v_xor_b32_e32 v20, vcc_lo, v20
	v_cmp_gt_i32_e32 vcc_lo, 0, v34
	v_and_b32_e32 v17, v17, v19
	v_not_b32_e32 v19, v21
	v_ashrrev_i32_e32 v18, 31, v18
	s_wait_alu 0xf1ff
	v_xor_b32_e32 v22, s8, v22
	v_lshlrev_b32_e32 v16, 6, v16
	v_and_b32_e32 v17, v17, v20
	v_cmp_gt_i32_e64 s8, 0, v21
	v_ashrrev_i32_e32 v19, 31, v19
	s_wait_alu 0xfffd
	v_xor_b32_e32 v18, vcc_lo, v18
	v_add_nc_u32_e32 v80, v24, v16
	v_and_b32_e32 v17, v17, v22
	s_wait_alu 0xf1ff
	v_xor_b32_e32 v16, s8, v19
	ds_load_b32 v78, v80 offset:64
	v_and_b32_e32 v17, v17, v18
	; wave barrier
	s_delay_alu instid0(VALU_DEP_1) | instskip(NEXT) | instid1(VALU_DEP_1)
	v_and_b32_e32 v16, v17, v16
	v_mbcnt_lo_u32_b32 v79, v16, 0
	v_cmp_ne_u32_e64 s8, 0, v16
	s_delay_alu instid0(VALU_DEP_2)
	v_cmp_eq_u32_e32 vcc_lo, 0, v79
	s_and_b32 s10, s8, vcc_lo
	s_wait_alu 0xfffe
	s_and_saveexec_b32 s8, s10
	s_cbranch_execz .LBB245_95
; %bb.94:
	s_wait_dscnt 0x0
	v_bcnt_u32_b32 v16, v16, v78
	ds_store_b32 v80, v16 offset:64
.LBB245_95:
	s_wait_alu 0xfffe
	s_or_b32 exec_lo, exec_lo, s8
	v_cmp_ne_u16_e32 vcc_lo, 0x8000, v32
	; wave barrier
	s_wait_alu 0xfffd
	v_cndmask_b32_e32 v16, 0x7fff, v32, vcc_lo
	s_delay_alu instid0(VALU_DEP_1) | instskip(NEXT) | instid1(VALU_DEP_1)
	v_and_b32_e32 v16, 0xffff, v16
	v_and_b32_e32 v16, s9, v16
	s_delay_alu instid0(VALU_DEP_1)
	v_and_b32_e32 v17, 1, v16
	v_lshlrev_b32_e32 v18, 30, v16
	v_lshlrev_b32_e32 v19, 29, v16
	;; [unrolled: 1-line block ×4, first 2 shown]
	v_add_co_u32 v17, s8, v17, -1
	s_wait_alu 0xf1ff
	v_cndmask_b32_e64 v21, 0, 1, s8
	v_not_b32_e32 v35, v18
	v_cmp_gt_i32_e64 s8, 0, v18
	v_not_b32_e32 v18, v19
	v_lshlrev_b32_e32 v23, 26, v16
	v_cmp_ne_u32_e32 vcc_lo, 0, v21
	v_ashrrev_i32_e32 v35, 31, v35
	v_lshlrev_b32_e32 v34, 25, v16
	v_ashrrev_i32_e32 v18, 31, v18
	v_lshlrev_b32_e32 v21, 24, v16
	s_wait_alu 0xfffd
	v_xor_b32_e32 v17, vcc_lo, v17
	v_cmp_gt_i32_e32 vcc_lo, 0, v19
	v_not_b32_e32 v19, v20
	s_wait_alu 0xf1ff
	v_xor_b32_e32 v35, s8, v35
	v_cmp_gt_i32_e64 s8, 0, v20
	v_and_b32_e32 v17, exec_lo, v17
	v_not_b32_e32 v20, v22
	v_ashrrev_i32_e32 v19, 31, v19
	s_wait_alu 0xfffd
	v_xor_b32_e32 v18, vcc_lo, v18
	v_cmp_gt_i32_e32 vcc_lo, 0, v22
	v_and_b32_e32 v17, v17, v35
	v_not_b32_e32 v22, v23
	v_ashrrev_i32_e32 v20, 31, v20
	s_wait_alu 0xf1ff
	v_xor_b32_e32 v19, s8, v19
	v_cmp_gt_i32_e64 s8, 0, v23
	v_and_b32_e32 v17, v17, v18
	v_not_b32_e32 v18, v34
	v_ashrrev_i32_e32 v22, 31, v22
	s_wait_alu 0xfffd
	v_xor_b32_e32 v20, vcc_lo, v20
	v_cmp_gt_i32_e32 vcc_lo, 0, v34
	v_and_b32_e32 v17, v17, v19
	v_not_b32_e32 v19, v21
	v_ashrrev_i32_e32 v18, 31, v18
	s_wait_alu 0xf1ff
	v_xor_b32_e32 v22, s8, v22
	v_lshlrev_b32_e32 v16, 6, v16
	v_and_b32_e32 v17, v17, v20
	v_cmp_gt_i32_e64 s8, 0, v21
	v_ashrrev_i32_e32 v19, 31, v19
	s_wait_alu 0xfffd
	v_xor_b32_e32 v18, vcc_lo, v18
	v_add_nc_u32_e32 v83, v24, v16
	v_and_b32_e32 v17, v17, v22
	s_wait_alu 0xf1ff
	v_xor_b32_e32 v16, s8, v19
	ds_load_b32 v81, v83 offset:64
	v_and_b32_e32 v17, v17, v18
	; wave barrier
	s_delay_alu instid0(VALU_DEP_1) | instskip(NEXT) | instid1(VALU_DEP_1)
	v_and_b32_e32 v16, v17, v16
	v_mbcnt_lo_u32_b32 v82, v16, 0
	v_cmp_ne_u32_e64 s8, 0, v16
	s_delay_alu instid0(VALU_DEP_2)
	v_cmp_eq_u32_e32 vcc_lo, 0, v82
	s_and_b32 s10, s8, vcc_lo
	s_wait_alu 0xfffe
	s_and_saveexec_b32 s8, s10
	s_cbranch_execz .LBB245_97
; %bb.96:
	s_wait_dscnt 0x0
	v_bcnt_u32_b32 v16, v16, v81
	ds_store_b32 v83, v16 offset:64
.LBB245_97:
	s_wait_alu 0xfffe
	s_or_b32 exec_lo, exec_lo, s8
	v_cmp_ne_u16_e32 vcc_lo, 0x8000, v33
	; wave barrier
	s_wait_alu 0xfffd
	v_cndmask_b32_e32 v16, 0x7fff, v33, vcc_lo
	s_delay_alu instid0(VALU_DEP_1) | instskip(NEXT) | instid1(VALU_DEP_1)
	v_and_b32_e32 v16, 0xffff, v16
	v_and_b32_e32 v16, s9, v16
	s_delay_alu instid0(VALU_DEP_1)
	v_and_b32_e32 v17, 1, v16
	v_lshlrev_b32_e32 v18, 30, v16
	v_lshlrev_b32_e32 v19, 29, v16
	;; [unrolled: 1-line block ×4, first 2 shown]
	v_add_co_u32 v17, s8, v17, -1
	s_wait_alu 0xf1ff
	v_cndmask_b32_e64 v21, 0, 1, s8
	v_not_b32_e32 v35, v18
	v_cmp_gt_i32_e64 s8, 0, v18
	v_not_b32_e32 v18, v19
	v_lshlrev_b32_e32 v23, 26, v16
	v_cmp_ne_u32_e32 vcc_lo, 0, v21
	v_ashrrev_i32_e32 v35, 31, v35
	v_lshlrev_b32_e32 v34, 25, v16
	v_ashrrev_i32_e32 v18, 31, v18
	v_lshlrev_b32_e32 v21, 24, v16
	s_wait_alu 0xfffd
	v_xor_b32_e32 v17, vcc_lo, v17
	v_cmp_gt_i32_e32 vcc_lo, 0, v19
	v_not_b32_e32 v19, v20
	s_wait_alu 0xf1ff
	v_xor_b32_e32 v35, s8, v35
	v_cmp_gt_i32_e64 s8, 0, v20
	v_and_b32_e32 v17, exec_lo, v17
	v_not_b32_e32 v20, v22
	v_ashrrev_i32_e32 v19, 31, v19
	s_wait_alu 0xfffd
	v_xor_b32_e32 v18, vcc_lo, v18
	v_cmp_gt_i32_e32 vcc_lo, 0, v22
	v_and_b32_e32 v17, v17, v35
	v_not_b32_e32 v22, v23
	v_ashrrev_i32_e32 v20, 31, v20
	s_wait_alu 0xf1ff
	v_xor_b32_e32 v19, s8, v19
	v_cmp_gt_i32_e64 s8, 0, v23
	v_and_b32_e32 v17, v17, v18
	v_not_b32_e32 v18, v34
	v_ashrrev_i32_e32 v22, 31, v22
	s_wait_alu 0xfffd
	v_xor_b32_e32 v20, vcc_lo, v20
	v_cmp_gt_i32_e32 vcc_lo, 0, v34
	v_and_b32_e32 v17, v17, v19
	v_not_b32_e32 v19, v21
	v_ashrrev_i32_e32 v18, 31, v18
	s_wait_alu 0xf1ff
	v_xor_b32_e32 v22, s8, v22
	v_lshlrev_b32_e32 v16, 6, v16
	v_and_b32_e32 v17, v17, v20
	v_cmp_gt_i32_e64 s8, 0, v21
	v_ashrrev_i32_e32 v19, 31, v19
	s_wait_alu 0xfffd
	v_xor_b32_e32 v18, vcc_lo, v18
	v_add_nc_u32_e32 v86, v24, v16
	v_and_b32_e32 v17, v17, v22
	v_min_u32_e32 v34, 0x1e0, v70
	s_wait_alu 0xf1ff
	v_xor_b32_e32 v16, s8, v19
	ds_load_b32 v84, v86 offset:64
	v_and_b32_e32 v17, v17, v18
	; wave barrier
	s_delay_alu instid0(VALU_DEP_1) | instskip(NEXT) | instid1(VALU_DEP_1)
	v_and_b32_e32 v16, v17, v16
	v_mbcnt_lo_u32_b32 v85, v16, 0
	v_cmp_ne_u32_e64 s8, 0, v16
	s_delay_alu instid0(VALU_DEP_2)
	v_cmp_eq_u32_e32 vcc_lo, 0, v85
	s_and_b32 s9, s8, vcc_lo
	s_wait_alu 0xfffe
	s_and_saveexec_b32 s8, s9
	s_cbranch_execz .LBB245_99
; %bb.98:
	s_wait_dscnt 0x0
	v_bcnt_u32_b32 v16, v16, v84
	ds_store_b32 v86, v16 offset:64
.LBB245_99:
	s_wait_alu 0xfffe
	s_or_b32 exec_lo, exec_lo, s8
	; wave barrier
	s_wait_loadcnt_dscnt 0x0
	s_barrier_signal -1
	s_barrier_wait -1
	global_inv scope:SCOPE_SE
	ds_load_b128 v[20:23], v67 offset:64
	ds_load_b128 v[16:19], v67 offset:80
	v_and_b32_e32 v70, 16, v69
	v_or_b32_e32 v34, 31, v34
	s_delay_alu instid0(VALU_DEP_2) | instskip(NEXT) | instid1(VALU_DEP_2)
	v_cmp_eq_u32_e64 s15, 0, v70
	v_cmp_eq_u32_e64 s13, v46, v34
	s_wait_dscnt 0x1
	v_add_nc_u32_e32 v35, v21, v20
	s_delay_alu instid0(VALU_DEP_1) | instskip(SKIP_1) | instid1(VALU_DEP_1)
	v_add3_u32 v35, v35, v22, v23
	s_wait_dscnt 0x0
	v_add3_u32 v35, v35, v16, v17
	s_delay_alu instid0(VALU_DEP_1) | instskip(SKIP_1) | instid1(VALU_DEP_2)
	v_add3_u32 v19, v35, v18, v19
	v_and_b32_e32 v35, 15, v69
	v_mov_b32_dpp v37, v19 row_shr:1 row_mask:0xf bank_mask:0xf
	s_delay_alu instid0(VALU_DEP_2)
	v_cmp_eq_u32_e32 vcc_lo, 0, v35
	v_cmp_lt_u32_e64 s8, 1, v35
	v_cmp_lt_u32_e64 s9, 3, v35
	;; [unrolled: 1-line block ×3, first 2 shown]
	s_wait_alu 0xfffd
	v_cndmask_b32_e64 v37, v37, 0, vcc_lo
	s_delay_alu instid0(VALU_DEP_1) | instskip(NEXT) | instid1(VALU_DEP_1)
	v_add_nc_u32_e32 v19, v37, v19
	v_mov_b32_dpp v37, v19 row_shr:2 row_mask:0xf bank_mask:0xf
	s_wait_alu 0xf1ff
	s_delay_alu instid0(VALU_DEP_1) | instskip(NEXT) | instid1(VALU_DEP_1)
	v_cndmask_b32_e64 v37, 0, v37, s8
	v_add_nc_u32_e32 v19, v19, v37
	s_delay_alu instid0(VALU_DEP_1) | instskip(NEXT) | instid1(VALU_DEP_1)
	v_mov_b32_dpp v37, v19 row_shr:4 row_mask:0xf bank_mask:0xf
	v_cndmask_b32_e64 v37, 0, v37, s9
	s_delay_alu instid0(VALU_DEP_1) | instskip(NEXT) | instid1(VALU_DEP_1)
	v_add_nc_u32_e32 v19, v19, v37
	v_mov_b32_dpp v37, v19 row_shr:8 row_mask:0xf bank_mask:0xf
	s_delay_alu instid0(VALU_DEP_1) | instskip(NEXT) | instid1(VALU_DEP_1)
	v_cndmask_b32_e64 v35, 0, v37, s10
	v_add_nc_u32_e32 v37, v19, v35
	v_bfe_i32 v35, v69, 4, 1
	ds_swizzle_b32 v19, v37 offset:swizzle(BROADCAST,32,15)
	s_wait_dscnt 0x0
	v_and_b32_e32 v87, v35, v19
	v_mul_i32_i24_e32 v19, 0xffffffe4, v46
	v_lshlrev_b32_e32 v35, 2, v68
	s_delay_alu instid0(VALU_DEP_3)
	v_add_nc_u32_e32 v37, v37, v87
	s_and_saveexec_b32 s11, s13
; %bb.100:
	ds_store_b32 v35, v37
; %bb.101:
	s_wait_alu 0xfffe
	s_or_b32 exec_lo, exec_lo, s11
	v_cmp_gt_u32_e64 s12, 16, v46
	v_add_nc_u32_e32 v34, v67, v19
	s_wait_loadcnt_dscnt 0x0
	s_barrier_signal -1
	s_barrier_wait -1
	global_inv scope:SCOPE_SE
	s_and_saveexec_b32 s11, s12
	s_cbranch_execz .LBB245_103
; %bb.102:
	ds_load_b32 v19, v34
	s_wait_dscnt 0x0
	v_mov_b32_dpp v68, v19 row_shr:1 row_mask:0xf bank_mask:0xf
	s_delay_alu instid0(VALU_DEP_1) | instskip(NEXT) | instid1(VALU_DEP_1)
	v_cndmask_b32_e64 v68, v68, 0, vcc_lo
	v_add_nc_u32_e32 v19, v68, v19
	s_delay_alu instid0(VALU_DEP_1) | instskip(NEXT) | instid1(VALU_DEP_1)
	v_mov_b32_dpp v68, v19 row_shr:2 row_mask:0xf bank_mask:0xf
	v_cndmask_b32_e64 v68, 0, v68, s8
	s_delay_alu instid0(VALU_DEP_1) | instskip(NEXT) | instid1(VALU_DEP_1)
	v_add_nc_u32_e32 v19, v19, v68
	v_mov_b32_dpp v68, v19 row_shr:4 row_mask:0xf bank_mask:0xf
	s_delay_alu instid0(VALU_DEP_1) | instskip(NEXT) | instid1(VALU_DEP_1)
	v_cndmask_b32_e64 v68, 0, v68, s9
	v_add_nc_u32_e32 v19, v19, v68
	s_delay_alu instid0(VALU_DEP_1) | instskip(NEXT) | instid1(VALU_DEP_1)
	v_mov_b32_dpp v68, v19 row_shr:8 row_mask:0xf bank_mask:0xf
	v_cndmask_b32_e64 v68, 0, v68, s10
	s_delay_alu instid0(VALU_DEP_1)
	v_add_nc_u32_e32 v19, v19, v68
	ds_store_b32 v34, v19
.LBB245_103:
	s_wait_alu 0xfffe
	s_or_b32 exec_lo, exec_lo, s11
	v_mul_u32_u24_e32 v19, 6, v36
	v_sub_co_u32 v68, s11, v69, 1
	v_cmp_lt_u32_e64 s14, 31, v46
	v_add_nc_u32_e32 v36, -4, v35
	v_mov_b32_e32 v70, 0
	s_wait_loadcnt_dscnt 0x0
	s_barrier_signal -1
	s_barrier_wait -1
	global_inv scope:SCOPE_SE
	s_and_saveexec_b32 s16, s14
; %bb.104:
	ds_load_b32 v70, v36
; %bb.105:
	s_or_b32 exec_lo, exec_lo, s16
	v_cmp_gt_i32_e64 s16, 0, v68
	s_mov_b32 s20, 0
	s_min_u32 s17, s17, 8
	s_mov_b32 s21, s20
	s_mov_b32 s22, s20
	v_cndmask_b32_e64 v68, v68, v69, s16
	s_mov_b32 s23, s20
	s_wait_dscnt 0x0
	v_add_nc_u32_e32 v69, v70, v37
	v_cmp_eq_u32_e64 s16, 0, v46
	s_lshl_b32 s17, -1, s17
	v_lshlrev_b32_e32 v37, 2, v68
	s_wait_alu 0xfffe
	s_not_b32 s19, s17
	ds_bpermute_b32 v68, v37, v69
	s_wait_dscnt 0x0
	v_cndmask_b32_e64 v68, v68, v70, s11
	s_delay_alu instid0(VALU_DEP_1) | instskip(NEXT) | instid1(VALU_DEP_1)
	v_cndmask_b32_e64 v87, v68, 0, s16
	v_add_nc_u32_e32 v88, v87, v20
	s_delay_alu instid0(VALU_DEP_1) | instskip(NEXT) | instid1(VALU_DEP_1)
	v_add_nc_u32_e32 v89, v88, v21
	v_add_nc_u32_e32 v90, v89, v22
	s_delay_alu instid0(VALU_DEP_1) | instskip(NEXT) | instid1(VALU_DEP_1)
	v_add_nc_u32_e32 v20, v90, v23
	;; [unrolled: 3-line block ×3, first 2 shown]
	v_add_nc_u32_e32 v23, v22, v18
	ds_store_b128 v67, v[87:90] offset:64
	ds_store_b128 v67, v[20:23] offset:80
	s_wait_loadcnt_dscnt 0x0
	s_barrier_signal -1
	s_barrier_wait -1
	global_inv scope:SCOPE_SE
	ds_load_b32 v16, v39 offset:64
	ds_load_b32 v17, v48 offset:64
	;; [unrolled: 1-line block ×8, first 2 shown]
	v_add_nc_u32_e32 v48, v25, v19
	s_wait_loadcnt_dscnt 0x0
	s_barrier_signal -1
	s_barrier_wait -1
	global_inv scope:SCOPE_SE
	v_add_nc_u32_e32 v38, v16, v38
	v_add3_u32 v40, v47, v40, v17
	v_add3_u32 v47, v50, v49, v18
	;; [unrolled: 1-line block ×7, first 2 shown]
	v_lshlrev_b32_e32 v16, 1, v38
	v_lshlrev_b32_e32 v17, 1, v40
	;; [unrolled: 1-line block ×8, first 2 shown]
	ds_store_b16 v16, v26
	ds_store_b16 v17, v27
	;; [unrolled: 1-line block ×8, first 2 shown]
	s_wait_loadcnt_dscnt 0x0
	s_barrier_signal -1
	s_barrier_wait -1
	global_inv scope:SCOPE_SE
	ds_load_u16 v26, v25
	ds_load_u16 v27, v25 offset:64
	ds_load_u16 v28, v25 offset:128
	;; [unrolled: 1-line block ×7, first 2 shown]
	v_mad_co_u64_u32 v[38:39], null, v38, 6, v[16:17]
	v_mad_co_u64_u32 v[16:17], null, v40, 6, v[17:18]
	;; [unrolled: 1-line block ×3, first 2 shown]
	s_wait_loadcnt_dscnt 0x0
	s_barrier_signal -1
	s_barrier_wait -1
	global_inv scope:SCOPE_SE
	v_mad_co_u64_u32 v[18:19], null, v49, 6, v[19:20]
	v_lshrrev_b16 v33, 8, v26
	v_cmp_ne_u16_e64 s17, 0x8000, v26
	ds_store_b64 v38, v[8:9]
	v_mad_co_u64_u32 v[19:20], null, v50, 6, v[20:21]
	v_mad_co_u64_u32 v[20:21], null, v68, 6, v[21:22]
	s_wait_alu 0xf1ff
	v_cndmask_b32_e64 v33, 0x7f, v33, s17
	v_mad_co_u64_u32 v[21:22], null, v69, 6, v[22:23]
	v_mad_co_u64_u32 v[22:23], null, v70, 6, v[23:24]
	s_delay_alu instid0(VALU_DEP_3)
	v_and_b32_e32 v8, 0xffff, v33
	ds_store_b64 v16, v[10:11]
	ds_store_b64 v17, v[0:1]
	ds_store_b64 v18, v[2:3]
	ds_store_b64 v19, v[4:5]
	ds_store_b64 v20, v[6:7]
	ds_store_b64 v21, v[12:13]
	ds_store_b64 v22, v[14:15]
	s_wait_alu 0xfffe
	v_and_b32_e32 v23, s19, v8
	s_wait_loadcnt_dscnt 0x0
	s_barrier_signal -1
	s_barrier_wait -1
	global_inv scope:SCOPE_SE
	v_and_b32_e32 v0, 1, v23
	v_lshlrev_b32_e32 v1, 30, v23
	v_lshlrev_b32_e32 v2, 29, v23
	;; [unrolled: 1-line block ×4, first 2 shown]
	v_add_co_u32 v0, s17, v0, -1
	s_wait_alu 0xf1ff
	v_cndmask_b32_e64 v4, 0, 1, s17
	v_not_b32_e32 v8, v1
	v_cmp_gt_i32_e64 s18, 0, v1
	v_not_b32_e32 v1, v2
	v_lshlrev_b32_e32 v6, 26, v23
	v_cmp_ne_u32_e64 s17, 0, v4
	v_ashrrev_i32_e32 v8, 31, v8
	v_lshlrev_b32_e32 v7, 25, v23
	v_ashrrev_i32_e32 v1, 31, v1
	v_lshlrev_b32_e32 v4, 24, v23
	s_wait_alu 0xf1ff
	v_xor_b32_e32 v0, s17, v0
	v_cmp_gt_i32_e64 s17, 0, v2
	v_not_b32_e32 v2, v3
	v_xor_b32_e32 v8, s18, v8
	v_cmp_gt_i32_e64 s18, 0, v3
	v_and_b32_e32 v0, exec_lo, v0
	v_not_b32_e32 v3, v5
	v_ashrrev_i32_e32 v2, 31, v2
	s_wait_alu 0xf1ff
	v_xor_b32_e32 v1, s17, v1
	v_cmp_gt_i32_e64 s17, 0, v5
	v_and_b32_e32 v0, v0, v8
	v_not_b32_e32 v5, v6
	v_ashrrev_i32_e32 v3, 31, v3
	v_xor_b32_e32 v2, s18, v2
	v_cmp_gt_i32_e64 s18, 0, v6
	v_and_b32_e32 v0, v0, v1
	v_not_b32_e32 v1, v7
	v_ashrrev_i32_e32 v5, 31, v5
	s_wait_alu 0xf1ff
	v_xor_b32_e32 v3, s17, v3
	v_cmp_gt_i32_e64 s17, 0, v7
	v_and_b32_e32 v0, v0, v2
	v_not_b32_e32 v2, v4
	v_ashrrev_i32_e32 v1, 31, v1
	v_xor_b32_e32 v5, s18, v5
	v_cmp_gt_i32_e64 s18, 0, v4
	v_and_b32_e32 v0, v0, v3
	v_ashrrev_i32_e32 v2, 31, v2
	s_wait_alu 0xf1ff
	v_xor_b32_e32 v1, s17, v1
	v_dual_mov_b32 v17, s20 :: v_dual_mov_b32 v18, s21
	v_and_b32_e32 v0, v0, v5
	v_xor_b32_e32 v16, s18, v2
	ds_load_2addr_b64 v[4:7], v48 offset1:32
	v_dual_mov_b32 v19, s22 :: v_dual_mov_b32 v20, s23
	v_and_b32_e32 v21, v0, v1
	ds_load_2addr_b64 v[12:15], v48 offset0:64 offset1:96
	ds_load_2addr_b64 v[8:11], v48 offset0:128 offset1:160
	;; [unrolled: 1-line block ×3, first 2 shown]
	v_lshl_add_u32 v38, v23, 6, v24
	s_wait_loadcnt_dscnt 0x0
	s_barrier_signal -1
	v_and_b32_e32 v16, v21, v16
	s_barrier_wait -1
	global_inv scope:SCOPE_SE
	ds_store_b128 v67, v[17:20] offset:64
	ds_store_b128 v67, v[17:20] offset:80
	s_wait_loadcnt_dscnt 0x0
	v_mbcnt_lo_u32_b32 v33, v16, 0
	v_cmp_ne_u32_e64 s18, 0, v16
	s_barrier_signal -1
	s_barrier_wait -1
	global_inv scope:SCOPE_SE
	v_cmp_eq_u32_e64 s17, 0, v33
	; wave barrier
	s_and_b32 s18, s18, s17
	s_wait_alu 0xfffe
	s_and_saveexec_b32 s17, s18
; %bb.106:
	v_bcnt_u32_b32 v16, v16, 0
	ds_store_b32 v38, v16 offset:64
; %bb.107:
	s_wait_alu 0xfffe
	s_or_b32 exec_lo, exec_lo, s17
	v_lshrrev_b16 v16, 8, v27
	v_cmp_ne_u16_e64 s17, 0x8000, v27
	; wave barrier
	s_wait_alu 0xf1ff
	s_delay_alu instid0(VALU_DEP_1) | instskip(NEXT) | instid1(VALU_DEP_1)
	v_cndmask_b32_e64 v16, 0x7f, v16, s17
	v_and_b32_e32 v16, s19, v16
	s_delay_alu instid0(VALU_DEP_1)
	v_and_b32_e32 v17, 1, v16
	v_lshlrev_b32_e32 v18, 30, v16
	v_lshlrev_b32_e32 v19, 29, v16
	;; [unrolled: 1-line block ×4, first 2 shown]
	v_add_co_u32 v17, s17, v17, -1
	s_wait_alu 0xf1ff
	v_cndmask_b32_e64 v21, 0, 1, s17
	v_not_b32_e32 v40, v18
	v_cmp_gt_i32_e64 s18, 0, v18
	v_not_b32_e32 v18, v19
	v_lshlrev_b32_e32 v23, 26, v16
	v_cmp_ne_u32_e64 s17, 0, v21
	v_ashrrev_i32_e32 v40, 31, v40
	v_lshlrev_b32_e32 v39, 25, v16
	v_ashrrev_i32_e32 v18, 31, v18
	v_lshlrev_b32_e32 v21, 24, v16
	s_wait_alu 0xf1ff
	v_xor_b32_e32 v17, s17, v17
	v_cmp_gt_i32_e64 s17, 0, v19
	v_not_b32_e32 v19, v20
	v_xor_b32_e32 v40, s18, v40
	v_cmp_gt_i32_e64 s18, 0, v20
	v_and_b32_e32 v17, exec_lo, v17
	v_not_b32_e32 v20, v22
	v_ashrrev_i32_e32 v19, 31, v19
	s_wait_alu 0xf1ff
	v_xor_b32_e32 v18, s17, v18
	v_cmp_gt_i32_e64 s17, 0, v22
	v_and_b32_e32 v17, v17, v40
	v_not_b32_e32 v22, v23
	v_ashrrev_i32_e32 v20, 31, v20
	v_xor_b32_e32 v19, s18, v19
	v_cmp_gt_i32_e64 s18, 0, v23
	v_and_b32_e32 v17, v17, v18
	v_not_b32_e32 v18, v39
	v_ashrrev_i32_e32 v22, 31, v22
	s_wait_alu 0xf1ff
	v_xor_b32_e32 v20, s17, v20
	v_cmp_gt_i32_e64 s17, 0, v39
	v_and_b32_e32 v17, v17, v19
	v_not_b32_e32 v19, v21
	v_ashrrev_i32_e32 v18, 31, v18
	v_xor_b32_e32 v22, s18, v22
	v_cmp_gt_i32_e64 s18, 0, v21
	v_and_b32_e32 v17, v17, v20
	v_ashrrev_i32_e32 v19, 31, v19
	s_wait_alu 0xf1ff
	v_xor_b32_e32 v18, s17, v18
	v_lshl_add_u32 v47, v16, 6, v24
	v_and_b32_e32 v17, v17, v22
	v_xor_b32_e32 v16, s18, v19
	ds_load_b32 v39, v47 offset:64
	v_and_b32_e32 v17, v17, v18
	; wave barrier
	s_delay_alu instid0(VALU_DEP_1) | instskip(NEXT) | instid1(VALU_DEP_1)
	v_and_b32_e32 v16, v17, v16
	v_mbcnt_lo_u32_b32 v40, v16, 0
	v_cmp_ne_u32_e64 s18, 0, v16
	s_delay_alu instid0(VALU_DEP_2)
	v_cmp_eq_u32_e64 s17, 0, v40
	s_and_b32 s18, s18, s17
	s_wait_alu 0xfffe
	s_and_saveexec_b32 s17, s18
	s_cbranch_execz .LBB245_109
; %bb.108:
	s_wait_dscnt 0x0
	v_bcnt_u32_b32 v16, v16, v39
	ds_store_b32 v47, v16 offset:64
.LBB245_109:
	s_wait_alu 0xfffe
	s_or_b32 exec_lo, exec_lo, s17
	v_lshrrev_b16 v16, 8, v28
	v_cmp_ne_u16_e64 s17, 0x8000, v28
	; wave barrier
	s_wait_alu 0xf1ff
	s_delay_alu instid0(VALU_DEP_1) | instskip(NEXT) | instid1(VALU_DEP_1)
	v_cndmask_b32_e64 v16, 0x7f, v16, s17
	v_and_b32_e32 v16, s19, v16
	s_delay_alu instid0(VALU_DEP_1)
	v_and_b32_e32 v17, 1, v16
	v_lshlrev_b32_e32 v18, 30, v16
	v_lshlrev_b32_e32 v19, 29, v16
	v_lshlrev_b32_e32 v20, 28, v16
	v_lshlrev_b32_e32 v22, 27, v16
	v_add_co_u32 v17, s17, v17, -1
	s_wait_alu 0xf1ff
	v_cndmask_b32_e64 v21, 0, 1, s17
	v_not_b32_e32 v49, v18
	v_cmp_gt_i32_e64 s18, 0, v18
	v_not_b32_e32 v18, v19
	v_lshlrev_b32_e32 v23, 26, v16
	v_cmp_ne_u32_e64 s17, 0, v21
	v_ashrrev_i32_e32 v49, 31, v49
	v_lshlrev_b32_e32 v48, 25, v16
	v_ashrrev_i32_e32 v18, 31, v18
	v_lshlrev_b32_e32 v21, 24, v16
	s_wait_alu 0xf1ff
	v_xor_b32_e32 v17, s17, v17
	v_cmp_gt_i32_e64 s17, 0, v19
	v_not_b32_e32 v19, v20
	v_xor_b32_e32 v49, s18, v49
	v_cmp_gt_i32_e64 s18, 0, v20
	v_and_b32_e32 v17, exec_lo, v17
	v_not_b32_e32 v20, v22
	v_ashrrev_i32_e32 v19, 31, v19
	s_wait_alu 0xf1ff
	v_xor_b32_e32 v18, s17, v18
	v_cmp_gt_i32_e64 s17, 0, v22
	v_and_b32_e32 v17, v17, v49
	v_not_b32_e32 v22, v23
	v_ashrrev_i32_e32 v20, 31, v20
	v_xor_b32_e32 v19, s18, v19
	v_cmp_gt_i32_e64 s18, 0, v23
	v_and_b32_e32 v17, v17, v18
	v_not_b32_e32 v18, v48
	v_ashrrev_i32_e32 v22, 31, v22
	s_wait_alu 0xf1ff
	v_xor_b32_e32 v20, s17, v20
	v_cmp_gt_i32_e64 s17, 0, v48
	v_and_b32_e32 v17, v17, v19
	v_not_b32_e32 v19, v21
	v_ashrrev_i32_e32 v18, 31, v18
	v_xor_b32_e32 v22, s18, v22
	v_cmp_gt_i32_e64 s18, 0, v21
	v_and_b32_e32 v17, v17, v20
	v_ashrrev_i32_e32 v19, 31, v19
	s_wait_alu 0xf1ff
	v_xor_b32_e32 v18, s17, v18
	v_lshl_add_u32 v50, v16, 6, v24
	v_and_b32_e32 v17, v17, v22
	v_xor_b32_e32 v16, s18, v19
	ds_load_b32 v48, v50 offset:64
	v_and_b32_e32 v17, v17, v18
	; wave barrier
	s_delay_alu instid0(VALU_DEP_1) | instskip(NEXT) | instid1(VALU_DEP_1)
	v_and_b32_e32 v16, v17, v16
	v_mbcnt_lo_u32_b32 v49, v16, 0
	v_cmp_ne_u32_e64 s18, 0, v16
	s_delay_alu instid0(VALU_DEP_2)
	v_cmp_eq_u32_e64 s17, 0, v49
	s_and_b32 s18, s18, s17
	s_wait_alu 0xfffe
	s_and_saveexec_b32 s17, s18
	s_cbranch_execz .LBB245_111
; %bb.110:
	s_wait_dscnt 0x0
	v_bcnt_u32_b32 v16, v16, v48
	ds_store_b32 v50, v16 offset:64
.LBB245_111:
	s_wait_alu 0xfffe
	s_or_b32 exec_lo, exec_lo, s17
	v_lshrrev_b16 v16, 8, v29
	v_cmp_ne_u16_e64 s17, 0x8000, v29
	; wave barrier
	s_wait_alu 0xf1ff
	s_delay_alu instid0(VALU_DEP_1) | instskip(NEXT) | instid1(VALU_DEP_1)
	v_cndmask_b32_e64 v16, 0x7f, v16, s17
	v_and_b32_e32 v16, s19, v16
	s_delay_alu instid0(VALU_DEP_1)
	v_and_b32_e32 v17, 1, v16
	v_lshlrev_b32_e32 v18, 30, v16
	v_lshlrev_b32_e32 v19, 29, v16
	;; [unrolled: 1-line block ×4, first 2 shown]
	v_add_co_u32 v17, s17, v17, -1
	s_wait_alu 0xf1ff
	v_cndmask_b32_e64 v21, 0, 1, s17
	v_not_b32_e32 v69, v18
	v_cmp_gt_i32_e64 s18, 0, v18
	v_not_b32_e32 v18, v19
	v_lshlrev_b32_e32 v23, 26, v16
	v_cmp_ne_u32_e64 s17, 0, v21
	v_ashrrev_i32_e32 v69, 31, v69
	v_lshlrev_b32_e32 v68, 25, v16
	v_ashrrev_i32_e32 v18, 31, v18
	v_lshlrev_b32_e32 v21, 24, v16
	s_wait_alu 0xf1ff
	v_xor_b32_e32 v17, s17, v17
	v_cmp_gt_i32_e64 s17, 0, v19
	v_not_b32_e32 v19, v20
	v_xor_b32_e32 v69, s18, v69
	v_cmp_gt_i32_e64 s18, 0, v20
	v_and_b32_e32 v17, exec_lo, v17
	v_not_b32_e32 v20, v22
	v_ashrrev_i32_e32 v19, 31, v19
	s_wait_alu 0xf1ff
	v_xor_b32_e32 v18, s17, v18
	v_cmp_gt_i32_e64 s17, 0, v22
	v_and_b32_e32 v17, v17, v69
	v_not_b32_e32 v22, v23
	v_ashrrev_i32_e32 v20, 31, v20
	v_xor_b32_e32 v19, s18, v19
	v_cmp_gt_i32_e64 s18, 0, v23
	v_and_b32_e32 v17, v17, v18
	v_not_b32_e32 v18, v68
	v_ashrrev_i32_e32 v22, 31, v22
	s_wait_alu 0xf1ff
	v_xor_b32_e32 v20, s17, v20
	v_cmp_gt_i32_e64 s17, 0, v68
	v_and_b32_e32 v17, v17, v19
	v_not_b32_e32 v19, v21
	v_ashrrev_i32_e32 v18, 31, v18
	v_xor_b32_e32 v22, s18, v22
	v_cmp_gt_i32_e64 s18, 0, v21
	v_and_b32_e32 v17, v17, v20
	v_ashrrev_i32_e32 v19, 31, v19
	s_wait_alu 0xf1ff
	v_xor_b32_e32 v18, s17, v18
	v_lshl_add_u32 v70, v16, 6, v24
	v_and_b32_e32 v17, v17, v22
	v_xor_b32_e32 v16, s18, v19
	ds_load_b32 v68, v70 offset:64
	v_and_b32_e32 v17, v17, v18
	; wave barrier
	s_delay_alu instid0(VALU_DEP_1) | instskip(NEXT) | instid1(VALU_DEP_1)
	v_and_b32_e32 v16, v17, v16
	v_mbcnt_lo_u32_b32 v69, v16, 0
	v_cmp_ne_u32_e64 s18, 0, v16
	s_delay_alu instid0(VALU_DEP_2)
	v_cmp_eq_u32_e64 s17, 0, v69
	s_and_b32 s18, s18, s17
	s_wait_alu 0xfffe
	s_and_saveexec_b32 s17, s18
	s_cbranch_execz .LBB245_113
; %bb.112:
	s_wait_dscnt 0x0
	v_bcnt_u32_b32 v16, v16, v68
	ds_store_b32 v70, v16 offset:64
.LBB245_113:
	s_wait_alu 0xfffe
	s_or_b32 exec_lo, exec_lo, s17
	v_lshrrev_b16 v16, 8, v30
	v_cmp_ne_u16_e64 s17, 0x8000, v30
	; wave barrier
	s_wait_alu 0xf1ff
	s_delay_alu instid0(VALU_DEP_1) | instskip(NEXT) | instid1(VALU_DEP_1)
	v_cndmask_b32_e64 v16, 0x7f, v16, s17
	v_and_b32_e32 v16, s19, v16
	s_delay_alu instid0(VALU_DEP_1)
	v_and_b32_e32 v17, 1, v16
	v_lshlrev_b32_e32 v18, 30, v16
	v_lshlrev_b32_e32 v19, 29, v16
	;; [unrolled: 1-line block ×4, first 2 shown]
	v_add_co_u32 v17, s17, v17, -1
	s_wait_alu 0xf1ff
	v_cndmask_b32_e64 v21, 0, 1, s17
	v_not_b32_e32 v72, v18
	v_cmp_gt_i32_e64 s18, 0, v18
	v_not_b32_e32 v18, v19
	v_lshlrev_b32_e32 v23, 26, v16
	v_cmp_ne_u32_e64 s17, 0, v21
	v_ashrrev_i32_e32 v72, 31, v72
	v_lshlrev_b32_e32 v71, 25, v16
	v_ashrrev_i32_e32 v18, 31, v18
	v_lshlrev_b32_e32 v21, 24, v16
	s_wait_alu 0xf1ff
	v_xor_b32_e32 v17, s17, v17
	v_cmp_gt_i32_e64 s17, 0, v19
	v_not_b32_e32 v19, v20
	v_xor_b32_e32 v72, s18, v72
	v_cmp_gt_i32_e64 s18, 0, v20
	v_and_b32_e32 v17, exec_lo, v17
	v_not_b32_e32 v20, v22
	v_ashrrev_i32_e32 v19, 31, v19
	s_wait_alu 0xf1ff
	v_xor_b32_e32 v18, s17, v18
	v_cmp_gt_i32_e64 s17, 0, v22
	v_and_b32_e32 v17, v17, v72
	v_not_b32_e32 v22, v23
	v_ashrrev_i32_e32 v20, 31, v20
	v_xor_b32_e32 v19, s18, v19
	v_cmp_gt_i32_e64 s18, 0, v23
	v_and_b32_e32 v17, v17, v18
	v_not_b32_e32 v18, v71
	v_ashrrev_i32_e32 v22, 31, v22
	s_wait_alu 0xf1ff
	v_xor_b32_e32 v20, s17, v20
	v_cmp_gt_i32_e64 s17, 0, v71
	v_and_b32_e32 v17, v17, v19
	v_not_b32_e32 v19, v21
	v_ashrrev_i32_e32 v18, 31, v18
	v_xor_b32_e32 v22, s18, v22
	v_cmp_gt_i32_e64 s18, 0, v21
	v_and_b32_e32 v17, v17, v20
	v_ashrrev_i32_e32 v19, 31, v19
	s_wait_alu 0xf1ff
	v_xor_b32_e32 v18, s17, v18
	v_lshl_add_u32 v73, v16, 6, v24
	v_and_b32_e32 v17, v17, v22
	v_xor_b32_e32 v16, s18, v19
	ds_load_b32 v71, v73 offset:64
	v_and_b32_e32 v17, v17, v18
	; wave barrier
	s_delay_alu instid0(VALU_DEP_1) | instskip(NEXT) | instid1(VALU_DEP_1)
	v_and_b32_e32 v16, v17, v16
	v_mbcnt_lo_u32_b32 v72, v16, 0
	v_cmp_ne_u32_e64 s18, 0, v16
	s_delay_alu instid0(VALU_DEP_2)
	v_cmp_eq_u32_e64 s17, 0, v72
	s_and_b32 s18, s18, s17
	s_wait_alu 0xfffe
	s_and_saveexec_b32 s17, s18
	s_cbranch_execz .LBB245_115
; %bb.114:
	s_wait_dscnt 0x0
	v_bcnt_u32_b32 v16, v16, v71
	ds_store_b32 v73, v16 offset:64
.LBB245_115:
	s_wait_alu 0xfffe
	s_or_b32 exec_lo, exec_lo, s17
	v_lshrrev_b16 v16, 8, v31
	v_cmp_ne_u16_e64 s17, 0x8000, v31
	; wave barrier
	s_wait_alu 0xf1ff
	s_delay_alu instid0(VALU_DEP_1) | instskip(NEXT) | instid1(VALU_DEP_1)
	v_cndmask_b32_e64 v16, 0x7f, v16, s17
	v_and_b32_e32 v16, s19, v16
	s_delay_alu instid0(VALU_DEP_1)
	v_and_b32_e32 v17, 1, v16
	v_lshlrev_b32_e32 v18, 30, v16
	v_lshlrev_b32_e32 v19, 29, v16
	;; [unrolled: 1-line block ×4, first 2 shown]
	v_add_co_u32 v17, s17, v17, -1
	s_wait_alu 0xf1ff
	v_cndmask_b32_e64 v21, 0, 1, s17
	v_not_b32_e32 v75, v18
	v_cmp_gt_i32_e64 s18, 0, v18
	v_not_b32_e32 v18, v19
	v_lshlrev_b32_e32 v23, 26, v16
	v_cmp_ne_u32_e64 s17, 0, v21
	v_ashrrev_i32_e32 v75, 31, v75
	v_lshlrev_b32_e32 v74, 25, v16
	v_ashrrev_i32_e32 v18, 31, v18
	v_lshlrev_b32_e32 v21, 24, v16
	s_wait_alu 0xf1ff
	v_xor_b32_e32 v17, s17, v17
	v_cmp_gt_i32_e64 s17, 0, v19
	v_not_b32_e32 v19, v20
	v_xor_b32_e32 v75, s18, v75
	v_cmp_gt_i32_e64 s18, 0, v20
	v_and_b32_e32 v17, exec_lo, v17
	v_not_b32_e32 v20, v22
	v_ashrrev_i32_e32 v19, 31, v19
	s_wait_alu 0xf1ff
	v_xor_b32_e32 v18, s17, v18
	v_cmp_gt_i32_e64 s17, 0, v22
	v_and_b32_e32 v17, v17, v75
	v_not_b32_e32 v22, v23
	v_ashrrev_i32_e32 v20, 31, v20
	v_xor_b32_e32 v19, s18, v19
	v_cmp_gt_i32_e64 s18, 0, v23
	v_and_b32_e32 v17, v17, v18
	v_not_b32_e32 v18, v74
	v_ashrrev_i32_e32 v22, 31, v22
	s_wait_alu 0xf1ff
	v_xor_b32_e32 v20, s17, v20
	v_cmp_gt_i32_e64 s17, 0, v74
	v_and_b32_e32 v17, v17, v19
	v_not_b32_e32 v19, v21
	v_ashrrev_i32_e32 v18, 31, v18
	v_xor_b32_e32 v22, s18, v22
	v_cmp_gt_i32_e64 s18, 0, v21
	v_and_b32_e32 v17, v17, v20
	v_ashrrev_i32_e32 v19, 31, v19
	s_wait_alu 0xf1ff
	v_xor_b32_e32 v18, s17, v18
	v_lshl_add_u32 v76, v16, 6, v24
	v_and_b32_e32 v17, v17, v22
	v_xor_b32_e32 v16, s18, v19
	ds_load_b32 v74, v76 offset:64
	v_and_b32_e32 v17, v17, v18
	; wave barrier
	s_delay_alu instid0(VALU_DEP_1) | instskip(NEXT) | instid1(VALU_DEP_1)
	v_and_b32_e32 v16, v17, v16
	v_mbcnt_lo_u32_b32 v75, v16, 0
	v_cmp_ne_u32_e64 s18, 0, v16
	s_delay_alu instid0(VALU_DEP_2)
	v_cmp_eq_u32_e64 s17, 0, v75
	s_and_b32 s18, s18, s17
	s_wait_alu 0xfffe
	s_and_saveexec_b32 s17, s18
	s_cbranch_execz .LBB245_117
; %bb.116:
	s_wait_dscnt 0x0
	v_bcnt_u32_b32 v16, v16, v74
	ds_store_b32 v76, v16 offset:64
.LBB245_117:
	s_wait_alu 0xfffe
	s_or_b32 exec_lo, exec_lo, s17
	v_lshrrev_b16 v16, 8, v32
	v_cmp_ne_u16_e64 s17, 0x8000, v32
	; wave barrier
	s_wait_alu 0xf1ff
	s_delay_alu instid0(VALU_DEP_1) | instskip(NEXT) | instid1(VALU_DEP_1)
	v_cndmask_b32_e64 v16, 0x7f, v16, s17
	v_and_b32_e32 v16, s19, v16
	s_delay_alu instid0(VALU_DEP_1)
	v_and_b32_e32 v17, 1, v16
	v_lshlrev_b32_e32 v18, 30, v16
	v_lshlrev_b32_e32 v19, 29, v16
	;; [unrolled: 1-line block ×4, first 2 shown]
	v_add_co_u32 v17, s17, v17, -1
	s_wait_alu 0xf1ff
	v_cndmask_b32_e64 v21, 0, 1, s17
	v_not_b32_e32 v78, v18
	v_cmp_gt_i32_e64 s18, 0, v18
	v_not_b32_e32 v18, v19
	v_lshlrev_b32_e32 v23, 26, v16
	v_cmp_ne_u32_e64 s17, 0, v21
	v_ashrrev_i32_e32 v78, 31, v78
	v_lshlrev_b32_e32 v77, 25, v16
	v_ashrrev_i32_e32 v18, 31, v18
	v_lshlrev_b32_e32 v21, 24, v16
	s_wait_alu 0xf1ff
	v_xor_b32_e32 v17, s17, v17
	v_cmp_gt_i32_e64 s17, 0, v19
	v_not_b32_e32 v19, v20
	v_xor_b32_e32 v78, s18, v78
	v_cmp_gt_i32_e64 s18, 0, v20
	v_and_b32_e32 v17, exec_lo, v17
	v_not_b32_e32 v20, v22
	v_ashrrev_i32_e32 v19, 31, v19
	s_wait_alu 0xf1ff
	v_xor_b32_e32 v18, s17, v18
	v_cmp_gt_i32_e64 s17, 0, v22
	v_and_b32_e32 v17, v17, v78
	v_not_b32_e32 v22, v23
	v_ashrrev_i32_e32 v20, 31, v20
	v_xor_b32_e32 v19, s18, v19
	v_cmp_gt_i32_e64 s18, 0, v23
	v_and_b32_e32 v17, v17, v18
	v_not_b32_e32 v18, v77
	v_ashrrev_i32_e32 v22, 31, v22
	s_wait_alu 0xf1ff
	v_xor_b32_e32 v20, s17, v20
	v_cmp_gt_i32_e64 s17, 0, v77
	v_and_b32_e32 v17, v17, v19
	v_not_b32_e32 v19, v21
	v_ashrrev_i32_e32 v18, 31, v18
	v_xor_b32_e32 v22, s18, v22
	v_cmp_gt_i32_e64 s18, 0, v21
	v_and_b32_e32 v17, v17, v20
	v_ashrrev_i32_e32 v19, 31, v19
	s_wait_alu 0xf1ff
	v_xor_b32_e32 v18, s17, v18
	v_lshl_add_u32 v79, v16, 6, v24
	v_and_b32_e32 v17, v17, v22
	v_xor_b32_e32 v16, s18, v19
	ds_load_b32 v77, v79 offset:64
	v_and_b32_e32 v17, v17, v18
	; wave barrier
	s_delay_alu instid0(VALU_DEP_1) | instskip(NEXT) | instid1(VALU_DEP_1)
	v_and_b32_e32 v16, v17, v16
	v_mbcnt_lo_u32_b32 v78, v16, 0
	v_cmp_ne_u32_e64 s18, 0, v16
	s_delay_alu instid0(VALU_DEP_2)
	v_cmp_eq_u32_e64 s17, 0, v78
	s_and_b32 s18, s18, s17
	s_wait_alu 0xfffe
	s_and_saveexec_b32 s17, s18
	s_cbranch_execz .LBB245_119
; %bb.118:
	s_wait_dscnt 0x0
	v_bcnt_u32_b32 v16, v16, v77
	ds_store_b32 v79, v16 offset:64
.LBB245_119:
	s_wait_alu 0xfffe
	s_or_b32 exec_lo, exec_lo, s17
	v_lshrrev_b16 v16, 8, v25
	v_cmp_ne_u16_e64 s17, 0x8000, v25
	; wave barrier
	s_wait_alu 0xf1ff
	s_delay_alu instid0(VALU_DEP_1) | instskip(NEXT) | instid1(VALU_DEP_1)
	v_cndmask_b32_e64 v16, 0x7f, v16, s17
	v_and_b32_e32 v16, s19, v16
	s_delay_alu instid0(VALU_DEP_1)
	v_and_b32_e32 v17, 1, v16
	v_lshlrev_b32_e32 v18, 30, v16
	v_lshlrev_b32_e32 v19, 29, v16
	;; [unrolled: 1-line block ×4, first 2 shown]
	v_add_co_u32 v17, s17, v17, -1
	s_wait_alu 0xf1ff
	v_cndmask_b32_e64 v21, 0, 1, s17
	v_not_b32_e32 v81, v18
	v_cmp_gt_i32_e64 s18, 0, v18
	v_not_b32_e32 v18, v19
	v_lshlrev_b32_e32 v23, 26, v16
	v_cmp_ne_u32_e64 s17, 0, v21
	v_ashrrev_i32_e32 v81, 31, v81
	v_lshlrev_b32_e32 v80, 25, v16
	v_ashrrev_i32_e32 v18, 31, v18
	v_lshlrev_b32_e32 v21, 24, v16
	s_wait_alu 0xf1ff
	v_xor_b32_e32 v17, s17, v17
	v_cmp_gt_i32_e64 s17, 0, v19
	v_not_b32_e32 v19, v20
	v_xor_b32_e32 v81, s18, v81
	v_cmp_gt_i32_e64 s18, 0, v20
	v_and_b32_e32 v17, exec_lo, v17
	v_not_b32_e32 v20, v22
	v_ashrrev_i32_e32 v19, 31, v19
	s_wait_alu 0xf1ff
	v_xor_b32_e32 v18, s17, v18
	v_cmp_gt_i32_e64 s17, 0, v22
	v_and_b32_e32 v17, v17, v81
	v_not_b32_e32 v22, v23
	v_ashrrev_i32_e32 v20, 31, v20
	v_xor_b32_e32 v19, s18, v19
	v_cmp_gt_i32_e64 s18, 0, v23
	v_and_b32_e32 v17, v17, v18
	v_not_b32_e32 v18, v80
	v_ashrrev_i32_e32 v22, 31, v22
	s_wait_alu 0xf1ff
	v_xor_b32_e32 v20, s17, v20
	v_cmp_gt_i32_e64 s17, 0, v80
	v_and_b32_e32 v17, v17, v19
	v_not_b32_e32 v19, v21
	v_ashrrev_i32_e32 v18, 31, v18
	v_xor_b32_e32 v22, s18, v22
	v_cmp_gt_i32_e64 s18, 0, v21
	v_and_b32_e32 v17, v17, v20
	v_ashrrev_i32_e32 v19, 31, v19
	s_wait_alu 0xf1ff
	v_xor_b32_e32 v18, s17, v18
	v_lshl_add_u32 v81, v16, 6, v24
	v_and_b32_e32 v17, v17, v22
	v_xor_b32_e32 v16, s18, v19
	ds_load_b32 v24, v81 offset:64
	v_and_b32_e32 v17, v17, v18
	; wave barrier
	s_delay_alu instid0(VALU_DEP_1) | instskip(NEXT) | instid1(VALU_DEP_1)
	v_and_b32_e32 v16, v17, v16
	v_mbcnt_lo_u32_b32 v80, v16, 0
	v_cmp_ne_u32_e64 s18, 0, v16
	s_delay_alu instid0(VALU_DEP_2)
	v_cmp_eq_u32_e64 s17, 0, v80
	s_and_b32 s18, s18, s17
	s_wait_alu 0xfffe
	s_and_saveexec_b32 s17, s18
	s_cbranch_execz .LBB245_121
; %bb.120:
	s_wait_dscnt 0x0
	v_bcnt_u32_b32 v16, v16, v24
	ds_store_b32 v81, v16 offset:64
.LBB245_121:
	s_wait_alu 0xfffe
	s_or_b32 exec_lo, exec_lo, s17
	; wave barrier
	s_wait_loadcnt_dscnt 0x0
	s_barrier_signal -1
	s_barrier_wait -1
	global_inv scope:SCOPE_SE
	ds_load_b128 v[20:23], v67 offset:64
	ds_load_b128 v[16:19], v67 offset:80
	s_wait_dscnt 0x1
	v_add_nc_u32_e32 v82, v21, v20
	s_delay_alu instid0(VALU_DEP_1) | instskip(SKIP_1) | instid1(VALU_DEP_1)
	v_add3_u32 v82, v82, v22, v23
	s_wait_dscnt 0x0
	v_add3_u32 v82, v82, v16, v17
	s_delay_alu instid0(VALU_DEP_1) | instskip(NEXT) | instid1(VALU_DEP_1)
	v_add3_u32 v19, v82, v18, v19
	v_mov_b32_dpp v82, v19 row_shr:1 row_mask:0xf bank_mask:0xf
	s_delay_alu instid0(VALU_DEP_1) | instskip(NEXT) | instid1(VALU_DEP_1)
	v_cndmask_b32_e64 v82, v82, 0, vcc_lo
	v_add_nc_u32_e32 v19, v82, v19
	s_delay_alu instid0(VALU_DEP_1) | instskip(NEXT) | instid1(VALU_DEP_1)
	v_mov_b32_dpp v82, v19 row_shr:2 row_mask:0xf bank_mask:0xf
	v_cndmask_b32_e64 v82, 0, v82, s8
	s_delay_alu instid0(VALU_DEP_1) | instskip(NEXT) | instid1(VALU_DEP_1)
	v_add_nc_u32_e32 v19, v19, v82
	v_mov_b32_dpp v82, v19 row_shr:4 row_mask:0xf bank_mask:0xf
	s_delay_alu instid0(VALU_DEP_1) | instskip(NEXT) | instid1(VALU_DEP_1)
	v_cndmask_b32_e64 v82, 0, v82, s9
	v_add_nc_u32_e32 v19, v19, v82
	s_delay_alu instid0(VALU_DEP_1) | instskip(NEXT) | instid1(VALU_DEP_1)
	v_mov_b32_dpp v82, v19 row_shr:8 row_mask:0xf bank_mask:0xf
	v_cndmask_b32_e64 v82, 0, v82, s10
	s_delay_alu instid0(VALU_DEP_1) | instskip(SKIP_3) | instid1(VALU_DEP_1)
	v_add_nc_u32_e32 v19, v19, v82
	ds_swizzle_b32 v82, v19 offset:swizzle(BROADCAST,32,15)
	s_wait_dscnt 0x0
	v_cndmask_b32_e64 v82, v82, 0, s15
	v_add_nc_u32_e32 v19, v19, v82
	s_and_saveexec_b32 s15, s13
; %bb.122:
	ds_store_b32 v35, v19
; %bb.123:
	s_wait_alu 0xfffe
	s_or_b32 exec_lo, exec_lo, s15
	s_wait_loadcnt_dscnt 0x0
	s_barrier_signal -1
	s_barrier_wait -1
	global_inv scope:SCOPE_SE
	s_and_saveexec_b32 s13, s12
	s_cbranch_execz .LBB245_125
; %bb.124:
	ds_load_b32 v35, v34
	s_wait_dscnt 0x0
	v_mov_b32_dpp v82, v35 row_shr:1 row_mask:0xf bank_mask:0xf
	s_delay_alu instid0(VALU_DEP_1) | instskip(NEXT) | instid1(VALU_DEP_1)
	v_cndmask_b32_e64 v82, v82, 0, vcc_lo
	v_add_nc_u32_e32 v35, v82, v35
	s_delay_alu instid0(VALU_DEP_1) | instskip(NEXT) | instid1(VALU_DEP_1)
	v_mov_b32_dpp v82, v35 row_shr:2 row_mask:0xf bank_mask:0xf
	v_cndmask_b32_e64 v82, 0, v82, s8
	s_delay_alu instid0(VALU_DEP_1) | instskip(NEXT) | instid1(VALU_DEP_1)
	v_add_nc_u32_e32 v35, v35, v82
	v_mov_b32_dpp v82, v35 row_shr:4 row_mask:0xf bank_mask:0xf
	s_delay_alu instid0(VALU_DEP_1) | instskip(NEXT) | instid1(VALU_DEP_1)
	v_cndmask_b32_e64 v82, 0, v82, s9
	v_add_nc_u32_e32 v35, v35, v82
	s_delay_alu instid0(VALU_DEP_1) | instskip(NEXT) | instid1(VALU_DEP_1)
	v_mov_b32_dpp v82, v35 row_shr:8 row_mask:0xf bank_mask:0xf
	v_cndmask_b32_e64 v82, 0, v82, s10
	s_delay_alu instid0(VALU_DEP_1)
	v_add_nc_u32_e32 v35, v35, v82
	ds_store_b32 v34, v35
.LBB245_125:
	s_wait_alu 0xfffe
	s_or_b32 exec_lo, exec_lo, s13
	v_mov_b32_e32 v34, 0
	s_wait_loadcnt_dscnt 0x0
	s_barrier_signal -1
	s_barrier_wait -1
	global_inv scope:SCOPE_SE
	s_and_saveexec_b32 s8, s14
; %bb.126:
	ds_load_b32 v34, v36
; %bb.127:
	s_wait_alu 0xfffe
	s_or_b32 exec_lo, exec_lo, s8
	s_wait_dscnt 0x0
	v_add_nc_u32_e32 v19, v34, v19
	ds_bpermute_b32 v19, v37, v19
	s_wait_dscnt 0x0
	v_cndmask_b32_e64 v19, v19, v34, s11
	s_delay_alu instid0(VALU_DEP_1) | instskip(NEXT) | instid1(VALU_DEP_1)
	v_cndmask_b32_e64 v19, v19, 0, s16
	v_add_nc_u32_e32 v20, v19, v20
	s_delay_alu instid0(VALU_DEP_1) | instskip(NEXT) | instid1(VALU_DEP_1)
	v_add_nc_u32_e32 v21, v20, v21
	v_add_nc_u32_e32 v22, v21, v22
	s_delay_alu instid0(VALU_DEP_1) | instskip(NEXT) | instid1(VALU_DEP_1)
	v_add_nc_u32_e32 v34, v22, v23
	;; [unrolled: 3-line block ×3, first 2 shown]
	v_add_nc_u32_e32 v37, v36, v18
	ds_store_b128 v67, v[19:22] offset:64
	ds_store_b128 v67, v[34:37] offset:80
	s_wait_loadcnt_dscnt 0x0
	s_barrier_signal -1
	s_barrier_wait -1
	global_inv scope:SCOPE_SE
	ds_load_b32 v16, v81 offset:64
	ds_load_b32 v17, v79 offset:64
	;; [unrolled: 1-line block ×8, first 2 shown]
	v_lshlrev_b32_e32 v34, 1, v66
	s_wait_loadcnt_dscnt 0x0
	s_barrier_signal -1
	s_barrier_wait -1
	global_inv scope:SCOPE_SE
	v_mad_u32_u24 v37, v46, 48, v34
	v_add3_u32 v35, v80, v24, v16
	v_add3_u32 v36, v78, v77, v17
	;; [unrolled: 1-line block ×3, first 2 shown]
	v_add_nc_u32_e32 v24, v19, v33
	v_add3_u32 v33, v40, v39, v20
	v_add3_u32 v39, v49, v48, v21
	v_add3_u32 v40, v69, v68, v22
	v_add3_u32 v46, v72, v71, v23
	v_lshlrev_b32_e32 v16, 1, v24
	v_lshlrev_b32_e32 v17, 1, v33
	v_lshlrev_b32_e32 v18, 1, v39
	v_lshlrev_b32_e32 v19, 1, v40
	v_lshlrev_b32_e32 v20, 1, v46
	v_lshlrev_b32_e32 v21, 1, v38
	v_lshlrev_b32_e32 v22, 1, v36
	v_lshlrev_b32_e32 v23, 1, v35
	ds_store_b16 v16, v26
	ds_store_b16 v17, v27
	;; [unrolled: 1-line block ×8, first 2 shown]
	v_mad_co_u64_u32 v[24:25], null, v24, 6, v[16:17]
	v_mad_co_u64_u32 v[16:17], null, v33, 6, v[17:18]
	;; [unrolled: 1-line block ×7, first 2 shown]
	s_wait_loadcnt_dscnt 0x0
	s_barrier_signal -1
	s_barrier_wait -1
	global_inv scope:SCOPE_SE
	v_mad_co_u64_u32 v[22:23], null, v35, 6, v[23:24]
	ds_load_b128 v[33:36], v34
	s_wait_loadcnt_dscnt 0x0
	s_barrier_signal -1
	s_barrier_wait -1
	global_inv scope:SCOPE_SE
	ds_store_b64 v24, v[4:5]
	ds_store_b64 v16, v[6:7]
	;; [unrolled: 1-line block ×8, first 2 shown]
	s_wait_loadcnt_dscnt 0x0
	s_barrier_signal -1
	s_barrier_wait -1
	global_inv scope:SCOPE_SE
	ds_load_b128 v[29:32], v37
	ds_load_b128 v[25:28], v37 offset:16
	ds_load_b128 v[21:24], v37 offset:32
	;; [unrolled: 1-line block ×3, first 2 shown]
	v_cmp_gt_i16_e32 vcc_lo, 0, v33
	v_lshrrev_b32_e32 v0, 16, v33
	v_lshrrev_b32_e32 v2, 16, v34
	;; [unrolled: 1-line block ×4, first 2 shown]
	s_wait_alu 0xfffd
	v_cndmask_b32_e64 v1, 0x7fff, 0, vcc_lo
	v_cmp_gt_i16_e32 vcc_lo, 0, v34
	s_wait_alu 0xfffd
	v_cndmask_b32_e64 v3, 0x7fff, 0, vcc_lo
	v_cmp_gt_i16_e32 vcc_lo, 0, v35
	;; [unrolled: 3-line block ×5, first 2 shown]
	s_delay_alu instid0(VALU_DEP_2) | instskip(SKIP_3) | instid1(VALU_DEP_3)
	v_perm_b32 v0, v0, v1, 0x5040100
	s_wait_alu 0xfffd
	v_cndmask_b32_e64 v2, 0x7fff, 0, vcc_lo
	v_cmp_gt_i16_e32 vcc_lo, 0, v4
	v_xor_b32_e32 v0, v0, v33
	s_delay_alu instid0(VALU_DEP_3) | instskip(SKIP_3) | instid1(VALU_DEP_3)
	v_perm_b32 v1, v2, v3, 0x5040100
	s_wait_alu 0xfffd
	v_cndmask_b32_e64 v4, 0x7fff, 0, vcc_lo
	v_cmp_gt_i16_e32 vcc_lo, 0, v6
	v_xor_b32_e32 v34, v1, v34
	s_delay_alu instid0(VALU_DEP_3) | instskip(SKIP_2) | instid1(VALU_DEP_2)
	v_perm_b32 v2, v4, v5, 0x5040100
	s_wait_alu 0xfffd
	v_cndmask_b32_e64 v6, 0x7fff, 0, vcc_lo
	v_xor_b32_e32 v33, v2, v35
	s_delay_alu instid0(VALU_DEP_2) | instskip(NEXT) | instid1(VALU_DEP_1)
	v_perm_b32 v3, v6, v7, 0x5040100
	v_xor_b32_e32 v35, v3, v36
.LBB245_128:
	s_wait_loadcnt_dscnt 0x0
	s_barrier_signal -1
	s_barrier_wait -1
	global_inv scope:SCOPE_SE
	ds_store_2addr_b32 v58, v0, v34 offset1:1
	ds_store_2addr_b32 v58, v33, v35 offset0:2 offset1:3
	s_wait_loadcnt_dscnt 0x0
	s_barrier_signal -1
	s_barrier_wait -1
	global_inv scope:SCOPE_SE
	ds_load_u16 v8, v45 offset:1024
	ds_load_u16 v7, v52 offset:2048
	;; [unrolled: 1-line block ×7, first 2 shown]
	v_mov_b32_e32 v45, 0
	s_delay_alu instid0(VALU_DEP_1) | instskip(NEXT) | instid1(VALU_DEP_1)
	v_lshlrev_b64_e32 v[0:1], 1, v[44:45]
	v_add_co_u32 v0, vcc_lo, s30, v0
	s_wait_alu 0xfffd
	s_delay_alu instid0(VALU_DEP_2)
	v_add_co_ci_u32_e64 v1, null, s31, v1, vcc_lo
	s_and_saveexec_b32 s8, s0
	s_cbranch_execnz .LBB245_147
; %bb.129:
	s_wait_alu 0xfffe
	s_or_b32 exec_lo, exec_lo, s8
	s_and_saveexec_b32 s8, s1
	s_cbranch_execnz .LBB245_148
.LBB245_130:
	s_wait_alu 0xfffe
	s_or_b32 exec_lo, exec_lo, s8
	s_and_saveexec_b32 s8, s2
	s_cbranch_execnz .LBB245_149
.LBB245_131:
	s_wait_alu 0xfffe
	s_or_b32 exec_lo, exec_lo, s8
	s_and_saveexec_b32 s8, s3
	s_cbranch_execnz .LBB245_150
.LBB245_132:
	s_wait_alu 0xfffe
	s_or_b32 exec_lo, exec_lo, s8
	s_and_saveexec_b32 s8, s4
	s_cbranch_execnz .LBB245_151
.LBB245_133:
	s_wait_alu 0xfffe
	s_or_b32 exec_lo, exec_lo, s8
	s_and_saveexec_b32 s8, s5
	s_cbranch_execnz .LBB245_152
.LBB245_134:
	s_wait_alu 0xfffe
	s_or_b32 exec_lo, exec_lo, s8
	s_and_saveexec_b32 s8, s6
	s_cbranch_execnz .LBB245_153
.LBB245_135:
	s_wait_alu 0xfffe
	s_or_b32 exec_lo, exec_lo, s8
	s_and_saveexec_b32 s8, s7
	s_cbranch_execz .LBB245_137
.LBB245_136:
	s_mul_i32 s10, s26, 0xe00
	s_mov_b32 s11, 0
	s_wait_alu 0xfffe
	s_lshl_b64 s[10:11], s[10:11], 1
	s_wait_alu 0xfffe
	v_add_co_u32 v0, vcc_lo, v0, s10
	s_wait_alu 0xfffd
	v_add_co_ci_u32_e64 v1, null, s11, v1, vcc_lo
	s_wait_dscnt 0x0
	global_store_b16 v[0:1], v2, off
.LBB245_137:
	s_wait_alu 0xfffe
	s_or_b32 exec_lo, exec_lo, s8
	s_wait_storecnt 0x0
	s_wait_loadcnt_dscnt 0x0
	s_barrier_signal -1
	s_barrier_wait -1
	global_inv scope:SCOPE_SE
	ds_store_2addr_b64 v65, v[29:30], v[31:32] offset1:1
	ds_store_2addr_b64 v65, v[25:26], v[27:28] offset0:2 offset1:3
	ds_store_2addr_b64 v65, v[21:22], v[23:24] offset0:4 offset1:5
	;; [unrolled: 1-line block ×3, first 2 shown]
	s_wait_loadcnt_dscnt 0x0
	s_barrier_signal -1
	s_barrier_wait -1
	global_inv scope:SCOPE_SE
	ds_load_b64 v[14:15], v60 offset:4096
	ds_load_b64 v[12:13], v61 offset:8192
	;; [unrolled: 1-line block ×7, first 2 shown]
	v_mov_b32_e32 v42, 0
	s_delay_alu instid0(VALU_DEP_1) | instskip(NEXT) | instid1(VALU_DEP_1)
	v_lshlrev_b64_e32 v[2:3], 3, v[41:42]
	v_add_co_u32 v2, vcc_lo, s24, v2
	s_wait_alu 0xfffd
	s_delay_alu instid0(VALU_DEP_2)
	v_add_co_ci_u32_e64 v3, null, s25, v3, vcc_lo
	s_and_saveexec_b32 s8, s0
	s_cbranch_execnz .LBB245_154
; %bb.138:
	s_wait_alu 0xfffe
	s_or_b32 exec_lo, exec_lo, s8
	s_and_saveexec_b32 s0, s1
	s_cbranch_execnz .LBB245_155
.LBB245_139:
	s_or_b32 exec_lo, exec_lo, s0
	s_and_saveexec_b32 s0, s2
	s_cbranch_execnz .LBB245_156
.LBB245_140:
	s_or_b32 exec_lo, exec_lo, s0
	s_and_saveexec_b32 s0, s3
	s_cbranch_execnz .LBB245_157
.LBB245_141:
	s_or_b32 exec_lo, exec_lo, s0
	s_and_saveexec_b32 s0, s4
	s_cbranch_execnz .LBB245_158
.LBB245_142:
	s_or_b32 exec_lo, exec_lo, s0
	s_and_saveexec_b32 s0, s5
	s_cbranch_execnz .LBB245_159
.LBB245_143:
	s_or_b32 exec_lo, exec_lo, s0
	s_and_saveexec_b32 s0, s6
	s_cbranch_execnz .LBB245_160
.LBB245_144:
	s_or_b32 exec_lo, exec_lo, s0
	s_and_saveexec_b32 s0, s7
	s_cbranch_execz .LBB245_146
.LBB245_145:
	s_mul_i32 s0, s28, 0xe00
	s_mov_b32 s1, 0
	s_delay_alu instid0(SALU_CYCLE_1) | instskip(NEXT) | instid1(SALU_CYCLE_1)
	s_lshl_b64 s[0:1], s[0:1], 3
	v_add_co_u32 v2, vcc_lo, v2, s0
	s_wait_alu 0xfffd
	v_add_co_ci_u32_e64 v3, null, s1, v3, vcc_lo
	s_wait_dscnt 0x0
	global_store_b64 v[2:3], v[0:1], off
.LBB245_146:
	s_nop 0
	s_sendmsg sendmsg(MSG_DEALLOC_VGPRS)
	s_endpgm
.LBB245_147:
	ds_load_u16 v9, v51
	s_wait_dscnt 0x0
	global_store_b16 v[0:1], v9, off
	s_wait_alu 0xfffe
	s_or_b32 exec_lo, exec_lo, s8
	s_and_saveexec_b32 s8, s1
	s_cbranch_execz .LBB245_130
.LBB245_148:
	s_lshl_b32 s10, s26, 9
	s_mov_b32 s11, 0
	s_wait_alu 0xfffe
	s_lshl_b64 s[10:11], s[10:11], 1
	s_wait_alu 0xfffe
	v_add_co_u32 v9, vcc_lo, v0, s10
	s_wait_alu 0xfffd
	v_add_co_ci_u32_e64 v10, null, s11, v1, vcc_lo
	s_wait_dscnt 0x6
	global_store_b16 v[9:10], v8, off
	s_or_b32 exec_lo, exec_lo, s8
	s_and_saveexec_b32 s8, s2
	s_cbranch_execz .LBB245_131
.LBB245_149:
	s_lshl_b32 s10, s26, 10
	s_mov_b32 s11, 0
	s_wait_alu 0xfffe
	s_lshl_b64 s[10:11], s[10:11], 1
	s_wait_dscnt 0x6
	s_wait_alu 0xfffe
	v_add_co_u32 v8, vcc_lo, v0, s10
	s_wait_alu 0xfffd
	v_add_co_ci_u32_e64 v9, null, s11, v1, vcc_lo
	s_wait_dscnt 0x5
	global_store_b16 v[8:9], v7, off
	s_or_b32 exec_lo, exec_lo, s8
	s_and_saveexec_b32 s8, s3
	s_cbranch_execz .LBB245_132
.LBB245_150:
	s_mul_i32 s10, s26, 0x600
	s_mov_b32 s11, 0
	s_wait_alu 0xfffe
	s_lshl_b64 s[10:11], s[10:11], 1
	s_wait_dscnt 0x5
	s_wait_alu 0xfffe
	v_add_co_u32 v7, vcc_lo, v0, s10
	s_wait_alu 0xfffd
	v_add_co_ci_u32_e64 v8, null, s11, v1, vcc_lo
	s_wait_dscnt 0x4
	global_store_b16 v[7:8], v6, off
	s_or_b32 exec_lo, exec_lo, s8
	s_and_saveexec_b32 s8, s4
	s_cbranch_execz .LBB245_133
.LBB245_151:
	s_lshl_b32 s10, s26, 11
	s_mov_b32 s11, 0
	s_wait_alu 0xfffe
	s_lshl_b64 s[10:11], s[10:11], 1
	s_wait_dscnt 0x4
	s_wait_alu 0xfffe
	v_add_co_u32 v6, vcc_lo, v0, s10
	s_wait_alu 0xfffd
	v_add_co_ci_u32_e64 v7, null, s11, v1, vcc_lo
	s_wait_dscnt 0x3
	global_store_b16 v[6:7], v5, off
	s_or_b32 exec_lo, exec_lo, s8
	s_and_saveexec_b32 s8, s5
	s_cbranch_execz .LBB245_134
.LBB245_152:
	s_mul_i32 s10, s26, 0xa00
	s_mov_b32 s11, 0
	s_wait_alu 0xfffe
	s_lshl_b64 s[10:11], s[10:11], 1
	s_wait_dscnt 0x3
	s_wait_alu 0xfffe
	v_add_co_u32 v5, vcc_lo, v0, s10
	s_wait_alu 0xfffd
	v_add_co_ci_u32_e64 v6, null, s11, v1, vcc_lo
	s_wait_dscnt 0x2
	global_store_b16 v[5:6], v4, off
	s_or_b32 exec_lo, exec_lo, s8
	s_and_saveexec_b32 s8, s6
	s_cbranch_execz .LBB245_135
.LBB245_153:
	s_mul_i32 s10, s26, 0xc00
	s_mov_b32 s11, 0
	s_wait_alu 0xfffe
	s_lshl_b64 s[10:11], s[10:11], 1
	s_wait_dscnt 0x2
	s_wait_alu 0xfffe
	v_add_co_u32 v4, vcc_lo, v0, s10
	s_wait_alu 0xfffd
	v_add_co_ci_u32_e64 v5, null, s11, v1, vcc_lo
	s_wait_dscnt 0x1
	global_store_b16 v[4:5], v3, off
	s_or_b32 exec_lo, exec_lo, s8
	s_and_saveexec_b32 s8, s7
	s_cbranch_execnz .LBB245_136
	s_branch .LBB245_137
.LBB245_154:
	ds_load_b64 v[16:17], v59
	s_wait_dscnt 0x0
	global_store_b64 v[2:3], v[16:17], off
	s_wait_alu 0xfffe
	s_or_b32 exec_lo, exec_lo, s8
	s_and_saveexec_b32 s0, s1
	s_cbranch_execz .LBB245_139
.LBB245_155:
	s_lshl_b32 s8, s28, 9
	s_mov_b32 s9, 0
	s_wait_alu 0xfffe
	s_lshl_b64 s[8:9], s[8:9], 3
	s_wait_alu 0xfffe
	v_add_co_u32 v16, vcc_lo, v2, s8
	s_wait_alu 0xfffd
	v_add_co_ci_u32_e64 v17, null, s9, v3, vcc_lo
	s_wait_dscnt 0x6
	global_store_b64 v[16:17], v[14:15], off
	s_or_b32 exec_lo, exec_lo, s0
	s_and_saveexec_b32 s0, s2
	s_cbranch_execz .LBB245_140
.LBB245_156:
	s_lshl_b32 s8, s28, 10
	s_mov_b32 s9, 0
	s_wait_alu 0xfffe
	s_lshl_b64 s[8:9], s[8:9], 3
	s_wait_dscnt 0x6
	s_wait_alu 0xfffe
	v_add_co_u32 v14, vcc_lo, v2, s8
	s_wait_alu 0xfffd
	v_add_co_ci_u32_e64 v15, null, s9, v3, vcc_lo
	s_wait_dscnt 0x5
	global_store_b64 v[14:15], v[12:13], off
	s_or_b32 exec_lo, exec_lo, s0
	s_and_saveexec_b32 s0, s3
	s_cbranch_execz .LBB245_141
.LBB245_157:
	s_mul_i32 s2, s28, 0x600
	s_mov_b32 s3, 0
	s_wait_alu 0xfffe
	s_lshl_b64 s[2:3], s[2:3], 3
	s_wait_dscnt 0x5
	s_wait_alu 0xfffe
	v_add_co_u32 v12, vcc_lo, v2, s2
	s_wait_alu 0xfffd
	v_add_co_ci_u32_e64 v13, null, s3, v3, vcc_lo
	s_wait_dscnt 0x4
	global_store_b64 v[12:13], v[10:11], off
	s_or_b32 exec_lo, exec_lo, s0
	s_and_saveexec_b32 s0, s4
	s_cbranch_execz .LBB245_142
.LBB245_158:
	s_lshl_b32 s2, s28, 11
	s_mov_b32 s3, 0
	s_wait_alu 0xfffe
	s_lshl_b64 s[2:3], s[2:3], 3
	s_wait_dscnt 0x4
	s_wait_alu 0xfffe
	v_add_co_u32 v10, vcc_lo, v2, s2
	s_wait_alu 0xfffd
	v_add_co_ci_u32_e64 v11, null, s3, v3, vcc_lo
	s_wait_dscnt 0x3
	global_store_b64 v[10:11], v[8:9], off
	s_or_b32 exec_lo, exec_lo, s0
	s_and_saveexec_b32 s0, s5
	s_cbranch_execz .LBB245_143
.LBB245_159:
	s_mul_i32 s2, s28, 0xa00
	s_mov_b32 s3, 0
	s_wait_alu 0xfffe
	s_lshl_b64 s[2:3], s[2:3], 3
	s_wait_dscnt 0x3
	s_wait_alu 0xfffe
	v_add_co_u32 v8, vcc_lo, v2, s2
	s_wait_alu 0xfffd
	v_add_co_ci_u32_e64 v9, null, s3, v3, vcc_lo
	s_wait_dscnt 0x2
	global_store_b64 v[8:9], v[6:7], off
	s_or_b32 exec_lo, exec_lo, s0
	s_and_saveexec_b32 s0, s6
	s_cbranch_execz .LBB245_144
.LBB245_160:
	s_mul_i32 s2, s28, 0xc00
	s_mov_b32 s3, 0
	s_wait_alu 0xfffe
	s_lshl_b64 s[2:3], s[2:3], 3
	s_wait_dscnt 0x2
	s_wait_alu 0xfffe
	v_add_co_u32 v6, vcc_lo, v2, s2
	s_wait_alu 0xfffd
	v_add_co_ci_u32_e64 v7, null, s3, v3, vcc_lo
	s_wait_dscnt 0x1
	global_store_b64 v[6:7], v[4:5], off
	s_or_b32 exec_lo, exec_lo, s0
	s_and_saveexec_b32 s0, s7
	s_cbranch_execnz .LBB245_145
	s_branch .LBB245_146
	.section	.rodata,"a",@progbits
	.p2align	6, 0x0
	.amdhsa_kernel _ZN2at6native18radixSortKVInPlaceILi2ELin1ELi512ELi8EN3c108BFloat16EljEEvNS_4cuda6detail10TensorInfoIT3_T5_EES8_S8_S8_NS6_IT4_S8_EES8_b
		.amdhsa_group_segment_fixed_size 33792
		.amdhsa_private_segment_fixed_size 0
		.amdhsa_kernarg_size 712
		.amdhsa_user_sgpr_count 2
		.amdhsa_user_sgpr_dispatch_ptr 0
		.amdhsa_user_sgpr_queue_ptr 0
		.amdhsa_user_sgpr_kernarg_segment_ptr 1
		.amdhsa_user_sgpr_dispatch_id 0
		.amdhsa_user_sgpr_private_segment_size 0
		.amdhsa_wavefront_size32 1
		.amdhsa_uses_dynamic_stack 0
		.amdhsa_enable_private_segment 0
		.amdhsa_system_sgpr_workgroup_id_x 1
		.amdhsa_system_sgpr_workgroup_id_y 1
		.amdhsa_system_sgpr_workgroup_id_z 1
		.amdhsa_system_sgpr_workgroup_info 0
		.amdhsa_system_vgpr_workitem_id 2
		.amdhsa_next_free_vgpr 113
		.amdhsa_next_free_sgpr 36
		.amdhsa_reserve_vcc 1
		.amdhsa_float_round_mode_32 0
		.amdhsa_float_round_mode_16_64 0
		.amdhsa_float_denorm_mode_32 3
		.amdhsa_float_denorm_mode_16_64 3
		.amdhsa_fp16_overflow 0
		.amdhsa_workgroup_processor_mode 1
		.amdhsa_memory_ordered 1
		.amdhsa_forward_progress 1
		.amdhsa_inst_pref_size 181
		.amdhsa_round_robin_scheduling 0
		.amdhsa_exception_fp_ieee_invalid_op 0
		.amdhsa_exception_fp_denorm_src 0
		.amdhsa_exception_fp_ieee_div_zero 0
		.amdhsa_exception_fp_ieee_overflow 0
		.amdhsa_exception_fp_ieee_underflow 0
		.amdhsa_exception_fp_ieee_inexact 0
		.amdhsa_exception_int_div_zero 0
	.end_amdhsa_kernel
	.section	.text._ZN2at6native18radixSortKVInPlaceILi2ELin1ELi512ELi8EN3c108BFloat16EljEEvNS_4cuda6detail10TensorInfoIT3_T5_EES8_S8_S8_NS6_IT4_S8_EES8_b,"axG",@progbits,_ZN2at6native18radixSortKVInPlaceILi2ELin1ELi512ELi8EN3c108BFloat16EljEEvNS_4cuda6detail10TensorInfoIT3_T5_EES8_S8_S8_NS6_IT4_S8_EES8_b,comdat
.Lfunc_end245:
	.size	_ZN2at6native18radixSortKVInPlaceILi2ELin1ELi512ELi8EN3c108BFloat16EljEEvNS_4cuda6detail10TensorInfoIT3_T5_EES8_S8_S8_NS6_IT4_S8_EES8_b, .Lfunc_end245-_ZN2at6native18radixSortKVInPlaceILi2ELin1ELi512ELi8EN3c108BFloat16EljEEvNS_4cuda6detail10TensorInfoIT3_T5_EES8_S8_S8_NS6_IT4_S8_EES8_b
                                        ; -- End function
	.set _ZN2at6native18radixSortKVInPlaceILi2ELin1ELi512ELi8EN3c108BFloat16EljEEvNS_4cuda6detail10TensorInfoIT3_T5_EES8_S8_S8_NS6_IT4_S8_EES8_b.num_vgpr, 113
	.set _ZN2at6native18radixSortKVInPlaceILi2ELin1ELi512ELi8EN3c108BFloat16EljEEvNS_4cuda6detail10TensorInfoIT3_T5_EES8_S8_S8_NS6_IT4_S8_EES8_b.num_agpr, 0
	.set _ZN2at6native18radixSortKVInPlaceILi2ELin1ELi512ELi8EN3c108BFloat16EljEEvNS_4cuda6detail10TensorInfoIT3_T5_EES8_S8_S8_NS6_IT4_S8_EES8_b.numbered_sgpr, 36
	.set _ZN2at6native18radixSortKVInPlaceILi2ELin1ELi512ELi8EN3c108BFloat16EljEEvNS_4cuda6detail10TensorInfoIT3_T5_EES8_S8_S8_NS6_IT4_S8_EES8_b.num_named_barrier, 0
	.set _ZN2at6native18radixSortKVInPlaceILi2ELin1ELi512ELi8EN3c108BFloat16EljEEvNS_4cuda6detail10TensorInfoIT3_T5_EES8_S8_S8_NS6_IT4_S8_EES8_b.private_seg_size, 0
	.set _ZN2at6native18radixSortKVInPlaceILi2ELin1ELi512ELi8EN3c108BFloat16EljEEvNS_4cuda6detail10TensorInfoIT3_T5_EES8_S8_S8_NS6_IT4_S8_EES8_b.uses_vcc, 1
	.set _ZN2at6native18radixSortKVInPlaceILi2ELin1ELi512ELi8EN3c108BFloat16EljEEvNS_4cuda6detail10TensorInfoIT3_T5_EES8_S8_S8_NS6_IT4_S8_EES8_b.uses_flat_scratch, 0
	.set _ZN2at6native18radixSortKVInPlaceILi2ELin1ELi512ELi8EN3c108BFloat16EljEEvNS_4cuda6detail10TensorInfoIT3_T5_EES8_S8_S8_NS6_IT4_S8_EES8_b.has_dyn_sized_stack, 0
	.set _ZN2at6native18radixSortKVInPlaceILi2ELin1ELi512ELi8EN3c108BFloat16EljEEvNS_4cuda6detail10TensorInfoIT3_T5_EES8_S8_S8_NS6_IT4_S8_EES8_b.has_recursion, 0
	.set _ZN2at6native18radixSortKVInPlaceILi2ELin1ELi512ELi8EN3c108BFloat16EljEEvNS_4cuda6detail10TensorInfoIT3_T5_EES8_S8_S8_NS6_IT4_S8_EES8_b.has_indirect_call, 0
	.section	.AMDGPU.csdata,"",@progbits
; Kernel info:
; codeLenInByte = 23164
; TotalNumSgprs: 38
; NumVgprs: 113
; ScratchSize: 0
; MemoryBound: 0
; FloatMode: 240
; IeeeMode: 1
; LDSByteSize: 33792 bytes/workgroup (compile time only)
; SGPRBlocks: 0
; VGPRBlocks: 14
; NumSGPRsForWavesPerEU: 38
; NumVGPRsForWavesPerEU: 113
; Occupancy: 12
; WaveLimiterHint : 1
; COMPUTE_PGM_RSRC2:SCRATCH_EN: 0
; COMPUTE_PGM_RSRC2:USER_SGPR: 2
; COMPUTE_PGM_RSRC2:TRAP_HANDLER: 0
; COMPUTE_PGM_RSRC2:TGID_X_EN: 1
; COMPUTE_PGM_RSRC2:TGID_Y_EN: 1
; COMPUTE_PGM_RSRC2:TGID_Z_EN: 1
; COMPUTE_PGM_RSRC2:TIDIG_COMP_CNT: 2
	.section	.text._ZN2at6native18radixSortKVInPlaceILi2ELin1ELi256ELi8EN3c108BFloat16EljEEvNS_4cuda6detail10TensorInfoIT3_T5_EES8_S8_S8_NS6_IT4_S8_EES8_b,"axG",@progbits,_ZN2at6native18radixSortKVInPlaceILi2ELin1ELi256ELi8EN3c108BFloat16EljEEvNS_4cuda6detail10TensorInfoIT3_T5_EES8_S8_S8_NS6_IT4_S8_EES8_b,comdat
	.protected	_ZN2at6native18radixSortKVInPlaceILi2ELin1ELi256ELi8EN3c108BFloat16EljEEvNS_4cuda6detail10TensorInfoIT3_T5_EES8_S8_S8_NS6_IT4_S8_EES8_b ; -- Begin function _ZN2at6native18radixSortKVInPlaceILi2ELin1ELi256ELi8EN3c108BFloat16EljEEvNS_4cuda6detail10TensorInfoIT3_T5_EES8_S8_S8_NS6_IT4_S8_EES8_b
	.globl	_ZN2at6native18radixSortKVInPlaceILi2ELin1ELi256ELi8EN3c108BFloat16EljEEvNS_4cuda6detail10TensorInfoIT3_T5_EES8_S8_S8_NS6_IT4_S8_EES8_b
	.p2align	8
	.type	_ZN2at6native18radixSortKVInPlaceILi2ELin1ELi256ELi8EN3c108BFloat16EljEEvNS_4cuda6detail10TensorInfoIT3_T5_EES8_S8_S8_NS6_IT4_S8_EES8_b,@function
_ZN2at6native18radixSortKVInPlaceILi2ELin1ELi256ELi8EN3c108BFloat16EljEEvNS_4cuda6detail10TensorInfoIT3_T5_EES8_S8_S8_NS6_IT4_S8_EES8_b: ; @_ZN2at6native18radixSortKVInPlaceILi2ELin1ELi256ELi8EN3c108BFloat16EljEEvNS_4cuda6detail10TensorInfoIT3_T5_EES8_S8_S8_NS6_IT4_S8_EES8_b
; %bb.0:
	s_clause 0x1
	s_load_b64 s[2:3], s[0:1], 0x1c8
	s_load_b96 s[20:22], s[0:1], 0xd8
	s_lshr_b32 s4, ttmp7, 16
	s_wait_kmcnt 0x0
	s_mul_i32 s3, s3, s4
	s_and_b32 s4, ttmp7, 0xffff
	s_delay_alu instid0(SALU_CYCLE_1) | instskip(NEXT) | instid1(SALU_CYCLE_1)
	s_add_co_i32 s3, s3, s4
	s_mul_i32 s2, s3, s2
	s_delay_alu instid0(SALU_CYCLE_1) | instskip(NEXT) | instid1(SALU_CYCLE_1)
	s_add_co_i32 s2, s2, ttmp9
	s_cmp_ge_u32 s2, s20
	s_cbranch_scc1 .LBB246_146
; %bb.1:
	s_clause 0x2
	s_load_b32 s15, s[0:1], 0xc
	s_load_b64 s[4:5], s[0:1], 0x6c
	s_load_b32 s12, s[0:1], 0x1b8
	s_add_nc_u64 s[10:11], s[0:1], 0xe8
	s_mov_b32 s14, s2
	s_wait_kmcnt 0x0
	s_cvt_f32_u32 s3, s15
	s_delay_alu instid0(SALU_CYCLE_3) | instskip(NEXT) | instid1(TRANS32_DEP_1)
	v_rcp_iflag_f32_e32 v1, s3
	v_readfirstlane_b32 s3, v1
	s_mul_f32 s3, s3, 0x4f7ffffe
	s_wait_alu 0xfffe
	s_delay_alu instid0(SALU_CYCLE_2) | instskip(SKIP_2) | instid1(SALU_CYCLE_1)
	s_cvt_u32_f32 s6, s3
	s_sub_co_i32 s3, 0, s15
	s_wait_alu 0xfffe
	s_mul_i32 s7, s3, s6
	s_mov_b32 s3, 0
	s_mul_hi_u32 s8, s6, s7
	s_wait_alu 0xfffe
	s_mov_b32 s7, s3
	s_add_co_i32 s6, s6, s8
	s_cmp_lt_i32 s12, 2
	s_mov_b32 s9, s3
	s_cbranch_scc1 .LBB246_4
; %bb.2:
	s_add_co_i32 s8, s12, -1
	s_mov_b32 s9, 0
	s_mov_b32 s14, s2
	s_lshl_b64 s[16:17], s[8:9], 2
	s_add_co_i32 s8, s12, 1
	s_add_nc_u64 s[16:17], s[10:11], s[16:17]
	s_delay_alu instid0(SALU_CYCLE_1)
	s_add_nc_u64 s[12:13], s[16:17], 8
.LBB246_3:                              ; =>This Inner Loop Header: Depth=1
	s_clause 0x1
	s_load_b32 s16, s[12:13], 0x0
	s_load_b32 s17, s[12:13], 0x64
	s_mov_b32 s20, s14
	s_add_nc_u64 s[12:13], s[12:13], -4
	s_wait_kmcnt 0x0
	s_cvt_f32_u32 s18, s16
	s_sub_co_i32 s19, 0, s16
	s_wait_alu 0xfffe
	s_delay_alu instid0(SALU_CYCLE_1) | instskip(NEXT) | instid1(TRANS32_DEP_1)
	v_rcp_iflag_f32_e32 v1, s18
	v_readfirstlane_b32 s18, v1
	s_mul_f32 s18, s18, 0x4f7ffffe
	s_wait_alu 0xfffe
	s_delay_alu instid0(SALU_CYCLE_2) | instskip(SKIP_1) | instid1(SALU_CYCLE_2)
	s_cvt_u32_f32 s18, s18
	s_wait_alu 0xfffe
	s_mul_i32 s19, s19, s18
	s_wait_alu 0xfffe
	s_mul_hi_u32 s19, s18, s19
	s_wait_alu 0xfffe
	s_add_co_i32 s18, s18, s19
	s_wait_alu 0xfffe
	s_mul_hi_u32 s14, s14, s18
	s_delay_alu instid0(SALU_CYCLE_1)
	s_mul_i32 s18, s14, s16
	s_add_co_i32 s19, s14, 1
	s_wait_alu 0xfffe
	s_sub_co_i32 s18, s20, s18
	s_wait_alu 0xfffe
	s_sub_co_i32 s23, s18, s16
	s_cmp_ge_u32 s18, s16
	s_cselect_b32 s14, s19, s14
	s_cselect_b32 s18, s23, s18
	s_add_co_i32 s19, s14, 1
	s_wait_alu 0xfffe
	s_cmp_ge_u32 s18, s16
	s_cselect_b32 s14, s19, s14
	s_add_co_i32 s8, s8, -1
	s_mul_i32 s16, s14, s16
	s_delay_alu instid0(SALU_CYCLE_1) | instskip(NEXT) | instid1(SALU_CYCLE_1)
	s_sub_co_i32 s16, s20, s16
	s_mul_i32 s16, s17, s16
	s_delay_alu instid0(SALU_CYCLE_1)
	s_add_co_i32 s9, s16, s9
	s_cmp_gt_u32 s8, 2
	s_cbranch_scc1 .LBB246_3
.LBB246_4:
	s_mul_u64 s[6:7], s[2:3], s[6:7]
	s_clause 0x1
	s_load_b64 s[12:13], s[0:1], 0x0
	s_load_b64 s[28:29], s[0:1], 0x1c0
	s_mul_i32 s3, s7, s15
	s_add_nc_u64 s[36:37], s[0:1], 0x1c8
	s_wait_alu 0xfffe
	s_sub_co_i32 s0, s2, s3
	s_add_co_i32 s1, s7, 1
	s_sub_co_i32 s3, s0, s15
	s_cmp_ge_u32 s0, s15
	s_cselect_b32 s1, s1, s7
	s_wait_alu 0xfffe
	s_cselect_b32 s0, s3, s0
	s_add_co_i32 s3, s1, 1
	s_cmp_ge_u32 s0, s15
	s_wait_alu 0xfffe
	s_cselect_b32 s0, s3, s1
	s_mov_b32 s3, 0
	s_mul_i32 s1, s0, s15
	s_mul_i32 s0, s0, s4
	s_sub_co_i32 s1, s2, s1
	s_delay_alu instid0(SALU_CYCLE_1) | instskip(NEXT) | instid1(SALU_CYCLE_1)
	s_mul_i32 s1, s1, s5
	s_add_co_i32 s2, s0, s1
	s_wait_kmcnt 0x0
	s_bitcmp1_b32 s29, 0
	s_mov_b32 s0, 0xffff
	s_cselect_b32 s8, -1, 0
	s_delay_alu instid0(SALU_CYCLE_1) | instskip(SKIP_1) | instid1(SALU_CYCLE_1)
	s_and_b32 s1, s8, exec_lo
	s_cselect_b32 s15, s0, 0x7fff
	v_dual_mov_b32 v1, s15 :: v_dual_and_b32 v46, 0x3ff, v0
	s_wait_alu 0xfffe
	s_lshl_b64 s[2:3], s[2:3], 1
	s_wait_alu 0xfffe
	s_add_nc_u64 s[30:31], s[12:13], s[2:3]
	v_mul_lo_u32 v44, s22, v46
	v_cmp_gt_u32_e64 s0, s21, v46
	s_and_saveexec_b32 s1, s0
	s_cbranch_execz .LBB246_6
; %bb.5:
	v_mov_b32_e32 v45, 0
	s_delay_alu instid0(VALU_DEP_1) | instskip(NEXT) | instid1(VALU_DEP_1)
	v_lshlrev_b64_e32 v[1:2], 1, v[44:45]
	v_add_co_u32 v1, vcc_lo, s30, v1
	s_delay_alu instid0(VALU_DEP_1)
	v_add_co_ci_u32_e64 v2, null, s31, v2, vcc_lo
	global_load_u16 v1, v[1:2], off
.LBB246_6:
	s_or_b32 exec_lo, exec_lo, s1
	v_dual_mov_b32 v2, s15 :: v_dual_add_nc_u32 v15, 0x100, v46
	s_delay_alu instid0(VALU_DEP_1)
	v_cmp_gt_u32_e64 s1, s21, v15
	s_and_saveexec_b32 s2, s1
	s_cbranch_execz .LBB246_8
; %bb.7:
	v_mul_lo_u32 v2, s22, v15
	v_mov_b32_e32 v3, 0
	s_delay_alu instid0(VALU_DEP_1) | instskip(NEXT) | instid1(VALU_DEP_1)
	v_lshlrev_b64_e32 v[2:3], 1, v[2:3]
	v_add_co_u32 v2, vcc_lo, s30, v2
	s_wait_alu 0xfffd
	s_delay_alu instid0(VALU_DEP_2)
	v_add_co_ci_u32_e64 v3, null, s31, v3, vcc_lo
	global_load_u16 v2, v[2:3], off
.LBB246_8:
	s_wait_alu 0xfffe
	s_or_b32 exec_lo, exec_lo, s2
	v_dual_mov_b32 v3, s15 :: v_dual_add_nc_u32 v16, 0x200, v46
	s_delay_alu instid0(VALU_DEP_1)
	v_cmp_gt_u32_e64 s2, s21, v16
	s_and_saveexec_b32 s3, s2
	s_cbranch_execz .LBB246_10
; %bb.9:
	v_mul_lo_u32 v3, s22, v16
	v_mov_b32_e32 v4, 0
	s_delay_alu instid0(VALU_DEP_1) | instskip(NEXT) | instid1(VALU_DEP_1)
	v_lshlrev_b64_e32 v[3:4], 1, v[3:4]
	v_add_co_u32 v3, vcc_lo, s30, v3
	s_wait_alu 0xfffd
	s_delay_alu instid0(VALU_DEP_2)
	v_add_co_ci_u32_e64 v4, null, s31, v4, vcc_lo
	global_load_u16 v3, v[3:4], off
.LBB246_10:
	s_wait_alu 0xfffe
	s_or_b32 exec_lo, exec_lo, s3
	v_dual_mov_b32 v4, s15 :: v_dual_add_nc_u32 v17, 0x300, v46
	s_delay_alu instid0(VALU_DEP_1)
	v_cmp_gt_u32_e64 s3, s21, v17
	s_and_saveexec_b32 s4, s3
	s_cbranch_execz .LBB246_12
; %bb.11:
	v_mul_lo_u32 v4, s22, v17
	v_mov_b32_e32 v5, 0
	s_delay_alu instid0(VALU_DEP_1) | instskip(NEXT) | instid1(VALU_DEP_1)
	v_lshlrev_b64_e32 v[4:5], 1, v[4:5]
	v_add_co_u32 v4, vcc_lo, s30, v4
	s_wait_alu 0xfffd
	s_delay_alu instid0(VALU_DEP_2)
	v_add_co_ci_u32_e64 v5, null, s31, v5, vcc_lo
	global_load_u16 v4, v[4:5], off
.LBB246_12:
	s_or_b32 exec_lo, exec_lo, s4
	v_or_b32_e32 v18, 0x400, v46
	v_mov_b32_e32 v5, s15
	s_delay_alu instid0(VALU_DEP_2)
	v_cmp_gt_u32_e64 s4, s21, v18
	s_and_saveexec_b32 s5, s4
	s_cbranch_execz .LBB246_14
; %bb.13:
	v_mul_lo_u32 v5, s22, v18
	v_mov_b32_e32 v6, 0
	s_delay_alu instid0(VALU_DEP_1) | instskip(NEXT) | instid1(VALU_DEP_1)
	v_lshlrev_b64_e32 v[5:6], 1, v[5:6]
	v_add_co_u32 v5, vcc_lo, s30, v5
	s_wait_alu 0xfffd
	s_delay_alu instid0(VALU_DEP_2)
	v_add_co_ci_u32_e64 v6, null, s31, v6, vcc_lo
	global_load_u16 v5, v[5:6], off
.LBB246_14:
	s_or_b32 exec_lo, exec_lo, s5
	v_dual_mov_b32 v6, s15 :: v_dual_add_nc_u32 v19, 0x500, v46
	s_delay_alu instid0(VALU_DEP_1)
	v_cmp_gt_u32_e64 s5, s21, v19
	s_and_saveexec_b32 s6, s5
	s_cbranch_execz .LBB246_16
; %bb.15:
	v_mul_lo_u32 v6, s22, v19
	v_mov_b32_e32 v7, 0
	s_delay_alu instid0(VALU_DEP_1) | instskip(NEXT) | instid1(VALU_DEP_1)
	v_lshlrev_b64_e32 v[6:7], 1, v[6:7]
	v_add_co_u32 v6, vcc_lo, s30, v6
	s_wait_alu 0xfffd
	s_delay_alu instid0(VALU_DEP_2)
	v_add_co_ci_u32_e64 v7, null, s31, v7, vcc_lo
	global_load_u16 v6, v[6:7], off
.LBB246_16:
	s_or_b32 exec_lo, exec_lo, s6
	v_dual_mov_b32 v7, s15 :: v_dual_add_nc_u32 v20, 0x600, v46
	s_delay_alu instid0(VALU_DEP_1)
	v_cmp_gt_u32_e64 s6, s21, v20
	s_and_saveexec_b32 s7, s6
	s_cbranch_execz .LBB246_18
; %bb.17:
	v_mul_lo_u32 v7, s22, v20
	v_mov_b32_e32 v8, 0
	s_delay_alu instid0(VALU_DEP_1) | instskip(NEXT) | instid1(VALU_DEP_1)
	v_lshlrev_b64_e32 v[7:8], 1, v[7:8]
	v_add_co_u32 v7, vcc_lo, s30, v7
	s_wait_alu 0xfffd
	s_delay_alu instid0(VALU_DEP_2)
	v_add_co_ci_u32_e64 v8, null, s31, v8, vcc_lo
	global_load_u16 v7, v[7:8], off
.LBB246_18:
	s_or_b32 exec_lo, exec_lo, s7
	s_clause 0x1
	s_load_b32 s12, s[10:11], 0x6c
	s_load_b64 s[10:11], s[10:11], 0x0
	v_dual_mov_b32 v8, s15 :: v_dual_add_nc_u32 v21, 0x700, v46
	s_delay_alu instid0(VALU_DEP_1)
	v_cmp_gt_u32_e64 s7, s21, v21
	s_and_saveexec_b32 s13, s7
	s_cbranch_execz .LBB246_20
; %bb.19:
	v_mul_lo_u32 v8, s22, v21
	v_mov_b32_e32 v9, 0
	s_delay_alu instid0(VALU_DEP_1) | instskip(NEXT) | instid1(VALU_DEP_1)
	v_lshlrev_b64_e32 v[8:9], 1, v[8:9]
	v_add_co_u32 v8, vcc_lo, s30, v8
	s_wait_alu 0xfffd
	s_delay_alu instid0(VALU_DEP_2)
	v_add_co_ci_u32_e64 v9, null, s31, v9, vcc_lo
	global_load_u16 v8, v[8:9], off
.LBB246_20:
	s_or_b32 exec_lo, exec_lo, s13
	v_lshrrev_b32_e32 v9, 4, v46
	v_lshrrev_b32_e32 v10, 4, v15
	;; [unrolled: 1-line block ×5, first 2 shown]
	v_dual_mov_b32 v42, 0 :: v_dual_and_b32 v9, 60, v9
	v_lshlrev_b32_e32 v12, 1, v46
	v_and_b32_e32 v10, 0x7c, v10
	v_and_b32_e32 v11, 0x7c, v11
	s_wait_kmcnt 0x0
	s_mul_i32 s12, s12, s14
	v_mov_b32_e32 v43, v42
	v_add_nc_u32_e32 v51, v9, v12
	v_add_nc_u32_e32 v45, v10, v12
	;; [unrolled: 1-line block ×3, first 2 shown]
	v_and_b32_e32 v9, 0x7c, v13
	v_lshrrev_b32_e32 v10, 4, v18
	v_lshrrev_b32_e32 v11, 4, v19
	;; [unrolled: 1-line block ×3, first 2 shown]
	v_mul_lo_u32 v41, s28, v46
	v_add_nc_u32_e32 v53, v9, v12
	v_and_b32_e32 v9, 0x7c, v10
	v_and_b32_e32 v10, 0xfc, v11
	v_and_b32_e32 v11, 0xfc, v13
	v_and_b32_e32 v13, 0xfc, v14
	v_lshrrev_b32_e32 v14, 1, v46
	v_add_nc_u32_e32 v54, v9, v12
	v_add_nc_u32_e32 v55, v10, v12
	;; [unrolled: 1-line block ×4, first 2 shown]
	v_and_b32_e32 v9, 0x1fc, v14
	v_mov_b32_e32 v13, 0
	v_dual_mov_b32 v11, v42 :: v_dual_mov_b32 v12, v42
	v_mov_b32_e32 v14, 0
	s_delay_alu instid0(VALU_DEP_4)
	v_lshl_add_u32 v58, v46, 4, v9
	s_wait_loadcnt 0x0
	ds_store_b16 v51, v1
	ds_store_b16 v45, v2 offset:512
	ds_store_b16 v52, v3 offset:1024
	;; [unrolled: 1-line block ×7, first 2 shown]
	s_wait_dscnt 0x0
	s_barrier_signal -1
	s_barrier_wait -1
	global_inv scope:SCOPE_SE
	ds_load_2addr_b32 v[49:50], v58 offset1:1
	ds_load_2addr_b32 v[47:48], v58 offset0:2 offset1:3
	s_add_co_i32 s12, s12, s9
	s_mov_b32 s13, 0
	v_dual_mov_b32 v9, v42 :: v_dual_mov_b32 v10, v42
	v_dual_mov_b32 v1, v42 :: v_dual_mov_b32 v2, v42
	;; [unrolled: 1-line block ×5, first 2 shown]
	s_lshl_b64 s[12:13], s[12:13], 3
	s_wait_loadcnt_dscnt 0x0
	s_add_nc_u64 s[34:35], s[10:11], s[12:13]
	s_barrier_signal -1
	s_barrier_wait -1
	global_inv scope:SCOPE_SE
	s_and_saveexec_b32 s9, s0
	s_cbranch_execnz .LBB246_76
; %bb.21:
	s_or_b32 exec_lo, exec_lo, s9
	s_and_saveexec_b32 s9, s1
	s_cbranch_execnz .LBB246_77
.LBB246_22:
	s_or_b32 exec_lo, exec_lo, s9
	s_and_saveexec_b32 s9, s2
	s_cbranch_execnz .LBB246_78
.LBB246_23:
	s_or_b32 exec_lo, exec_lo, s9
	s_and_saveexec_b32 s9, s3
	s_cbranch_execnz .LBB246_79
.LBB246_24:
	s_or_b32 exec_lo, exec_lo, s9
	s_and_saveexec_b32 s9, s4
	s_cbranch_execnz .LBB246_80
.LBB246_25:
	s_or_b32 exec_lo, exec_lo, s9
	s_and_saveexec_b32 s9, s5
	s_cbranch_execnz .LBB246_81
.LBB246_26:
	s_or_b32 exec_lo, exec_lo, s9
	s_and_saveexec_b32 s9, s6
	s_cbranch_execz .LBB246_28
.LBB246_27:
	v_mul_lo_u32 v5, s28, v20
	v_mov_b32_e32 v6, 0
	s_delay_alu instid0(VALU_DEP_1) | instskip(NEXT) | instid1(VALU_DEP_1)
	v_lshlrev_b64_e32 v[5:6], 3, v[5:6]
	v_add_co_u32 v5, vcc_lo, s34, v5
	s_wait_alu 0xfffd
	s_delay_alu instid0(VALU_DEP_2)
	v_add_co_ci_u32_e64 v6, null, s35, v6, vcc_lo
	global_load_b64 v[5:6], v[5:6], off
.LBB246_28:
	s_or_b32 exec_lo, exec_lo, s9
	v_lshrrev_b32_e32 v68, 5, v46
	v_lshrrev_b32_e32 v25, 5, v15
	;; [unrolled: 1-line block ×8, first 2 shown]
	v_lshlrev_b32_e32 v66, 3, v46
	v_lshrrev_b32_e32 v15, 2, v46
	s_xor_b32 s8, s8, -1
	s_and_saveexec_b32 s9, s7
	s_cbranch_execz .LBB246_30
; %bb.29:
	v_mul_lo_u32 v7, s28, v21
	v_mov_b32_e32 v8, 0
	s_delay_alu instid0(VALU_DEP_1) | instskip(NEXT) | instid1(VALU_DEP_1)
	v_lshlrev_b64_e32 v[7:8], 3, v[7:8]
	v_add_co_u32 v7, vcc_lo, s34, v7
	s_wait_alu 0xfffd
	s_delay_alu instid0(VALU_DEP_2)
	v_add_co_ci_u32_e64 v8, null, s35, v8, vcc_lo
	global_load_b64 v[7:8], v[7:8], off
.LBB246_30:
	s_or_b32 exec_lo, exec_lo, s9
	v_lshl_add_u32 v59, v68, 3, v66
	v_lshl_add_u32 v60, v25, 3, v66
	v_lshl_add_u32 v61, v24, 3, v66
	v_lshl_add_u32 v62, v23, 3, v66
	v_lshl_add_u32 v63, v17, 3, v66
	s_wait_loadcnt 0x0
	ds_store_b64 v59, v[13:14]
	ds_store_b64 v60, v[42:43] offset:2048
	ds_store_b64 v61, v[9:10] offset:4096
	;; [unrolled: 1-line block ×3, first 2 shown]
	v_lshlrev_b32_e32 v9, 3, v66
	v_lshl_add_u32 v42, v22, 3, v66
	v_lshl_add_u32 v43, v18, 3, v66
	;; [unrolled: 1-line block ×3, first 2 shown]
	ds_store_b64 v42, v[1:2] offset:8192
	ds_store_b64 v43, v[3:4] offset:10240
	;; [unrolled: 1-line block ×4, first 2 shown]
	v_lshl_add_u32 v65, v15, 3, v9
	s_wait_dscnt 0x0
	s_barrier_signal -1
	s_barrier_wait -1
	global_inv scope:SCOPE_SE
	ds_load_2addr_b64 v[13:16], v65 offset1:1
	ds_load_2addr_b64 v[9:12], v65 offset0:2 offset1:3
	ds_load_2addr_b64 v[5:8], v65 offset0:4 offset1:5
	;; [unrolled: 1-line block ×3, first 2 shown]
	v_bfe_u32 v71, v0, 10, 10
	v_bfe_u32 v72, v0, 20, 10
	v_mbcnt_lo_u32_b32 v69, -1, 0
	v_and_b32_e32 v70, 0x3e0, v46
	v_lshlrev_b32_e32 v67, 2, v66
	s_and_b32 vcc_lo, exec_lo, s8
	s_wait_loadcnt_dscnt 0x0
	s_barrier_signal -1
	s_barrier_wait -1
	global_inv scope:SCOPE_SE
	s_wait_alu 0xfffe
	s_cbranch_vccz .LBB246_82
; %bb.31:
	v_pk_ashrrev_i16 v0, 15, v49 op_sel_hi:[0,1]
	v_pk_ashrrev_i16 v17, 15, v50 op_sel_hi:[0,1]
	v_pk_ashrrev_i16 v18, 15, v47 op_sel_hi:[0,1]
	v_pk_ashrrev_i16 v19, 15, v48 op_sel_hi:[0,1]
	v_or_b32_e32 v21, v69, v70
	v_or_b32_e32 v0, 0x80008000, v0
	;; [unrolled: 1-line block ×5, first 2 shown]
	v_and_or_b32 v84, 0x1f00, v66, v69
	s_mov_b32 s12, 0
	v_xor_b32_e32 v17, v0, v49
	v_xor_b32_e32 v18, v20, v50
	;; [unrolled: 1-line block ×4, first 2 shown]
	s_mov_b32 s13, s12
	s_mov_b32 s14, s12
	;; [unrolled: 1-line block ×3, first 2 shown]
	v_lshlrev_b32_e32 v23, 4, v21
	v_lshlrev_b32_e32 v73, 1, v84
	s_getpc_b64 s[8:9]
	s_sext_i32_i16 s9, s9
	s_add_co_u32 s8, s8, _ZN7rocprim17ROCPRIM_400000_NS16block_radix_sortI12hip_bfloat16Lj256ELj8ElLj1ELj1ELj0ELNS0_26block_radix_rank_algorithmE1ELNS0_18block_padding_hintE2ELNS0_4arch9wavefront6targetE0EE19radix_bits_per_passE@rel32@lo+8
	s_add_co_ci_u32 s9, s9, _ZN7rocprim17ROCPRIM_400000_NS16block_radix_sortI12hip_bfloat16Lj256ELj8ElLj1ELj1ELj0ELNS0_26block_radix_rank_algorithmE1ELNS0_18block_padding_hintE2ELNS0_4arch9wavefront6targetE0EE19radix_bits_per_passE@rel32@hi+16
	s_load_b32 s20, s[8:9], 0x0
	ds_store_b128 v23, v[17:20]
	; wave barrier
	ds_load_u16 v74, v73
	v_mad_u32_u24 v0, v21, 48, v23
	ds_load_u16 v75, v73 offset:64
	ds_load_u16 v76, v73 offset:128
	;; [unrolled: 1-line block ×7, first 2 shown]
	s_wait_loadcnt_dscnt 0x0
	s_barrier_signal -1
	s_barrier_wait -1
	global_inv scope:SCOPE_SE
	ds_store_b128 v0, v[13:16]
	ds_store_b128 v0, v[9:12] offset:16
	ds_store_b128 v0, v[5:8] offset:32
	ds_store_b128 v0, v[1:4] offset:48
	v_mad_u32_u24 v29, v84, 6, v73
	; wave barrier
	s_wait_kmcnt 0x0
	s_min_u32 s8, s20, 16
	s_delay_alu instid0(SALU_CYCLE_1) | instskip(SKIP_4) | instid1(VALU_DEP_1)
	s_lshl_b32 s8, -1, s8
	v_cmp_ne_u16_e32 vcc_lo, 0x7fff, v74
	s_not_b32 s9, s8
	s_wait_alu 0xfffd
	v_cndmask_b32_e32 v17, 0xffff8000, v74, vcc_lo
	v_and_b32_e32 v17, 0xffff, v17
	s_delay_alu instid0(VALU_DEP_1)
	v_and_b32_e32 v40, s9, v17
	ds_load_2addr_b64 v[17:20], v29 offset1:32
	ds_load_2addr_b64 v[25:28], v29 offset0:64 offset1:96
	ds_load_2addr_b64 v[21:24], v29 offset0:128 offset1:160
	ds_load_2addr_b64 v[29:32], v29 offset0:192 offset1:224
	s_wait_loadcnt_dscnt 0x0
	v_and_b32_e32 v0, 1, v40
	v_lshlrev_b32_e32 v33, 30, v40
	v_lshlrev_b32_e32 v36, 28, v40
	s_barrier_signal -1
	s_barrier_wait -1
	v_add_co_u32 v0, s8, v0, -1
	s_wait_alu 0xf1ff
	v_cndmask_b32_e64 v34, 0, 1, s8
	v_not_b32_e32 v35, v33
	v_cmp_gt_i32_e64 s8, 0, v33
	global_inv scope:SCOPE_SE
	v_cmp_ne_u32_e32 vcc_lo, 0, v34
	v_lshlrev_b32_e32 v34, 29, v40
	v_ashrrev_i32_e32 v33, 31, v35
	s_wait_alu 0xfffd
	v_xor_b32_e32 v0, vcc_lo, v0
	s_delay_alu instid0(VALU_DEP_3)
	v_not_b32_e32 v35, v34
	s_wait_alu 0xf1ff
	v_xor_b32_e32 v33, s8, v33
	v_cmp_gt_i32_e32 vcc_lo, 0, v34
	s_load_b32 s8, s[36:37], 0xc
	v_and_b32_e32 v0, exec_lo, v0
	v_ashrrev_i32_e32 v34, 31, v35
	v_not_b32_e32 v35, v36
	s_delay_alu instid0(VALU_DEP_3) | instskip(SKIP_1) | instid1(VALU_DEP_4)
	v_and_b32_e32 v0, v0, v33
	v_lshlrev_b32_e32 v33, 27, v40
	v_xor_b32_e32 v34, vcc_lo, v34
	v_cmp_gt_i32_e32 vcc_lo, 0, v36
	v_ashrrev_i32_e32 v35, 31, v35
	s_delay_alu instid0(VALU_DEP_4) | instskip(NEXT) | instid1(VALU_DEP_4)
	v_not_b32_e32 v36, v33
	v_and_b32_e32 v0, v0, v34
	v_lshlrev_b32_e32 v34, 26, v40
	s_wait_alu 0xfffd
	v_xor_b32_e32 v35, vcc_lo, v35
	v_cmp_gt_i32_e32 vcc_lo, 0, v33
	v_ashrrev_i32_e32 v33, 31, v36
	v_not_b32_e32 v36, v34
	s_delay_alu instid0(VALU_DEP_4)
	v_and_b32_e32 v0, v0, v35
	v_lshlrev_b32_e32 v35, 25, v40
	s_wait_alu 0xfffd
	v_xor_b32_e32 v33, vcc_lo, v33
	v_cmp_gt_i32_e32 vcc_lo, 0, v34
	v_ashrrev_i32_e32 v34, 31, v36
	s_wait_kmcnt 0x0
	s_lshr_b32 s10, s8, 16
	v_not_b32_e32 v36, v35
	v_and_b32_e32 v0, v0, v33
	v_lshlrev_b32_e32 v33, 24, v40
	s_wait_alu 0xfffd
	v_xor_b32_e32 v34, vcc_lo, v34
	v_cmp_gt_i32_e32 vcc_lo, 0, v35
	v_ashrrev_i32_e32 v35, 31, v36
	v_mad_u32_u24 v37, v72, s10, v71
	v_not_b32_e32 v36, v33
	v_and_b32_e32 v0, v0, v34
	s_and_b32 s8, s8, 0xffff
	s_wait_alu 0xfffd
	v_xor_b32_e32 v34, vcc_lo, v35
	v_cmp_gt_i32_e32 vcc_lo, 0, v33
	v_ashrrev_i32_e32 v33, 31, v36
	s_wait_alu 0xfffe
	v_mad_co_u64_u32 v[38:39], null, v37, s8, v[46:47]
	v_dual_mov_b32 v37, s15 :: v_dual_and_b32 v0, v0, v34
	s_wait_alu 0xfffd
	v_xor_b32_e32 v33, vcc_lo, v33
	v_dual_mov_b32 v36, s14 :: v_dual_mov_b32 v35, s13
	v_mov_b32_e32 v34, s12
	ds_store_b128 v67, v[34:37] offset:32
	ds_store_b128 v67, v[34:37] offset:48
	v_and_b32_e32 v33, v0, v33
	v_lshrrev_b32_e32 v0, 5, v38
	v_lshlrev_b32_e32 v34, 5, v40
	s_wait_loadcnt_dscnt 0x0
	s_barrier_signal -1
	v_mbcnt_lo_u32_b32 v86, v33, 0
	v_lshlrev_b32_e32 v0, 2, v0
	v_cmp_ne_u32_e64 s8, 0, v33
	s_barrier_wait -1
	global_inv scope:SCOPE_SE
	v_cmp_eq_u32_e32 vcc_lo, 0, v86
	v_add_nc_u32_e32 v87, v0, v34
	; wave barrier
	s_and_b32 s10, s8, vcc_lo
	s_wait_alu 0xfffe
	s_and_saveexec_b32 s8, s10
; %bb.32:
	v_bcnt_u32_b32 v33, v33, 0
	ds_store_b32 v87, v33 offset:32
; %bb.33:
	s_wait_alu 0xfffe
	s_or_b32 exec_lo, exec_lo, s8
	v_cmp_ne_u16_e32 vcc_lo, 0x7fff, v75
	; wave barrier
	s_wait_alu 0xfffd
	v_cndmask_b32_e32 v33, 0xffff8000, v75, vcc_lo
	s_delay_alu instid0(VALU_DEP_1) | instskip(NEXT) | instid1(VALU_DEP_1)
	v_and_b32_e32 v33, 0xffff, v33
	v_and_b32_e32 v33, s9, v33
	s_delay_alu instid0(VALU_DEP_1)
	v_and_b32_e32 v34, 1, v33
	v_lshlrev_b32_e32 v35, 30, v33
	v_lshlrev_b32_e32 v36, 29, v33
	;; [unrolled: 1-line block ×4, first 2 shown]
	v_add_co_u32 v34, s8, v34, -1
	s_wait_alu 0xf1ff
	v_cndmask_b32_e64 v38, 0, 1, s8
	v_not_b32_e32 v83, v35
	v_cmp_gt_i32_e64 s8, 0, v35
	v_not_b32_e32 v35, v36
	v_lshlrev_b32_e32 v40, 26, v33
	v_cmp_ne_u32_e32 vcc_lo, 0, v38
	v_ashrrev_i32_e32 v83, 31, v83
	v_lshlrev_b32_e32 v82, 25, v33
	v_ashrrev_i32_e32 v35, 31, v35
	v_lshlrev_b32_e32 v38, 24, v33
	s_wait_alu 0xfffd
	v_xor_b32_e32 v34, vcc_lo, v34
	v_cmp_gt_i32_e32 vcc_lo, 0, v36
	v_not_b32_e32 v36, v37
	s_wait_alu 0xf1ff
	v_xor_b32_e32 v83, s8, v83
	v_cmp_gt_i32_e64 s8, 0, v37
	v_and_b32_e32 v34, exec_lo, v34
	v_not_b32_e32 v37, v39
	v_ashrrev_i32_e32 v36, 31, v36
	s_wait_alu 0xfffd
	v_xor_b32_e32 v35, vcc_lo, v35
	v_cmp_gt_i32_e32 vcc_lo, 0, v39
	v_and_b32_e32 v34, v34, v83
	v_not_b32_e32 v39, v40
	v_ashrrev_i32_e32 v37, 31, v37
	s_wait_alu 0xf1ff
	v_xor_b32_e32 v36, s8, v36
	v_cmp_gt_i32_e64 s8, 0, v40
	v_and_b32_e32 v34, v34, v35
	v_not_b32_e32 v35, v82
	v_ashrrev_i32_e32 v39, 31, v39
	s_wait_alu 0xfffd
	v_xor_b32_e32 v37, vcc_lo, v37
	v_cmp_gt_i32_e32 vcc_lo, 0, v82
	v_and_b32_e32 v34, v34, v36
	v_not_b32_e32 v36, v38
	v_ashrrev_i32_e32 v35, 31, v35
	s_wait_alu 0xf1ff
	v_xor_b32_e32 v39, s8, v39
	v_lshlrev_b32_e32 v33, 5, v33
	v_and_b32_e32 v34, v34, v37
	v_cmp_gt_i32_e64 s8, 0, v38
	v_ashrrev_i32_e32 v36, 31, v36
	s_wait_alu 0xfffd
	v_xor_b32_e32 v35, vcc_lo, v35
	v_add_nc_u32_e32 v90, v0, v33
	v_and_b32_e32 v34, v34, v39
	s_wait_alu 0xf1ff
	v_xor_b32_e32 v33, s8, v36
	ds_load_b32 v88, v90 offset:32
	v_and_b32_e32 v34, v34, v35
	; wave barrier
	s_delay_alu instid0(VALU_DEP_1) | instskip(NEXT) | instid1(VALU_DEP_1)
	v_and_b32_e32 v33, v34, v33
	v_mbcnt_lo_u32_b32 v89, v33, 0
	v_cmp_ne_u32_e64 s8, 0, v33
	s_delay_alu instid0(VALU_DEP_2)
	v_cmp_eq_u32_e32 vcc_lo, 0, v89
	s_and_b32 s10, s8, vcc_lo
	s_wait_alu 0xfffe
	s_and_saveexec_b32 s8, s10
	s_cbranch_execz .LBB246_35
; %bb.34:
	s_wait_dscnt 0x0
	v_bcnt_u32_b32 v33, v33, v88
	ds_store_b32 v90, v33 offset:32
.LBB246_35:
	s_wait_alu 0xfffe
	s_or_b32 exec_lo, exec_lo, s8
	v_cmp_ne_u16_e32 vcc_lo, 0x7fff, v76
	; wave barrier
	s_wait_alu 0xfffd
	v_cndmask_b32_e32 v33, 0xffff8000, v76, vcc_lo
	s_delay_alu instid0(VALU_DEP_1) | instskip(NEXT) | instid1(VALU_DEP_1)
	v_and_b32_e32 v33, 0xffff, v33
	v_and_b32_e32 v33, s9, v33
	s_delay_alu instid0(VALU_DEP_1)
	v_and_b32_e32 v34, 1, v33
	v_lshlrev_b32_e32 v35, 30, v33
	v_lshlrev_b32_e32 v36, 29, v33
	;; [unrolled: 1-line block ×4, first 2 shown]
	v_add_co_u32 v34, s8, v34, -1
	s_wait_alu 0xf1ff
	v_cndmask_b32_e64 v38, 0, 1, s8
	v_not_b32_e32 v83, v35
	v_cmp_gt_i32_e64 s8, 0, v35
	v_not_b32_e32 v35, v36
	v_lshlrev_b32_e32 v40, 26, v33
	v_cmp_ne_u32_e32 vcc_lo, 0, v38
	v_ashrrev_i32_e32 v83, 31, v83
	v_lshlrev_b32_e32 v82, 25, v33
	v_ashrrev_i32_e32 v35, 31, v35
	v_lshlrev_b32_e32 v38, 24, v33
	s_wait_alu 0xfffd
	v_xor_b32_e32 v34, vcc_lo, v34
	v_cmp_gt_i32_e32 vcc_lo, 0, v36
	v_not_b32_e32 v36, v37
	s_wait_alu 0xf1ff
	v_xor_b32_e32 v83, s8, v83
	v_cmp_gt_i32_e64 s8, 0, v37
	v_and_b32_e32 v34, exec_lo, v34
	v_not_b32_e32 v37, v39
	v_ashrrev_i32_e32 v36, 31, v36
	s_wait_alu 0xfffd
	v_xor_b32_e32 v35, vcc_lo, v35
	v_cmp_gt_i32_e32 vcc_lo, 0, v39
	v_and_b32_e32 v34, v34, v83
	v_not_b32_e32 v39, v40
	v_ashrrev_i32_e32 v37, 31, v37
	s_wait_alu 0xf1ff
	v_xor_b32_e32 v36, s8, v36
	v_cmp_gt_i32_e64 s8, 0, v40
	v_and_b32_e32 v34, v34, v35
	v_not_b32_e32 v35, v82
	v_ashrrev_i32_e32 v39, 31, v39
	s_wait_alu 0xfffd
	v_xor_b32_e32 v37, vcc_lo, v37
	v_cmp_gt_i32_e32 vcc_lo, 0, v82
	v_and_b32_e32 v34, v34, v36
	v_not_b32_e32 v36, v38
	v_ashrrev_i32_e32 v35, 31, v35
	s_wait_alu 0xf1ff
	v_xor_b32_e32 v39, s8, v39
	v_lshlrev_b32_e32 v33, 5, v33
	v_and_b32_e32 v34, v34, v37
	v_cmp_gt_i32_e64 s8, 0, v38
	v_ashrrev_i32_e32 v36, 31, v36
	s_wait_alu 0xfffd
	v_xor_b32_e32 v35, vcc_lo, v35
	v_add_nc_u32_e32 v93, v0, v33
	v_and_b32_e32 v34, v34, v39
	s_wait_alu 0xf1ff
	v_xor_b32_e32 v33, s8, v36
	ds_load_b32 v91, v93 offset:32
	v_and_b32_e32 v34, v34, v35
	; wave barrier
	s_delay_alu instid0(VALU_DEP_1) | instskip(NEXT) | instid1(VALU_DEP_1)
	v_and_b32_e32 v33, v34, v33
	v_mbcnt_lo_u32_b32 v92, v33, 0
	v_cmp_ne_u32_e64 s8, 0, v33
	s_delay_alu instid0(VALU_DEP_2)
	v_cmp_eq_u32_e32 vcc_lo, 0, v92
	s_and_b32 s10, s8, vcc_lo
	s_wait_alu 0xfffe
	s_and_saveexec_b32 s8, s10
	s_cbranch_execz .LBB246_37
; %bb.36:
	s_wait_dscnt 0x0
	v_bcnt_u32_b32 v33, v33, v91
	ds_store_b32 v93, v33 offset:32
.LBB246_37:
	s_wait_alu 0xfffe
	s_or_b32 exec_lo, exec_lo, s8
	v_cmp_ne_u16_e32 vcc_lo, 0x7fff, v77
	; wave barrier
	s_wait_alu 0xfffd
	v_cndmask_b32_e32 v33, 0xffff8000, v77, vcc_lo
	s_delay_alu instid0(VALU_DEP_1) | instskip(NEXT) | instid1(VALU_DEP_1)
	v_and_b32_e32 v33, 0xffff, v33
	v_and_b32_e32 v33, s9, v33
	s_delay_alu instid0(VALU_DEP_1)
	v_and_b32_e32 v34, 1, v33
	v_lshlrev_b32_e32 v35, 30, v33
	v_lshlrev_b32_e32 v36, 29, v33
	;; [unrolled: 1-line block ×4, first 2 shown]
	v_add_co_u32 v34, s8, v34, -1
	s_wait_alu 0xf1ff
	v_cndmask_b32_e64 v38, 0, 1, s8
	v_not_b32_e32 v83, v35
	v_cmp_gt_i32_e64 s8, 0, v35
	v_not_b32_e32 v35, v36
	v_lshlrev_b32_e32 v40, 26, v33
	v_cmp_ne_u32_e32 vcc_lo, 0, v38
	v_ashrrev_i32_e32 v83, 31, v83
	v_lshlrev_b32_e32 v82, 25, v33
	v_ashrrev_i32_e32 v35, 31, v35
	v_lshlrev_b32_e32 v38, 24, v33
	s_wait_alu 0xfffd
	v_xor_b32_e32 v34, vcc_lo, v34
	v_cmp_gt_i32_e32 vcc_lo, 0, v36
	v_not_b32_e32 v36, v37
	s_wait_alu 0xf1ff
	v_xor_b32_e32 v83, s8, v83
	v_cmp_gt_i32_e64 s8, 0, v37
	v_and_b32_e32 v34, exec_lo, v34
	v_not_b32_e32 v37, v39
	v_ashrrev_i32_e32 v36, 31, v36
	s_wait_alu 0xfffd
	v_xor_b32_e32 v35, vcc_lo, v35
	v_cmp_gt_i32_e32 vcc_lo, 0, v39
	v_and_b32_e32 v34, v34, v83
	v_not_b32_e32 v39, v40
	v_ashrrev_i32_e32 v37, 31, v37
	s_wait_alu 0xf1ff
	v_xor_b32_e32 v36, s8, v36
	v_cmp_gt_i32_e64 s8, 0, v40
	v_and_b32_e32 v34, v34, v35
	v_not_b32_e32 v35, v82
	v_ashrrev_i32_e32 v39, 31, v39
	s_wait_alu 0xfffd
	v_xor_b32_e32 v37, vcc_lo, v37
	v_cmp_gt_i32_e32 vcc_lo, 0, v82
	v_and_b32_e32 v34, v34, v36
	v_not_b32_e32 v36, v38
	v_ashrrev_i32_e32 v35, 31, v35
	s_wait_alu 0xf1ff
	v_xor_b32_e32 v39, s8, v39
	v_lshlrev_b32_e32 v33, 5, v33
	v_and_b32_e32 v34, v34, v37
	v_cmp_gt_i32_e64 s8, 0, v38
	v_ashrrev_i32_e32 v36, 31, v36
	s_wait_alu 0xfffd
	v_xor_b32_e32 v35, vcc_lo, v35
	v_add_nc_u32_e32 v96, v0, v33
	v_and_b32_e32 v34, v34, v39
	s_wait_alu 0xf1ff
	v_xor_b32_e32 v33, s8, v36
	ds_load_b32 v94, v96 offset:32
	v_and_b32_e32 v34, v34, v35
	; wave barrier
	s_delay_alu instid0(VALU_DEP_1) | instskip(NEXT) | instid1(VALU_DEP_1)
	v_and_b32_e32 v33, v34, v33
	v_mbcnt_lo_u32_b32 v95, v33, 0
	v_cmp_ne_u32_e64 s8, 0, v33
	s_delay_alu instid0(VALU_DEP_2)
	v_cmp_eq_u32_e32 vcc_lo, 0, v95
	s_and_b32 s10, s8, vcc_lo
	s_wait_alu 0xfffe
	s_and_saveexec_b32 s8, s10
	s_cbranch_execz .LBB246_39
; %bb.38:
	s_wait_dscnt 0x0
	v_bcnt_u32_b32 v33, v33, v94
	ds_store_b32 v96, v33 offset:32
.LBB246_39:
	s_wait_alu 0xfffe
	s_or_b32 exec_lo, exec_lo, s8
	v_cmp_ne_u16_e32 vcc_lo, 0x7fff, v78
	; wave barrier
	s_wait_alu 0xfffd
	v_cndmask_b32_e32 v33, 0xffff8000, v78, vcc_lo
	s_delay_alu instid0(VALU_DEP_1) | instskip(NEXT) | instid1(VALU_DEP_1)
	v_and_b32_e32 v33, 0xffff, v33
	v_and_b32_e32 v33, s9, v33
	s_delay_alu instid0(VALU_DEP_1)
	v_and_b32_e32 v34, 1, v33
	v_lshlrev_b32_e32 v35, 30, v33
	v_lshlrev_b32_e32 v36, 29, v33
	;; [unrolled: 1-line block ×4, first 2 shown]
	v_add_co_u32 v34, s8, v34, -1
	s_wait_alu 0xf1ff
	v_cndmask_b32_e64 v38, 0, 1, s8
	v_not_b32_e32 v83, v35
	v_cmp_gt_i32_e64 s8, 0, v35
	v_not_b32_e32 v35, v36
	v_lshlrev_b32_e32 v40, 26, v33
	v_cmp_ne_u32_e32 vcc_lo, 0, v38
	v_ashrrev_i32_e32 v83, 31, v83
	v_lshlrev_b32_e32 v82, 25, v33
	v_ashrrev_i32_e32 v35, 31, v35
	v_lshlrev_b32_e32 v38, 24, v33
	s_wait_alu 0xfffd
	v_xor_b32_e32 v34, vcc_lo, v34
	v_cmp_gt_i32_e32 vcc_lo, 0, v36
	v_not_b32_e32 v36, v37
	s_wait_alu 0xf1ff
	v_xor_b32_e32 v83, s8, v83
	v_cmp_gt_i32_e64 s8, 0, v37
	v_and_b32_e32 v34, exec_lo, v34
	v_not_b32_e32 v37, v39
	v_ashrrev_i32_e32 v36, 31, v36
	s_wait_alu 0xfffd
	v_xor_b32_e32 v35, vcc_lo, v35
	v_cmp_gt_i32_e32 vcc_lo, 0, v39
	v_and_b32_e32 v34, v34, v83
	v_not_b32_e32 v39, v40
	v_ashrrev_i32_e32 v37, 31, v37
	s_wait_alu 0xf1ff
	v_xor_b32_e32 v36, s8, v36
	v_cmp_gt_i32_e64 s8, 0, v40
	v_and_b32_e32 v34, v34, v35
	v_not_b32_e32 v35, v82
	v_ashrrev_i32_e32 v39, 31, v39
	s_wait_alu 0xfffd
	v_xor_b32_e32 v37, vcc_lo, v37
	v_cmp_gt_i32_e32 vcc_lo, 0, v82
	v_and_b32_e32 v34, v34, v36
	v_not_b32_e32 v36, v38
	v_ashrrev_i32_e32 v35, 31, v35
	s_wait_alu 0xf1ff
	v_xor_b32_e32 v39, s8, v39
	v_lshlrev_b32_e32 v33, 5, v33
	v_and_b32_e32 v34, v34, v37
	v_cmp_gt_i32_e64 s8, 0, v38
	v_ashrrev_i32_e32 v36, 31, v36
	s_wait_alu 0xfffd
	v_xor_b32_e32 v35, vcc_lo, v35
	v_add_nc_u32_e32 v99, v0, v33
	v_and_b32_e32 v34, v34, v39
	s_wait_alu 0xf1ff
	v_xor_b32_e32 v33, s8, v36
	ds_load_b32 v97, v99 offset:32
	v_and_b32_e32 v34, v34, v35
	; wave barrier
	s_delay_alu instid0(VALU_DEP_1) | instskip(NEXT) | instid1(VALU_DEP_1)
	v_and_b32_e32 v33, v34, v33
	v_mbcnt_lo_u32_b32 v98, v33, 0
	v_cmp_ne_u32_e64 s8, 0, v33
	s_delay_alu instid0(VALU_DEP_2)
	v_cmp_eq_u32_e32 vcc_lo, 0, v98
	s_and_b32 s10, s8, vcc_lo
	s_wait_alu 0xfffe
	s_and_saveexec_b32 s8, s10
	s_cbranch_execz .LBB246_41
; %bb.40:
	s_wait_dscnt 0x0
	v_bcnt_u32_b32 v33, v33, v97
	ds_store_b32 v99, v33 offset:32
.LBB246_41:
	s_wait_alu 0xfffe
	s_or_b32 exec_lo, exec_lo, s8
	v_cmp_ne_u16_e32 vcc_lo, 0x7fff, v79
	; wave barrier
	s_wait_alu 0xfffd
	v_cndmask_b32_e32 v33, 0xffff8000, v79, vcc_lo
	s_delay_alu instid0(VALU_DEP_1) | instskip(NEXT) | instid1(VALU_DEP_1)
	v_and_b32_e32 v33, 0xffff, v33
	v_and_b32_e32 v33, s9, v33
	s_delay_alu instid0(VALU_DEP_1)
	v_and_b32_e32 v34, 1, v33
	v_lshlrev_b32_e32 v35, 30, v33
	v_lshlrev_b32_e32 v36, 29, v33
	;; [unrolled: 1-line block ×4, first 2 shown]
	v_add_co_u32 v34, s8, v34, -1
	s_wait_alu 0xf1ff
	v_cndmask_b32_e64 v38, 0, 1, s8
	v_not_b32_e32 v83, v35
	v_cmp_gt_i32_e64 s8, 0, v35
	v_not_b32_e32 v35, v36
	v_lshlrev_b32_e32 v40, 26, v33
	v_cmp_ne_u32_e32 vcc_lo, 0, v38
	v_ashrrev_i32_e32 v83, 31, v83
	v_lshlrev_b32_e32 v82, 25, v33
	v_ashrrev_i32_e32 v35, 31, v35
	v_lshlrev_b32_e32 v38, 24, v33
	s_wait_alu 0xfffd
	v_xor_b32_e32 v34, vcc_lo, v34
	v_cmp_gt_i32_e32 vcc_lo, 0, v36
	v_not_b32_e32 v36, v37
	s_wait_alu 0xf1ff
	v_xor_b32_e32 v83, s8, v83
	v_cmp_gt_i32_e64 s8, 0, v37
	v_and_b32_e32 v34, exec_lo, v34
	v_not_b32_e32 v37, v39
	v_ashrrev_i32_e32 v36, 31, v36
	s_wait_alu 0xfffd
	v_xor_b32_e32 v35, vcc_lo, v35
	v_cmp_gt_i32_e32 vcc_lo, 0, v39
	v_and_b32_e32 v34, v34, v83
	v_not_b32_e32 v39, v40
	v_ashrrev_i32_e32 v37, 31, v37
	s_wait_alu 0xf1ff
	v_xor_b32_e32 v36, s8, v36
	v_cmp_gt_i32_e64 s8, 0, v40
	v_and_b32_e32 v34, v34, v35
	v_not_b32_e32 v35, v82
	v_ashrrev_i32_e32 v39, 31, v39
	s_wait_alu 0xfffd
	v_xor_b32_e32 v37, vcc_lo, v37
	v_cmp_gt_i32_e32 vcc_lo, 0, v82
	v_and_b32_e32 v34, v34, v36
	v_not_b32_e32 v36, v38
	v_ashrrev_i32_e32 v35, 31, v35
	s_wait_alu 0xf1ff
	v_xor_b32_e32 v39, s8, v39
	v_lshlrev_b32_e32 v33, 5, v33
	v_and_b32_e32 v34, v34, v37
	v_cmp_gt_i32_e64 s8, 0, v38
	v_ashrrev_i32_e32 v36, 31, v36
	s_wait_alu 0xfffd
	v_xor_b32_e32 v35, vcc_lo, v35
	v_add_nc_u32_e32 v102, v0, v33
	v_and_b32_e32 v34, v34, v39
	s_wait_alu 0xf1ff
	v_xor_b32_e32 v33, s8, v36
	ds_load_b32 v100, v102 offset:32
	v_and_b32_e32 v34, v34, v35
	; wave barrier
	s_delay_alu instid0(VALU_DEP_1) | instskip(NEXT) | instid1(VALU_DEP_1)
	v_and_b32_e32 v33, v34, v33
	v_mbcnt_lo_u32_b32 v101, v33, 0
	v_cmp_ne_u32_e64 s8, 0, v33
	s_delay_alu instid0(VALU_DEP_2)
	v_cmp_eq_u32_e32 vcc_lo, 0, v101
	s_and_b32 s10, s8, vcc_lo
	s_wait_alu 0xfffe
	s_and_saveexec_b32 s8, s10
	s_cbranch_execz .LBB246_43
; %bb.42:
	s_wait_dscnt 0x0
	v_bcnt_u32_b32 v33, v33, v100
	ds_store_b32 v102, v33 offset:32
.LBB246_43:
	s_wait_alu 0xfffe
	s_or_b32 exec_lo, exec_lo, s8
	v_cmp_ne_u16_e32 vcc_lo, 0x7fff, v80
	; wave barrier
	s_wait_alu 0xfffd
	v_cndmask_b32_e32 v33, 0xffff8000, v80, vcc_lo
	s_delay_alu instid0(VALU_DEP_1) | instskip(NEXT) | instid1(VALU_DEP_1)
	v_and_b32_e32 v33, 0xffff, v33
	v_and_b32_e32 v33, s9, v33
	s_delay_alu instid0(VALU_DEP_1)
	v_and_b32_e32 v34, 1, v33
	v_lshlrev_b32_e32 v35, 30, v33
	v_lshlrev_b32_e32 v36, 29, v33
	;; [unrolled: 1-line block ×4, first 2 shown]
	v_add_co_u32 v34, s8, v34, -1
	s_wait_alu 0xf1ff
	v_cndmask_b32_e64 v38, 0, 1, s8
	v_not_b32_e32 v83, v35
	v_cmp_gt_i32_e64 s8, 0, v35
	v_not_b32_e32 v35, v36
	v_lshlrev_b32_e32 v40, 26, v33
	v_cmp_ne_u32_e32 vcc_lo, 0, v38
	v_ashrrev_i32_e32 v83, 31, v83
	v_lshlrev_b32_e32 v82, 25, v33
	v_ashrrev_i32_e32 v35, 31, v35
	v_lshlrev_b32_e32 v38, 24, v33
	s_wait_alu 0xfffd
	v_xor_b32_e32 v34, vcc_lo, v34
	v_cmp_gt_i32_e32 vcc_lo, 0, v36
	v_not_b32_e32 v36, v37
	s_wait_alu 0xf1ff
	v_xor_b32_e32 v83, s8, v83
	v_cmp_gt_i32_e64 s8, 0, v37
	v_and_b32_e32 v34, exec_lo, v34
	v_not_b32_e32 v37, v39
	v_ashrrev_i32_e32 v36, 31, v36
	s_wait_alu 0xfffd
	v_xor_b32_e32 v35, vcc_lo, v35
	v_cmp_gt_i32_e32 vcc_lo, 0, v39
	v_and_b32_e32 v34, v34, v83
	v_not_b32_e32 v39, v40
	v_ashrrev_i32_e32 v37, 31, v37
	s_wait_alu 0xf1ff
	v_xor_b32_e32 v36, s8, v36
	v_cmp_gt_i32_e64 s8, 0, v40
	v_and_b32_e32 v34, v34, v35
	v_not_b32_e32 v35, v82
	v_ashrrev_i32_e32 v39, 31, v39
	s_wait_alu 0xfffd
	v_xor_b32_e32 v37, vcc_lo, v37
	v_cmp_gt_i32_e32 vcc_lo, 0, v82
	v_and_b32_e32 v34, v34, v36
	v_not_b32_e32 v36, v38
	v_ashrrev_i32_e32 v35, 31, v35
	s_wait_alu 0xf1ff
	v_xor_b32_e32 v39, s8, v39
	v_lshlrev_b32_e32 v33, 5, v33
	v_and_b32_e32 v34, v34, v37
	v_cmp_gt_i32_e64 s8, 0, v38
	v_ashrrev_i32_e32 v36, 31, v36
	s_wait_alu 0xfffd
	v_xor_b32_e32 v35, vcc_lo, v35
	v_add_nc_u32_e32 v105, v0, v33
	v_and_b32_e32 v34, v34, v39
	s_wait_alu 0xf1ff
	v_xor_b32_e32 v33, s8, v36
	ds_load_b32 v103, v105 offset:32
	v_and_b32_e32 v34, v34, v35
	; wave barrier
	s_delay_alu instid0(VALU_DEP_1) | instskip(NEXT) | instid1(VALU_DEP_1)
	v_and_b32_e32 v33, v34, v33
	v_mbcnt_lo_u32_b32 v104, v33, 0
	v_cmp_ne_u32_e64 s8, 0, v33
	s_delay_alu instid0(VALU_DEP_2)
	v_cmp_eq_u32_e32 vcc_lo, 0, v104
	s_and_b32 s10, s8, vcc_lo
	s_wait_alu 0xfffe
	s_and_saveexec_b32 s8, s10
	s_cbranch_execz .LBB246_45
; %bb.44:
	s_wait_dscnt 0x0
	v_bcnt_u32_b32 v33, v33, v103
	ds_store_b32 v105, v33 offset:32
.LBB246_45:
	s_wait_alu 0xfffe
	s_or_b32 exec_lo, exec_lo, s8
	v_cmp_ne_u16_e32 vcc_lo, 0x7fff, v81
	; wave barrier
	s_wait_alu 0xfffd
	v_cndmask_b32_e32 v33, 0xffff8000, v81, vcc_lo
	s_delay_alu instid0(VALU_DEP_1) | instskip(NEXT) | instid1(VALU_DEP_1)
	v_and_b32_e32 v33, 0xffff, v33
	v_and_b32_e32 v33, s9, v33
	s_delay_alu instid0(VALU_DEP_1)
	v_and_b32_e32 v34, 1, v33
	v_lshlrev_b32_e32 v35, 30, v33
	v_lshlrev_b32_e32 v36, 29, v33
	;; [unrolled: 1-line block ×4, first 2 shown]
	v_add_co_u32 v34, s8, v34, -1
	s_wait_alu 0xf1ff
	v_cndmask_b32_e64 v38, 0, 1, s8
	v_not_b32_e32 v83, v35
	v_cmp_gt_i32_e64 s8, 0, v35
	v_not_b32_e32 v35, v36
	v_lshlrev_b32_e32 v40, 26, v33
	v_cmp_ne_u32_e32 vcc_lo, 0, v38
	v_ashrrev_i32_e32 v83, 31, v83
	v_lshlrev_b32_e32 v82, 25, v33
	v_ashrrev_i32_e32 v35, 31, v35
	v_lshlrev_b32_e32 v38, 24, v33
	s_wait_alu 0xfffd
	v_xor_b32_e32 v34, vcc_lo, v34
	v_cmp_gt_i32_e32 vcc_lo, 0, v36
	v_not_b32_e32 v36, v37
	s_wait_alu 0xf1ff
	v_xor_b32_e32 v83, s8, v83
	v_cmp_gt_i32_e64 s8, 0, v37
	v_and_b32_e32 v34, exec_lo, v34
	v_not_b32_e32 v37, v39
	v_ashrrev_i32_e32 v36, 31, v36
	s_wait_alu 0xfffd
	v_xor_b32_e32 v35, vcc_lo, v35
	v_cmp_gt_i32_e32 vcc_lo, 0, v39
	v_and_b32_e32 v34, v34, v83
	v_not_b32_e32 v39, v40
	v_ashrrev_i32_e32 v37, 31, v37
	s_wait_alu 0xf1ff
	v_xor_b32_e32 v36, s8, v36
	v_cmp_gt_i32_e64 s8, 0, v40
	v_and_b32_e32 v34, v34, v35
	v_not_b32_e32 v35, v82
	v_ashrrev_i32_e32 v39, 31, v39
	s_wait_alu 0xfffd
	v_xor_b32_e32 v37, vcc_lo, v37
	v_cmp_gt_i32_e32 vcc_lo, 0, v82
	v_and_b32_e32 v34, v34, v36
	v_not_b32_e32 v36, v38
	v_ashrrev_i32_e32 v35, 31, v35
	s_wait_alu 0xf1ff
	v_xor_b32_e32 v39, s8, v39
	v_lshlrev_b32_e32 v33, 5, v33
	v_and_b32_e32 v34, v34, v37
	v_cmp_gt_i32_e64 s8, 0, v38
	v_ashrrev_i32_e32 v36, 31, v36
	s_wait_alu 0xfffd
	v_xor_b32_e32 v35, vcc_lo, v35
	v_add_nc_u32_e32 v108, v0, v33
	v_and_b32_e32 v34, v34, v39
	v_min_u32_e32 v82, 0xe0, v70
	s_wait_alu 0xf1ff
	v_xor_b32_e32 v33, s8, v36
	ds_load_b32 v106, v108 offset:32
	v_and_b32_e32 v34, v34, v35
	; wave barrier
	s_delay_alu instid0(VALU_DEP_1) | instskip(NEXT) | instid1(VALU_DEP_1)
	v_and_b32_e32 v33, v34, v33
	v_mbcnt_lo_u32_b32 v107, v33, 0
	v_cmp_ne_u32_e64 s8, 0, v33
	s_delay_alu instid0(VALU_DEP_2)
	v_cmp_eq_u32_e32 vcc_lo, 0, v107
	s_and_b32 s9, s8, vcc_lo
	s_wait_alu 0xfffe
	s_and_saveexec_b32 s8, s9
	s_cbranch_execz .LBB246_47
; %bb.46:
	s_wait_dscnt 0x0
	v_bcnt_u32_b32 v33, v33, v106
	ds_store_b32 v108, v33 offset:32
.LBB246_47:
	s_wait_alu 0xfffe
	s_or_b32 exec_lo, exec_lo, s8
	; wave barrier
	s_wait_loadcnt_dscnt 0x0
	s_barrier_signal -1
	s_barrier_wait -1
	global_inv scope:SCOPE_SE
	ds_load_b128 v[37:40], v67 offset:32
	ds_load_b128 v[33:36], v67 offset:48
	v_and_b32_e32 v109, 16, v69
	v_or_b32_e32 v82, 31, v82
	s_delay_alu instid0(VALU_DEP_2) | instskip(NEXT) | instid1(VALU_DEP_2)
	v_cmp_eq_u32_e64 s17, 0, v109
	v_cmp_eq_u32_e64 s15, v46, v82
	s_wait_dscnt 0x1
	v_add_nc_u32_e32 v83, v38, v37
	s_delay_alu instid0(VALU_DEP_1) | instskip(SKIP_1) | instid1(VALU_DEP_1)
	v_add3_u32 v83, v83, v39, v40
	s_wait_dscnt 0x0
	v_add3_u32 v83, v83, v33, v34
	s_delay_alu instid0(VALU_DEP_1) | instskip(SKIP_1) | instid1(VALU_DEP_2)
	v_add3_u32 v36, v83, v35, v36
	v_and_b32_e32 v83, 15, v69
	v_mov_b32_dpp v85, v36 row_shr:1 row_mask:0xf bank_mask:0xf
	s_delay_alu instid0(VALU_DEP_2)
	v_cmp_eq_u32_e64 s9, 0, v83
	v_cmp_lt_u32_e64 s11, 1, v83
	v_cmp_lt_u32_e64 s12, 3, v83
	;; [unrolled: 1-line block ×3, first 2 shown]
	s_wait_alu 0xf1ff
	v_cndmask_b32_e64 v85, v85, 0, s9
	s_delay_alu instid0(VALU_DEP_1) | instskip(NEXT) | instid1(VALU_DEP_1)
	v_add_nc_u32_e32 v36, v85, v36
	v_mov_b32_dpp v85, v36 row_shr:2 row_mask:0xf bank_mask:0xf
	s_delay_alu instid0(VALU_DEP_1) | instskip(NEXT) | instid1(VALU_DEP_1)
	v_cndmask_b32_e64 v85, 0, v85, s11
	v_add_nc_u32_e32 v36, v36, v85
	s_delay_alu instid0(VALU_DEP_1) | instskip(NEXT) | instid1(VALU_DEP_1)
	v_mov_b32_dpp v85, v36 row_shr:4 row_mask:0xf bank_mask:0xf
	v_cndmask_b32_e64 v85, 0, v85, s12
	s_delay_alu instid0(VALU_DEP_1) | instskip(NEXT) | instid1(VALU_DEP_1)
	v_add_nc_u32_e32 v36, v36, v85
	v_mov_b32_dpp v85, v36 row_shr:8 row_mask:0xf bank_mask:0xf
	s_delay_alu instid0(VALU_DEP_1) | instskip(NEXT) | instid1(VALU_DEP_1)
	v_cndmask_b32_e64 v83, 0, v85, s14
	v_add_nc_u32_e32 v85, v36, v83
	v_bfe_i32 v83, v69, 4, 1
	ds_swizzle_b32 v36, v85 offset:swizzle(BROADCAST,32,15)
	s_wait_dscnt 0x0
	v_and_b32_e32 v110, v83, v36
	v_mul_i32_i24_e32 v36, 0xffffffe4, v46
	v_lshlrev_b32_e32 v83, 2, v68
	s_delay_alu instid0(VALU_DEP_3)
	v_add_nc_u32_e32 v85, v85, v110
	s_and_saveexec_b32 s8, s15
; %bb.48:
	ds_store_b32 v83, v85
; %bb.49:
	s_wait_alu 0xfffe
	s_or_b32 exec_lo, exec_lo, s8
	v_and_b32_e32 v82, 7, v69
	v_cmp_gt_u32_e64 s16, 8, v46
	s_wait_loadcnt_dscnt 0x0
	s_barrier_signal -1
	s_barrier_wait -1
	v_cmp_eq_u32_e64 s13, 0, v82
	v_cmp_lt_u32_e64 s10, 1, v82
	v_cmp_lt_u32_e32 vcc_lo, 3, v82
	v_add_nc_u32_e32 v82, v67, v36
	global_inv scope:SCOPE_SE
	s_and_saveexec_b32 s8, s16
	s_cbranch_execz .LBB246_51
; %bb.50:
	ds_load_b32 v36, v82
	s_wait_dscnt 0x0
	v_mov_b32_dpp v109, v36 row_shr:1 row_mask:0xf bank_mask:0xf
	s_wait_alu 0xf1ff
	s_delay_alu instid0(VALU_DEP_1) | instskip(NEXT) | instid1(VALU_DEP_1)
	v_cndmask_b32_e64 v109, v109, 0, s13
	v_add_nc_u32_e32 v36, v109, v36
	s_delay_alu instid0(VALU_DEP_1) | instskip(NEXT) | instid1(VALU_DEP_1)
	v_mov_b32_dpp v109, v36 row_shr:2 row_mask:0xf bank_mask:0xf
	v_cndmask_b32_e64 v109, 0, v109, s10
	s_delay_alu instid0(VALU_DEP_1) | instskip(NEXT) | instid1(VALU_DEP_1)
	v_add_nc_u32_e32 v36, v36, v109
	v_mov_b32_dpp v109, v36 row_shr:4 row_mask:0xf bank_mask:0xf
	s_wait_alu 0xfffd
	s_delay_alu instid0(VALU_DEP_1) | instskip(NEXT) | instid1(VALU_DEP_1)
	v_cndmask_b32_e32 v109, 0, v109, vcc_lo
	v_add_nc_u32_e32 v36, v36, v109
	ds_store_b32 v82, v36
.LBB246_51:
	s_wait_alu 0xfffe
	s_or_b32 exec_lo, exec_lo, s8
	v_mul_u32_u24_e32 v36, 6, v84
	v_sub_co_u32 v109, s8, v69, 1
	v_cmp_lt_u32_e64 s18, 31, v46
	v_add_nc_u32_e32 v84, -4, v83
	v_mov_b32_e32 v110, 0
	s_wait_loadcnt_dscnt 0x0
	s_barrier_signal -1
	s_barrier_wait -1
	global_inv scope:SCOPE_SE
	s_and_saveexec_b32 s19, s18
; %bb.52:
	ds_load_b32 v110, v84
; %bb.53:
	s_wait_alu 0xfffe
	s_or_b32 exec_lo, exec_lo, s19
	v_cmp_gt_i32_e64 s19, 0, v109
	s_mov_b32 s24, 0
	s_min_u32 s20, s20, 8
	s_mov_b32 s25, s24
	s_mov_b32 s26, s24
	v_cndmask_b32_e64 v109, v109, v69, s19
	s_mov_b32 s27, s24
	s_wait_dscnt 0x0
	v_add_nc_u32_e32 v111, v110, v85
	v_cmp_eq_u32_e64 s19, 0, v46
	s_wait_alu 0xfffe
	s_lshl_b32 s20, -1, s20
	v_lshlrev_b32_e32 v85, 2, v109
	s_wait_alu 0xfffe
	s_not_b32 s23, s20
	ds_bpermute_b32 v109, v85, v111
	s_wait_dscnt 0x0
	v_cndmask_b32_e64 v109, v109, v110, s8
	s_delay_alu instid0(VALU_DEP_1) | instskip(NEXT) | instid1(VALU_DEP_1)
	v_cndmask_b32_e64 v109, v109, 0, s19
	v_add_nc_u32_e32 v110, v109, v37
	s_delay_alu instid0(VALU_DEP_1) | instskip(NEXT) | instid1(VALU_DEP_1)
	v_add_nc_u32_e32 v111, v110, v38
	v_add_nc_u32_e32 v112, v111, v39
	s_delay_alu instid0(VALU_DEP_1) | instskip(NEXT) | instid1(VALU_DEP_1)
	v_add_nc_u32_e32 v37, v112, v40
	;; [unrolled: 3-line block ×3, first 2 shown]
	v_add_nc_u32_e32 v40, v39, v35
	ds_store_b128 v67, v[109:112] offset:32
	ds_store_b128 v67, v[37:40] offset:48
	s_wait_loadcnt_dscnt 0x0
	s_barrier_signal -1
	s_barrier_wait -1
	global_inv scope:SCOPE_SE
	ds_load_b32 v33, v87 offset:32
	ds_load_b32 v34, v90 offset:32
	;; [unrolled: 1-line block ×8, first 2 shown]
	v_add_nc_u32_e32 v90, v73, v36
	s_wait_loadcnt_dscnt 0x0
	s_barrier_signal -1
	s_barrier_wait -1
	global_inv scope:SCOPE_SE
	v_add_nc_u32_e32 v86, v33, v86
	v_add3_u32 v88, v89, v88, v34
	v_add3_u32 v89, v92, v91, v35
	;; [unrolled: 1-line block ×7, first 2 shown]
	v_lshlrev_b32_e32 v33, 1, v86
	v_lshlrev_b32_e32 v34, 1, v88
	;; [unrolled: 1-line block ×8, first 2 shown]
	ds_store_b16 v33, v74
	ds_store_b16 v34, v75
	;; [unrolled: 1-line block ×8, first 2 shown]
	s_wait_loadcnt_dscnt 0x0
	s_barrier_signal -1
	s_barrier_wait -1
	global_inv scope:SCOPE_SE
	ds_load_u16 v74, v73
	ds_load_u16 v75, v73 offset:64
	ds_load_u16 v76, v73 offset:128
	;; [unrolled: 1-line block ×7, first 2 shown]
	v_mad_co_u64_u32 v[86:87], null, v86, 6, v[33:34]
	v_mad_co_u64_u32 v[33:34], null, v88, 6, v[34:35]
	;; [unrolled: 1-line block ×3, first 2 shown]
	s_wait_loadcnt_dscnt 0x0
	s_barrier_signal -1
	s_barrier_wait -1
	global_inv scope:SCOPE_SE
	v_mad_co_u64_u32 v[35:36], null, v91, 6, v[36:37]
	v_lshrrev_b16 v81, 8, v74
	v_cmp_ne_u16_e64 s20, 0x7fff, v74
	ds_store_b64 v86, v[17:18]
	v_mad_co_u64_u32 v[36:37], null, v92, 6, v[37:38]
	v_mad_co_u64_u32 v[37:38], null, v93, 6, v[38:39]
	s_wait_alu 0xf1ff
	v_cndmask_b32_e64 v81, 0x80, v81, s20
	v_mad_co_u64_u32 v[38:39], null, v94, 6, v[39:40]
	v_mad_co_u64_u32 v[39:40], null, v95, 6, v[40:41]
	s_delay_alu instid0(VALU_DEP_3)
	v_and_b32_e32 v17, 0xffff, v81
	ds_store_b64 v33, v[19:20]
	ds_store_b64 v34, v[25:26]
	;; [unrolled: 1-line block ×7, first 2 shown]
	s_wait_alu 0xfffe
	v_and_b32_e32 v40, s23, v17
	s_wait_loadcnt_dscnt 0x0
	s_barrier_signal -1
	s_barrier_wait -1
	global_inv scope:SCOPE_SE
	v_and_b32_e32 v17, 1, v40
	v_lshlrev_b32_e32 v18, 30, v40
	v_lshlrev_b32_e32 v19, 29, v40
	;; [unrolled: 1-line block ×4, first 2 shown]
	v_add_co_u32 v17, s20, v17, -1
	s_wait_alu 0xf1ff
	v_cndmask_b32_e64 v21, 0, 1, s20
	v_not_b32_e32 v25, v18
	v_cmp_gt_i32_e64 s21, 0, v18
	v_not_b32_e32 v18, v19
	v_lshlrev_b32_e32 v23, 26, v40
	v_cmp_ne_u32_e64 s20, 0, v21
	v_ashrrev_i32_e32 v25, 31, v25
	v_lshlrev_b32_e32 v24, 25, v40
	v_ashrrev_i32_e32 v18, 31, v18
	v_lshlrev_b32_e32 v21, 24, v40
	s_wait_alu 0xf1ff
	v_xor_b32_e32 v17, s20, v17
	v_cmp_gt_i32_e64 s20, 0, v19
	v_not_b32_e32 v19, v20
	v_xor_b32_e32 v25, s21, v25
	v_cmp_gt_i32_e64 s21, 0, v20
	v_and_b32_e32 v17, exec_lo, v17
	v_not_b32_e32 v20, v22
	v_ashrrev_i32_e32 v19, 31, v19
	s_wait_alu 0xf1ff
	v_xor_b32_e32 v18, s20, v18
	v_cmp_gt_i32_e64 s20, 0, v22
	v_and_b32_e32 v17, v17, v25
	v_not_b32_e32 v22, v23
	v_ashrrev_i32_e32 v20, 31, v20
	v_xor_b32_e32 v19, s21, v19
	v_cmp_gt_i32_e64 s21, 0, v23
	v_and_b32_e32 v17, v17, v18
	v_not_b32_e32 v18, v24
	v_ashrrev_i32_e32 v22, 31, v22
	s_wait_alu 0xf1ff
	v_xor_b32_e32 v20, s20, v20
	v_cmp_gt_i32_e64 s20, 0, v24
	v_and_b32_e32 v17, v17, v19
	v_not_b32_e32 v19, v21
	v_ashrrev_i32_e32 v18, 31, v18
	v_xor_b32_e32 v22, s21, v22
	v_cmp_gt_i32_e64 s21, 0, v21
	v_and_b32_e32 v17, v17, v20
	v_ashrrev_i32_e32 v19, 31, v19
	s_wait_alu 0xf1ff
	v_xor_b32_e32 v18, s20, v18
	v_dual_mov_b32 v37, s27 :: v_dual_mov_b32 v36, s26
	v_and_b32_e32 v17, v17, v22
	v_xor_b32_e32 v33, s21, v19
	ds_load_2addr_b64 v[21:24], v90 offset1:32
	v_dual_mov_b32 v35, s25 :: v_dual_mov_b32 v34, s24
	v_and_b32_e32 v38, v17, v18
	ds_load_2addr_b64 v[29:32], v90 offset0:64 offset1:96
	ds_load_2addr_b64 v[25:28], v90 offset0:128 offset1:160
	;; [unrolled: 1-line block ×3, first 2 shown]
	v_lshl_add_u32 v86, v40, 5, v0
	s_wait_loadcnt_dscnt 0x0
	s_barrier_signal -1
	v_and_b32_e32 v33, v38, v33
	s_barrier_wait -1
	global_inv scope:SCOPE_SE
	ds_store_b128 v67, v[34:37] offset:32
	ds_store_b128 v67, v[34:37] offset:48
	s_wait_loadcnt_dscnt 0x0
	v_mbcnt_lo_u32_b32 v81, v33, 0
	v_cmp_ne_u32_e64 s21, 0, v33
	s_barrier_signal -1
	s_barrier_wait -1
	global_inv scope:SCOPE_SE
	v_cmp_eq_u32_e64 s20, 0, v81
	; wave barrier
	s_and_b32 s21, s21, s20
	s_wait_alu 0xfffe
	s_and_saveexec_b32 s20, s21
; %bb.54:
	v_bcnt_u32_b32 v33, v33, 0
	ds_store_b32 v86, v33 offset:32
; %bb.55:
	s_wait_alu 0xfffe
	s_or_b32 exec_lo, exec_lo, s20
	v_lshrrev_b16 v33, 8, v75
	v_cmp_ne_u16_e64 s20, 0x7fff, v75
	; wave barrier
	s_wait_alu 0xf1ff
	s_delay_alu instid0(VALU_DEP_1) | instskip(NEXT) | instid1(VALU_DEP_1)
	v_cndmask_b32_e64 v33, 0x80, v33, s20
	v_and_b32_e32 v33, s23, v33
	s_delay_alu instid0(VALU_DEP_1)
	v_and_b32_e32 v34, 1, v33
	v_lshlrev_b32_e32 v35, 30, v33
	v_lshlrev_b32_e32 v36, 29, v33
	;; [unrolled: 1-line block ×4, first 2 shown]
	v_add_co_u32 v34, s20, v34, -1
	s_wait_alu 0xf1ff
	v_cndmask_b32_e64 v38, 0, 1, s20
	v_not_b32_e32 v88, v35
	v_cmp_gt_i32_e64 s21, 0, v35
	v_not_b32_e32 v35, v36
	v_lshlrev_b32_e32 v40, 26, v33
	v_cmp_ne_u32_e64 s20, 0, v38
	v_ashrrev_i32_e32 v88, 31, v88
	v_lshlrev_b32_e32 v87, 25, v33
	v_ashrrev_i32_e32 v35, 31, v35
	v_lshlrev_b32_e32 v38, 24, v33
	s_wait_alu 0xf1ff
	v_xor_b32_e32 v34, s20, v34
	v_cmp_gt_i32_e64 s20, 0, v36
	v_not_b32_e32 v36, v37
	v_xor_b32_e32 v88, s21, v88
	v_cmp_gt_i32_e64 s21, 0, v37
	v_and_b32_e32 v34, exec_lo, v34
	v_not_b32_e32 v37, v39
	v_ashrrev_i32_e32 v36, 31, v36
	s_wait_alu 0xf1ff
	v_xor_b32_e32 v35, s20, v35
	v_cmp_gt_i32_e64 s20, 0, v39
	v_and_b32_e32 v34, v34, v88
	v_not_b32_e32 v39, v40
	v_ashrrev_i32_e32 v37, 31, v37
	v_xor_b32_e32 v36, s21, v36
	v_cmp_gt_i32_e64 s21, 0, v40
	v_and_b32_e32 v34, v34, v35
	v_not_b32_e32 v35, v87
	v_ashrrev_i32_e32 v39, 31, v39
	s_wait_alu 0xf1ff
	v_xor_b32_e32 v37, s20, v37
	v_cmp_gt_i32_e64 s20, 0, v87
	v_and_b32_e32 v34, v34, v36
	v_not_b32_e32 v36, v38
	v_ashrrev_i32_e32 v35, 31, v35
	v_xor_b32_e32 v39, s21, v39
	v_cmp_gt_i32_e64 s21, 0, v38
	v_and_b32_e32 v34, v34, v37
	v_ashrrev_i32_e32 v36, 31, v36
	s_wait_alu 0xf1ff
	v_xor_b32_e32 v35, s20, v35
	v_lshl_add_u32 v89, v33, 5, v0
	v_and_b32_e32 v34, v34, v39
	v_xor_b32_e32 v33, s21, v36
	ds_load_b32 v87, v89 offset:32
	v_and_b32_e32 v34, v34, v35
	; wave barrier
	s_delay_alu instid0(VALU_DEP_1) | instskip(NEXT) | instid1(VALU_DEP_1)
	v_and_b32_e32 v33, v34, v33
	v_mbcnt_lo_u32_b32 v88, v33, 0
	v_cmp_ne_u32_e64 s21, 0, v33
	s_delay_alu instid0(VALU_DEP_2)
	v_cmp_eq_u32_e64 s20, 0, v88
	s_and_b32 s21, s21, s20
	s_wait_alu 0xfffe
	s_and_saveexec_b32 s20, s21
	s_cbranch_execz .LBB246_57
; %bb.56:
	s_wait_dscnt 0x0
	v_bcnt_u32_b32 v33, v33, v87
	ds_store_b32 v89, v33 offset:32
.LBB246_57:
	s_wait_alu 0xfffe
	s_or_b32 exec_lo, exec_lo, s20
	v_lshrrev_b16 v33, 8, v76
	v_cmp_ne_u16_e64 s20, 0x7fff, v76
	; wave barrier
	s_wait_alu 0xf1ff
	s_delay_alu instid0(VALU_DEP_1) | instskip(NEXT) | instid1(VALU_DEP_1)
	v_cndmask_b32_e64 v33, 0x80, v33, s20
	v_and_b32_e32 v33, s23, v33
	s_delay_alu instid0(VALU_DEP_1)
	v_and_b32_e32 v34, 1, v33
	v_lshlrev_b32_e32 v35, 30, v33
	v_lshlrev_b32_e32 v36, 29, v33
	v_lshlrev_b32_e32 v37, 28, v33
	v_lshlrev_b32_e32 v39, 27, v33
	v_add_co_u32 v34, s20, v34, -1
	s_wait_alu 0xf1ff
	v_cndmask_b32_e64 v38, 0, 1, s20
	v_not_b32_e32 v91, v35
	v_cmp_gt_i32_e64 s21, 0, v35
	v_not_b32_e32 v35, v36
	v_lshlrev_b32_e32 v40, 26, v33
	v_cmp_ne_u32_e64 s20, 0, v38
	v_ashrrev_i32_e32 v91, 31, v91
	v_lshlrev_b32_e32 v90, 25, v33
	v_ashrrev_i32_e32 v35, 31, v35
	v_lshlrev_b32_e32 v38, 24, v33
	s_wait_alu 0xf1ff
	v_xor_b32_e32 v34, s20, v34
	v_cmp_gt_i32_e64 s20, 0, v36
	v_not_b32_e32 v36, v37
	v_xor_b32_e32 v91, s21, v91
	v_cmp_gt_i32_e64 s21, 0, v37
	v_and_b32_e32 v34, exec_lo, v34
	v_not_b32_e32 v37, v39
	v_ashrrev_i32_e32 v36, 31, v36
	s_wait_alu 0xf1ff
	v_xor_b32_e32 v35, s20, v35
	v_cmp_gt_i32_e64 s20, 0, v39
	v_and_b32_e32 v34, v34, v91
	v_not_b32_e32 v39, v40
	v_ashrrev_i32_e32 v37, 31, v37
	v_xor_b32_e32 v36, s21, v36
	v_cmp_gt_i32_e64 s21, 0, v40
	v_and_b32_e32 v34, v34, v35
	v_not_b32_e32 v35, v90
	v_ashrrev_i32_e32 v39, 31, v39
	s_wait_alu 0xf1ff
	v_xor_b32_e32 v37, s20, v37
	v_cmp_gt_i32_e64 s20, 0, v90
	v_and_b32_e32 v34, v34, v36
	v_not_b32_e32 v36, v38
	v_ashrrev_i32_e32 v35, 31, v35
	v_xor_b32_e32 v39, s21, v39
	v_cmp_gt_i32_e64 s21, 0, v38
	v_and_b32_e32 v34, v34, v37
	v_ashrrev_i32_e32 v36, 31, v36
	s_wait_alu 0xf1ff
	v_xor_b32_e32 v35, s20, v35
	v_lshl_add_u32 v92, v33, 5, v0
	v_and_b32_e32 v34, v34, v39
	v_xor_b32_e32 v33, s21, v36
	ds_load_b32 v90, v92 offset:32
	v_and_b32_e32 v34, v34, v35
	; wave barrier
	s_delay_alu instid0(VALU_DEP_1) | instskip(NEXT) | instid1(VALU_DEP_1)
	v_and_b32_e32 v33, v34, v33
	v_mbcnt_lo_u32_b32 v91, v33, 0
	v_cmp_ne_u32_e64 s21, 0, v33
	s_delay_alu instid0(VALU_DEP_2)
	v_cmp_eq_u32_e64 s20, 0, v91
	s_and_b32 s21, s21, s20
	s_wait_alu 0xfffe
	s_and_saveexec_b32 s20, s21
	s_cbranch_execz .LBB246_59
; %bb.58:
	s_wait_dscnt 0x0
	v_bcnt_u32_b32 v33, v33, v90
	ds_store_b32 v92, v33 offset:32
.LBB246_59:
	s_wait_alu 0xfffe
	s_or_b32 exec_lo, exec_lo, s20
	v_lshrrev_b16 v33, 8, v77
	v_cmp_ne_u16_e64 s20, 0x7fff, v77
	; wave barrier
	s_wait_alu 0xf1ff
	s_delay_alu instid0(VALU_DEP_1) | instskip(NEXT) | instid1(VALU_DEP_1)
	v_cndmask_b32_e64 v33, 0x80, v33, s20
	v_and_b32_e32 v33, s23, v33
	s_delay_alu instid0(VALU_DEP_1)
	v_and_b32_e32 v34, 1, v33
	v_lshlrev_b32_e32 v35, 30, v33
	v_lshlrev_b32_e32 v36, 29, v33
	;; [unrolled: 1-line block ×4, first 2 shown]
	v_add_co_u32 v34, s20, v34, -1
	s_wait_alu 0xf1ff
	v_cndmask_b32_e64 v38, 0, 1, s20
	v_not_b32_e32 v94, v35
	v_cmp_gt_i32_e64 s21, 0, v35
	v_not_b32_e32 v35, v36
	v_lshlrev_b32_e32 v40, 26, v33
	v_cmp_ne_u32_e64 s20, 0, v38
	v_ashrrev_i32_e32 v94, 31, v94
	v_lshlrev_b32_e32 v93, 25, v33
	v_ashrrev_i32_e32 v35, 31, v35
	v_lshlrev_b32_e32 v38, 24, v33
	s_wait_alu 0xf1ff
	v_xor_b32_e32 v34, s20, v34
	v_cmp_gt_i32_e64 s20, 0, v36
	v_not_b32_e32 v36, v37
	v_xor_b32_e32 v94, s21, v94
	v_cmp_gt_i32_e64 s21, 0, v37
	v_and_b32_e32 v34, exec_lo, v34
	v_not_b32_e32 v37, v39
	v_ashrrev_i32_e32 v36, 31, v36
	s_wait_alu 0xf1ff
	v_xor_b32_e32 v35, s20, v35
	v_cmp_gt_i32_e64 s20, 0, v39
	v_and_b32_e32 v34, v34, v94
	v_not_b32_e32 v39, v40
	v_ashrrev_i32_e32 v37, 31, v37
	v_xor_b32_e32 v36, s21, v36
	v_cmp_gt_i32_e64 s21, 0, v40
	v_and_b32_e32 v34, v34, v35
	v_not_b32_e32 v35, v93
	v_ashrrev_i32_e32 v39, 31, v39
	s_wait_alu 0xf1ff
	v_xor_b32_e32 v37, s20, v37
	v_cmp_gt_i32_e64 s20, 0, v93
	v_and_b32_e32 v34, v34, v36
	v_not_b32_e32 v36, v38
	v_ashrrev_i32_e32 v35, 31, v35
	v_xor_b32_e32 v39, s21, v39
	v_cmp_gt_i32_e64 s21, 0, v38
	v_and_b32_e32 v34, v34, v37
	v_ashrrev_i32_e32 v36, 31, v36
	s_wait_alu 0xf1ff
	v_xor_b32_e32 v35, s20, v35
	v_lshl_add_u32 v95, v33, 5, v0
	v_and_b32_e32 v34, v34, v39
	v_xor_b32_e32 v33, s21, v36
	ds_load_b32 v93, v95 offset:32
	v_and_b32_e32 v34, v34, v35
	; wave barrier
	s_delay_alu instid0(VALU_DEP_1) | instskip(NEXT) | instid1(VALU_DEP_1)
	v_and_b32_e32 v33, v34, v33
	v_mbcnt_lo_u32_b32 v94, v33, 0
	v_cmp_ne_u32_e64 s21, 0, v33
	s_delay_alu instid0(VALU_DEP_2)
	v_cmp_eq_u32_e64 s20, 0, v94
	s_and_b32 s21, s21, s20
	s_wait_alu 0xfffe
	s_and_saveexec_b32 s20, s21
	s_cbranch_execz .LBB246_61
; %bb.60:
	s_wait_dscnt 0x0
	v_bcnt_u32_b32 v33, v33, v93
	ds_store_b32 v95, v33 offset:32
.LBB246_61:
	s_wait_alu 0xfffe
	s_or_b32 exec_lo, exec_lo, s20
	v_lshrrev_b16 v33, 8, v78
	v_cmp_ne_u16_e64 s20, 0x7fff, v78
	; wave barrier
	s_wait_alu 0xf1ff
	s_delay_alu instid0(VALU_DEP_1) | instskip(NEXT) | instid1(VALU_DEP_1)
	v_cndmask_b32_e64 v33, 0x80, v33, s20
	v_and_b32_e32 v33, s23, v33
	s_delay_alu instid0(VALU_DEP_1)
	v_and_b32_e32 v34, 1, v33
	v_lshlrev_b32_e32 v35, 30, v33
	v_lshlrev_b32_e32 v36, 29, v33
	v_lshlrev_b32_e32 v37, 28, v33
	v_lshlrev_b32_e32 v39, 27, v33
	v_add_co_u32 v34, s20, v34, -1
	s_wait_alu 0xf1ff
	v_cndmask_b32_e64 v38, 0, 1, s20
	v_not_b32_e32 v97, v35
	v_cmp_gt_i32_e64 s21, 0, v35
	v_not_b32_e32 v35, v36
	v_lshlrev_b32_e32 v40, 26, v33
	v_cmp_ne_u32_e64 s20, 0, v38
	v_ashrrev_i32_e32 v97, 31, v97
	v_lshlrev_b32_e32 v96, 25, v33
	v_ashrrev_i32_e32 v35, 31, v35
	v_lshlrev_b32_e32 v38, 24, v33
	s_wait_alu 0xf1ff
	v_xor_b32_e32 v34, s20, v34
	v_cmp_gt_i32_e64 s20, 0, v36
	v_not_b32_e32 v36, v37
	v_xor_b32_e32 v97, s21, v97
	v_cmp_gt_i32_e64 s21, 0, v37
	v_and_b32_e32 v34, exec_lo, v34
	v_not_b32_e32 v37, v39
	v_ashrrev_i32_e32 v36, 31, v36
	s_wait_alu 0xf1ff
	v_xor_b32_e32 v35, s20, v35
	v_cmp_gt_i32_e64 s20, 0, v39
	v_and_b32_e32 v34, v34, v97
	v_not_b32_e32 v39, v40
	v_ashrrev_i32_e32 v37, 31, v37
	v_xor_b32_e32 v36, s21, v36
	v_cmp_gt_i32_e64 s21, 0, v40
	v_and_b32_e32 v34, v34, v35
	v_not_b32_e32 v35, v96
	v_ashrrev_i32_e32 v39, 31, v39
	s_wait_alu 0xf1ff
	v_xor_b32_e32 v37, s20, v37
	v_cmp_gt_i32_e64 s20, 0, v96
	v_and_b32_e32 v34, v34, v36
	v_not_b32_e32 v36, v38
	v_ashrrev_i32_e32 v35, 31, v35
	v_xor_b32_e32 v39, s21, v39
	v_cmp_gt_i32_e64 s21, 0, v38
	v_and_b32_e32 v34, v34, v37
	v_ashrrev_i32_e32 v36, 31, v36
	s_wait_alu 0xf1ff
	v_xor_b32_e32 v35, s20, v35
	v_lshl_add_u32 v98, v33, 5, v0
	v_and_b32_e32 v34, v34, v39
	v_xor_b32_e32 v33, s21, v36
	ds_load_b32 v96, v98 offset:32
	v_and_b32_e32 v34, v34, v35
	; wave barrier
	s_delay_alu instid0(VALU_DEP_1) | instskip(NEXT) | instid1(VALU_DEP_1)
	v_and_b32_e32 v33, v34, v33
	v_mbcnt_lo_u32_b32 v97, v33, 0
	v_cmp_ne_u32_e64 s21, 0, v33
	s_delay_alu instid0(VALU_DEP_2)
	v_cmp_eq_u32_e64 s20, 0, v97
	s_and_b32 s21, s21, s20
	s_wait_alu 0xfffe
	s_and_saveexec_b32 s20, s21
	s_cbranch_execz .LBB246_63
; %bb.62:
	s_wait_dscnt 0x0
	v_bcnt_u32_b32 v33, v33, v96
	ds_store_b32 v98, v33 offset:32
.LBB246_63:
	s_wait_alu 0xfffe
	s_or_b32 exec_lo, exec_lo, s20
	v_lshrrev_b16 v33, 8, v79
	v_cmp_ne_u16_e64 s20, 0x7fff, v79
	; wave barrier
	s_wait_alu 0xf1ff
	s_delay_alu instid0(VALU_DEP_1) | instskip(NEXT) | instid1(VALU_DEP_1)
	v_cndmask_b32_e64 v33, 0x80, v33, s20
	v_and_b32_e32 v33, s23, v33
	s_delay_alu instid0(VALU_DEP_1)
	v_and_b32_e32 v34, 1, v33
	v_lshlrev_b32_e32 v35, 30, v33
	v_lshlrev_b32_e32 v36, 29, v33
	v_lshlrev_b32_e32 v37, 28, v33
	v_lshlrev_b32_e32 v39, 27, v33
	v_add_co_u32 v34, s20, v34, -1
	s_wait_alu 0xf1ff
	v_cndmask_b32_e64 v38, 0, 1, s20
	v_not_b32_e32 v100, v35
	v_cmp_gt_i32_e64 s21, 0, v35
	v_not_b32_e32 v35, v36
	v_lshlrev_b32_e32 v40, 26, v33
	v_cmp_ne_u32_e64 s20, 0, v38
	v_ashrrev_i32_e32 v100, 31, v100
	v_lshlrev_b32_e32 v99, 25, v33
	v_ashrrev_i32_e32 v35, 31, v35
	v_lshlrev_b32_e32 v38, 24, v33
	s_wait_alu 0xf1ff
	v_xor_b32_e32 v34, s20, v34
	v_cmp_gt_i32_e64 s20, 0, v36
	v_not_b32_e32 v36, v37
	v_xor_b32_e32 v100, s21, v100
	v_cmp_gt_i32_e64 s21, 0, v37
	v_and_b32_e32 v34, exec_lo, v34
	v_not_b32_e32 v37, v39
	v_ashrrev_i32_e32 v36, 31, v36
	s_wait_alu 0xf1ff
	v_xor_b32_e32 v35, s20, v35
	v_cmp_gt_i32_e64 s20, 0, v39
	v_and_b32_e32 v34, v34, v100
	v_not_b32_e32 v39, v40
	v_ashrrev_i32_e32 v37, 31, v37
	v_xor_b32_e32 v36, s21, v36
	v_cmp_gt_i32_e64 s21, 0, v40
	v_and_b32_e32 v34, v34, v35
	v_not_b32_e32 v35, v99
	v_ashrrev_i32_e32 v39, 31, v39
	s_wait_alu 0xf1ff
	v_xor_b32_e32 v37, s20, v37
	v_cmp_gt_i32_e64 s20, 0, v99
	v_and_b32_e32 v34, v34, v36
	v_not_b32_e32 v36, v38
	v_ashrrev_i32_e32 v35, 31, v35
	v_xor_b32_e32 v39, s21, v39
	v_cmp_gt_i32_e64 s21, 0, v38
	v_and_b32_e32 v34, v34, v37
	v_ashrrev_i32_e32 v36, 31, v36
	s_wait_alu 0xf1ff
	v_xor_b32_e32 v35, s20, v35
	v_lshl_add_u32 v101, v33, 5, v0
	v_and_b32_e32 v34, v34, v39
	v_xor_b32_e32 v33, s21, v36
	ds_load_b32 v99, v101 offset:32
	v_and_b32_e32 v34, v34, v35
	; wave barrier
	s_delay_alu instid0(VALU_DEP_1) | instskip(NEXT) | instid1(VALU_DEP_1)
	v_and_b32_e32 v33, v34, v33
	v_mbcnt_lo_u32_b32 v100, v33, 0
	v_cmp_ne_u32_e64 s21, 0, v33
	s_delay_alu instid0(VALU_DEP_2)
	v_cmp_eq_u32_e64 s20, 0, v100
	s_and_b32 s21, s21, s20
	s_wait_alu 0xfffe
	s_and_saveexec_b32 s20, s21
	s_cbranch_execz .LBB246_65
; %bb.64:
	s_wait_dscnt 0x0
	v_bcnt_u32_b32 v33, v33, v99
	ds_store_b32 v101, v33 offset:32
.LBB246_65:
	s_wait_alu 0xfffe
	s_or_b32 exec_lo, exec_lo, s20
	v_lshrrev_b16 v33, 8, v80
	v_cmp_ne_u16_e64 s20, 0x7fff, v80
	; wave barrier
	s_wait_alu 0xf1ff
	s_delay_alu instid0(VALU_DEP_1) | instskip(NEXT) | instid1(VALU_DEP_1)
	v_cndmask_b32_e64 v33, 0x80, v33, s20
	v_and_b32_e32 v33, s23, v33
	s_delay_alu instid0(VALU_DEP_1)
	v_and_b32_e32 v34, 1, v33
	v_lshlrev_b32_e32 v35, 30, v33
	v_lshlrev_b32_e32 v36, 29, v33
	;; [unrolled: 1-line block ×4, first 2 shown]
	v_add_co_u32 v34, s20, v34, -1
	s_wait_alu 0xf1ff
	v_cndmask_b32_e64 v38, 0, 1, s20
	v_not_b32_e32 v103, v35
	v_cmp_gt_i32_e64 s21, 0, v35
	v_not_b32_e32 v35, v36
	v_lshlrev_b32_e32 v40, 26, v33
	v_cmp_ne_u32_e64 s20, 0, v38
	v_ashrrev_i32_e32 v103, 31, v103
	v_lshlrev_b32_e32 v102, 25, v33
	v_ashrrev_i32_e32 v35, 31, v35
	v_lshlrev_b32_e32 v38, 24, v33
	s_wait_alu 0xf1ff
	v_xor_b32_e32 v34, s20, v34
	v_cmp_gt_i32_e64 s20, 0, v36
	v_not_b32_e32 v36, v37
	v_xor_b32_e32 v103, s21, v103
	v_cmp_gt_i32_e64 s21, 0, v37
	v_and_b32_e32 v34, exec_lo, v34
	v_not_b32_e32 v37, v39
	v_ashrrev_i32_e32 v36, 31, v36
	s_wait_alu 0xf1ff
	v_xor_b32_e32 v35, s20, v35
	v_cmp_gt_i32_e64 s20, 0, v39
	v_and_b32_e32 v34, v34, v103
	v_not_b32_e32 v39, v40
	v_ashrrev_i32_e32 v37, 31, v37
	v_xor_b32_e32 v36, s21, v36
	v_cmp_gt_i32_e64 s21, 0, v40
	v_and_b32_e32 v34, v34, v35
	v_not_b32_e32 v35, v102
	v_ashrrev_i32_e32 v39, 31, v39
	s_wait_alu 0xf1ff
	v_xor_b32_e32 v37, s20, v37
	v_cmp_gt_i32_e64 s20, 0, v102
	v_and_b32_e32 v34, v34, v36
	v_not_b32_e32 v36, v38
	v_ashrrev_i32_e32 v35, 31, v35
	v_xor_b32_e32 v39, s21, v39
	v_cmp_gt_i32_e64 s21, 0, v38
	v_and_b32_e32 v34, v34, v37
	v_ashrrev_i32_e32 v36, 31, v36
	s_wait_alu 0xf1ff
	v_xor_b32_e32 v35, s20, v35
	v_lshl_add_u32 v104, v33, 5, v0
	v_and_b32_e32 v34, v34, v39
	v_xor_b32_e32 v33, s21, v36
	ds_load_b32 v102, v104 offset:32
	v_and_b32_e32 v34, v34, v35
	; wave barrier
	s_delay_alu instid0(VALU_DEP_1) | instskip(NEXT) | instid1(VALU_DEP_1)
	v_and_b32_e32 v33, v34, v33
	v_mbcnt_lo_u32_b32 v103, v33, 0
	v_cmp_ne_u32_e64 s21, 0, v33
	s_delay_alu instid0(VALU_DEP_2)
	v_cmp_eq_u32_e64 s20, 0, v103
	s_and_b32 s21, s21, s20
	s_wait_alu 0xfffe
	s_and_saveexec_b32 s20, s21
	s_cbranch_execz .LBB246_67
; %bb.66:
	s_wait_dscnt 0x0
	v_bcnt_u32_b32 v33, v33, v102
	ds_store_b32 v104, v33 offset:32
.LBB246_67:
	s_wait_alu 0xfffe
	s_or_b32 exec_lo, exec_lo, s20
	v_lshrrev_b16 v33, 8, v73
	v_cmp_ne_u16_e64 s20, 0x7fff, v73
	; wave barrier
	s_wait_alu 0xf1ff
	s_delay_alu instid0(VALU_DEP_1) | instskip(NEXT) | instid1(VALU_DEP_1)
	v_cndmask_b32_e64 v33, 0x80, v33, s20
	v_and_b32_e32 v33, s23, v33
	s_delay_alu instid0(VALU_DEP_1)
	v_and_b32_e32 v34, 1, v33
	v_lshlrev_b32_e32 v35, 30, v33
	v_lshlrev_b32_e32 v36, 29, v33
	;; [unrolled: 1-line block ×4, first 2 shown]
	v_add_co_u32 v34, s20, v34, -1
	s_wait_alu 0xf1ff
	v_cndmask_b32_e64 v38, 0, 1, s20
	v_not_b32_e32 v106, v35
	v_cmp_gt_i32_e64 s21, 0, v35
	v_not_b32_e32 v35, v36
	v_lshlrev_b32_e32 v40, 26, v33
	v_cmp_ne_u32_e64 s20, 0, v38
	v_ashrrev_i32_e32 v106, 31, v106
	v_lshlrev_b32_e32 v105, 25, v33
	v_ashrrev_i32_e32 v35, 31, v35
	v_lshlrev_b32_e32 v38, 24, v33
	s_wait_alu 0xf1ff
	v_xor_b32_e32 v34, s20, v34
	v_cmp_gt_i32_e64 s20, 0, v36
	v_not_b32_e32 v36, v37
	v_xor_b32_e32 v106, s21, v106
	v_cmp_gt_i32_e64 s21, 0, v37
	v_and_b32_e32 v34, exec_lo, v34
	v_not_b32_e32 v37, v39
	v_ashrrev_i32_e32 v36, 31, v36
	s_wait_alu 0xf1ff
	v_xor_b32_e32 v35, s20, v35
	v_cmp_gt_i32_e64 s20, 0, v39
	v_and_b32_e32 v34, v34, v106
	v_not_b32_e32 v39, v40
	v_ashrrev_i32_e32 v37, 31, v37
	v_xor_b32_e32 v36, s21, v36
	v_cmp_gt_i32_e64 s21, 0, v40
	v_and_b32_e32 v34, v34, v35
	v_not_b32_e32 v35, v105
	v_ashrrev_i32_e32 v39, 31, v39
	s_wait_alu 0xf1ff
	v_xor_b32_e32 v37, s20, v37
	v_cmp_gt_i32_e64 s20, 0, v105
	v_and_b32_e32 v34, v34, v36
	v_not_b32_e32 v36, v38
	v_ashrrev_i32_e32 v35, 31, v35
	v_xor_b32_e32 v39, s21, v39
	v_cmp_gt_i32_e64 s21, 0, v38
	v_and_b32_e32 v34, v34, v37
	v_ashrrev_i32_e32 v36, 31, v36
	s_wait_alu 0xf1ff
	v_xor_b32_e32 v35, s20, v35
	v_lshl_add_u32 v106, v33, 5, v0
	v_and_b32_e32 v34, v34, v39
	v_xor_b32_e32 v33, s21, v36
	ds_load_b32 v0, v106 offset:32
	v_and_b32_e32 v34, v34, v35
	; wave barrier
	s_delay_alu instid0(VALU_DEP_1) | instskip(NEXT) | instid1(VALU_DEP_1)
	v_and_b32_e32 v33, v34, v33
	v_mbcnt_lo_u32_b32 v105, v33, 0
	v_cmp_ne_u32_e64 s21, 0, v33
	s_delay_alu instid0(VALU_DEP_2)
	v_cmp_eq_u32_e64 s20, 0, v105
	s_and_b32 s21, s21, s20
	s_wait_alu 0xfffe
	s_and_saveexec_b32 s20, s21
	s_cbranch_execz .LBB246_69
; %bb.68:
	s_wait_dscnt 0x0
	v_bcnt_u32_b32 v33, v33, v0
	ds_store_b32 v106, v33 offset:32
.LBB246_69:
	s_wait_alu 0xfffe
	s_or_b32 exec_lo, exec_lo, s20
	; wave barrier
	s_wait_loadcnt_dscnt 0x0
	s_barrier_signal -1
	s_barrier_wait -1
	global_inv scope:SCOPE_SE
	ds_load_b128 v[37:40], v67 offset:32
	ds_load_b128 v[33:36], v67 offset:48
	s_wait_dscnt 0x1
	v_add_nc_u32_e32 v107, v38, v37
	s_delay_alu instid0(VALU_DEP_1) | instskip(SKIP_1) | instid1(VALU_DEP_1)
	v_add3_u32 v107, v107, v39, v40
	s_wait_dscnt 0x0
	v_add3_u32 v107, v107, v33, v34
	s_delay_alu instid0(VALU_DEP_1) | instskip(NEXT) | instid1(VALU_DEP_1)
	v_add3_u32 v36, v107, v35, v36
	v_mov_b32_dpp v107, v36 row_shr:1 row_mask:0xf bank_mask:0xf
	s_delay_alu instid0(VALU_DEP_1) | instskip(NEXT) | instid1(VALU_DEP_1)
	v_cndmask_b32_e64 v107, v107, 0, s9
	v_add_nc_u32_e32 v36, v107, v36
	s_delay_alu instid0(VALU_DEP_1) | instskip(NEXT) | instid1(VALU_DEP_1)
	v_mov_b32_dpp v107, v36 row_shr:2 row_mask:0xf bank_mask:0xf
	v_cndmask_b32_e64 v107, 0, v107, s11
	s_delay_alu instid0(VALU_DEP_1) | instskip(NEXT) | instid1(VALU_DEP_1)
	v_add_nc_u32_e32 v36, v36, v107
	v_mov_b32_dpp v107, v36 row_shr:4 row_mask:0xf bank_mask:0xf
	s_delay_alu instid0(VALU_DEP_1) | instskip(NEXT) | instid1(VALU_DEP_1)
	v_cndmask_b32_e64 v107, 0, v107, s12
	v_add_nc_u32_e32 v36, v36, v107
	s_delay_alu instid0(VALU_DEP_1) | instskip(NEXT) | instid1(VALU_DEP_1)
	v_mov_b32_dpp v107, v36 row_shr:8 row_mask:0xf bank_mask:0xf
	v_cndmask_b32_e64 v107, 0, v107, s14
	s_delay_alu instid0(VALU_DEP_1) | instskip(SKIP_3) | instid1(VALU_DEP_1)
	v_add_nc_u32_e32 v36, v36, v107
	ds_swizzle_b32 v107, v36 offset:swizzle(BROADCAST,32,15)
	s_wait_dscnt 0x0
	v_cndmask_b32_e64 v107, v107, 0, s17
	v_add_nc_u32_e32 v36, v36, v107
	s_and_saveexec_b32 s9, s15
; %bb.70:
	ds_store_b32 v83, v36
; %bb.71:
	s_wait_alu 0xfffe
	s_or_b32 exec_lo, exec_lo, s9
	s_wait_loadcnt_dscnt 0x0
	s_barrier_signal -1
	s_barrier_wait -1
	global_inv scope:SCOPE_SE
	s_and_saveexec_b32 s9, s16
	s_cbranch_execz .LBB246_73
; %bb.72:
	ds_load_b32 v83, v82
	s_wait_dscnt 0x0
	v_mov_b32_dpp v107, v83 row_shr:1 row_mask:0xf bank_mask:0xf
	s_delay_alu instid0(VALU_DEP_1) | instskip(NEXT) | instid1(VALU_DEP_1)
	v_cndmask_b32_e64 v107, v107, 0, s13
	v_add_nc_u32_e32 v83, v107, v83
	s_delay_alu instid0(VALU_DEP_1) | instskip(NEXT) | instid1(VALU_DEP_1)
	v_mov_b32_dpp v107, v83 row_shr:2 row_mask:0xf bank_mask:0xf
	v_cndmask_b32_e64 v107, 0, v107, s10
	s_delay_alu instid0(VALU_DEP_1) | instskip(NEXT) | instid1(VALU_DEP_1)
	v_add_nc_u32_e32 v83, v83, v107
	v_mov_b32_dpp v107, v83 row_shr:4 row_mask:0xf bank_mask:0xf
	s_wait_alu 0xfffd
	s_delay_alu instid0(VALU_DEP_1) | instskip(NEXT) | instid1(VALU_DEP_1)
	v_cndmask_b32_e32 v107, 0, v107, vcc_lo
	v_add_nc_u32_e32 v83, v83, v107
	ds_store_b32 v82, v83
.LBB246_73:
	s_wait_alu 0xfffe
	s_or_b32 exec_lo, exec_lo, s9
	v_mov_b32_e32 v82, 0
	s_wait_loadcnt_dscnt 0x0
	s_barrier_signal -1
	s_barrier_wait -1
	global_inv scope:SCOPE_SE
	s_and_saveexec_b32 s9, s18
; %bb.74:
	ds_load_b32 v82, v84
; %bb.75:
	s_wait_alu 0xfffe
	s_or_b32 exec_lo, exec_lo, s9
	s_wait_dscnt 0x0
	v_add_nc_u32_e32 v36, v82, v36
	ds_bpermute_b32 v36, v85, v36
	s_wait_dscnt 0x0
	v_cndmask_b32_e64 v36, v36, v82, s8
	s_delay_alu instid0(VALU_DEP_1) | instskip(NEXT) | instid1(VALU_DEP_1)
	v_cndmask_b32_e64 v36, v36, 0, s19
	v_add_nc_u32_e32 v37, v36, v37
	s_delay_alu instid0(VALU_DEP_1) | instskip(NEXT) | instid1(VALU_DEP_1)
	v_add_nc_u32_e32 v38, v37, v38
	v_add_nc_u32_e32 v39, v38, v39
	s_delay_alu instid0(VALU_DEP_1) | instskip(NEXT) | instid1(VALU_DEP_1)
	v_add_nc_u32_e32 v82, v39, v40
	;; [unrolled: 3-line block ×3, first 2 shown]
	v_add_nc_u32_e32 v85, v84, v35
	ds_store_b128 v67, v[36:39] offset:32
	ds_store_b128 v67, v[82:85] offset:48
	s_wait_loadcnt_dscnt 0x0
	s_barrier_signal -1
	s_barrier_wait -1
	global_inv scope:SCOPE_SE
	ds_load_b32 v33, v106 offset:32
	ds_load_b32 v34, v104 offset:32
	;; [unrolled: 1-line block ×8, first 2 shown]
	v_lshlrev_b32_e32 v82, 1, v66
	s_wait_loadcnt_dscnt 0x0
	s_barrier_signal -1
	s_barrier_wait -1
	global_inv scope:SCOPE_SE
	v_mad_u32_u24 v83, v46, 48, v82
	v_add3_u32 v84, v105, v0, v33
	v_add3_u32 v85, v103, v102, v34
	;; [unrolled: 1-line block ×3, first 2 shown]
	v_add_nc_u32_e32 v81, v36, v81
	v_add3_u32 v87, v88, v87, v37
	v_add3_u32 v88, v91, v90, v38
	v_add3_u32 v89, v94, v93, v39
	v_add3_u32 v40, v97, v96, v40
	v_lshlrev_b32_e32 v0, 1, v81
	v_lshlrev_b32_e32 v33, 1, v87
	;; [unrolled: 1-line block ×8, first 2 shown]
	ds_store_b16 v0, v74
	ds_store_b16 v33, v75
	;; [unrolled: 1-line block ×8, first 2 shown]
	v_mad_co_u64_u32 v[73:74], null, v81, 6, v[0:1]
	v_mad_co_u64_u32 v[74:75], null, v87, 6, v[33:34]
	;; [unrolled: 1-line block ×4, first 2 shown]
	s_wait_loadcnt_dscnt 0x0
	s_barrier_signal -1
	s_barrier_wait -1
	global_inv scope:SCOPE_SE
	v_mad_co_u64_u32 v[77:78], null, v40, 6, v[36:37]
	ds_load_b128 v[33:36], v82
	v_mad_co_u64_u32 v[78:79], null, v86, 6, v[37:38]
	v_mad_co_u64_u32 v[37:38], null, v85, 6, v[38:39]
	;; [unrolled: 1-line block ×3, first 2 shown]
	s_wait_loadcnt_dscnt 0x0
	s_barrier_signal -1
	s_barrier_wait -1
	global_inv scope:SCOPE_SE
	ds_store_b64 v73, v[21:22]
	ds_store_b64 v74, v[23:24]
	;; [unrolled: 1-line block ×8, first 2 shown]
	s_wait_loadcnt_dscnt 0x0
	s_barrier_signal -1
	s_barrier_wait -1
	global_inv scope:SCOPE_SE
	ds_load_b128 v[29:32], v83
	ds_load_b128 v[25:28], v83 offset:16
	ds_load_b128 v[21:24], v83 offset:32
	;; [unrolled: 1-line block ×3, first 2 shown]
	v_cmp_lt_i16_e32 vcc_lo, -1, v33
	v_lshrrev_b32_e32 v0, 16, v33
	v_lshrrev_b32_e32 v38, 16, v34
	;; [unrolled: 1-line block ×4, first 2 shown]
	s_wait_alu 0xfffd
	v_cndmask_b32_e64 v37, 0xffff8000, -1, vcc_lo
	v_cmp_lt_i16_e32 vcc_lo, -1, v34
	s_wait_alu 0xfffd
	v_cndmask_b32_e64 v39, 0xffff8000, -1, vcc_lo
	v_cmp_lt_i16_e32 vcc_lo, -1, v35
	;; [unrolled: 3-line block ×5, first 2 shown]
	s_delay_alu instid0(VALU_DEP_2) | instskip(SKIP_3) | instid1(VALU_DEP_3)
	v_perm_b32 v0, v0, v37, 0x5040100
	s_wait_alu 0xfffd
	v_cndmask_b32_e64 v38, 0xffff8000, -1, vcc_lo
	v_cmp_lt_i16_e32 vcc_lo, -1, v40
	v_xor_b32_e32 v0, v0, v33
	s_delay_alu instid0(VALU_DEP_3) | instskip(SKIP_3) | instid1(VALU_DEP_3)
	v_perm_b32 v37, v38, v39, 0x5040100
	s_wait_alu 0xfffd
	v_cndmask_b32_e64 v40, 0xffff8000, -1, vcc_lo
	v_cmp_lt_i16_e32 vcc_lo, -1, v74
	v_xor_b32_e32 v34, v37, v34
	s_delay_alu instid0(VALU_DEP_3) | instskip(SKIP_2) | instid1(VALU_DEP_2)
	v_perm_b32 v38, v40, v73, 0x5040100
	s_wait_alu 0xfffd
	v_cndmask_b32_e64 v74, 0xffff8000, -1, vcc_lo
	v_xor_b32_e32 v33, v38, v35
	s_delay_alu instid0(VALU_DEP_2) | instskip(NEXT) | instid1(VALU_DEP_1)
	v_perm_b32 v39, v74, v75, 0x5040100
	v_xor_b32_e32 v35, v39, v36
	s_branch .LBB246_128
.LBB246_76:
	v_lshlrev_b64_e32 v[1:2], 3, v[41:42]
	v_dual_mov_b32 v43, v42 :: v_dual_mov_b32 v10, v42
	v_dual_mov_b32 v9, v42 :: v_dual_mov_b32 v12, v42
	v_mov_b32_e32 v11, v42
	s_delay_alu instid0(VALU_DEP_4)
	v_add_co_u32 v1, vcc_lo, s34, v1
	s_wait_alu 0xfffd
	v_add_co_ci_u32_e64 v2, null, s35, v2, vcc_lo
	v_dual_mov_b32 v3, v42 :: v_dual_mov_b32 v6, v42
	v_dual_mov_b32 v5, v42 :: v_dual_mov_b32 v8, v42
	global_load_b64 v[13:14], v[1:2], off
	v_dual_mov_b32 v1, v42 :: v_dual_mov_b32 v4, v42
	v_dual_mov_b32 v2, v42 :: v_dual_mov_b32 v7, v42
	s_or_b32 exec_lo, exec_lo, s9
	s_and_saveexec_b32 s9, s1
	s_cbranch_execz .LBB246_22
.LBB246_77:
	v_mul_lo_u32 v22, s28, v15
	v_mov_b32_e32 v23, 0
	s_delay_alu instid0(VALU_DEP_1) | instskip(NEXT) | instid1(VALU_DEP_1)
	v_lshlrev_b64_e32 v[22:23], 3, v[22:23]
	v_add_co_u32 v22, vcc_lo, s34, v22
	s_wait_alu 0xfffd
	s_delay_alu instid0(VALU_DEP_2)
	v_add_co_ci_u32_e64 v23, null, s35, v23, vcc_lo
	global_load_b64 v[42:43], v[22:23], off
	s_or_b32 exec_lo, exec_lo, s9
	s_and_saveexec_b32 s9, s2
	s_cbranch_execz .LBB246_23
.LBB246_78:
	v_mul_lo_u32 v9, s28, v16
	v_mov_b32_e32 v10, 0
	s_delay_alu instid0(VALU_DEP_1) | instskip(NEXT) | instid1(VALU_DEP_1)
	v_lshlrev_b64_e32 v[9:10], 3, v[9:10]
	v_add_co_u32 v9, vcc_lo, s34, v9
	s_wait_alu 0xfffd
	s_delay_alu instid0(VALU_DEP_2)
	v_add_co_ci_u32_e64 v10, null, s35, v10, vcc_lo
	global_load_b64 v[9:10], v[9:10], off
	s_or_b32 exec_lo, exec_lo, s9
	s_and_saveexec_b32 s9, s3
	s_cbranch_execz .LBB246_24
.LBB246_79:
	v_mul_lo_u32 v11, s28, v17
	v_mov_b32_e32 v12, 0
	s_delay_alu instid0(VALU_DEP_1) | instskip(NEXT) | instid1(VALU_DEP_1)
	v_lshlrev_b64_e32 v[11:12], 3, v[11:12]
	v_add_co_u32 v11, vcc_lo, s34, v11
	s_wait_alu 0xfffd
	s_delay_alu instid0(VALU_DEP_2)
	v_add_co_ci_u32_e64 v12, null, s35, v12, vcc_lo
	global_load_b64 v[11:12], v[11:12], off
	s_or_b32 exec_lo, exec_lo, s9
	s_and_saveexec_b32 s9, s4
	s_cbranch_execz .LBB246_25
.LBB246_80:
	v_mul_lo_u32 v1, s28, v18
	v_mov_b32_e32 v2, 0
	s_delay_alu instid0(VALU_DEP_1) | instskip(NEXT) | instid1(VALU_DEP_1)
	v_lshlrev_b64_e32 v[1:2], 3, v[1:2]
	v_add_co_u32 v1, vcc_lo, s34, v1
	s_wait_alu 0xfffd
	s_delay_alu instid0(VALU_DEP_2)
	v_add_co_ci_u32_e64 v2, null, s35, v2, vcc_lo
	global_load_b64 v[1:2], v[1:2], off
	s_or_b32 exec_lo, exec_lo, s9
	s_and_saveexec_b32 s9, s5
	s_cbranch_execz .LBB246_26
.LBB246_81:
	v_mul_lo_u32 v3, s28, v19
	v_mov_b32_e32 v4, 0
	s_delay_alu instid0(VALU_DEP_1) | instskip(NEXT) | instid1(VALU_DEP_1)
	v_lshlrev_b64_e32 v[3:4], 3, v[3:4]
	v_add_co_u32 v3, vcc_lo, s34, v3
	s_wait_alu 0xfffd
	s_delay_alu instid0(VALU_DEP_2)
	v_add_co_ci_u32_e64 v4, null, s35, v4, vcc_lo
	global_load_b64 v[3:4], v[3:4], off
	s_or_b32 exec_lo, exec_lo, s9
	s_and_saveexec_b32 s9, s6
	s_cbranch_execnz .LBB246_27
	s_branch .LBB246_28
.LBB246_82:
                                        ; implicit-def: $vgpr19_vgpr20
                                        ; implicit-def: $vgpr23_vgpr24
                                        ; implicit-def: $vgpr27_vgpr28
                                        ; implicit-def: $vgpr31_vgpr32
                                        ; implicit-def: $vgpr35
                                        ; implicit-def: $vgpr33
                                        ; implicit-def: $vgpr34
                                        ; implicit-def: $vgpr0
	s_cbranch_execz .LBB246_128
; %bb.83:
	v_lshrrev_b32_e32 v0, 16, v49
	v_cmp_gt_i16_e32 vcc_lo, 0, v49
	s_wait_dscnt 0x0
	v_lshrrev_b32_e32 v17, 16, v50
	v_lshrrev_b32_e32 v18, 16, v47
	;; [unrolled: 1-line block ×3, first 2 shown]
	v_or_b32_e32 v21, v69, v70
	s_wait_alu 0xfffd
	v_cndmask_b32_e64 v20, 0x7fff, 0, vcc_lo
	v_cmp_gt_i16_e32 vcc_lo, 0, v0
	v_and_or_b32 v36, 0x1f00, v66, v69
	s_mov_b32 s12, 0
	s_getpc_b64 s[8:9]
	s_sext_i32_i16 s9, s9
	s_add_co_u32 s8, s8, _ZN7rocprim17ROCPRIM_400000_NS16block_radix_sortI12hip_bfloat16Lj256ELj8ElLj1ELj1ELj0ELNS0_26block_radix_rank_algorithmE1ELNS0_18block_padding_hintE2ELNS0_4arch9wavefront6targetE0EE19radix_bits_per_passE@rel32@lo+8
	s_add_co_ci_u32 s9, s9, _ZN7rocprim17ROCPRIM_400000_NS16block_radix_sortI12hip_bfloat16Lj256ELj8ElLj1ELj1ELj0ELNS0_26block_radix_rank_algorithmE1ELNS0_18block_padding_hintE2ELNS0_4arch9wavefront6targetE0EE19radix_bits_per_passE@rel32@hi+16
	s_mov_b32 s13, s12
	s_wait_alu 0xfffd
	v_cndmask_b32_e64 v0, 0x7fff, 0, vcc_lo
	v_cmp_gt_i16_e32 vcc_lo, 0, v50
	s_mov_b32 s14, s12
	s_mov_b32 s15, s12
	v_lshlrev_b32_e32 v25, 1, v36
	v_perm_b32 v0, v0, v20, 0x5040100
	s_wait_alu 0xfffd
	v_cndmask_b32_e64 v22, 0x7fff, 0, vcc_lo
	v_cmp_gt_i16_e32 vcc_lo, 0, v17
	s_load_b32 s20, s[8:9], 0x0
	v_cndmask_b32_e64 v17, 0x7fff, 0, vcc_lo
	v_cmp_gt_i16_e32 vcc_lo, 0, v47
	s_delay_alu instid0(VALU_DEP_2)
	v_perm_b32 v20, v17, v22, 0x5040100
	s_wait_alu 0xfffd
	v_cndmask_b32_e64 v23, 0x7fff, 0, vcc_lo
	v_cmp_gt_i16_e32 vcc_lo, 0, v18
	v_xor_b32_e32 v17, v0, v49
	s_wait_alu 0xfffd
	v_cndmask_b32_e64 v18, 0x7fff, 0, vcc_lo
	v_cmp_gt_i16_e32 vcc_lo, 0, v48
	s_wait_kmcnt 0x0
	s_min_u32 s8, s20, 16
	s_delay_alu instid0(VALU_DEP_2)
	v_perm_b32 v22, v18, v23, 0x5040100
	s_wait_alu 0xfffd
	v_cndmask_b32_e64 v24, 0x7fff, 0, vcc_lo
	v_cmp_gt_i16_e32 vcc_lo, 0, v19
	v_lshlrev_b32_e32 v23, 4, v21
	v_xor_b32_e32 v18, v20, v50
	s_lshl_b32 s8, -1, s8
	s_wait_alu 0xfffd
	v_cndmask_b32_e64 v19, 0x7fff, 0, vcc_lo
	s_not_b32 s9, s8
	s_delay_alu instid0(VALU_DEP_1) | instskip(SKIP_1) | instid1(VALU_DEP_2)
	v_perm_b32 v24, v19, v24, 0x5040100
	v_xor_b32_e32 v19, v22, v47
	v_xor_b32_e32 v20, v24, v48
	ds_store_b128 v23, v[17:20]
	; wave barrier
	ds_load_u16 v26, v25
	ds_load_u16 v27, v25 offset:64
	ds_load_u16 v28, v25 offset:128
	;; [unrolled: 1-line block ×7, first 2 shown]
	s_wait_loadcnt_dscnt 0x0
	s_barrier_signal -1
	s_barrier_wait -1
	global_inv scope:SCOPE_SE
	v_cmp_ne_u16_e32 vcc_lo, 0x8000, v26
	s_wait_alu 0xfffd
	v_cndmask_b32_e32 v0, 0x7fff, v26, vcc_lo
	v_mad_u32_u24 v17, v21, 48, v23
	ds_store_b128 v17, v[13:16]
	ds_store_b128 v17, v[9:12] offset:16
	v_and_b32_e32 v0, 0xffff, v0
	ds_store_b128 v17, v[5:8] offset:32
	ds_store_b128 v17, v[1:4] offset:48
	v_mad_u32_u24 v12, v36, 6, v25
	; wave barrier
	v_and_b32_e32 v23, s9, v0
	ds_load_2addr_b64 v[8:11], v12 offset1:32
	ds_load_2addr_b64 v[0:3], v12 offset0:64 offset1:96
	v_and_b32_e32 v4, 1, v23
	v_lshlrev_b32_e32 v18, 30, v23
	v_lshlrev_b32_e32 v19, 29, v23
	;; [unrolled: 1-line block ×3, first 2 shown]
	s_delay_alu instid0(VALU_DEP_4)
	v_add_co_u32 v16, s8, v4, -1
	s_wait_alu 0xf1ff
	v_cndmask_b32_e64 v17, 0, 1, s8
	ds_load_2addr_b64 v[4:7], v12 offset0:128 offset1:160
	ds_load_2addr_b64 v[12:15], v12 offset0:192 offset1:224
	s_wait_loadcnt_dscnt 0x0
	s_barrier_signal -1
	v_cmp_ne_u32_e32 vcc_lo, 0, v17
	v_not_b32_e32 v17, v18
	s_barrier_wait -1
	global_inv scope:SCOPE_SE
	s_load_b32 s8, s[36:37], 0xc
	v_xor_b32_e32 v16, vcc_lo, v16
	v_cmp_gt_i32_e32 vcc_lo, 0, v18
	v_ashrrev_i32_e32 v17, 31, v17
	v_not_b32_e32 v18, v19
	s_delay_alu instid0(VALU_DEP_4) | instskip(SKIP_1) | instid1(VALU_DEP_3)
	v_and_b32_e32 v16, exec_lo, v16
	s_wait_alu 0xfffd
	v_xor_b32_e32 v17, vcc_lo, v17
	v_cmp_gt_i32_e32 vcc_lo, 0, v19
	v_ashrrev_i32_e32 v18, 31, v18
	v_not_b32_e32 v19, v20
	s_delay_alu instid0(VALU_DEP_4)
	v_and_b32_e32 v16, v16, v17
	v_lshlrev_b32_e32 v17, 27, v23
	s_wait_alu 0xfffd
	v_xor_b32_e32 v18, vcc_lo, v18
	v_cmp_gt_i32_e32 vcc_lo, 0, v20
	v_ashrrev_i32_e32 v19, 31, v19
	v_not_b32_e32 v20, v17
	s_delay_alu instid0(VALU_DEP_4)
	v_and_b32_e32 v16, v16, v18
	v_lshlrev_b32_e32 v18, 26, v23
	s_wait_alu 0xfffd
	v_xor_b32_e32 v19, vcc_lo, v19
	v_cmp_gt_i32_e32 vcc_lo, 0, v17
	v_ashrrev_i32_e32 v17, 31, v20
	s_wait_kmcnt 0x0
	s_lshr_b32 s10, s8, 16
	v_not_b32_e32 v20, v18
	v_and_b32_e32 v16, v16, v19
	v_lshlrev_b32_e32 v19, 25, v23
	s_wait_alu 0xfffd
	v_xor_b32_e32 v17, vcc_lo, v17
	v_cmp_gt_i32_e32 vcc_lo, 0, v18
	v_ashrrev_i32_e32 v18, 31, v20
	v_mad_u32_u24 v21, v72, s10, v71
	v_not_b32_e32 v20, v19
	v_and_b32_e32 v16, v16, v17
	v_lshlrev_b32_e32 v17, 24, v23
	s_wait_alu 0xfffd
	v_xor_b32_e32 v18, vcc_lo, v18
	v_cmp_gt_i32_e32 vcc_lo, 0, v19
	v_ashrrev_i32_e32 v19, 31, v20
	s_and_b32 s8, s8, 0xffff
	v_not_b32_e32 v20, v17
	v_and_b32_e32 v16, v16, v18
	s_wait_alu 0xfffe
	v_mad_co_u64_u32 v[21:22], null, v21, s8, v[46:47]
	s_wait_alu 0xfffd
	v_xor_b32_e32 v18, vcc_lo, v19
	v_cmp_gt_i32_e32 vcc_lo, 0, v17
	v_ashrrev_i32_e32 v17, 31, v20
	s_delay_alu instid0(VALU_DEP_3) | instskip(SKIP_2) | instid1(VALU_DEP_3)
	v_and_b32_e32 v16, v16, v18
	v_lshrrev_b32_e32 v21, 5, v21
	s_wait_alu 0xfffd
	v_xor_b32_e32 v22, vcc_lo, v17
	v_dual_mov_b32 v20, s15 :: v_dual_mov_b32 v19, s14
	v_dual_mov_b32 v18, s13 :: v_dual_mov_b32 v17, s12
	s_delay_alu instid0(VALU_DEP_3)
	v_and_b32_e32 v16, v16, v22
	ds_store_b128 v67, v[17:20] offset:32
	ds_store_b128 v67, v[17:20] offset:48
	v_mbcnt_lo_u32_b32 v38, v16, 0
	v_lshlrev_b32_e32 v24, 2, v21
	v_lshlrev_b32_e32 v17, 5, v23
	v_cmp_ne_u32_e64 s8, 0, v16
	s_wait_loadcnt_dscnt 0x0
	v_cmp_eq_u32_e32 vcc_lo, 0, v38
	s_barrier_signal -1
	v_add_nc_u32_e32 v39, v24, v17
	s_barrier_wait -1
	global_inv scope:SCOPE_SE
	s_and_b32 s10, s8, vcc_lo
	; wave barrier
	s_wait_alu 0xfffe
	s_and_saveexec_b32 s8, s10
; %bb.84:
	v_bcnt_u32_b32 v16, v16, 0
	ds_store_b32 v39, v16 offset:32
; %bb.85:
	s_wait_alu 0xfffe
	s_or_b32 exec_lo, exec_lo, s8
	v_cmp_ne_u16_e32 vcc_lo, 0x8000, v27
	; wave barrier
	s_wait_alu 0xfffd
	v_cndmask_b32_e32 v16, 0x7fff, v27, vcc_lo
	s_delay_alu instid0(VALU_DEP_1) | instskip(NEXT) | instid1(VALU_DEP_1)
	v_and_b32_e32 v16, 0xffff, v16
	v_and_b32_e32 v16, s9, v16
	s_delay_alu instid0(VALU_DEP_1)
	v_and_b32_e32 v17, 1, v16
	v_lshlrev_b32_e32 v18, 30, v16
	v_lshlrev_b32_e32 v19, 29, v16
	;; [unrolled: 1-line block ×4, first 2 shown]
	v_add_co_u32 v17, s8, v17, -1
	s_wait_alu 0xf1ff
	v_cndmask_b32_e64 v21, 0, 1, s8
	v_not_b32_e32 v35, v18
	v_cmp_gt_i32_e64 s8, 0, v18
	v_not_b32_e32 v18, v19
	v_lshlrev_b32_e32 v23, 26, v16
	v_cmp_ne_u32_e32 vcc_lo, 0, v21
	v_ashrrev_i32_e32 v35, 31, v35
	v_lshlrev_b32_e32 v34, 25, v16
	v_ashrrev_i32_e32 v18, 31, v18
	v_lshlrev_b32_e32 v21, 24, v16
	s_wait_alu 0xfffd
	v_xor_b32_e32 v17, vcc_lo, v17
	v_cmp_gt_i32_e32 vcc_lo, 0, v19
	v_not_b32_e32 v19, v20
	s_wait_alu 0xf1ff
	v_xor_b32_e32 v35, s8, v35
	v_cmp_gt_i32_e64 s8, 0, v20
	v_and_b32_e32 v17, exec_lo, v17
	v_not_b32_e32 v20, v22
	v_ashrrev_i32_e32 v19, 31, v19
	s_wait_alu 0xfffd
	v_xor_b32_e32 v18, vcc_lo, v18
	v_cmp_gt_i32_e32 vcc_lo, 0, v22
	v_and_b32_e32 v17, v17, v35
	v_not_b32_e32 v22, v23
	v_ashrrev_i32_e32 v20, 31, v20
	s_wait_alu 0xf1ff
	v_xor_b32_e32 v19, s8, v19
	v_cmp_gt_i32_e64 s8, 0, v23
	v_and_b32_e32 v17, v17, v18
	v_not_b32_e32 v18, v34
	v_ashrrev_i32_e32 v22, 31, v22
	s_wait_alu 0xfffd
	v_xor_b32_e32 v20, vcc_lo, v20
	v_cmp_gt_i32_e32 vcc_lo, 0, v34
	v_and_b32_e32 v17, v17, v19
	v_not_b32_e32 v19, v21
	v_ashrrev_i32_e32 v18, 31, v18
	s_wait_alu 0xf1ff
	v_xor_b32_e32 v22, s8, v22
	v_lshlrev_b32_e32 v16, 5, v16
	v_and_b32_e32 v17, v17, v20
	v_cmp_gt_i32_e64 s8, 0, v21
	v_ashrrev_i32_e32 v19, 31, v19
	s_wait_alu 0xfffd
	v_xor_b32_e32 v18, vcc_lo, v18
	v_add_nc_u32_e32 v48, v24, v16
	v_and_b32_e32 v17, v17, v22
	s_wait_alu 0xf1ff
	v_xor_b32_e32 v16, s8, v19
	ds_load_b32 v40, v48 offset:32
	v_and_b32_e32 v17, v17, v18
	; wave barrier
	s_delay_alu instid0(VALU_DEP_1) | instskip(NEXT) | instid1(VALU_DEP_1)
	v_and_b32_e32 v16, v17, v16
	v_mbcnt_lo_u32_b32 v47, v16, 0
	v_cmp_ne_u32_e64 s8, 0, v16
	s_delay_alu instid0(VALU_DEP_2)
	v_cmp_eq_u32_e32 vcc_lo, 0, v47
	s_and_b32 s10, s8, vcc_lo
	s_wait_alu 0xfffe
	s_and_saveexec_b32 s8, s10
	s_cbranch_execz .LBB246_87
; %bb.86:
	s_wait_dscnt 0x0
	v_bcnt_u32_b32 v16, v16, v40
	ds_store_b32 v48, v16 offset:32
.LBB246_87:
	s_wait_alu 0xfffe
	s_or_b32 exec_lo, exec_lo, s8
	v_cmp_ne_u16_e32 vcc_lo, 0x8000, v28
	; wave barrier
	s_wait_alu 0xfffd
	v_cndmask_b32_e32 v16, 0x7fff, v28, vcc_lo
	s_delay_alu instid0(VALU_DEP_1) | instskip(NEXT) | instid1(VALU_DEP_1)
	v_and_b32_e32 v16, 0xffff, v16
	v_and_b32_e32 v16, s9, v16
	s_delay_alu instid0(VALU_DEP_1)
	v_and_b32_e32 v17, 1, v16
	v_lshlrev_b32_e32 v18, 30, v16
	v_lshlrev_b32_e32 v19, 29, v16
	;; [unrolled: 1-line block ×4, first 2 shown]
	v_add_co_u32 v17, s8, v17, -1
	s_wait_alu 0xf1ff
	v_cndmask_b32_e64 v21, 0, 1, s8
	v_not_b32_e32 v35, v18
	v_cmp_gt_i32_e64 s8, 0, v18
	v_not_b32_e32 v18, v19
	v_lshlrev_b32_e32 v23, 26, v16
	v_cmp_ne_u32_e32 vcc_lo, 0, v21
	v_ashrrev_i32_e32 v35, 31, v35
	v_lshlrev_b32_e32 v34, 25, v16
	v_ashrrev_i32_e32 v18, 31, v18
	v_lshlrev_b32_e32 v21, 24, v16
	s_wait_alu 0xfffd
	v_xor_b32_e32 v17, vcc_lo, v17
	v_cmp_gt_i32_e32 vcc_lo, 0, v19
	v_not_b32_e32 v19, v20
	s_wait_alu 0xf1ff
	v_xor_b32_e32 v35, s8, v35
	v_cmp_gt_i32_e64 s8, 0, v20
	v_and_b32_e32 v17, exec_lo, v17
	v_not_b32_e32 v20, v22
	v_ashrrev_i32_e32 v19, 31, v19
	s_wait_alu 0xfffd
	v_xor_b32_e32 v18, vcc_lo, v18
	v_cmp_gt_i32_e32 vcc_lo, 0, v22
	v_and_b32_e32 v17, v17, v35
	v_not_b32_e32 v22, v23
	v_ashrrev_i32_e32 v20, 31, v20
	s_wait_alu 0xf1ff
	v_xor_b32_e32 v19, s8, v19
	v_cmp_gt_i32_e64 s8, 0, v23
	v_and_b32_e32 v17, v17, v18
	v_not_b32_e32 v18, v34
	v_ashrrev_i32_e32 v22, 31, v22
	s_wait_alu 0xfffd
	v_xor_b32_e32 v20, vcc_lo, v20
	v_cmp_gt_i32_e32 vcc_lo, 0, v34
	v_and_b32_e32 v17, v17, v19
	v_not_b32_e32 v19, v21
	v_ashrrev_i32_e32 v18, 31, v18
	s_wait_alu 0xf1ff
	v_xor_b32_e32 v22, s8, v22
	v_lshlrev_b32_e32 v16, 5, v16
	v_and_b32_e32 v17, v17, v20
	v_cmp_gt_i32_e64 s8, 0, v21
	v_ashrrev_i32_e32 v19, 31, v19
	s_wait_alu 0xfffd
	v_xor_b32_e32 v18, vcc_lo, v18
	v_add_nc_u32_e32 v71, v24, v16
	v_and_b32_e32 v17, v17, v22
	s_wait_alu 0xf1ff
	v_xor_b32_e32 v16, s8, v19
	ds_load_b32 v49, v71 offset:32
	v_and_b32_e32 v17, v17, v18
	; wave barrier
	s_delay_alu instid0(VALU_DEP_1) | instskip(NEXT) | instid1(VALU_DEP_1)
	v_and_b32_e32 v16, v17, v16
	v_mbcnt_lo_u32_b32 v50, v16, 0
	v_cmp_ne_u32_e64 s8, 0, v16
	s_delay_alu instid0(VALU_DEP_2)
	v_cmp_eq_u32_e32 vcc_lo, 0, v50
	s_and_b32 s10, s8, vcc_lo
	s_wait_alu 0xfffe
	s_and_saveexec_b32 s8, s10
	s_cbranch_execz .LBB246_89
; %bb.88:
	s_wait_dscnt 0x0
	v_bcnt_u32_b32 v16, v16, v49
	ds_store_b32 v71, v16 offset:32
.LBB246_89:
	s_wait_alu 0xfffe
	s_or_b32 exec_lo, exec_lo, s8
	v_cmp_ne_u16_e32 vcc_lo, 0x8000, v29
	; wave barrier
	s_wait_alu 0xfffd
	v_cndmask_b32_e32 v16, 0x7fff, v29, vcc_lo
	s_delay_alu instid0(VALU_DEP_1) | instskip(NEXT) | instid1(VALU_DEP_1)
	v_and_b32_e32 v16, 0xffff, v16
	v_and_b32_e32 v16, s9, v16
	s_delay_alu instid0(VALU_DEP_1)
	v_and_b32_e32 v17, 1, v16
	v_lshlrev_b32_e32 v18, 30, v16
	v_lshlrev_b32_e32 v19, 29, v16
	;; [unrolled: 1-line block ×4, first 2 shown]
	v_add_co_u32 v17, s8, v17, -1
	s_wait_alu 0xf1ff
	v_cndmask_b32_e64 v21, 0, 1, s8
	v_not_b32_e32 v35, v18
	v_cmp_gt_i32_e64 s8, 0, v18
	v_not_b32_e32 v18, v19
	v_lshlrev_b32_e32 v23, 26, v16
	v_cmp_ne_u32_e32 vcc_lo, 0, v21
	v_ashrrev_i32_e32 v35, 31, v35
	v_lshlrev_b32_e32 v34, 25, v16
	v_ashrrev_i32_e32 v18, 31, v18
	v_lshlrev_b32_e32 v21, 24, v16
	s_wait_alu 0xfffd
	v_xor_b32_e32 v17, vcc_lo, v17
	v_cmp_gt_i32_e32 vcc_lo, 0, v19
	v_not_b32_e32 v19, v20
	s_wait_alu 0xf1ff
	v_xor_b32_e32 v35, s8, v35
	v_cmp_gt_i32_e64 s8, 0, v20
	v_and_b32_e32 v17, exec_lo, v17
	v_not_b32_e32 v20, v22
	v_ashrrev_i32_e32 v19, 31, v19
	s_wait_alu 0xfffd
	v_xor_b32_e32 v18, vcc_lo, v18
	v_cmp_gt_i32_e32 vcc_lo, 0, v22
	v_and_b32_e32 v17, v17, v35
	v_not_b32_e32 v22, v23
	v_ashrrev_i32_e32 v20, 31, v20
	s_wait_alu 0xf1ff
	v_xor_b32_e32 v19, s8, v19
	v_cmp_gt_i32_e64 s8, 0, v23
	v_and_b32_e32 v17, v17, v18
	v_not_b32_e32 v18, v34
	v_ashrrev_i32_e32 v22, 31, v22
	s_wait_alu 0xfffd
	v_xor_b32_e32 v20, vcc_lo, v20
	v_cmp_gt_i32_e32 vcc_lo, 0, v34
	v_and_b32_e32 v17, v17, v19
	v_not_b32_e32 v19, v21
	v_ashrrev_i32_e32 v18, 31, v18
	s_wait_alu 0xf1ff
	v_xor_b32_e32 v22, s8, v22
	v_lshlrev_b32_e32 v16, 5, v16
	v_and_b32_e32 v17, v17, v20
	v_cmp_gt_i32_e64 s8, 0, v21
	v_ashrrev_i32_e32 v19, 31, v19
	s_wait_alu 0xfffd
	v_xor_b32_e32 v18, vcc_lo, v18
	v_add_nc_u32_e32 v74, v24, v16
	v_and_b32_e32 v17, v17, v22
	s_wait_alu 0xf1ff
	v_xor_b32_e32 v16, s8, v19
	ds_load_b32 v72, v74 offset:32
	v_and_b32_e32 v17, v17, v18
	; wave barrier
	s_delay_alu instid0(VALU_DEP_1) | instskip(NEXT) | instid1(VALU_DEP_1)
	v_and_b32_e32 v16, v17, v16
	v_mbcnt_lo_u32_b32 v73, v16, 0
	v_cmp_ne_u32_e64 s8, 0, v16
	s_delay_alu instid0(VALU_DEP_2)
	v_cmp_eq_u32_e32 vcc_lo, 0, v73
	s_and_b32 s10, s8, vcc_lo
	s_wait_alu 0xfffe
	s_and_saveexec_b32 s8, s10
	s_cbranch_execz .LBB246_91
; %bb.90:
	s_wait_dscnt 0x0
	v_bcnt_u32_b32 v16, v16, v72
	ds_store_b32 v74, v16 offset:32
.LBB246_91:
	s_wait_alu 0xfffe
	s_or_b32 exec_lo, exec_lo, s8
	v_cmp_ne_u16_e32 vcc_lo, 0x8000, v30
	; wave barrier
	s_wait_alu 0xfffd
	v_cndmask_b32_e32 v16, 0x7fff, v30, vcc_lo
	s_delay_alu instid0(VALU_DEP_1) | instskip(NEXT) | instid1(VALU_DEP_1)
	v_and_b32_e32 v16, 0xffff, v16
	v_and_b32_e32 v16, s9, v16
	s_delay_alu instid0(VALU_DEP_1)
	v_and_b32_e32 v17, 1, v16
	v_lshlrev_b32_e32 v18, 30, v16
	v_lshlrev_b32_e32 v19, 29, v16
	;; [unrolled: 1-line block ×4, first 2 shown]
	v_add_co_u32 v17, s8, v17, -1
	s_wait_alu 0xf1ff
	v_cndmask_b32_e64 v21, 0, 1, s8
	v_not_b32_e32 v35, v18
	v_cmp_gt_i32_e64 s8, 0, v18
	v_not_b32_e32 v18, v19
	v_lshlrev_b32_e32 v23, 26, v16
	v_cmp_ne_u32_e32 vcc_lo, 0, v21
	v_ashrrev_i32_e32 v35, 31, v35
	v_lshlrev_b32_e32 v34, 25, v16
	v_ashrrev_i32_e32 v18, 31, v18
	v_lshlrev_b32_e32 v21, 24, v16
	s_wait_alu 0xfffd
	v_xor_b32_e32 v17, vcc_lo, v17
	v_cmp_gt_i32_e32 vcc_lo, 0, v19
	v_not_b32_e32 v19, v20
	s_wait_alu 0xf1ff
	v_xor_b32_e32 v35, s8, v35
	v_cmp_gt_i32_e64 s8, 0, v20
	v_and_b32_e32 v17, exec_lo, v17
	v_not_b32_e32 v20, v22
	v_ashrrev_i32_e32 v19, 31, v19
	s_wait_alu 0xfffd
	v_xor_b32_e32 v18, vcc_lo, v18
	v_cmp_gt_i32_e32 vcc_lo, 0, v22
	v_and_b32_e32 v17, v17, v35
	v_not_b32_e32 v22, v23
	v_ashrrev_i32_e32 v20, 31, v20
	s_wait_alu 0xf1ff
	v_xor_b32_e32 v19, s8, v19
	v_cmp_gt_i32_e64 s8, 0, v23
	v_and_b32_e32 v17, v17, v18
	v_not_b32_e32 v18, v34
	v_ashrrev_i32_e32 v22, 31, v22
	s_wait_alu 0xfffd
	v_xor_b32_e32 v20, vcc_lo, v20
	v_cmp_gt_i32_e32 vcc_lo, 0, v34
	v_and_b32_e32 v17, v17, v19
	v_not_b32_e32 v19, v21
	v_ashrrev_i32_e32 v18, 31, v18
	s_wait_alu 0xf1ff
	v_xor_b32_e32 v22, s8, v22
	v_lshlrev_b32_e32 v16, 5, v16
	v_and_b32_e32 v17, v17, v20
	v_cmp_gt_i32_e64 s8, 0, v21
	v_ashrrev_i32_e32 v19, 31, v19
	s_wait_alu 0xfffd
	v_xor_b32_e32 v18, vcc_lo, v18
	v_add_nc_u32_e32 v77, v24, v16
	v_and_b32_e32 v17, v17, v22
	s_wait_alu 0xf1ff
	v_xor_b32_e32 v16, s8, v19
	ds_load_b32 v75, v77 offset:32
	v_and_b32_e32 v17, v17, v18
	; wave barrier
	s_delay_alu instid0(VALU_DEP_1) | instskip(NEXT) | instid1(VALU_DEP_1)
	v_and_b32_e32 v16, v17, v16
	v_mbcnt_lo_u32_b32 v76, v16, 0
	v_cmp_ne_u32_e64 s8, 0, v16
	s_delay_alu instid0(VALU_DEP_2)
	v_cmp_eq_u32_e32 vcc_lo, 0, v76
	s_and_b32 s10, s8, vcc_lo
	s_wait_alu 0xfffe
	s_and_saveexec_b32 s8, s10
	s_cbranch_execz .LBB246_93
; %bb.92:
	s_wait_dscnt 0x0
	v_bcnt_u32_b32 v16, v16, v75
	ds_store_b32 v77, v16 offset:32
.LBB246_93:
	s_wait_alu 0xfffe
	s_or_b32 exec_lo, exec_lo, s8
	v_cmp_ne_u16_e32 vcc_lo, 0x8000, v31
	; wave barrier
	s_wait_alu 0xfffd
	v_cndmask_b32_e32 v16, 0x7fff, v31, vcc_lo
	s_delay_alu instid0(VALU_DEP_1) | instskip(NEXT) | instid1(VALU_DEP_1)
	v_and_b32_e32 v16, 0xffff, v16
	v_and_b32_e32 v16, s9, v16
	s_delay_alu instid0(VALU_DEP_1)
	v_and_b32_e32 v17, 1, v16
	v_lshlrev_b32_e32 v18, 30, v16
	v_lshlrev_b32_e32 v19, 29, v16
	;; [unrolled: 1-line block ×4, first 2 shown]
	v_add_co_u32 v17, s8, v17, -1
	s_wait_alu 0xf1ff
	v_cndmask_b32_e64 v21, 0, 1, s8
	v_not_b32_e32 v35, v18
	v_cmp_gt_i32_e64 s8, 0, v18
	v_not_b32_e32 v18, v19
	v_lshlrev_b32_e32 v23, 26, v16
	v_cmp_ne_u32_e32 vcc_lo, 0, v21
	v_ashrrev_i32_e32 v35, 31, v35
	v_lshlrev_b32_e32 v34, 25, v16
	v_ashrrev_i32_e32 v18, 31, v18
	v_lshlrev_b32_e32 v21, 24, v16
	s_wait_alu 0xfffd
	v_xor_b32_e32 v17, vcc_lo, v17
	v_cmp_gt_i32_e32 vcc_lo, 0, v19
	v_not_b32_e32 v19, v20
	s_wait_alu 0xf1ff
	v_xor_b32_e32 v35, s8, v35
	v_cmp_gt_i32_e64 s8, 0, v20
	v_and_b32_e32 v17, exec_lo, v17
	v_not_b32_e32 v20, v22
	v_ashrrev_i32_e32 v19, 31, v19
	s_wait_alu 0xfffd
	v_xor_b32_e32 v18, vcc_lo, v18
	v_cmp_gt_i32_e32 vcc_lo, 0, v22
	v_and_b32_e32 v17, v17, v35
	v_not_b32_e32 v22, v23
	v_ashrrev_i32_e32 v20, 31, v20
	s_wait_alu 0xf1ff
	v_xor_b32_e32 v19, s8, v19
	v_cmp_gt_i32_e64 s8, 0, v23
	v_and_b32_e32 v17, v17, v18
	v_not_b32_e32 v18, v34
	v_ashrrev_i32_e32 v22, 31, v22
	s_wait_alu 0xfffd
	v_xor_b32_e32 v20, vcc_lo, v20
	v_cmp_gt_i32_e32 vcc_lo, 0, v34
	v_and_b32_e32 v17, v17, v19
	v_not_b32_e32 v19, v21
	v_ashrrev_i32_e32 v18, 31, v18
	s_wait_alu 0xf1ff
	v_xor_b32_e32 v22, s8, v22
	v_lshlrev_b32_e32 v16, 5, v16
	v_and_b32_e32 v17, v17, v20
	v_cmp_gt_i32_e64 s8, 0, v21
	v_ashrrev_i32_e32 v19, 31, v19
	s_wait_alu 0xfffd
	v_xor_b32_e32 v18, vcc_lo, v18
	v_add_nc_u32_e32 v80, v24, v16
	v_and_b32_e32 v17, v17, v22
	s_wait_alu 0xf1ff
	v_xor_b32_e32 v16, s8, v19
	ds_load_b32 v78, v80 offset:32
	v_and_b32_e32 v17, v17, v18
	; wave barrier
	s_delay_alu instid0(VALU_DEP_1) | instskip(NEXT) | instid1(VALU_DEP_1)
	v_and_b32_e32 v16, v17, v16
	v_mbcnt_lo_u32_b32 v79, v16, 0
	v_cmp_ne_u32_e64 s8, 0, v16
	s_delay_alu instid0(VALU_DEP_2)
	v_cmp_eq_u32_e32 vcc_lo, 0, v79
	s_and_b32 s10, s8, vcc_lo
	s_wait_alu 0xfffe
	s_and_saveexec_b32 s8, s10
	s_cbranch_execz .LBB246_95
; %bb.94:
	s_wait_dscnt 0x0
	v_bcnt_u32_b32 v16, v16, v78
	ds_store_b32 v80, v16 offset:32
.LBB246_95:
	s_wait_alu 0xfffe
	s_or_b32 exec_lo, exec_lo, s8
	v_cmp_ne_u16_e32 vcc_lo, 0x8000, v32
	; wave barrier
	s_wait_alu 0xfffd
	v_cndmask_b32_e32 v16, 0x7fff, v32, vcc_lo
	s_delay_alu instid0(VALU_DEP_1) | instskip(NEXT) | instid1(VALU_DEP_1)
	v_and_b32_e32 v16, 0xffff, v16
	v_and_b32_e32 v16, s9, v16
	s_delay_alu instid0(VALU_DEP_1)
	v_and_b32_e32 v17, 1, v16
	v_lshlrev_b32_e32 v18, 30, v16
	v_lshlrev_b32_e32 v19, 29, v16
	;; [unrolled: 1-line block ×4, first 2 shown]
	v_add_co_u32 v17, s8, v17, -1
	s_wait_alu 0xf1ff
	v_cndmask_b32_e64 v21, 0, 1, s8
	v_not_b32_e32 v35, v18
	v_cmp_gt_i32_e64 s8, 0, v18
	v_not_b32_e32 v18, v19
	v_lshlrev_b32_e32 v23, 26, v16
	v_cmp_ne_u32_e32 vcc_lo, 0, v21
	v_ashrrev_i32_e32 v35, 31, v35
	v_lshlrev_b32_e32 v34, 25, v16
	v_ashrrev_i32_e32 v18, 31, v18
	v_lshlrev_b32_e32 v21, 24, v16
	s_wait_alu 0xfffd
	v_xor_b32_e32 v17, vcc_lo, v17
	v_cmp_gt_i32_e32 vcc_lo, 0, v19
	v_not_b32_e32 v19, v20
	s_wait_alu 0xf1ff
	v_xor_b32_e32 v35, s8, v35
	v_cmp_gt_i32_e64 s8, 0, v20
	v_and_b32_e32 v17, exec_lo, v17
	v_not_b32_e32 v20, v22
	v_ashrrev_i32_e32 v19, 31, v19
	s_wait_alu 0xfffd
	v_xor_b32_e32 v18, vcc_lo, v18
	v_cmp_gt_i32_e32 vcc_lo, 0, v22
	v_and_b32_e32 v17, v17, v35
	v_not_b32_e32 v22, v23
	v_ashrrev_i32_e32 v20, 31, v20
	s_wait_alu 0xf1ff
	v_xor_b32_e32 v19, s8, v19
	v_cmp_gt_i32_e64 s8, 0, v23
	v_and_b32_e32 v17, v17, v18
	v_not_b32_e32 v18, v34
	v_ashrrev_i32_e32 v22, 31, v22
	s_wait_alu 0xfffd
	v_xor_b32_e32 v20, vcc_lo, v20
	v_cmp_gt_i32_e32 vcc_lo, 0, v34
	v_and_b32_e32 v17, v17, v19
	v_not_b32_e32 v19, v21
	v_ashrrev_i32_e32 v18, 31, v18
	s_wait_alu 0xf1ff
	v_xor_b32_e32 v22, s8, v22
	v_lshlrev_b32_e32 v16, 5, v16
	v_and_b32_e32 v17, v17, v20
	v_cmp_gt_i32_e64 s8, 0, v21
	v_ashrrev_i32_e32 v19, 31, v19
	s_wait_alu 0xfffd
	v_xor_b32_e32 v18, vcc_lo, v18
	v_add_nc_u32_e32 v83, v24, v16
	v_and_b32_e32 v17, v17, v22
	s_wait_alu 0xf1ff
	v_xor_b32_e32 v16, s8, v19
	ds_load_b32 v81, v83 offset:32
	v_and_b32_e32 v17, v17, v18
	; wave barrier
	s_delay_alu instid0(VALU_DEP_1) | instskip(NEXT) | instid1(VALU_DEP_1)
	v_and_b32_e32 v16, v17, v16
	v_mbcnt_lo_u32_b32 v82, v16, 0
	v_cmp_ne_u32_e64 s8, 0, v16
	s_delay_alu instid0(VALU_DEP_2)
	v_cmp_eq_u32_e32 vcc_lo, 0, v82
	s_and_b32 s10, s8, vcc_lo
	s_wait_alu 0xfffe
	s_and_saveexec_b32 s8, s10
	s_cbranch_execz .LBB246_97
; %bb.96:
	s_wait_dscnt 0x0
	v_bcnt_u32_b32 v16, v16, v81
	ds_store_b32 v83, v16 offset:32
.LBB246_97:
	s_wait_alu 0xfffe
	s_or_b32 exec_lo, exec_lo, s8
	v_cmp_ne_u16_e32 vcc_lo, 0x8000, v33
	; wave barrier
	s_wait_alu 0xfffd
	v_cndmask_b32_e32 v16, 0x7fff, v33, vcc_lo
	s_delay_alu instid0(VALU_DEP_1) | instskip(NEXT) | instid1(VALU_DEP_1)
	v_and_b32_e32 v16, 0xffff, v16
	v_and_b32_e32 v16, s9, v16
	s_delay_alu instid0(VALU_DEP_1)
	v_and_b32_e32 v17, 1, v16
	v_lshlrev_b32_e32 v18, 30, v16
	v_lshlrev_b32_e32 v19, 29, v16
	;; [unrolled: 1-line block ×4, first 2 shown]
	v_add_co_u32 v17, s8, v17, -1
	s_wait_alu 0xf1ff
	v_cndmask_b32_e64 v21, 0, 1, s8
	v_not_b32_e32 v35, v18
	v_cmp_gt_i32_e64 s8, 0, v18
	v_not_b32_e32 v18, v19
	v_lshlrev_b32_e32 v23, 26, v16
	v_cmp_ne_u32_e32 vcc_lo, 0, v21
	v_ashrrev_i32_e32 v35, 31, v35
	v_lshlrev_b32_e32 v34, 25, v16
	v_ashrrev_i32_e32 v18, 31, v18
	v_lshlrev_b32_e32 v21, 24, v16
	s_wait_alu 0xfffd
	v_xor_b32_e32 v17, vcc_lo, v17
	v_cmp_gt_i32_e32 vcc_lo, 0, v19
	v_not_b32_e32 v19, v20
	s_wait_alu 0xf1ff
	v_xor_b32_e32 v35, s8, v35
	v_cmp_gt_i32_e64 s8, 0, v20
	v_and_b32_e32 v17, exec_lo, v17
	v_not_b32_e32 v20, v22
	v_ashrrev_i32_e32 v19, 31, v19
	s_wait_alu 0xfffd
	v_xor_b32_e32 v18, vcc_lo, v18
	v_cmp_gt_i32_e32 vcc_lo, 0, v22
	v_and_b32_e32 v17, v17, v35
	v_not_b32_e32 v22, v23
	v_ashrrev_i32_e32 v20, 31, v20
	s_wait_alu 0xf1ff
	v_xor_b32_e32 v19, s8, v19
	v_cmp_gt_i32_e64 s8, 0, v23
	v_and_b32_e32 v17, v17, v18
	v_not_b32_e32 v18, v34
	v_ashrrev_i32_e32 v22, 31, v22
	s_wait_alu 0xfffd
	v_xor_b32_e32 v20, vcc_lo, v20
	v_cmp_gt_i32_e32 vcc_lo, 0, v34
	v_and_b32_e32 v17, v17, v19
	v_not_b32_e32 v19, v21
	v_ashrrev_i32_e32 v18, 31, v18
	s_wait_alu 0xf1ff
	v_xor_b32_e32 v22, s8, v22
	v_lshlrev_b32_e32 v16, 5, v16
	v_and_b32_e32 v17, v17, v20
	v_cmp_gt_i32_e64 s8, 0, v21
	v_ashrrev_i32_e32 v19, 31, v19
	s_wait_alu 0xfffd
	v_xor_b32_e32 v18, vcc_lo, v18
	v_add_nc_u32_e32 v86, v24, v16
	v_and_b32_e32 v17, v17, v22
	v_min_u32_e32 v34, 0xe0, v70
	s_wait_alu 0xf1ff
	v_xor_b32_e32 v16, s8, v19
	ds_load_b32 v84, v86 offset:32
	v_and_b32_e32 v17, v17, v18
	; wave barrier
	s_delay_alu instid0(VALU_DEP_1) | instskip(NEXT) | instid1(VALU_DEP_1)
	v_and_b32_e32 v16, v17, v16
	v_mbcnt_lo_u32_b32 v85, v16, 0
	v_cmp_ne_u32_e64 s8, 0, v16
	s_delay_alu instid0(VALU_DEP_2)
	v_cmp_eq_u32_e32 vcc_lo, 0, v85
	s_and_b32 s9, s8, vcc_lo
	s_wait_alu 0xfffe
	s_and_saveexec_b32 s8, s9
	s_cbranch_execz .LBB246_99
; %bb.98:
	s_wait_dscnt 0x0
	v_bcnt_u32_b32 v16, v16, v84
	ds_store_b32 v86, v16 offset:32
.LBB246_99:
	s_wait_alu 0xfffe
	s_or_b32 exec_lo, exec_lo, s8
	; wave barrier
	s_wait_loadcnt_dscnt 0x0
	s_barrier_signal -1
	s_barrier_wait -1
	global_inv scope:SCOPE_SE
	ds_load_b128 v[20:23], v67 offset:32
	ds_load_b128 v[16:19], v67 offset:48
	v_and_b32_e32 v70, 16, v69
	v_or_b32_e32 v34, 31, v34
	s_delay_alu instid0(VALU_DEP_2) | instskip(NEXT) | instid1(VALU_DEP_2)
	v_cmp_eq_u32_e64 s17, 0, v70
	v_cmp_eq_u32_e64 s15, v46, v34
	s_wait_dscnt 0x1
	v_add_nc_u32_e32 v35, v21, v20
	s_delay_alu instid0(VALU_DEP_1) | instskip(SKIP_1) | instid1(VALU_DEP_1)
	v_add3_u32 v35, v35, v22, v23
	s_wait_dscnt 0x0
	v_add3_u32 v35, v35, v16, v17
	s_delay_alu instid0(VALU_DEP_1) | instskip(SKIP_1) | instid1(VALU_DEP_2)
	v_add3_u32 v19, v35, v18, v19
	v_and_b32_e32 v35, 15, v69
	v_mov_b32_dpp v37, v19 row_shr:1 row_mask:0xf bank_mask:0xf
	s_delay_alu instid0(VALU_DEP_2)
	v_cmp_eq_u32_e64 s9, 0, v35
	v_cmp_lt_u32_e64 s11, 1, v35
	v_cmp_lt_u32_e64 s12, 3, v35
	;; [unrolled: 1-line block ×3, first 2 shown]
	s_wait_alu 0xf1ff
	v_cndmask_b32_e64 v37, v37, 0, s9
	s_delay_alu instid0(VALU_DEP_1) | instskip(NEXT) | instid1(VALU_DEP_1)
	v_add_nc_u32_e32 v19, v37, v19
	v_mov_b32_dpp v37, v19 row_shr:2 row_mask:0xf bank_mask:0xf
	s_delay_alu instid0(VALU_DEP_1) | instskip(NEXT) | instid1(VALU_DEP_1)
	v_cndmask_b32_e64 v37, 0, v37, s11
	v_add_nc_u32_e32 v19, v19, v37
	s_delay_alu instid0(VALU_DEP_1) | instskip(NEXT) | instid1(VALU_DEP_1)
	v_mov_b32_dpp v37, v19 row_shr:4 row_mask:0xf bank_mask:0xf
	v_cndmask_b32_e64 v37, 0, v37, s12
	s_delay_alu instid0(VALU_DEP_1) | instskip(NEXT) | instid1(VALU_DEP_1)
	v_add_nc_u32_e32 v19, v19, v37
	v_mov_b32_dpp v37, v19 row_shr:8 row_mask:0xf bank_mask:0xf
	s_delay_alu instid0(VALU_DEP_1) | instskip(NEXT) | instid1(VALU_DEP_1)
	v_cndmask_b32_e64 v35, 0, v37, s14
	v_add_nc_u32_e32 v37, v19, v35
	v_bfe_i32 v35, v69, 4, 1
	ds_swizzle_b32 v19, v37 offset:swizzle(BROADCAST,32,15)
	s_wait_dscnt 0x0
	v_and_b32_e32 v87, v35, v19
	v_mul_i32_i24_e32 v19, 0xffffffe4, v46
	v_lshlrev_b32_e32 v35, 2, v68
	s_delay_alu instid0(VALU_DEP_3)
	v_add_nc_u32_e32 v37, v37, v87
	s_and_saveexec_b32 s8, s15
; %bb.100:
	ds_store_b32 v35, v37
; %bb.101:
	s_wait_alu 0xfffe
	s_or_b32 exec_lo, exec_lo, s8
	v_and_b32_e32 v34, 7, v69
	v_cmp_gt_u32_e64 s16, 8, v46
	s_wait_loadcnt_dscnt 0x0
	s_barrier_signal -1
	s_barrier_wait -1
	v_cmp_eq_u32_e64 s13, 0, v34
	v_cmp_lt_u32_e64 s10, 1, v34
	v_cmp_lt_u32_e32 vcc_lo, 3, v34
	v_add_nc_u32_e32 v34, v67, v19
	global_inv scope:SCOPE_SE
	s_and_saveexec_b32 s8, s16
	s_cbranch_execz .LBB246_103
; %bb.102:
	ds_load_b32 v19, v34
	s_wait_dscnt 0x0
	v_mov_b32_dpp v68, v19 row_shr:1 row_mask:0xf bank_mask:0xf
	s_wait_alu 0xf1ff
	s_delay_alu instid0(VALU_DEP_1) | instskip(NEXT) | instid1(VALU_DEP_1)
	v_cndmask_b32_e64 v68, v68, 0, s13
	v_add_nc_u32_e32 v19, v68, v19
	s_delay_alu instid0(VALU_DEP_1) | instskip(NEXT) | instid1(VALU_DEP_1)
	v_mov_b32_dpp v68, v19 row_shr:2 row_mask:0xf bank_mask:0xf
	v_cndmask_b32_e64 v68, 0, v68, s10
	s_delay_alu instid0(VALU_DEP_1) | instskip(NEXT) | instid1(VALU_DEP_1)
	v_add_nc_u32_e32 v19, v19, v68
	v_mov_b32_dpp v68, v19 row_shr:4 row_mask:0xf bank_mask:0xf
	s_wait_alu 0xfffd
	s_delay_alu instid0(VALU_DEP_1) | instskip(NEXT) | instid1(VALU_DEP_1)
	v_cndmask_b32_e32 v68, 0, v68, vcc_lo
	v_add_nc_u32_e32 v19, v19, v68
	ds_store_b32 v34, v19
.LBB246_103:
	s_wait_alu 0xfffe
	s_or_b32 exec_lo, exec_lo, s8
	v_mul_u32_u24_e32 v19, 6, v36
	v_sub_co_u32 v68, s8, v69, 1
	v_cmp_lt_u32_e64 s18, 31, v46
	v_add_nc_u32_e32 v36, -4, v35
	v_mov_b32_e32 v70, 0
	s_wait_loadcnt_dscnt 0x0
	s_barrier_signal -1
	s_barrier_wait -1
	global_inv scope:SCOPE_SE
	s_and_saveexec_b32 s19, s18
; %bb.104:
	ds_load_b32 v70, v36
; %bb.105:
	s_wait_alu 0xfffe
	s_or_b32 exec_lo, exec_lo, s19
	v_cmp_gt_i32_e64 s19, 0, v68
	s_mov_b32 s24, 0
	s_min_u32 s20, s20, 8
	s_mov_b32 s25, s24
	s_mov_b32 s26, s24
	v_cndmask_b32_e64 v68, v68, v69, s19
	s_mov_b32 s27, s24
	s_wait_dscnt 0x0
	v_add_nc_u32_e32 v69, v70, v37
	v_cmp_eq_u32_e64 s19, 0, v46
	s_wait_alu 0xfffe
	s_lshl_b32 s20, -1, s20
	v_lshlrev_b32_e32 v37, 2, v68
	s_wait_alu 0xfffe
	s_not_b32 s23, s20
	ds_bpermute_b32 v68, v37, v69
	s_wait_dscnt 0x0
	v_cndmask_b32_e64 v68, v68, v70, s8
	s_delay_alu instid0(VALU_DEP_1) | instskip(NEXT) | instid1(VALU_DEP_1)
	v_cndmask_b32_e64 v87, v68, 0, s19
	v_add_nc_u32_e32 v88, v87, v20
	s_delay_alu instid0(VALU_DEP_1) | instskip(NEXT) | instid1(VALU_DEP_1)
	v_add_nc_u32_e32 v89, v88, v21
	v_add_nc_u32_e32 v90, v89, v22
	s_delay_alu instid0(VALU_DEP_1) | instskip(NEXT) | instid1(VALU_DEP_1)
	v_add_nc_u32_e32 v20, v90, v23
	;; [unrolled: 3-line block ×3, first 2 shown]
	v_add_nc_u32_e32 v23, v22, v18
	ds_store_b128 v67, v[87:90] offset:32
	ds_store_b128 v67, v[20:23] offset:48
	s_wait_loadcnt_dscnt 0x0
	s_barrier_signal -1
	s_barrier_wait -1
	global_inv scope:SCOPE_SE
	ds_load_b32 v16, v39 offset:32
	ds_load_b32 v17, v48 offset:32
	;; [unrolled: 1-line block ×8, first 2 shown]
	v_add_nc_u32_e32 v48, v25, v19
	s_wait_loadcnt_dscnt 0x0
	s_barrier_signal -1
	s_barrier_wait -1
	global_inv scope:SCOPE_SE
	v_add_nc_u32_e32 v38, v16, v38
	v_add3_u32 v40, v47, v40, v17
	v_add3_u32 v47, v50, v49, v18
	;; [unrolled: 1-line block ×7, first 2 shown]
	v_lshlrev_b32_e32 v16, 1, v38
	v_lshlrev_b32_e32 v17, 1, v40
	;; [unrolled: 1-line block ×8, first 2 shown]
	ds_store_b16 v16, v26
	ds_store_b16 v17, v27
	;; [unrolled: 1-line block ×8, first 2 shown]
	s_wait_loadcnt_dscnt 0x0
	s_barrier_signal -1
	s_barrier_wait -1
	global_inv scope:SCOPE_SE
	ds_load_u16 v26, v25
	ds_load_u16 v27, v25 offset:64
	ds_load_u16 v28, v25 offset:128
	;; [unrolled: 1-line block ×7, first 2 shown]
	v_mad_co_u64_u32 v[38:39], null, v38, 6, v[16:17]
	v_mad_co_u64_u32 v[16:17], null, v40, 6, v[17:18]
	;; [unrolled: 1-line block ×3, first 2 shown]
	s_wait_loadcnt_dscnt 0x0
	s_barrier_signal -1
	s_barrier_wait -1
	global_inv scope:SCOPE_SE
	v_mad_co_u64_u32 v[18:19], null, v49, 6, v[19:20]
	v_lshrrev_b16 v33, 8, v26
	v_cmp_ne_u16_e64 s20, 0x8000, v26
	ds_store_b64 v38, v[8:9]
	v_mad_co_u64_u32 v[19:20], null, v50, 6, v[20:21]
	v_mad_co_u64_u32 v[20:21], null, v68, 6, v[21:22]
	s_wait_alu 0xf1ff
	v_cndmask_b32_e64 v33, 0x7f, v33, s20
	v_mad_co_u64_u32 v[21:22], null, v69, 6, v[22:23]
	v_mad_co_u64_u32 v[22:23], null, v70, 6, v[23:24]
	s_delay_alu instid0(VALU_DEP_3)
	v_and_b32_e32 v8, 0xffff, v33
	ds_store_b64 v16, v[10:11]
	ds_store_b64 v17, v[0:1]
	;; [unrolled: 1-line block ×7, first 2 shown]
	s_wait_alu 0xfffe
	v_and_b32_e32 v23, s23, v8
	s_wait_loadcnt_dscnt 0x0
	s_barrier_signal -1
	s_barrier_wait -1
	global_inv scope:SCOPE_SE
	v_and_b32_e32 v0, 1, v23
	v_lshlrev_b32_e32 v1, 30, v23
	v_lshlrev_b32_e32 v2, 29, v23
	v_lshlrev_b32_e32 v3, 28, v23
	v_lshlrev_b32_e32 v5, 27, v23
	v_add_co_u32 v0, s20, v0, -1
	s_wait_alu 0xf1ff
	v_cndmask_b32_e64 v4, 0, 1, s20
	v_not_b32_e32 v8, v1
	v_cmp_gt_i32_e64 s21, 0, v1
	v_not_b32_e32 v1, v2
	v_lshlrev_b32_e32 v6, 26, v23
	v_cmp_ne_u32_e64 s20, 0, v4
	v_ashrrev_i32_e32 v8, 31, v8
	v_lshlrev_b32_e32 v7, 25, v23
	v_ashrrev_i32_e32 v1, 31, v1
	v_lshlrev_b32_e32 v4, 24, v23
	s_wait_alu 0xf1ff
	v_xor_b32_e32 v0, s20, v0
	v_cmp_gt_i32_e64 s20, 0, v2
	v_not_b32_e32 v2, v3
	v_xor_b32_e32 v8, s21, v8
	v_cmp_gt_i32_e64 s21, 0, v3
	v_and_b32_e32 v0, exec_lo, v0
	v_not_b32_e32 v3, v5
	v_ashrrev_i32_e32 v2, 31, v2
	s_wait_alu 0xf1ff
	v_xor_b32_e32 v1, s20, v1
	v_cmp_gt_i32_e64 s20, 0, v5
	v_and_b32_e32 v0, v0, v8
	v_not_b32_e32 v5, v6
	v_ashrrev_i32_e32 v3, 31, v3
	v_xor_b32_e32 v2, s21, v2
	v_cmp_gt_i32_e64 s21, 0, v6
	v_and_b32_e32 v0, v0, v1
	v_not_b32_e32 v1, v7
	v_ashrrev_i32_e32 v5, 31, v5
	s_wait_alu 0xf1ff
	v_xor_b32_e32 v3, s20, v3
	v_cmp_gt_i32_e64 s20, 0, v7
	v_and_b32_e32 v0, v0, v2
	v_not_b32_e32 v2, v4
	v_ashrrev_i32_e32 v1, 31, v1
	v_xor_b32_e32 v5, s21, v5
	v_cmp_gt_i32_e64 s21, 0, v4
	v_and_b32_e32 v0, v0, v3
	v_ashrrev_i32_e32 v2, 31, v2
	s_wait_alu 0xf1ff
	v_xor_b32_e32 v1, s20, v1
	v_dual_mov_b32 v17, s24 :: v_dual_mov_b32 v18, s25
	v_and_b32_e32 v0, v0, v5
	v_xor_b32_e32 v16, s21, v2
	ds_load_2addr_b64 v[4:7], v48 offset1:32
	v_dual_mov_b32 v19, s26 :: v_dual_mov_b32 v20, s27
	v_and_b32_e32 v21, v0, v1
	ds_load_2addr_b64 v[12:15], v48 offset0:64 offset1:96
	ds_load_2addr_b64 v[8:11], v48 offset0:128 offset1:160
	;; [unrolled: 1-line block ×3, first 2 shown]
	v_lshl_add_u32 v38, v23, 5, v24
	s_wait_loadcnt_dscnt 0x0
	s_barrier_signal -1
	v_and_b32_e32 v16, v21, v16
	s_barrier_wait -1
	global_inv scope:SCOPE_SE
	ds_store_b128 v67, v[17:20] offset:32
	ds_store_b128 v67, v[17:20] offset:48
	s_wait_loadcnt_dscnt 0x0
	v_mbcnt_lo_u32_b32 v33, v16, 0
	v_cmp_ne_u32_e64 s21, 0, v16
	s_barrier_signal -1
	s_barrier_wait -1
	global_inv scope:SCOPE_SE
	v_cmp_eq_u32_e64 s20, 0, v33
	; wave barrier
	s_and_b32 s21, s21, s20
	s_wait_alu 0xfffe
	s_and_saveexec_b32 s20, s21
; %bb.106:
	v_bcnt_u32_b32 v16, v16, 0
	ds_store_b32 v38, v16 offset:32
; %bb.107:
	s_wait_alu 0xfffe
	s_or_b32 exec_lo, exec_lo, s20
	v_lshrrev_b16 v16, 8, v27
	v_cmp_ne_u16_e64 s20, 0x8000, v27
	; wave barrier
	s_wait_alu 0xf1ff
	s_delay_alu instid0(VALU_DEP_1) | instskip(NEXT) | instid1(VALU_DEP_1)
	v_cndmask_b32_e64 v16, 0x7f, v16, s20
	v_and_b32_e32 v16, s23, v16
	s_delay_alu instid0(VALU_DEP_1)
	v_and_b32_e32 v17, 1, v16
	v_lshlrev_b32_e32 v18, 30, v16
	v_lshlrev_b32_e32 v19, 29, v16
	;; [unrolled: 1-line block ×4, first 2 shown]
	v_add_co_u32 v17, s20, v17, -1
	s_wait_alu 0xf1ff
	v_cndmask_b32_e64 v21, 0, 1, s20
	v_not_b32_e32 v40, v18
	v_cmp_gt_i32_e64 s21, 0, v18
	v_not_b32_e32 v18, v19
	v_lshlrev_b32_e32 v23, 26, v16
	v_cmp_ne_u32_e64 s20, 0, v21
	v_ashrrev_i32_e32 v40, 31, v40
	v_lshlrev_b32_e32 v39, 25, v16
	v_ashrrev_i32_e32 v18, 31, v18
	v_lshlrev_b32_e32 v21, 24, v16
	s_wait_alu 0xf1ff
	v_xor_b32_e32 v17, s20, v17
	v_cmp_gt_i32_e64 s20, 0, v19
	v_not_b32_e32 v19, v20
	v_xor_b32_e32 v40, s21, v40
	v_cmp_gt_i32_e64 s21, 0, v20
	v_and_b32_e32 v17, exec_lo, v17
	v_not_b32_e32 v20, v22
	v_ashrrev_i32_e32 v19, 31, v19
	s_wait_alu 0xf1ff
	v_xor_b32_e32 v18, s20, v18
	v_cmp_gt_i32_e64 s20, 0, v22
	v_and_b32_e32 v17, v17, v40
	v_not_b32_e32 v22, v23
	v_ashrrev_i32_e32 v20, 31, v20
	v_xor_b32_e32 v19, s21, v19
	v_cmp_gt_i32_e64 s21, 0, v23
	v_and_b32_e32 v17, v17, v18
	v_not_b32_e32 v18, v39
	v_ashrrev_i32_e32 v22, 31, v22
	s_wait_alu 0xf1ff
	v_xor_b32_e32 v20, s20, v20
	v_cmp_gt_i32_e64 s20, 0, v39
	v_and_b32_e32 v17, v17, v19
	v_not_b32_e32 v19, v21
	v_ashrrev_i32_e32 v18, 31, v18
	v_xor_b32_e32 v22, s21, v22
	v_cmp_gt_i32_e64 s21, 0, v21
	v_and_b32_e32 v17, v17, v20
	v_ashrrev_i32_e32 v19, 31, v19
	s_wait_alu 0xf1ff
	v_xor_b32_e32 v18, s20, v18
	v_lshl_add_u32 v47, v16, 5, v24
	v_and_b32_e32 v17, v17, v22
	v_xor_b32_e32 v16, s21, v19
	ds_load_b32 v39, v47 offset:32
	v_and_b32_e32 v17, v17, v18
	; wave barrier
	s_delay_alu instid0(VALU_DEP_1) | instskip(NEXT) | instid1(VALU_DEP_1)
	v_and_b32_e32 v16, v17, v16
	v_mbcnt_lo_u32_b32 v40, v16, 0
	v_cmp_ne_u32_e64 s21, 0, v16
	s_delay_alu instid0(VALU_DEP_2)
	v_cmp_eq_u32_e64 s20, 0, v40
	s_and_b32 s21, s21, s20
	s_wait_alu 0xfffe
	s_and_saveexec_b32 s20, s21
	s_cbranch_execz .LBB246_109
; %bb.108:
	s_wait_dscnt 0x0
	v_bcnt_u32_b32 v16, v16, v39
	ds_store_b32 v47, v16 offset:32
.LBB246_109:
	s_wait_alu 0xfffe
	s_or_b32 exec_lo, exec_lo, s20
	v_lshrrev_b16 v16, 8, v28
	v_cmp_ne_u16_e64 s20, 0x8000, v28
	; wave barrier
	s_wait_alu 0xf1ff
	s_delay_alu instid0(VALU_DEP_1) | instskip(NEXT) | instid1(VALU_DEP_1)
	v_cndmask_b32_e64 v16, 0x7f, v16, s20
	v_and_b32_e32 v16, s23, v16
	s_delay_alu instid0(VALU_DEP_1)
	v_and_b32_e32 v17, 1, v16
	v_lshlrev_b32_e32 v18, 30, v16
	v_lshlrev_b32_e32 v19, 29, v16
	;; [unrolled: 1-line block ×4, first 2 shown]
	v_add_co_u32 v17, s20, v17, -1
	s_wait_alu 0xf1ff
	v_cndmask_b32_e64 v21, 0, 1, s20
	v_not_b32_e32 v49, v18
	v_cmp_gt_i32_e64 s21, 0, v18
	v_not_b32_e32 v18, v19
	v_lshlrev_b32_e32 v23, 26, v16
	v_cmp_ne_u32_e64 s20, 0, v21
	v_ashrrev_i32_e32 v49, 31, v49
	v_lshlrev_b32_e32 v48, 25, v16
	v_ashrrev_i32_e32 v18, 31, v18
	v_lshlrev_b32_e32 v21, 24, v16
	s_wait_alu 0xf1ff
	v_xor_b32_e32 v17, s20, v17
	v_cmp_gt_i32_e64 s20, 0, v19
	v_not_b32_e32 v19, v20
	v_xor_b32_e32 v49, s21, v49
	v_cmp_gt_i32_e64 s21, 0, v20
	v_and_b32_e32 v17, exec_lo, v17
	v_not_b32_e32 v20, v22
	v_ashrrev_i32_e32 v19, 31, v19
	s_wait_alu 0xf1ff
	v_xor_b32_e32 v18, s20, v18
	v_cmp_gt_i32_e64 s20, 0, v22
	v_and_b32_e32 v17, v17, v49
	v_not_b32_e32 v22, v23
	v_ashrrev_i32_e32 v20, 31, v20
	v_xor_b32_e32 v19, s21, v19
	v_cmp_gt_i32_e64 s21, 0, v23
	v_and_b32_e32 v17, v17, v18
	v_not_b32_e32 v18, v48
	v_ashrrev_i32_e32 v22, 31, v22
	s_wait_alu 0xf1ff
	v_xor_b32_e32 v20, s20, v20
	v_cmp_gt_i32_e64 s20, 0, v48
	v_and_b32_e32 v17, v17, v19
	v_not_b32_e32 v19, v21
	v_ashrrev_i32_e32 v18, 31, v18
	v_xor_b32_e32 v22, s21, v22
	v_cmp_gt_i32_e64 s21, 0, v21
	v_and_b32_e32 v17, v17, v20
	v_ashrrev_i32_e32 v19, 31, v19
	s_wait_alu 0xf1ff
	v_xor_b32_e32 v18, s20, v18
	v_lshl_add_u32 v50, v16, 5, v24
	v_and_b32_e32 v17, v17, v22
	v_xor_b32_e32 v16, s21, v19
	ds_load_b32 v48, v50 offset:32
	v_and_b32_e32 v17, v17, v18
	; wave barrier
	s_delay_alu instid0(VALU_DEP_1) | instskip(NEXT) | instid1(VALU_DEP_1)
	v_and_b32_e32 v16, v17, v16
	v_mbcnt_lo_u32_b32 v49, v16, 0
	v_cmp_ne_u32_e64 s21, 0, v16
	s_delay_alu instid0(VALU_DEP_2)
	v_cmp_eq_u32_e64 s20, 0, v49
	s_and_b32 s21, s21, s20
	s_wait_alu 0xfffe
	s_and_saveexec_b32 s20, s21
	s_cbranch_execz .LBB246_111
; %bb.110:
	s_wait_dscnt 0x0
	v_bcnt_u32_b32 v16, v16, v48
	ds_store_b32 v50, v16 offset:32
.LBB246_111:
	s_wait_alu 0xfffe
	s_or_b32 exec_lo, exec_lo, s20
	v_lshrrev_b16 v16, 8, v29
	v_cmp_ne_u16_e64 s20, 0x8000, v29
	; wave barrier
	s_wait_alu 0xf1ff
	s_delay_alu instid0(VALU_DEP_1) | instskip(NEXT) | instid1(VALU_DEP_1)
	v_cndmask_b32_e64 v16, 0x7f, v16, s20
	v_and_b32_e32 v16, s23, v16
	s_delay_alu instid0(VALU_DEP_1)
	v_and_b32_e32 v17, 1, v16
	v_lshlrev_b32_e32 v18, 30, v16
	v_lshlrev_b32_e32 v19, 29, v16
	;; [unrolled: 1-line block ×4, first 2 shown]
	v_add_co_u32 v17, s20, v17, -1
	s_wait_alu 0xf1ff
	v_cndmask_b32_e64 v21, 0, 1, s20
	v_not_b32_e32 v69, v18
	v_cmp_gt_i32_e64 s21, 0, v18
	v_not_b32_e32 v18, v19
	v_lshlrev_b32_e32 v23, 26, v16
	v_cmp_ne_u32_e64 s20, 0, v21
	v_ashrrev_i32_e32 v69, 31, v69
	v_lshlrev_b32_e32 v68, 25, v16
	v_ashrrev_i32_e32 v18, 31, v18
	v_lshlrev_b32_e32 v21, 24, v16
	s_wait_alu 0xf1ff
	v_xor_b32_e32 v17, s20, v17
	v_cmp_gt_i32_e64 s20, 0, v19
	v_not_b32_e32 v19, v20
	v_xor_b32_e32 v69, s21, v69
	v_cmp_gt_i32_e64 s21, 0, v20
	v_and_b32_e32 v17, exec_lo, v17
	v_not_b32_e32 v20, v22
	v_ashrrev_i32_e32 v19, 31, v19
	s_wait_alu 0xf1ff
	v_xor_b32_e32 v18, s20, v18
	v_cmp_gt_i32_e64 s20, 0, v22
	v_and_b32_e32 v17, v17, v69
	v_not_b32_e32 v22, v23
	v_ashrrev_i32_e32 v20, 31, v20
	v_xor_b32_e32 v19, s21, v19
	v_cmp_gt_i32_e64 s21, 0, v23
	v_and_b32_e32 v17, v17, v18
	v_not_b32_e32 v18, v68
	v_ashrrev_i32_e32 v22, 31, v22
	s_wait_alu 0xf1ff
	v_xor_b32_e32 v20, s20, v20
	v_cmp_gt_i32_e64 s20, 0, v68
	v_and_b32_e32 v17, v17, v19
	v_not_b32_e32 v19, v21
	v_ashrrev_i32_e32 v18, 31, v18
	v_xor_b32_e32 v22, s21, v22
	v_cmp_gt_i32_e64 s21, 0, v21
	v_and_b32_e32 v17, v17, v20
	v_ashrrev_i32_e32 v19, 31, v19
	s_wait_alu 0xf1ff
	v_xor_b32_e32 v18, s20, v18
	v_lshl_add_u32 v70, v16, 5, v24
	v_and_b32_e32 v17, v17, v22
	v_xor_b32_e32 v16, s21, v19
	ds_load_b32 v68, v70 offset:32
	v_and_b32_e32 v17, v17, v18
	; wave barrier
	s_delay_alu instid0(VALU_DEP_1) | instskip(NEXT) | instid1(VALU_DEP_1)
	v_and_b32_e32 v16, v17, v16
	v_mbcnt_lo_u32_b32 v69, v16, 0
	v_cmp_ne_u32_e64 s21, 0, v16
	s_delay_alu instid0(VALU_DEP_2)
	v_cmp_eq_u32_e64 s20, 0, v69
	s_and_b32 s21, s21, s20
	s_wait_alu 0xfffe
	s_and_saveexec_b32 s20, s21
	s_cbranch_execz .LBB246_113
; %bb.112:
	s_wait_dscnt 0x0
	v_bcnt_u32_b32 v16, v16, v68
	ds_store_b32 v70, v16 offset:32
.LBB246_113:
	s_wait_alu 0xfffe
	s_or_b32 exec_lo, exec_lo, s20
	v_lshrrev_b16 v16, 8, v30
	v_cmp_ne_u16_e64 s20, 0x8000, v30
	; wave barrier
	s_wait_alu 0xf1ff
	s_delay_alu instid0(VALU_DEP_1) | instskip(NEXT) | instid1(VALU_DEP_1)
	v_cndmask_b32_e64 v16, 0x7f, v16, s20
	v_and_b32_e32 v16, s23, v16
	s_delay_alu instid0(VALU_DEP_1)
	v_and_b32_e32 v17, 1, v16
	v_lshlrev_b32_e32 v18, 30, v16
	v_lshlrev_b32_e32 v19, 29, v16
	v_lshlrev_b32_e32 v20, 28, v16
	v_lshlrev_b32_e32 v22, 27, v16
	v_add_co_u32 v17, s20, v17, -1
	s_wait_alu 0xf1ff
	v_cndmask_b32_e64 v21, 0, 1, s20
	v_not_b32_e32 v72, v18
	v_cmp_gt_i32_e64 s21, 0, v18
	v_not_b32_e32 v18, v19
	v_lshlrev_b32_e32 v23, 26, v16
	v_cmp_ne_u32_e64 s20, 0, v21
	v_ashrrev_i32_e32 v72, 31, v72
	v_lshlrev_b32_e32 v71, 25, v16
	v_ashrrev_i32_e32 v18, 31, v18
	v_lshlrev_b32_e32 v21, 24, v16
	s_wait_alu 0xf1ff
	v_xor_b32_e32 v17, s20, v17
	v_cmp_gt_i32_e64 s20, 0, v19
	v_not_b32_e32 v19, v20
	v_xor_b32_e32 v72, s21, v72
	v_cmp_gt_i32_e64 s21, 0, v20
	v_and_b32_e32 v17, exec_lo, v17
	v_not_b32_e32 v20, v22
	v_ashrrev_i32_e32 v19, 31, v19
	s_wait_alu 0xf1ff
	v_xor_b32_e32 v18, s20, v18
	v_cmp_gt_i32_e64 s20, 0, v22
	v_and_b32_e32 v17, v17, v72
	v_not_b32_e32 v22, v23
	v_ashrrev_i32_e32 v20, 31, v20
	v_xor_b32_e32 v19, s21, v19
	v_cmp_gt_i32_e64 s21, 0, v23
	v_and_b32_e32 v17, v17, v18
	v_not_b32_e32 v18, v71
	v_ashrrev_i32_e32 v22, 31, v22
	s_wait_alu 0xf1ff
	v_xor_b32_e32 v20, s20, v20
	v_cmp_gt_i32_e64 s20, 0, v71
	v_and_b32_e32 v17, v17, v19
	v_not_b32_e32 v19, v21
	v_ashrrev_i32_e32 v18, 31, v18
	v_xor_b32_e32 v22, s21, v22
	v_cmp_gt_i32_e64 s21, 0, v21
	v_and_b32_e32 v17, v17, v20
	v_ashrrev_i32_e32 v19, 31, v19
	s_wait_alu 0xf1ff
	v_xor_b32_e32 v18, s20, v18
	v_lshl_add_u32 v73, v16, 5, v24
	v_and_b32_e32 v17, v17, v22
	v_xor_b32_e32 v16, s21, v19
	ds_load_b32 v71, v73 offset:32
	v_and_b32_e32 v17, v17, v18
	; wave barrier
	s_delay_alu instid0(VALU_DEP_1) | instskip(NEXT) | instid1(VALU_DEP_1)
	v_and_b32_e32 v16, v17, v16
	v_mbcnt_lo_u32_b32 v72, v16, 0
	v_cmp_ne_u32_e64 s21, 0, v16
	s_delay_alu instid0(VALU_DEP_2)
	v_cmp_eq_u32_e64 s20, 0, v72
	s_and_b32 s21, s21, s20
	s_wait_alu 0xfffe
	s_and_saveexec_b32 s20, s21
	s_cbranch_execz .LBB246_115
; %bb.114:
	s_wait_dscnt 0x0
	v_bcnt_u32_b32 v16, v16, v71
	ds_store_b32 v73, v16 offset:32
.LBB246_115:
	s_wait_alu 0xfffe
	s_or_b32 exec_lo, exec_lo, s20
	v_lshrrev_b16 v16, 8, v31
	v_cmp_ne_u16_e64 s20, 0x8000, v31
	; wave barrier
	s_wait_alu 0xf1ff
	s_delay_alu instid0(VALU_DEP_1) | instskip(NEXT) | instid1(VALU_DEP_1)
	v_cndmask_b32_e64 v16, 0x7f, v16, s20
	v_and_b32_e32 v16, s23, v16
	s_delay_alu instid0(VALU_DEP_1)
	v_and_b32_e32 v17, 1, v16
	v_lshlrev_b32_e32 v18, 30, v16
	v_lshlrev_b32_e32 v19, 29, v16
	;; [unrolled: 1-line block ×4, first 2 shown]
	v_add_co_u32 v17, s20, v17, -1
	s_wait_alu 0xf1ff
	v_cndmask_b32_e64 v21, 0, 1, s20
	v_not_b32_e32 v75, v18
	v_cmp_gt_i32_e64 s21, 0, v18
	v_not_b32_e32 v18, v19
	v_lshlrev_b32_e32 v23, 26, v16
	v_cmp_ne_u32_e64 s20, 0, v21
	v_ashrrev_i32_e32 v75, 31, v75
	v_lshlrev_b32_e32 v74, 25, v16
	v_ashrrev_i32_e32 v18, 31, v18
	v_lshlrev_b32_e32 v21, 24, v16
	s_wait_alu 0xf1ff
	v_xor_b32_e32 v17, s20, v17
	v_cmp_gt_i32_e64 s20, 0, v19
	v_not_b32_e32 v19, v20
	v_xor_b32_e32 v75, s21, v75
	v_cmp_gt_i32_e64 s21, 0, v20
	v_and_b32_e32 v17, exec_lo, v17
	v_not_b32_e32 v20, v22
	v_ashrrev_i32_e32 v19, 31, v19
	s_wait_alu 0xf1ff
	v_xor_b32_e32 v18, s20, v18
	v_cmp_gt_i32_e64 s20, 0, v22
	v_and_b32_e32 v17, v17, v75
	v_not_b32_e32 v22, v23
	v_ashrrev_i32_e32 v20, 31, v20
	v_xor_b32_e32 v19, s21, v19
	v_cmp_gt_i32_e64 s21, 0, v23
	v_and_b32_e32 v17, v17, v18
	v_not_b32_e32 v18, v74
	v_ashrrev_i32_e32 v22, 31, v22
	s_wait_alu 0xf1ff
	v_xor_b32_e32 v20, s20, v20
	v_cmp_gt_i32_e64 s20, 0, v74
	v_and_b32_e32 v17, v17, v19
	v_not_b32_e32 v19, v21
	v_ashrrev_i32_e32 v18, 31, v18
	v_xor_b32_e32 v22, s21, v22
	v_cmp_gt_i32_e64 s21, 0, v21
	v_and_b32_e32 v17, v17, v20
	v_ashrrev_i32_e32 v19, 31, v19
	s_wait_alu 0xf1ff
	v_xor_b32_e32 v18, s20, v18
	v_lshl_add_u32 v76, v16, 5, v24
	v_and_b32_e32 v17, v17, v22
	v_xor_b32_e32 v16, s21, v19
	ds_load_b32 v74, v76 offset:32
	v_and_b32_e32 v17, v17, v18
	; wave barrier
	s_delay_alu instid0(VALU_DEP_1) | instskip(NEXT) | instid1(VALU_DEP_1)
	v_and_b32_e32 v16, v17, v16
	v_mbcnt_lo_u32_b32 v75, v16, 0
	v_cmp_ne_u32_e64 s21, 0, v16
	s_delay_alu instid0(VALU_DEP_2)
	v_cmp_eq_u32_e64 s20, 0, v75
	s_and_b32 s21, s21, s20
	s_wait_alu 0xfffe
	s_and_saveexec_b32 s20, s21
	s_cbranch_execz .LBB246_117
; %bb.116:
	s_wait_dscnt 0x0
	v_bcnt_u32_b32 v16, v16, v74
	ds_store_b32 v76, v16 offset:32
.LBB246_117:
	s_wait_alu 0xfffe
	s_or_b32 exec_lo, exec_lo, s20
	v_lshrrev_b16 v16, 8, v32
	v_cmp_ne_u16_e64 s20, 0x8000, v32
	; wave barrier
	s_wait_alu 0xf1ff
	s_delay_alu instid0(VALU_DEP_1) | instskip(NEXT) | instid1(VALU_DEP_1)
	v_cndmask_b32_e64 v16, 0x7f, v16, s20
	v_and_b32_e32 v16, s23, v16
	s_delay_alu instid0(VALU_DEP_1)
	v_and_b32_e32 v17, 1, v16
	v_lshlrev_b32_e32 v18, 30, v16
	v_lshlrev_b32_e32 v19, 29, v16
	;; [unrolled: 1-line block ×4, first 2 shown]
	v_add_co_u32 v17, s20, v17, -1
	s_wait_alu 0xf1ff
	v_cndmask_b32_e64 v21, 0, 1, s20
	v_not_b32_e32 v78, v18
	v_cmp_gt_i32_e64 s21, 0, v18
	v_not_b32_e32 v18, v19
	v_lshlrev_b32_e32 v23, 26, v16
	v_cmp_ne_u32_e64 s20, 0, v21
	v_ashrrev_i32_e32 v78, 31, v78
	v_lshlrev_b32_e32 v77, 25, v16
	v_ashrrev_i32_e32 v18, 31, v18
	v_lshlrev_b32_e32 v21, 24, v16
	s_wait_alu 0xf1ff
	v_xor_b32_e32 v17, s20, v17
	v_cmp_gt_i32_e64 s20, 0, v19
	v_not_b32_e32 v19, v20
	v_xor_b32_e32 v78, s21, v78
	v_cmp_gt_i32_e64 s21, 0, v20
	v_and_b32_e32 v17, exec_lo, v17
	v_not_b32_e32 v20, v22
	v_ashrrev_i32_e32 v19, 31, v19
	s_wait_alu 0xf1ff
	v_xor_b32_e32 v18, s20, v18
	v_cmp_gt_i32_e64 s20, 0, v22
	v_and_b32_e32 v17, v17, v78
	v_not_b32_e32 v22, v23
	v_ashrrev_i32_e32 v20, 31, v20
	v_xor_b32_e32 v19, s21, v19
	v_cmp_gt_i32_e64 s21, 0, v23
	v_and_b32_e32 v17, v17, v18
	v_not_b32_e32 v18, v77
	v_ashrrev_i32_e32 v22, 31, v22
	s_wait_alu 0xf1ff
	v_xor_b32_e32 v20, s20, v20
	v_cmp_gt_i32_e64 s20, 0, v77
	v_and_b32_e32 v17, v17, v19
	v_not_b32_e32 v19, v21
	v_ashrrev_i32_e32 v18, 31, v18
	v_xor_b32_e32 v22, s21, v22
	v_cmp_gt_i32_e64 s21, 0, v21
	v_and_b32_e32 v17, v17, v20
	v_ashrrev_i32_e32 v19, 31, v19
	s_wait_alu 0xf1ff
	v_xor_b32_e32 v18, s20, v18
	v_lshl_add_u32 v79, v16, 5, v24
	v_and_b32_e32 v17, v17, v22
	v_xor_b32_e32 v16, s21, v19
	ds_load_b32 v77, v79 offset:32
	v_and_b32_e32 v17, v17, v18
	; wave barrier
	s_delay_alu instid0(VALU_DEP_1) | instskip(NEXT) | instid1(VALU_DEP_1)
	v_and_b32_e32 v16, v17, v16
	v_mbcnt_lo_u32_b32 v78, v16, 0
	v_cmp_ne_u32_e64 s21, 0, v16
	s_delay_alu instid0(VALU_DEP_2)
	v_cmp_eq_u32_e64 s20, 0, v78
	s_and_b32 s21, s21, s20
	s_wait_alu 0xfffe
	s_and_saveexec_b32 s20, s21
	s_cbranch_execz .LBB246_119
; %bb.118:
	s_wait_dscnt 0x0
	v_bcnt_u32_b32 v16, v16, v77
	ds_store_b32 v79, v16 offset:32
.LBB246_119:
	s_wait_alu 0xfffe
	s_or_b32 exec_lo, exec_lo, s20
	v_lshrrev_b16 v16, 8, v25
	v_cmp_ne_u16_e64 s20, 0x8000, v25
	; wave barrier
	s_wait_alu 0xf1ff
	s_delay_alu instid0(VALU_DEP_1) | instskip(NEXT) | instid1(VALU_DEP_1)
	v_cndmask_b32_e64 v16, 0x7f, v16, s20
	v_and_b32_e32 v16, s23, v16
	s_delay_alu instid0(VALU_DEP_1)
	v_and_b32_e32 v17, 1, v16
	v_lshlrev_b32_e32 v18, 30, v16
	v_lshlrev_b32_e32 v19, 29, v16
	;; [unrolled: 1-line block ×4, first 2 shown]
	v_add_co_u32 v17, s20, v17, -1
	s_wait_alu 0xf1ff
	v_cndmask_b32_e64 v21, 0, 1, s20
	v_not_b32_e32 v81, v18
	v_cmp_gt_i32_e64 s21, 0, v18
	v_not_b32_e32 v18, v19
	v_lshlrev_b32_e32 v23, 26, v16
	v_cmp_ne_u32_e64 s20, 0, v21
	v_ashrrev_i32_e32 v81, 31, v81
	v_lshlrev_b32_e32 v80, 25, v16
	v_ashrrev_i32_e32 v18, 31, v18
	v_lshlrev_b32_e32 v21, 24, v16
	s_wait_alu 0xf1ff
	v_xor_b32_e32 v17, s20, v17
	v_cmp_gt_i32_e64 s20, 0, v19
	v_not_b32_e32 v19, v20
	v_xor_b32_e32 v81, s21, v81
	v_cmp_gt_i32_e64 s21, 0, v20
	v_and_b32_e32 v17, exec_lo, v17
	v_not_b32_e32 v20, v22
	v_ashrrev_i32_e32 v19, 31, v19
	s_wait_alu 0xf1ff
	v_xor_b32_e32 v18, s20, v18
	v_cmp_gt_i32_e64 s20, 0, v22
	v_and_b32_e32 v17, v17, v81
	v_not_b32_e32 v22, v23
	v_ashrrev_i32_e32 v20, 31, v20
	v_xor_b32_e32 v19, s21, v19
	v_cmp_gt_i32_e64 s21, 0, v23
	v_and_b32_e32 v17, v17, v18
	v_not_b32_e32 v18, v80
	v_ashrrev_i32_e32 v22, 31, v22
	s_wait_alu 0xf1ff
	v_xor_b32_e32 v20, s20, v20
	v_cmp_gt_i32_e64 s20, 0, v80
	v_and_b32_e32 v17, v17, v19
	v_not_b32_e32 v19, v21
	v_ashrrev_i32_e32 v18, 31, v18
	v_xor_b32_e32 v22, s21, v22
	v_cmp_gt_i32_e64 s21, 0, v21
	v_and_b32_e32 v17, v17, v20
	v_ashrrev_i32_e32 v19, 31, v19
	s_wait_alu 0xf1ff
	v_xor_b32_e32 v18, s20, v18
	v_lshl_add_u32 v81, v16, 5, v24
	v_and_b32_e32 v17, v17, v22
	v_xor_b32_e32 v16, s21, v19
	ds_load_b32 v24, v81 offset:32
	v_and_b32_e32 v17, v17, v18
	; wave barrier
	s_delay_alu instid0(VALU_DEP_1) | instskip(NEXT) | instid1(VALU_DEP_1)
	v_and_b32_e32 v16, v17, v16
	v_mbcnt_lo_u32_b32 v80, v16, 0
	v_cmp_ne_u32_e64 s21, 0, v16
	s_delay_alu instid0(VALU_DEP_2)
	v_cmp_eq_u32_e64 s20, 0, v80
	s_and_b32 s21, s21, s20
	s_wait_alu 0xfffe
	s_and_saveexec_b32 s20, s21
	s_cbranch_execz .LBB246_121
; %bb.120:
	s_wait_dscnt 0x0
	v_bcnt_u32_b32 v16, v16, v24
	ds_store_b32 v81, v16 offset:32
.LBB246_121:
	s_wait_alu 0xfffe
	s_or_b32 exec_lo, exec_lo, s20
	; wave barrier
	s_wait_loadcnt_dscnt 0x0
	s_barrier_signal -1
	s_barrier_wait -1
	global_inv scope:SCOPE_SE
	ds_load_b128 v[20:23], v67 offset:32
	ds_load_b128 v[16:19], v67 offset:48
	s_wait_dscnt 0x1
	v_add_nc_u32_e32 v82, v21, v20
	s_delay_alu instid0(VALU_DEP_1) | instskip(SKIP_1) | instid1(VALU_DEP_1)
	v_add3_u32 v82, v82, v22, v23
	s_wait_dscnt 0x0
	v_add3_u32 v82, v82, v16, v17
	s_delay_alu instid0(VALU_DEP_1) | instskip(NEXT) | instid1(VALU_DEP_1)
	v_add3_u32 v19, v82, v18, v19
	v_mov_b32_dpp v82, v19 row_shr:1 row_mask:0xf bank_mask:0xf
	s_delay_alu instid0(VALU_DEP_1) | instskip(NEXT) | instid1(VALU_DEP_1)
	v_cndmask_b32_e64 v82, v82, 0, s9
	v_add_nc_u32_e32 v19, v82, v19
	s_delay_alu instid0(VALU_DEP_1) | instskip(NEXT) | instid1(VALU_DEP_1)
	v_mov_b32_dpp v82, v19 row_shr:2 row_mask:0xf bank_mask:0xf
	v_cndmask_b32_e64 v82, 0, v82, s11
	s_delay_alu instid0(VALU_DEP_1) | instskip(NEXT) | instid1(VALU_DEP_1)
	v_add_nc_u32_e32 v19, v19, v82
	v_mov_b32_dpp v82, v19 row_shr:4 row_mask:0xf bank_mask:0xf
	s_delay_alu instid0(VALU_DEP_1) | instskip(NEXT) | instid1(VALU_DEP_1)
	v_cndmask_b32_e64 v82, 0, v82, s12
	v_add_nc_u32_e32 v19, v19, v82
	s_delay_alu instid0(VALU_DEP_1) | instskip(NEXT) | instid1(VALU_DEP_1)
	v_mov_b32_dpp v82, v19 row_shr:8 row_mask:0xf bank_mask:0xf
	v_cndmask_b32_e64 v82, 0, v82, s14
	s_delay_alu instid0(VALU_DEP_1) | instskip(SKIP_3) | instid1(VALU_DEP_1)
	v_add_nc_u32_e32 v19, v19, v82
	ds_swizzle_b32 v82, v19 offset:swizzle(BROADCAST,32,15)
	s_wait_dscnt 0x0
	v_cndmask_b32_e64 v82, v82, 0, s17
	v_add_nc_u32_e32 v19, v19, v82
	s_and_saveexec_b32 s9, s15
; %bb.122:
	ds_store_b32 v35, v19
; %bb.123:
	s_wait_alu 0xfffe
	s_or_b32 exec_lo, exec_lo, s9
	s_wait_loadcnt_dscnt 0x0
	s_barrier_signal -1
	s_barrier_wait -1
	global_inv scope:SCOPE_SE
	s_and_saveexec_b32 s9, s16
	s_cbranch_execz .LBB246_125
; %bb.124:
	ds_load_b32 v35, v34
	s_wait_dscnt 0x0
	v_mov_b32_dpp v82, v35 row_shr:1 row_mask:0xf bank_mask:0xf
	s_delay_alu instid0(VALU_DEP_1) | instskip(NEXT) | instid1(VALU_DEP_1)
	v_cndmask_b32_e64 v82, v82, 0, s13
	v_add_nc_u32_e32 v35, v82, v35
	s_delay_alu instid0(VALU_DEP_1) | instskip(NEXT) | instid1(VALU_DEP_1)
	v_mov_b32_dpp v82, v35 row_shr:2 row_mask:0xf bank_mask:0xf
	v_cndmask_b32_e64 v82, 0, v82, s10
	s_delay_alu instid0(VALU_DEP_1) | instskip(NEXT) | instid1(VALU_DEP_1)
	v_add_nc_u32_e32 v35, v35, v82
	v_mov_b32_dpp v82, v35 row_shr:4 row_mask:0xf bank_mask:0xf
	s_wait_alu 0xfffd
	s_delay_alu instid0(VALU_DEP_1) | instskip(NEXT) | instid1(VALU_DEP_1)
	v_cndmask_b32_e32 v82, 0, v82, vcc_lo
	v_add_nc_u32_e32 v35, v35, v82
	ds_store_b32 v34, v35
.LBB246_125:
	s_wait_alu 0xfffe
	s_or_b32 exec_lo, exec_lo, s9
	v_mov_b32_e32 v34, 0
	s_wait_loadcnt_dscnt 0x0
	s_barrier_signal -1
	s_barrier_wait -1
	global_inv scope:SCOPE_SE
	s_and_saveexec_b32 s9, s18
; %bb.126:
	ds_load_b32 v34, v36
; %bb.127:
	s_wait_alu 0xfffe
	s_or_b32 exec_lo, exec_lo, s9
	s_wait_dscnt 0x0
	v_add_nc_u32_e32 v19, v34, v19
	ds_bpermute_b32 v19, v37, v19
	s_wait_dscnt 0x0
	v_cndmask_b32_e64 v19, v19, v34, s8
	s_delay_alu instid0(VALU_DEP_1) | instskip(NEXT) | instid1(VALU_DEP_1)
	v_cndmask_b32_e64 v19, v19, 0, s19
	v_add_nc_u32_e32 v20, v19, v20
	s_delay_alu instid0(VALU_DEP_1) | instskip(NEXT) | instid1(VALU_DEP_1)
	v_add_nc_u32_e32 v21, v20, v21
	v_add_nc_u32_e32 v22, v21, v22
	s_delay_alu instid0(VALU_DEP_1) | instskip(NEXT) | instid1(VALU_DEP_1)
	v_add_nc_u32_e32 v34, v22, v23
	;; [unrolled: 3-line block ×3, first 2 shown]
	v_add_nc_u32_e32 v37, v36, v18
	ds_store_b128 v67, v[19:22] offset:32
	ds_store_b128 v67, v[34:37] offset:48
	s_wait_loadcnt_dscnt 0x0
	s_barrier_signal -1
	s_barrier_wait -1
	global_inv scope:SCOPE_SE
	ds_load_b32 v16, v81 offset:32
	ds_load_b32 v17, v79 offset:32
	ds_load_b32 v18, v76 offset:32
	ds_load_b32 v19, v38 offset:32
	ds_load_b32 v20, v47 offset:32
	ds_load_b32 v21, v50 offset:32
	ds_load_b32 v22, v70 offset:32
	ds_load_b32 v23, v73 offset:32
	v_lshlrev_b32_e32 v34, 1, v66
	s_wait_loadcnt_dscnt 0x0
	s_barrier_signal -1
	s_barrier_wait -1
	global_inv scope:SCOPE_SE
	v_mad_u32_u24 v37, v46, 48, v34
	v_add3_u32 v35, v80, v24, v16
	v_add3_u32 v36, v78, v77, v17
	;; [unrolled: 1-line block ×3, first 2 shown]
	v_add_nc_u32_e32 v24, v19, v33
	v_add3_u32 v33, v40, v39, v20
	v_add3_u32 v39, v49, v48, v21
	;; [unrolled: 1-line block ×4, first 2 shown]
	v_lshlrev_b32_e32 v16, 1, v24
	v_lshlrev_b32_e32 v17, 1, v33
	;; [unrolled: 1-line block ×8, first 2 shown]
	ds_store_b16 v16, v26
	ds_store_b16 v17, v27
	;; [unrolled: 1-line block ×8, first 2 shown]
	v_mad_co_u64_u32 v[24:25], null, v24, 6, v[16:17]
	v_mad_co_u64_u32 v[16:17], null, v33, 6, v[17:18]
	;; [unrolled: 1-line block ×7, first 2 shown]
	s_wait_loadcnt_dscnt 0x0
	s_barrier_signal -1
	s_barrier_wait -1
	global_inv scope:SCOPE_SE
	v_mad_co_u64_u32 v[22:23], null, v35, 6, v[23:24]
	ds_load_b128 v[33:36], v34
	s_wait_loadcnt_dscnt 0x0
	s_barrier_signal -1
	s_barrier_wait -1
	global_inv scope:SCOPE_SE
	ds_store_b64 v24, v[4:5]
	ds_store_b64 v16, v[6:7]
	;; [unrolled: 1-line block ×8, first 2 shown]
	s_wait_loadcnt_dscnt 0x0
	s_barrier_signal -1
	s_barrier_wait -1
	global_inv scope:SCOPE_SE
	ds_load_b128 v[29:32], v37
	ds_load_b128 v[25:28], v37 offset:16
	ds_load_b128 v[21:24], v37 offset:32
	;; [unrolled: 1-line block ×3, first 2 shown]
	v_cmp_gt_i16_e32 vcc_lo, 0, v33
	v_lshrrev_b32_e32 v0, 16, v33
	v_lshrrev_b32_e32 v2, 16, v34
	v_lshrrev_b32_e32 v4, 16, v35
	v_lshrrev_b32_e32 v6, 16, v36
	s_wait_alu 0xfffd
	v_cndmask_b32_e64 v1, 0x7fff, 0, vcc_lo
	v_cmp_gt_i16_e32 vcc_lo, 0, v34
	s_wait_alu 0xfffd
	v_cndmask_b32_e64 v3, 0x7fff, 0, vcc_lo
	v_cmp_gt_i16_e32 vcc_lo, 0, v35
	;; [unrolled: 3-line block ×5, first 2 shown]
	s_delay_alu instid0(VALU_DEP_2) | instskip(SKIP_3) | instid1(VALU_DEP_3)
	v_perm_b32 v0, v0, v1, 0x5040100
	s_wait_alu 0xfffd
	v_cndmask_b32_e64 v2, 0x7fff, 0, vcc_lo
	v_cmp_gt_i16_e32 vcc_lo, 0, v4
	v_xor_b32_e32 v0, v0, v33
	s_delay_alu instid0(VALU_DEP_3) | instskip(SKIP_3) | instid1(VALU_DEP_3)
	v_perm_b32 v1, v2, v3, 0x5040100
	s_wait_alu 0xfffd
	v_cndmask_b32_e64 v4, 0x7fff, 0, vcc_lo
	v_cmp_gt_i16_e32 vcc_lo, 0, v6
	v_xor_b32_e32 v34, v1, v34
	s_delay_alu instid0(VALU_DEP_3) | instskip(SKIP_2) | instid1(VALU_DEP_2)
	v_perm_b32 v2, v4, v5, 0x5040100
	s_wait_alu 0xfffd
	v_cndmask_b32_e64 v6, 0x7fff, 0, vcc_lo
	v_xor_b32_e32 v33, v2, v35
	s_delay_alu instid0(VALU_DEP_2) | instskip(NEXT) | instid1(VALU_DEP_1)
	v_perm_b32 v3, v6, v7, 0x5040100
	v_xor_b32_e32 v35, v3, v36
.LBB246_128:
	s_wait_loadcnt_dscnt 0x0
	s_barrier_signal -1
	s_barrier_wait -1
	global_inv scope:SCOPE_SE
	ds_store_2addr_b32 v58, v0, v34 offset1:1
	ds_store_2addr_b32 v58, v33, v35 offset0:2 offset1:3
	s_wait_loadcnt_dscnt 0x0
	s_barrier_signal -1
	s_barrier_wait -1
	global_inv scope:SCOPE_SE
	ds_load_u16 v8, v45 offset:512
	ds_load_u16 v7, v52 offset:1024
	ds_load_u16 v6, v53 offset:1536
	ds_load_u16 v5, v54 offset:2048
	ds_load_u16 v4, v55 offset:2560
	ds_load_u16 v3, v56 offset:3072
	ds_load_u16 v2, v57 offset:3584
	v_mov_b32_e32 v45, 0
	s_delay_alu instid0(VALU_DEP_1) | instskip(NEXT) | instid1(VALU_DEP_1)
	v_lshlrev_b64_e32 v[0:1], 1, v[44:45]
	v_add_co_u32 v0, vcc_lo, s30, v0
	s_wait_alu 0xfffd
	s_delay_alu instid0(VALU_DEP_2)
	v_add_co_ci_u32_e64 v1, null, s31, v1, vcc_lo
	s_and_saveexec_b32 s8, s0
	s_cbranch_execnz .LBB246_147
; %bb.129:
	s_wait_alu 0xfffe
	s_or_b32 exec_lo, exec_lo, s8
	s_and_saveexec_b32 s8, s1
	s_cbranch_execnz .LBB246_148
.LBB246_130:
	s_wait_alu 0xfffe
	s_or_b32 exec_lo, exec_lo, s8
	s_and_saveexec_b32 s8, s2
	s_cbranch_execnz .LBB246_149
.LBB246_131:
	s_wait_alu 0xfffe
	s_or_b32 exec_lo, exec_lo, s8
	s_and_saveexec_b32 s8, s3
	s_cbranch_execnz .LBB246_150
.LBB246_132:
	s_wait_alu 0xfffe
	s_or_b32 exec_lo, exec_lo, s8
	s_and_saveexec_b32 s8, s4
	s_cbranch_execnz .LBB246_151
.LBB246_133:
	s_wait_alu 0xfffe
	s_or_b32 exec_lo, exec_lo, s8
	s_and_saveexec_b32 s8, s5
	s_cbranch_execnz .LBB246_152
.LBB246_134:
	s_wait_alu 0xfffe
	s_or_b32 exec_lo, exec_lo, s8
	s_and_saveexec_b32 s8, s6
	s_cbranch_execnz .LBB246_153
.LBB246_135:
	s_wait_alu 0xfffe
	s_or_b32 exec_lo, exec_lo, s8
	s_and_saveexec_b32 s8, s7
	s_cbranch_execz .LBB246_137
.LBB246_136:
	s_mul_i32 s10, s22, 0x700
	s_mov_b32 s11, 0
	s_wait_alu 0xfffe
	s_lshl_b64 s[10:11], s[10:11], 1
	s_wait_alu 0xfffe
	v_add_co_u32 v0, vcc_lo, v0, s10
	s_wait_alu 0xfffd
	v_add_co_ci_u32_e64 v1, null, s11, v1, vcc_lo
	s_wait_dscnt 0x0
	global_store_b16 v[0:1], v2, off
.LBB246_137:
	s_wait_alu 0xfffe
	s_or_b32 exec_lo, exec_lo, s8
	s_wait_storecnt 0x0
	s_wait_loadcnt_dscnt 0x0
	s_barrier_signal -1
	s_barrier_wait -1
	global_inv scope:SCOPE_SE
	ds_store_2addr_b64 v65, v[29:30], v[31:32] offset1:1
	ds_store_2addr_b64 v65, v[25:26], v[27:28] offset0:2 offset1:3
	ds_store_2addr_b64 v65, v[21:22], v[23:24] offset0:4 offset1:5
	;; [unrolled: 1-line block ×3, first 2 shown]
	s_wait_loadcnt_dscnt 0x0
	s_barrier_signal -1
	s_barrier_wait -1
	global_inv scope:SCOPE_SE
	ds_load_b64 v[14:15], v60 offset:2048
	ds_load_b64 v[12:13], v61 offset:4096
	;; [unrolled: 1-line block ×7, first 2 shown]
	v_mov_b32_e32 v42, 0
	s_delay_alu instid0(VALU_DEP_1) | instskip(NEXT) | instid1(VALU_DEP_1)
	v_lshlrev_b64_e32 v[2:3], 3, v[41:42]
	v_add_co_u32 v2, vcc_lo, s34, v2
	s_wait_alu 0xfffd
	s_delay_alu instid0(VALU_DEP_2)
	v_add_co_ci_u32_e64 v3, null, s35, v3, vcc_lo
	s_and_saveexec_b32 s8, s0
	s_cbranch_execnz .LBB246_154
; %bb.138:
	s_wait_alu 0xfffe
	s_or_b32 exec_lo, exec_lo, s8
	s_and_saveexec_b32 s0, s1
	s_cbranch_execnz .LBB246_155
.LBB246_139:
	s_or_b32 exec_lo, exec_lo, s0
	s_and_saveexec_b32 s0, s2
	s_cbranch_execnz .LBB246_156
.LBB246_140:
	s_or_b32 exec_lo, exec_lo, s0
	s_and_saveexec_b32 s0, s3
	s_cbranch_execnz .LBB246_157
.LBB246_141:
	s_or_b32 exec_lo, exec_lo, s0
	s_and_saveexec_b32 s0, s4
	s_cbranch_execnz .LBB246_158
.LBB246_142:
	s_or_b32 exec_lo, exec_lo, s0
	s_and_saveexec_b32 s0, s5
	s_cbranch_execnz .LBB246_159
.LBB246_143:
	s_or_b32 exec_lo, exec_lo, s0
	s_and_saveexec_b32 s0, s6
	s_cbranch_execnz .LBB246_160
.LBB246_144:
	s_or_b32 exec_lo, exec_lo, s0
	s_and_saveexec_b32 s0, s7
	s_cbranch_execz .LBB246_146
.LBB246_145:
	s_mul_i32 s0, s28, 0x700
	s_mov_b32 s1, 0
	s_delay_alu instid0(SALU_CYCLE_1) | instskip(NEXT) | instid1(SALU_CYCLE_1)
	s_lshl_b64 s[0:1], s[0:1], 3
	v_add_co_u32 v2, vcc_lo, v2, s0
	s_wait_alu 0xfffd
	v_add_co_ci_u32_e64 v3, null, s1, v3, vcc_lo
	s_wait_dscnt 0x0
	global_store_b64 v[2:3], v[0:1], off
.LBB246_146:
	s_nop 0
	s_sendmsg sendmsg(MSG_DEALLOC_VGPRS)
	s_endpgm
.LBB246_147:
	ds_load_u16 v9, v51
	s_wait_dscnt 0x0
	global_store_b16 v[0:1], v9, off
	s_wait_alu 0xfffe
	s_or_b32 exec_lo, exec_lo, s8
	s_and_saveexec_b32 s8, s1
	s_cbranch_execz .LBB246_130
.LBB246_148:
	s_lshl_b32 s10, s22, 8
	s_mov_b32 s11, 0
	s_wait_alu 0xfffe
	s_lshl_b64 s[10:11], s[10:11], 1
	s_wait_alu 0xfffe
	v_add_co_u32 v9, vcc_lo, v0, s10
	s_wait_alu 0xfffd
	v_add_co_ci_u32_e64 v10, null, s11, v1, vcc_lo
	s_wait_dscnt 0x6
	global_store_b16 v[9:10], v8, off
	s_or_b32 exec_lo, exec_lo, s8
	s_and_saveexec_b32 s8, s2
	s_cbranch_execz .LBB246_131
.LBB246_149:
	s_lshl_b32 s10, s22, 9
	s_mov_b32 s11, 0
	s_wait_alu 0xfffe
	s_lshl_b64 s[10:11], s[10:11], 1
	s_wait_dscnt 0x6
	s_wait_alu 0xfffe
	v_add_co_u32 v8, vcc_lo, v0, s10
	s_wait_alu 0xfffd
	v_add_co_ci_u32_e64 v9, null, s11, v1, vcc_lo
	s_wait_dscnt 0x5
	global_store_b16 v[8:9], v7, off
	s_or_b32 exec_lo, exec_lo, s8
	s_and_saveexec_b32 s8, s3
	s_cbranch_execz .LBB246_132
.LBB246_150:
	s_mul_i32 s10, s22, 0x300
	s_mov_b32 s11, 0
	s_wait_alu 0xfffe
	s_lshl_b64 s[10:11], s[10:11], 1
	s_wait_dscnt 0x5
	s_wait_alu 0xfffe
	v_add_co_u32 v7, vcc_lo, v0, s10
	s_wait_alu 0xfffd
	v_add_co_ci_u32_e64 v8, null, s11, v1, vcc_lo
	s_wait_dscnt 0x4
	global_store_b16 v[7:8], v6, off
	s_or_b32 exec_lo, exec_lo, s8
	s_and_saveexec_b32 s8, s4
	s_cbranch_execz .LBB246_133
.LBB246_151:
	s_lshl_b32 s10, s22, 10
	s_mov_b32 s11, 0
	s_wait_alu 0xfffe
	s_lshl_b64 s[10:11], s[10:11], 1
	s_wait_dscnt 0x4
	s_wait_alu 0xfffe
	v_add_co_u32 v6, vcc_lo, v0, s10
	s_wait_alu 0xfffd
	v_add_co_ci_u32_e64 v7, null, s11, v1, vcc_lo
	s_wait_dscnt 0x3
	global_store_b16 v[6:7], v5, off
	s_or_b32 exec_lo, exec_lo, s8
	s_and_saveexec_b32 s8, s5
	s_cbranch_execz .LBB246_134
.LBB246_152:
	s_mul_i32 s10, s22, 0x500
	s_mov_b32 s11, 0
	s_wait_alu 0xfffe
	s_lshl_b64 s[10:11], s[10:11], 1
	s_wait_dscnt 0x3
	s_wait_alu 0xfffe
	v_add_co_u32 v5, vcc_lo, v0, s10
	s_wait_alu 0xfffd
	v_add_co_ci_u32_e64 v6, null, s11, v1, vcc_lo
	s_wait_dscnt 0x2
	global_store_b16 v[5:6], v4, off
	s_or_b32 exec_lo, exec_lo, s8
	s_and_saveexec_b32 s8, s6
	s_cbranch_execz .LBB246_135
.LBB246_153:
	s_mul_i32 s10, s22, 0x600
	s_mov_b32 s11, 0
	s_wait_alu 0xfffe
	s_lshl_b64 s[10:11], s[10:11], 1
	s_wait_dscnt 0x2
	s_wait_alu 0xfffe
	v_add_co_u32 v4, vcc_lo, v0, s10
	s_wait_alu 0xfffd
	v_add_co_ci_u32_e64 v5, null, s11, v1, vcc_lo
	s_wait_dscnt 0x1
	global_store_b16 v[4:5], v3, off
	s_or_b32 exec_lo, exec_lo, s8
	s_and_saveexec_b32 s8, s7
	s_cbranch_execnz .LBB246_136
	s_branch .LBB246_137
.LBB246_154:
	ds_load_b64 v[16:17], v59
	s_wait_dscnt 0x0
	global_store_b64 v[2:3], v[16:17], off
	s_wait_alu 0xfffe
	s_or_b32 exec_lo, exec_lo, s8
	s_and_saveexec_b32 s0, s1
	s_cbranch_execz .LBB246_139
.LBB246_155:
	s_lshl_b32 s8, s28, 8
	s_mov_b32 s9, 0
	s_wait_alu 0xfffe
	s_lshl_b64 s[8:9], s[8:9], 3
	s_wait_alu 0xfffe
	v_add_co_u32 v16, vcc_lo, v2, s8
	s_wait_alu 0xfffd
	v_add_co_ci_u32_e64 v17, null, s9, v3, vcc_lo
	s_wait_dscnt 0x6
	global_store_b64 v[16:17], v[14:15], off
	s_or_b32 exec_lo, exec_lo, s0
	s_and_saveexec_b32 s0, s2
	s_cbranch_execz .LBB246_140
.LBB246_156:
	s_lshl_b32 s8, s28, 9
	s_mov_b32 s9, 0
	s_wait_alu 0xfffe
	s_lshl_b64 s[8:9], s[8:9], 3
	s_wait_dscnt 0x6
	s_wait_alu 0xfffe
	v_add_co_u32 v14, vcc_lo, v2, s8
	s_wait_alu 0xfffd
	v_add_co_ci_u32_e64 v15, null, s9, v3, vcc_lo
	s_wait_dscnt 0x5
	global_store_b64 v[14:15], v[12:13], off
	s_or_b32 exec_lo, exec_lo, s0
	s_and_saveexec_b32 s0, s3
	s_cbranch_execz .LBB246_141
.LBB246_157:
	s_mul_i32 s2, s28, 0x300
	s_mov_b32 s3, 0
	s_wait_alu 0xfffe
	s_lshl_b64 s[2:3], s[2:3], 3
	s_wait_dscnt 0x5
	s_wait_alu 0xfffe
	v_add_co_u32 v12, vcc_lo, v2, s2
	s_wait_alu 0xfffd
	v_add_co_ci_u32_e64 v13, null, s3, v3, vcc_lo
	s_wait_dscnt 0x4
	global_store_b64 v[12:13], v[10:11], off
	s_or_b32 exec_lo, exec_lo, s0
	s_and_saveexec_b32 s0, s4
	s_cbranch_execz .LBB246_142
.LBB246_158:
	s_lshl_b32 s2, s28, 10
	s_mov_b32 s3, 0
	s_wait_alu 0xfffe
	s_lshl_b64 s[2:3], s[2:3], 3
	s_wait_dscnt 0x4
	s_wait_alu 0xfffe
	v_add_co_u32 v10, vcc_lo, v2, s2
	s_wait_alu 0xfffd
	v_add_co_ci_u32_e64 v11, null, s3, v3, vcc_lo
	s_wait_dscnt 0x3
	global_store_b64 v[10:11], v[8:9], off
	s_or_b32 exec_lo, exec_lo, s0
	s_and_saveexec_b32 s0, s5
	s_cbranch_execz .LBB246_143
.LBB246_159:
	s_mul_i32 s2, s28, 0x500
	s_mov_b32 s3, 0
	s_wait_alu 0xfffe
	s_lshl_b64 s[2:3], s[2:3], 3
	s_wait_dscnt 0x3
	s_wait_alu 0xfffe
	v_add_co_u32 v8, vcc_lo, v2, s2
	s_wait_alu 0xfffd
	v_add_co_ci_u32_e64 v9, null, s3, v3, vcc_lo
	s_wait_dscnt 0x2
	global_store_b64 v[8:9], v[6:7], off
	s_or_b32 exec_lo, exec_lo, s0
	s_and_saveexec_b32 s0, s6
	s_cbranch_execz .LBB246_144
.LBB246_160:
	s_mul_i32 s2, s28, 0x600
	s_mov_b32 s3, 0
	s_wait_alu 0xfffe
	s_lshl_b64 s[2:3], s[2:3], 3
	s_wait_dscnt 0x2
	s_wait_alu 0xfffe
	v_add_co_u32 v6, vcc_lo, v2, s2
	s_wait_alu 0xfffd
	v_add_co_ci_u32_e64 v7, null, s3, v3, vcc_lo
	s_wait_dscnt 0x1
	global_store_b64 v[6:7], v[4:5], off
	s_or_b32 exec_lo, exec_lo, s0
	s_and_saveexec_b32 s0, s7
	s_cbranch_execnz .LBB246_145
	s_branch .LBB246_146
	.section	.rodata,"a",@progbits
	.p2align	6, 0x0
	.amdhsa_kernel _ZN2at6native18radixSortKVInPlaceILi2ELin1ELi256ELi8EN3c108BFloat16EljEEvNS_4cuda6detail10TensorInfoIT3_T5_EES8_S8_S8_NS6_IT4_S8_EES8_b
		.amdhsa_group_segment_fixed_size 16896
		.amdhsa_private_segment_fixed_size 0
		.amdhsa_kernarg_size 712
		.amdhsa_user_sgpr_count 2
		.amdhsa_user_sgpr_dispatch_ptr 0
		.amdhsa_user_sgpr_queue_ptr 0
		.amdhsa_user_sgpr_kernarg_segment_ptr 1
		.amdhsa_user_sgpr_dispatch_id 0
		.amdhsa_user_sgpr_private_segment_size 0
		.amdhsa_wavefront_size32 1
		.amdhsa_uses_dynamic_stack 0
		.amdhsa_enable_private_segment 0
		.amdhsa_system_sgpr_workgroup_id_x 1
		.amdhsa_system_sgpr_workgroup_id_y 1
		.amdhsa_system_sgpr_workgroup_id_z 1
		.amdhsa_system_sgpr_workgroup_info 0
		.amdhsa_system_vgpr_workitem_id 2
		.amdhsa_next_free_vgpr 113
		.amdhsa_next_free_sgpr 38
		.amdhsa_reserve_vcc 1
		.amdhsa_float_round_mode_32 0
		.amdhsa_float_round_mode_16_64 0
		.amdhsa_float_denorm_mode_32 3
		.amdhsa_float_denorm_mode_16_64 3
		.amdhsa_fp16_overflow 0
		.amdhsa_workgroup_processor_mode 1
		.amdhsa_memory_ordered 1
		.amdhsa_forward_progress 1
		.amdhsa_inst_pref_size 181
		.amdhsa_round_robin_scheduling 0
		.amdhsa_exception_fp_ieee_invalid_op 0
		.amdhsa_exception_fp_denorm_src 0
		.amdhsa_exception_fp_ieee_div_zero 0
		.amdhsa_exception_fp_ieee_overflow 0
		.amdhsa_exception_fp_ieee_underflow 0
		.amdhsa_exception_fp_ieee_inexact 0
		.amdhsa_exception_int_div_zero 0
	.end_amdhsa_kernel
	.section	.text._ZN2at6native18radixSortKVInPlaceILi2ELin1ELi256ELi8EN3c108BFloat16EljEEvNS_4cuda6detail10TensorInfoIT3_T5_EES8_S8_S8_NS6_IT4_S8_EES8_b,"axG",@progbits,_ZN2at6native18radixSortKVInPlaceILi2ELin1ELi256ELi8EN3c108BFloat16EljEEvNS_4cuda6detail10TensorInfoIT3_T5_EES8_S8_S8_NS6_IT4_S8_EES8_b,comdat
.Lfunc_end246:
	.size	_ZN2at6native18radixSortKVInPlaceILi2ELin1ELi256ELi8EN3c108BFloat16EljEEvNS_4cuda6detail10TensorInfoIT3_T5_EES8_S8_S8_NS6_IT4_S8_EES8_b, .Lfunc_end246-_ZN2at6native18radixSortKVInPlaceILi2ELin1ELi256ELi8EN3c108BFloat16EljEEvNS_4cuda6detail10TensorInfoIT3_T5_EES8_S8_S8_NS6_IT4_S8_EES8_b
                                        ; -- End function
	.set _ZN2at6native18radixSortKVInPlaceILi2ELin1ELi256ELi8EN3c108BFloat16EljEEvNS_4cuda6detail10TensorInfoIT3_T5_EES8_S8_S8_NS6_IT4_S8_EES8_b.num_vgpr, 113
	.set _ZN2at6native18radixSortKVInPlaceILi2ELin1ELi256ELi8EN3c108BFloat16EljEEvNS_4cuda6detail10TensorInfoIT3_T5_EES8_S8_S8_NS6_IT4_S8_EES8_b.num_agpr, 0
	.set _ZN2at6native18radixSortKVInPlaceILi2ELin1ELi256ELi8EN3c108BFloat16EljEEvNS_4cuda6detail10TensorInfoIT3_T5_EES8_S8_S8_NS6_IT4_S8_EES8_b.numbered_sgpr, 38
	.set _ZN2at6native18radixSortKVInPlaceILi2ELin1ELi256ELi8EN3c108BFloat16EljEEvNS_4cuda6detail10TensorInfoIT3_T5_EES8_S8_S8_NS6_IT4_S8_EES8_b.num_named_barrier, 0
	.set _ZN2at6native18radixSortKVInPlaceILi2ELin1ELi256ELi8EN3c108BFloat16EljEEvNS_4cuda6detail10TensorInfoIT3_T5_EES8_S8_S8_NS6_IT4_S8_EES8_b.private_seg_size, 0
	.set _ZN2at6native18radixSortKVInPlaceILi2ELin1ELi256ELi8EN3c108BFloat16EljEEvNS_4cuda6detail10TensorInfoIT3_T5_EES8_S8_S8_NS6_IT4_S8_EES8_b.uses_vcc, 1
	.set _ZN2at6native18radixSortKVInPlaceILi2ELin1ELi256ELi8EN3c108BFloat16EljEEvNS_4cuda6detail10TensorInfoIT3_T5_EES8_S8_S8_NS6_IT4_S8_EES8_b.uses_flat_scratch, 0
	.set _ZN2at6native18radixSortKVInPlaceILi2ELin1ELi256ELi8EN3c108BFloat16EljEEvNS_4cuda6detail10TensorInfoIT3_T5_EES8_S8_S8_NS6_IT4_S8_EES8_b.has_dyn_sized_stack, 0
	.set _ZN2at6native18radixSortKVInPlaceILi2ELin1ELi256ELi8EN3c108BFloat16EljEEvNS_4cuda6detail10TensorInfoIT3_T5_EES8_S8_S8_NS6_IT4_S8_EES8_b.has_recursion, 0
	.set _ZN2at6native18radixSortKVInPlaceILi2ELin1ELi256ELi8EN3c108BFloat16EljEEvNS_4cuda6detail10TensorInfoIT3_T5_EES8_S8_S8_NS6_IT4_S8_EES8_b.has_indirect_call, 0
	.section	.AMDGPU.csdata,"",@progbits
; Kernel info:
; codeLenInByte = 23092
; TotalNumSgprs: 40
; NumVgprs: 113
; ScratchSize: 0
; MemoryBound: 0
; FloatMode: 240
; IeeeMode: 1
; LDSByteSize: 16896 bytes/workgroup (compile time only)
; SGPRBlocks: 0
; VGPRBlocks: 14
; NumSGPRsForWavesPerEU: 40
; NumVGPRsForWavesPerEU: 113
; Occupancy: 12
; WaveLimiterHint : 1
; COMPUTE_PGM_RSRC2:SCRATCH_EN: 0
; COMPUTE_PGM_RSRC2:USER_SGPR: 2
; COMPUTE_PGM_RSRC2:TRAP_HANDLER: 0
; COMPUTE_PGM_RSRC2:TGID_X_EN: 1
; COMPUTE_PGM_RSRC2:TGID_Y_EN: 1
; COMPUTE_PGM_RSRC2:TGID_Z_EN: 1
; COMPUTE_PGM_RSRC2:TIDIG_COMP_CNT: 2
	.section	.text._ZN2at6native18radixSortKVInPlaceILi2ELin1ELi128ELi8EN3c108BFloat16EljEEvNS_4cuda6detail10TensorInfoIT3_T5_EES8_S8_S8_NS6_IT4_S8_EES8_b,"axG",@progbits,_ZN2at6native18radixSortKVInPlaceILi2ELin1ELi128ELi8EN3c108BFloat16EljEEvNS_4cuda6detail10TensorInfoIT3_T5_EES8_S8_S8_NS6_IT4_S8_EES8_b,comdat
	.protected	_ZN2at6native18radixSortKVInPlaceILi2ELin1ELi128ELi8EN3c108BFloat16EljEEvNS_4cuda6detail10TensorInfoIT3_T5_EES8_S8_S8_NS6_IT4_S8_EES8_b ; -- Begin function _ZN2at6native18radixSortKVInPlaceILi2ELin1ELi128ELi8EN3c108BFloat16EljEEvNS_4cuda6detail10TensorInfoIT3_T5_EES8_S8_S8_NS6_IT4_S8_EES8_b
	.globl	_ZN2at6native18radixSortKVInPlaceILi2ELin1ELi128ELi8EN3c108BFloat16EljEEvNS_4cuda6detail10TensorInfoIT3_T5_EES8_S8_S8_NS6_IT4_S8_EES8_b
	.p2align	8
	.type	_ZN2at6native18radixSortKVInPlaceILi2ELin1ELi128ELi8EN3c108BFloat16EljEEvNS_4cuda6detail10TensorInfoIT3_T5_EES8_S8_S8_NS6_IT4_S8_EES8_b,@function
_ZN2at6native18radixSortKVInPlaceILi2ELin1ELi128ELi8EN3c108BFloat16EljEEvNS_4cuda6detail10TensorInfoIT3_T5_EES8_S8_S8_NS6_IT4_S8_EES8_b: ; @_ZN2at6native18radixSortKVInPlaceILi2ELin1ELi128ELi8EN3c108BFloat16EljEEvNS_4cuda6detail10TensorInfoIT3_T5_EES8_S8_S8_NS6_IT4_S8_EES8_b
; %bb.0:
	s_clause 0x1
	s_load_b64 s[2:3], s[0:1], 0x1c8
	s_load_b96 s[20:22], s[0:1], 0xd8
	s_lshr_b32 s4, ttmp7, 16
	s_wait_kmcnt 0x0
	s_mul_i32 s3, s3, s4
	s_and_b32 s4, ttmp7, 0xffff
	s_delay_alu instid0(SALU_CYCLE_1) | instskip(NEXT) | instid1(SALU_CYCLE_1)
	s_add_co_i32 s3, s3, s4
	s_mul_i32 s2, s3, s2
	s_delay_alu instid0(SALU_CYCLE_1) | instskip(NEXT) | instid1(SALU_CYCLE_1)
	s_add_co_i32 s2, s2, ttmp9
	s_cmp_ge_u32 s2, s20
	s_cbranch_scc1 .LBB247_146
; %bb.1:
	s_clause 0x2
	s_load_b32 s15, s[0:1], 0xc
	s_load_b64 s[4:5], s[0:1], 0x6c
	s_load_b32 s12, s[0:1], 0x1b8
	s_add_nc_u64 s[10:11], s[0:1], 0xe8
	s_mov_b32 s14, s2
	s_wait_kmcnt 0x0
	s_cvt_f32_u32 s3, s15
	s_delay_alu instid0(SALU_CYCLE_3) | instskip(NEXT) | instid1(TRANS32_DEP_1)
	v_rcp_iflag_f32_e32 v1, s3
	v_readfirstlane_b32 s3, v1
	s_mul_f32 s3, s3, 0x4f7ffffe
	s_wait_alu 0xfffe
	s_delay_alu instid0(SALU_CYCLE_2) | instskip(SKIP_2) | instid1(SALU_CYCLE_1)
	s_cvt_u32_f32 s6, s3
	s_sub_co_i32 s3, 0, s15
	s_wait_alu 0xfffe
	s_mul_i32 s7, s3, s6
	s_mov_b32 s3, 0
	s_mul_hi_u32 s8, s6, s7
	s_wait_alu 0xfffe
	s_mov_b32 s7, s3
	s_add_co_i32 s6, s6, s8
	s_cmp_lt_i32 s12, 2
	s_mov_b32 s9, s3
	s_cbranch_scc1 .LBB247_4
; %bb.2:
	s_add_co_i32 s8, s12, -1
	s_mov_b32 s9, 0
	s_mov_b32 s14, s2
	s_lshl_b64 s[16:17], s[8:9], 2
	s_add_co_i32 s8, s12, 1
	s_add_nc_u64 s[16:17], s[10:11], s[16:17]
	s_delay_alu instid0(SALU_CYCLE_1)
	s_add_nc_u64 s[12:13], s[16:17], 8
.LBB247_3:                              ; =>This Inner Loop Header: Depth=1
	s_clause 0x1
	s_load_b32 s16, s[12:13], 0x0
	s_load_b32 s17, s[12:13], 0x64
	s_mov_b32 s20, s14
	s_add_nc_u64 s[12:13], s[12:13], -4
	s_wait_kmcnt 0x0
	s_cvt_f32_u32 s18, s16
	s_sub_co_i32 s19, 0, s16
	s_wait_alu 0xfffe
	s_delay_alu instid0(SALU_CYCLE_1) | instskip(NEXT) | instid1(TRANS32_DEP_1)
	v_rcp_iflag_f32_e32 v1, s18
	v_readfirstlane_b32 s18, v1
	s_mul_f32 s18, s18, 0x4f7ffffe
	s_wait_alu 0xfffe
	s_delay_alu instid0(SALU_CYCLE_2) | instskip(SKIP_1) | instid1(SALU_CYCLE_2)
	s_cvt_u32_f32 s18, s18
	s_wait_alu 0xfffe
	s_mul_i32 s19, s19, s18
	s_wait_alu 0xfffe
	s_mul_hi_u32 s19, s18, s19
	s_wait_alu 0xfffe
	s_add_co_i32 s18, s18, s19
	s_wait_alu 0xfffe
	s_mul_hi_u32 s14, s14, s18
	s_delay_alu instid0(SALU_CYCLE_1)
	s_mul_i32 s18, s14, s16
	s_add_co_i32 s19, s14, 1
	s_wait_alu 0xfffe
	s_sub_co_i32 s18, s20, s18
	s_wait_alu 0xfffe
	s_sub_co_i32 s23, s18, s16
	s_cmp_ge_u32 s18, s16
	s_cselect_b32 s14, s19, s14
	s_cselect_b32 s18, s23, s18
	s_add_co_i32 s19, s14, 1
	s_wait_alu 0xfffe
	s_cmp_ge_u32 s18, s16
	s_cselect_b32 s14, s19, s14
	s_add_co_i32 s8, s8, -1
	s_mul_i32 s16, s14, s16
	s_delay_alu instid0(SALU_CYCLE_1) | instskip(NEXT) | instid1(SALU_CYCLE_1)
	s_sub_co_i32 s16, s20, s16
	s_mul_i32 s16, s17, s16
	s_delay_alu instid0(SALU_CYCLE_1)
	s_add_co_i32 s9, s16, s9
	s_cmp_gt_u32 s8, 2
	s_cbranch_scc1 .LBB247_3
.LBB247_4:
	s_mul_u64 s[6:7], s[2:3], s[6:7]
	s_clause 0x1
	s_load_b64 s[12:13], s[0:1], 0x0
	s_load_b64 s[28:29], s[0:1], 0x1c0
	s_mul_i32 s3, s7, s15
	s_add_nc_u64 s[36:37], s[0:1], 0x1c8
	s_wait_alu 0xfffe
	s_sub_co_i32 s0, s2, s3
	s_add_co_i32 s1, s7, 1
	s_sub_co_i32 s3, s0, s15
	s_cmp_ge_u32 s0, s15
	s_cselect_b32 s1, s1, s7
	s_wait_alu 0xfffe
	s_cselect_b32 s0, s3, s0
	s_add_co_i32 s3, s1, 1
	s_cmp_ge_u32 s0, s15
	s_wait_alu 0xfffe
	s_cselect_b32 s0, s3, s1
	s_mov_b32 s3, 0
	s_mul_i32 s1, s0, s15
	s_mul_i32 s0, s0, s4
	s_sub_co_i32 s1, s2, s1
	s_delay_alu instid0(SALU_CYCLE_1) | instskip(NEXT) | instid1(SALU_CYCLE_1)
	s_mul_i32 s1, s1, s5
	s_add_co_i32 s2, s0, s1
	s_wait_kmcnt 0x0
	s_bitcmp1_b32 s29, 0
	s_mov_b32 s0, 0xffff
	s_cselect_b32 s8, -1, 0
	s_delay_alu instid0(SALU_CYCLE_1) | instskip(SKIP_1) | instid1(SALU_CYCLE_1)
	s_and_b32 s1, s8, exec_lo
	s_cselect_b32 s15, s0, 0x7fff
	v_dual_mov_b32 v1, s15 :: v_dual_and_b32 v46, 0x3ff, v0
	s_wait_alu 0xfffe
	s_lshl_b64 s[2:3], s[2:3], 1
	s_wait_alu 0xfffe
	s_add_nc_u64 s[30:31], s[12:13], s[2:3]
	v_mul_lo_u32 v44, s22, v46
	v_cmp_gt_u32_e64 s0, s21, v46
	s_and_saveexec_b32 s1, s0
	s_cbranch_execz .LBB247_6
; %bb.5:
	v_mov_b32_e32 v45, 0
	s_delay_alu instid0(VALU_DEP_1) | instskip(NEXT) | instid1(VALU_DEP_1)
	v_lshlrev_b64_e32 v[1:2], 1, v[44:45]
	v_add_co_u32 v1, vcc_lo, s30, v1
	s_delay_alu instid0(VALU_DEP_1)
	v_add_co_ci_u32_e64 v2, null, s31, v2, vcc_lo
	global_load_u16 v1, v[1:2], off
.LBB247_6:
	s_or_b32 exec_lo, exec_lo, s1
	v_dual_mov_b32 v2, s15 :: v_dual_add_nc_u32 v15, 0x80, v46
	s_delay_alu instid0(VALU_DEP_1)
	v_cmp_gt_u32_e64 s1, s21, v15
	s_and_saveexec_b32 s2, s1
	s_cbranch_execz .LBB247_8
; %bb.7:
	v_mul_lo_u32 v2, s22, v15
	v_mov_b32_e32 v3, 0
	s_delay_alu instid0(VALU_DEP_1) | instskip(NEXT) | instid1(VALU_DEP_1)
	v_lshlrev_b64_e32 v[2:3], 1, v[2:3]
	v_add_co_u32 v2, vcc_lo, s30, v2
	s_wait_alu 0xfffd
	s_delay_alu instid0(VALU_DEP_2)
	v_add_co_ci_u32_e64 v3, null, s31, v3, vcc_lo
	global_load_u16 v2, v[2:3], off
.LBB247_8:
	s_wait_alu 0xfffe
	s_or_b32 exec_lo, exec_lo, s2
	v_dual_mov_b32 v3, s15 :: v_dual_add_nc_u32 v16, 0x100, v46
	s_delay_alu instid0(VALU_DEP_1)
	v_cmp_gt_u32_e64 s2, s21, v16
	s_and_saveexec_b32 s3, s2
	s_cbranch_execz .LBB247_10
; %bb.9:
	v_mul_lo_u32 v3, s22, v16
	v_mov_b32_e32 v4, 0
	s_delay_alu instid0(VALU_DEP_1) | instskip(NEXT) | instid1(VALU_DEP_1)
	v_lshlrev_b64_e32 v[3:4], 1, v[3:4]
	v_add_co_u32 v3, vcc_lo, s30, v3
	s_wait_alu 0xfffd
	s_delay_alu instid0(VALU_DEP_2)
	v_add_co_ci_u32_e64 v4, null, s31, v4, vcc_lo
	global_load_u16 v3, v[3:4], off
.LBB247_10:
	s_wait_alu 0xfffe
	s_or_b32 exec_lo, exec_lo, s3
	v_dual_mov_b32 v4, s15 :: v_dual_add_nc_u32 v17, 0x180, v46
	s_delay_alu instid0(VALU_DEP_1)
	v_cmp_gt_u32_e64 s3, s21, v17
	s_and_saveexec_b32 s4, s3
	s_cbranch_execz .LBB247_12
; %bb.11:
	v_mul_lo_u32 v4, s22, v17
	v_mov_b32_e32 v5, 0
	s_delay_alu instid0(VALU_DEP_1) | instskip(NEXT) | instid1(VALU_DEP_1)
	v_lshlrev_b64_e32 v[4:5], 1, v[4:5]
	v_add_co_u32 v4, vcc_lo, s30, v4
	s_wait_alu 0xfffd
	s_delay_alu instid0(VALU_DEP_2)
	v_add_co_ci_u32_e64 v5, null, s31, v5, vcc_lo
	global_load_u16 v4, v[4:5], off
.LBB247_12:
	s_or_b32 exec_lo, exec_lo, s4
	v_dual_mov_b32 v5, s15 :: v_dual_add_nc_u32 v18, 0x200, v46
	s_delay_alu instid0(VALU_DEP_1)
	v_cmp_gt_u32_e64 s4, s21, v18
	s_and_saveexec_b32 s5, s4
	s_cbranch_execz .LBB247_14
; %bb.13:
	v_mul_lo_u32 v5, s22, v18
	v_mov_b32_e32 v6, 0
	s_delay_alu instid0(VALU_DEP_1) | instskip(NEXT) | instid1(VALU_DEP_1)
	v_lshlrev_b64_e32 v[5:6], 1, v[5:6]
	v_add_co_u32 v5, vcc_lo, s30, v5
	s_wait_alu 0xfffd
	s_delay_alu instid0(VALU_DEP_2)
	v_add_co_ci_u32_e64 v6, null, s31, v6, vcc_lo
	global_load_u16 v5, v[5:6], off
.LBB247_14:
	s_or_b32 exec_lo, exec_lo, s5
	v_dual_mov_b32 v6, s15 :: v_dual_add_nc_u32 v19, 0x280, v46
	s_delay_alu instid0(VALU_DEP_1)
	v_cmp_gt_u32_e64 s5, s21, v19
	s_and_saveexec_b32 s6, s5
	s_cbranch_execz .LBB247_16
; %bb.15:
	v_mul_lo_u32 v6, s22, v19
	v_mov_b32_e32 v7, 0
	s_delay_alu instid0(VALU_DEP_1) | instskip(NEXT) | instid1(VALU_DEP_1)
	v_lshlrev_b64_e32 v[6:7], 1, v[6:7]
	v_add_co_u32 v6, vcc_lo, s30, v6
	s_wait_alu 0xfffd
	s_delay_alu instid0(VALU_DEP_2)
	v_add_co_ci_u32_e64 v7, null, s31, v7, vcc_lo
	global_load_u16 v6, v[6:7], off
.LBB247_16:
	s_or_b32 exec_lo, exec_lo, s6
	v_dual_mov_b32 v7, s15 :: v_dual_add_nc_u32 v20, 0x300, v46
	s_delay_alu instid0(VALU_DEP_1)
	v_cmp_gt_u32_e64 s6, s21, v20
	s_and_saveexec_b32 s7, s6
	s_cbranch_execz .LBB247_18
; %bb.17:
	v_mul_lo_u32 v7, s22, v20
	v_mov_b32_e32 v8, 0
	s_delay_alu instid0(VALU_DEP_1) | instskip(NEXT) | instid1(VALU_DEP_1)
	v_lshlrev_b64_e32 v[7:8], 1, v[7:8]
	v_add_co_u32 v7, vcc_lo, s30, v7
	s_wait_alu 0xfffd
	s_delay_alu instid0(VALU_DEP_2)
	v_add_co_ci_u32_e64 v8, null, s31, v8, vcc_lo
	global_load_u16 v7, v[7:8], off
.LBB247_18:
	s_or_b32 exec_lo, exec_lo, s7
	s_clause 0x1
	s_load_b32 s12, s[10:11], 0x6c
	s_load_b64 s[10:11], s[10:11], 0x0
	v_dual_mov_b32 v8, s15 :: v_dual_add_nc_u32 v21, 0x380, v46
	s_delay_alu instid0(VALU_DEP_1)
	v_cmp_gt_u32_e64 s7, s21, v21
	s_and_saveexec_b32 s13, s7
	s_cbranch_execz .LBB247_20
; %bb.19:
	v_mul_lo_u32 v8, s22, v21
	v_mov_b32_e32 v9, 0
	s_delay_alu instid0(VALU_DEP_1) | instskip(NEXT) | instid1(VALU_DEP_1)
	v_lshlrev_b64_e32 v[8:9], 1, v[8:9]
	v_add_co_u32 v8, vcc_lo, s30, v8
	s_wait_alu 0xfffd
	s_delay_alu instid0(VALU_DEP_2)
	v_add_co_ci_u32_e64 v9, null, s31, v9, vcc_lo
	global_load_u16 v8, v[8:9], off
.LBB247_20:
	s_or_b32 exec_lo, exec_lo, s13
	v_lshrrev_b32_e32 v9, 4, v46
	v_lshrrev_b32_e32 v10, 4, v15
	;; [unrolled: 1-line block ×5, first 2 shown]
	v_dual_mov_b32 v42, 0 :: v_dual_and_b32 v9, 60, v9
	v_lshlrev_b32_e32 v12, 1, v46
	v_and_b32_e32 v10, 0x7c, v10
	v_and_b32_e32 v11, 0x7c, v11
	s_wait_kmcnt 0x0
	s_mul_i32 s12, s12, s14
	v_mov_b32_e32 v43, v42
	v_add_nc_u32_e32 v51, v9, v12
	v_add_nc_u32_e32 v45, v10, v12
	;; [unrolled: 1-line block ×3, first 2 shown]
	v_and_b32_e32 v9, 0x7c, v13
	v_lshrrev_b32_e32 v10, 4, v18
	v_lshrrev_b32_e32 v11, 4, v19
	;; [unrolled: 1-line block ×3, first 2 shown]
	v_mul_lo_u32 v41, s28, v46
	v_add_nc_u32_e32 v53, v9, v12
	v_and_b32_e32 v9, 0x7c, v10
	v_and_b32_e32 v10, 0x7c, v11
	;; [unrolled: 1-line block ×4, first 2 shown]
	v_lshrrev_b32_e32 v14, 1, v46
	v_add_nc_u32_e32 v54, v9, v12
	v_add_nc_u32_e32 v55, v10, v12
	;; [unrolled: 1-line block ×4, first 2 shown]
	v_and_b32_e32 v9, 0x1fc, v14
	v_mov_b32_e32 v13, 0
	v_dual_mov_b32 v11, v42 :: v_dual_mov_b32 v12, v42
	v_mov_b32_e32 v14, 0
	s_delay_alu instid0(VALU_DEP_4)
	v_lshl_add_u32 v58, v46, 4, v9
	s_wait_loadcnt 0x0
	ds_store_b16 v51, v1
	ds_store_b16 v45, v2 offset:256
	ds_store_b16 v52, v3 offset:512
	;; [unrolled: 1-line block ×7, first 2 shown]
	s_wait_dscnt 0x0
	s_barrier_signal -1
	s_barrier_wait -1
	global_inv scope:SCOPE_SE
	ds_load_2addr_b32 v[49:50], v58 offset1:1
	ds_load_2addr_b32 v[47:48], v58 offset0:2 offset1:3
	s_add_co_i32 s12, s12, s9
	s_mov_b32 s13, 0
	v_dual_mov_b32 v9, v42 :: v_dual_mov_b32 v10, v42
	v_dual_mov_b32 v1, v42 :: v_dual_mov_b32 v2, v42
	;; [unrolled: 1-line block ×5, first 2 shown]
	s_lshl_b64 s[12:13], s[12:13], 3
	s_wait_loadcnt_dscnt 0x0
	s_add_nc_u64 s[34:35], s[10:11], s[12:13]
	s_barrier_signal -1
	s_barrier_wait -1
	global_inv scope:SCOPE_SE
	s_and_saveexec_b32 s9, s0
	s_cbranch_execnz .LBB247_76
; %bb.21:
	s_or_b32 exec_lo, exec_lo, s9
	s_and_saveexec_b32 s9, s1
	s_cbranch_execnz .LBB247_77
.LBB247_22:
	s_or_b32 exec_lo, exec_lo, s9
	s_and_saveexec_b32 s9, s2
	s_cbranch_execnz .LBB247_78
.LBB247_23:
	s_or_b32 exec_lo, exec_lo, s9
	s_and_saveexec_b32 s9, s3
	s_cbranch_execnz .LBB247_79
.LBB247_24:
	s_or_b32 exec_lo, exec_lo, s9
	s_and_saveexec_b32 s9, s4
	s_cbranch_execnz .LBB247_80
.LBB247_25:
	s_or_b32 exec_lo, exec_lo, s9
	s_and_saveexec_b32 s9, s5
	s_cbranch_execnz .LBB247_81
.LBB247_26:
	s_or_b32 exec_lo, exec_lo, s9
	s_and_saveexec_b32 s9, s6
	s_cbranch_execz .LBB247_28
.LBB247_27:
	v_mul_lo_u32 v5, s28, v20
	v_mov_b32_e32 v6, 0
	s_delay_alu instid0(VALU_DEP_1) | instskip(NEXT) | instid1(VALU_DEP_1)
	v_lshlrev_b64_e32 v[5:6], 3, v[5:6]
	v_add_co_u32 v5, vcc_lo, s34, v5
	s_wait_alu 0xfffd
	s_delay_alu instid0(VALU_DEP_2)
	v_add_co_ci_u32_e64 v6, null, s35, v6, vcc_lo
	global_load_b64 v[5:6], v[5:6], off
.LBB247_28:
	s_or_b32 exec_lo, exec_lo, s9
	v_lshrrev_b32_e32 v68, 5, v46
	v_lshrrev_b32_e32 v25, 5, v15
	;; [unrolled: 1-line block ×8, first 2 shown]
	v_lshlrev_b32_e32 v66, 3, v46
	v_lshrrev_b32_e32 v15, 2, v46
	s_xor_b32 s8, s8, -1
	s_and_saveexec_b32 s9, s7
	s_cbranch_execz .LBB247_30
; %bb.29:
	v_mul_lo_u32 v7, s28, v21
	v_mov_b32_e32 v8, 0
	s_delay_alu instid0(VALU_DEP_1) | instskip(NEXT) | instid1(VALU_DEP_1)
	v_lshlrev_b64_e32 v[7:8], 3, v[7:8]
	v_add_co_u32 v7, vcc_lo, s34, v7
	s_wait_alu 0xfffd
	s_delay_alu instid0(VALU_DEP_2)
	v_add_co_ci_u32_e64 v8, null, s35, v8, vcc_lo
	global_load_b64 v[7:8], v[7:8], off
.LBB247_30:
	s_or_b32 exec_lo, exec_lo, s9
	v_lshl_add_u32 v59, v68, 3, v66
	v_lshl_add_u32 v60, v25, 3, v66
	;; [unrolled: 1-line block ×5, first 2 shown]
	s_wait_loadcnt 0x0
	ds_store_b64 v59, v[13:14]
	ds_store_b64 v60, v[42:43] offset:1024
	ds_store_b64 v61, v[9:10] offset:2048
	;; [unrolled: 1-line block ×3, first 2 shown]
	v_lshlrev_b32_e32 v9, 3, v66
	v_lshl_add_u32 v42, v22, 3, v66
	v_lshl_add_u32 v43, v18, 3, v66
	;; [unrolled: 1-line block ×3, first 2 shown]
	ds_store_b64 v42, v[1:2] offset:4096
	ds_store_b64 v43, v[3:4] offset:5120
	;; [unrolled: 1-line block ×4, first 2 shown]
	v_lshl_add_u32 v65, v15, 3, v9
	s_wait_dscnt 0x0
	s_barrier_signal -1
	s_barrier_wait -1
	global_inv scope:SCOPE_SE
	ds_load_2addr_b64 v[13:16], v65 offset1:1
	ds_load_2addr_b64 v[9:12], v65 offset0:2 offset1:3
	ds_load_2addr_b64 v[5:8], v65 offset0:4 offset1:5
	;; [unrolled: 1-line block ×3, first 2 shown]
	v_bfe_u32 v71, v0, 10, 10
	v_bfe_u32 v72, v0, 20, 10
	v_mbcnt_lo_u32_b32 v69, -1, 0
	v_and_b32_e32 v70, 0x3e0, v46
	v_lshlrev_b32_e32 v67, 2, v66
	s_and_b32 vcc_lo, exec_lo, s8
	s_wait_loadcnt_dscnt 0x0
	s_barrier_signal -1
	s_barrier_wait -1
	global_inv scope:SCOPE_SE
	s_wait_alu 0xfffe
	s_cbranch_vccz .LBB247_82
; %bb.31:
	v_pk_ashrrev_i16 v0, 15, v49 op_sel_hi:[0,1]
	v_pk_ashrrev_i16 v17, 15, v50 op_sel_hi:[0,1]
	v_pk_ashrrev_i16 v18, 15, v47 op_sel_hi:[0,1]
	v_pk_ashrrev_i16 v19, 15, v48 op_sel_hi:[0,1]
	v_or_b32_e32 v21, v69, v70
	v_or_b32_e32 v0, 0x80008000, v0
	;; [unrolled: 1-line block ×5, first 2 shown]
	v_and_or_b32 v84, 0x1f00, v66, v69
	s_mov_b32 s12, 0
	v_xor_b32_e32 v17, v0, v49
	v_xor_b32_e32 v18, v20, v50
	;; [unrolled: 1-line block ×4, first 2 shown]
	s_mov_b32 s13, s12
	s_mov_b32 s14, s12
	;; [unrolled: 1-line block ×3, first 2 shown]
	v_lshlrev_b32_e32 v23, 4, v21
	v_lshlrev_b32_e32 v73, 1, v84
	s_getpc_b64 s[8:9]
	s_sext_i32_i16 s9, s9
	s_add_co_u32 s8, s8, _ZN7rocprim17ROCPRIM_400000_NS16block_radix_sortI12hip_bfloat16Lj128ELj8ElLj1ELj1ELj0ELNS0_26block_radix_rank_algorithmE1ELNS0_18block_padding_hintE2ELNS0_4arch9wavefront6targetE0EE19radix_bits_per_passE@rel32@lo+8
	s_add_co_ci_u32 s9, s9, _ZN7rocprim17ROCPRIM_400000_NS16block_radix_sortI12hip_bfloat16Lj128ELj8ElLj1ELj1ELj0ELNS0_26block_radix_rank_algorithmE1ELNS0_18block_padding_hintE2ELNS0_4arch9wavefront6targetE0EE19radix_bits_per_passE@rel32@hi+16
	s_load_b32 s19, s[8:9], 0x0
	ds_store_b128 v23, v[17:20]
	; wave barrier
	ds_load_u16 v74, v73
	v_mad_u32_u24 v0, v21, 48, v23
	ds_load_u16 v75, v73 offset:64
	ds_load_u16 v76, v73 offset:128
	;; [unrolled: 1-line block ×7, first 2 shown]
	s_wait_loadcnt_dscnt 0x0
	s_barrier_signal -1
	s_barrier_wait -1
	global_inv scope:SCOPE_SE
	ds_store_b128 v0, v[13:16]
	ds_store_b128 v0, v[9:12] offset:16
	ds_store_b128 v0, v[5:8] offset:32
	;; [unrolled: 1-line block ×3, first 2 shown]
	v_mad_u32_u24 v29, v84, 6, v73
	; wave barrier
	s_wait_kmcnt 0x0
	s_min_u32 s8, s19, 16
	s_delay_alu instid0(SALU_CYCLE_1) | instskip(SKIP_4) | instid1(VALU_DEP_1)
	s_lshl_b32 s8, -1, s8
	v_cmp_ne_u16_e32 vcc_lo, 0x7fff, v74
	s_not_b32 s9, s8
	s_wait_alu 0xfffd
	v_cndmask_b32_e32 v17, 0xffff8000, v74, vcc_lo
	v_and_b32_e32 v17, 0xffff, v17
	s_delay_alu instid0(VALU_DEP_1)
	v_and_b32_e32 v40, s9, v17
	ds_load_2addr_b64 v[17:20], v29 offset1:32
	ds_load_2addr_b64 v[25:28], v29 offset0:64 offset1:96
	ds_load_2addr_b64 v[21:24], v29 offset0:128 offset1:160
	;; [unrolled: 1-line block ×3, first 2 shown]
	s_wait_loadcnt_dscnt 0x0
	v_and_b32_e32 v0, 1, v40
	v_lshlrev_b32_e32 v33, 30, v40
	v_lshlrev_b32_e32 v36, 28, v40
	s_barrier_signal -1
	s_barrier_wait -1
	v_add_co_u32 v0, s8, v0, -1
	s_wait_alu 0xf1ff
	v_cndmask_b32_e64 v34, 0, 1, s8
	v_not_b32_e32 v35, v33
	v_cmp_gt_i32_e64 s8, 0, v33
	global_inv scope:SCOPE_SE
	v_cmp_ne_u32_e32 vcc_lo, 0, v34
	v_lshlrev_b32_e32 v34, 29, v40
	v_ashrrev_i32_e32 v33, 31, v35
	s_wait_alu 0xfffd
	v_xor_b32_e32 v0, vcc_lo, v0
	s_delay_alu instid0(VALU_DEP_3)
	v_not_b32_e32 v35, v34
	s_wait_alu 0xf1ff
	v_xor_b32_e32 v33, s8, v33
	v_cmp_gt_i32_e32 vcc_lo, 0, v34
	s_load_b32 s8, s[36:37], 0xc
	v_and_b32_e32 v0, exec_lo, v0
	v_ashrrev_i32_e32 v34, 31, v35
	v_not_b32_e32 v35, v36
	s_delay_alu instid0(VALU_DEP_3) | instskip(SKIP_1) | instid1(VALU_DEP_4)
	v_and_b32_e32 v0, v0, v33
	v_lshlrev_b32_e32 v33, 27, v40
	v_xor_b32_e32 v34, vcc_lo, v34
	v_cmp_gt_i32_e32 vcc_lo, 0, v36
	v_ashrrev_i32_e32 v35, 31, v35
	s_delay_alu instid0(VALU_DEP_4) | instskip(NEXT) | instid1(VALU_DEP_4)
	v_not_b32_e32 v36, v33
	v_and_b32_e32 v0, v0, v34
	v_lshlrev_b32_e32 v34, 26, v40
	s_wait_alu 0xfffd
	v_xor_b32_e32 v35, vcc_lo, v35
	v_cmp_gt_i32_e32 vcc_lo, 0, v33
	v_ashrrev_i32_e32 v33, 31, v36
	v_not_b32_e32 v36, v34
	s_delay_alu instid0(VALU_DEP_4)
	v_and_b32_e32 v0, v0, v35
	v_lshlrev_b32_e32 v35, 25, v40
	s_wait_alu 0xfffd
	v_xor_b32_e32 v33, vcc_lo, v33
	v_cmp_gt_i32_e32 vcc_lo, 0, v34
	v_ashrrev_i32_e32 v34, 31, v36
	s_wait_kmcnt 0x0
	s_lshr_b32 s10, s8, 16
	v_not_b32_e32 v36, v35
	v_and_b32_e32 v0, v0, v33
	v_lshlrev_b32_e32 v33, 24, v40
	s_wait_alu 0xfffd
	v_xor_b32_e32 v34, vcc_lo, v34
	v_cmp_gt_i32_e32 vcc_lo, 0, v35
	v_ashrrev_i32_e32 v35, 31, v36
	v_mad_u32_u24 v37, v72, s10, v71
	v_not_b32_e32 v36, v33
	v_and_b32_e32 v0, v0, v34
	s_and_b32 s8, s8, 0xffff
	s_wait_alu 0xfffd
	v_xor_b32_e32 v34, vcc_lo, v35
	v_cmp_gt_i32_e32 vcc_lo, 0, v33
	v_ashrrev_i32_e32 v33, 31, v36
	s_wait_alu 0xfffe
	v_mad_co_u64_u32 v[38:39], null, v37, s8, v[46:47]
	v_dual_mov_b32 v37, s15 :: v_dual_and_b32 v0, v0, v34
	s_wait_alu 0xfffd
	v_xor_b32_e32 v33, vcc_lo, v33
	v_dual_mov_b32 v36, s14 :: v_dual_mov_b32 v35, s13
	v_mov_b32_e32 v34, s12
	ds_store_b128 v67, v[34:37] offset:16
	ds_store_b128 v67, v[34:37] offset:32
	v_and_b32_e32 v33, v0, v33
	v_lshrrev_b32_e32 v0, 5, v38
	v_lshlrev_b32_e32 v34, 4, v40
	s_wait_loadcnt_dscnt 0x0
	s_barrier_signal -1
	v_mbcnt_lo_u32_b32 v86, v33, 0
	v_lshlrev_b32_e32 v0, 2, v0
	v_cmp_ne_u32_e64 s8, 0, v33
	s_barrier_wait -1
	global_inv scope:SCOPE_SE
	v_cmp_eq_u32_e32 vcc_lo, 0, v86
	v_add_nc_u32_e32 v87, v0, v34
	; wave barrier
	s_and_b32 s10, s8, vcc_lo
	s_wait_alu 0xfffe
	s_and_saveexec_b32 s8, s10
; %bb.32:
	v_bcnt_u32_b32 v33, v33, 0
	ds_store_b32 v87, v33 offset:16
; %bb.33:
	s_wait_alu 0xfffe
	s_or_b32 exec_lo, exec_lo, s8
	v_cmp_ne_u16_e32 vcc_lo, 0x7fff, v75
	; wave barrier
	s_wait_alu 0xfffd
	v_cndmask_b32_e32 v33, 0xffff8000, v75, vcc_lo
	s_delay_alu instid0(VALU_DEP_1) | instskip(NEXT) | instid1(VALU_DEP_1)
	v_and_b32_e32 v33, 0xffff, v33
	v_and_b32_e32 v33, s9, v33
	s_delay_alu instid0(VALU_DEP_1)
	v_and_b32_e32 v34, 1, v33
	v_lshlrev_b32_e32 v35, 30, v33
	v_lshlrev_b32_e32 v36, 29, v33
	;; [unrolled: 1-line block ×4, first 2 shown]
	v_add_co_u32 v34, s8, v34, -1
	s_wait_alu 0xf1ff
	v_cndmask_b32_e64 v38, 0, 1, s8
	v_not_b32_e32 v83, v35
	v_cmp_gt_i32_e64 s8, 0, v35
	v_not_b32_e32 v35, v36
	v_lshlrev_b32_e32 v40, 26, v33
	v_cmp_ne_u32_e32 vcc_lo, 0, v38
	v_ashrrev_i32_e32 v83, 31, v83
	v_lshlrev_b32_e32 v82, 25, v33
	v_ashrrev_i32_e32 v35, 31, v35
	v_lshlrev_b32_e32 v38, 24, v33
	s_wait_alu 0xfffd
	v_xor_b32_e32 v34, vcc_lo, v34
	v_cmp_gt_i32_e32 vcc_lo, 0, v36
	v_not_b32_e32 v36, v37
	s_wait_alu 0xf1ff
	v_xor_b32_e32 v83, s8, v83
	v_cmp_gt_i32_e64 s8, 0, v37
	v_and_b32_e32 v34, exec_lo, v34
	v_not_b32_e32 v37, v39
	v_ashrrev_i32_e32 v36, 31, v36
	s_wait_alu 0xfffd
	v_xor_b32_e32 v35, vcc_lo, v35
	v_cmp_gt_i32_e32 vcc_lo, 0, v39
	v_and_b32_e32 v34, v34, v83
	v_not_b32_e32 v39, v40
	v_ashrrev_i32_e32 v37, 31, v37
	s_wait_alu 0xf1ff
	v_xor_b32_e32 v36, s8, v36
	v_cmp_gt_i32_e64 s8, 0, v40
	v_and_b32_e32 v34, v34, v35
	v_not_b32_e32 v35, v82
	v_ashrrev_i32_e32 v39, 31, v39
	s_wait_alu 0xfffd
	v_xor_b32_e32 v37, vcc_lo, v37
	v_cmp_gt_i32_e32 vcc_lo, 0, v82
	v_and_b32_e32 v34, v34, v36
	v_not_b32_e32 v36, v38
	v_ashrrev_i32_e32 v35, 31, v35
	s_wait_alu 0xf1ff
	v_xor_b32_e32 v39, s8, v39
	v_lshlrev_b32_e32 v33, 4, v33
	v_and_b32_e32 v34, v34, v37
	v_cmp_gt_i32_e64 s8, 0, v38
	v_ashrrev_i32_e32 v36, 31, v36
	s_wait_alu 0xfffd
	v_xor_b32_e32 v35, vcc_lo, v35
	v_add_nc_u32_e32 v90, v0, v33
	v_and_b32_e32 v34, v34, v39
	s_wait_alu 0xf1ff
	v_xor_b32_e32 v33, s8, v36
	ds_load_b32 v88, v90 offset:16
	v_and_b32_e32 v34, v34, v35
	; wave barrier
	s_delay_alu instid0(VALU_DEP_1) | instskip(NEXT) | instid1(VALU_DEP_1)
	v_and_b32_e32 v33, v34, v33
	v_mbcnt_lo_u32_b32 v89, v33, 0
	v_cmp_ne_u32_e64 s8, 0, v33
	s_delay_alu instid0(VALU_DEP_2)
	v_cmp_eq_u32_e32 vcc_lo, 0, v89
	s_and_b32 s10, s8, vcc_lo
	s_wait_alu 0xfffe
	s_and_saveexec_b32 s8, s10
	s_cbranch_execz .LBB247_35
; %bb.34:
	s_wait_dscnt 0x0
	v_bcnt_u32_b32 v33, v33, v88
	ds_store_b32 v90, v33 offset:16
.LBB247_35:
	s_wait_alu 0xfffe
	s_or_b32 exec_lo, exec_lo, s8
	v_cmp_ne_u16_e32 vcc_lo, 0x7fff, v76
	; wave barrier
	s_wait_alu 0xfffd
	v_cndmask_b32_e32 v33, 0xffff8000, v76, vcc_lo
	s_delay_alu instid0(VALU_DEP_1) | instskip(NEXT) | instid1(VALU_DEP_1)
	v_and_b32_e32 v33, 0xffff, v33
	v_and_b32_e32 v33, s9, v33
	s_delay_alu instid0(VALU_DEP_1)
	v_and_b32_e32 v34, 1, v33
	v_lshlrev_b32_e32 v35, 30, v33
	v_lshlrev_b32_e32 v36, 29, v33
	;; [unrolled: 1-line block ×4, first 2 shown]
	v_add_co_u32 v34, s8, v34, -1
	s_wait_alu 0xf1ff
	v_cndmask_b32_e64 v38, 0, 1, s8
	v_not_b32_e32 v83, v35
	v_cmp_gt_i32_e64 s8, 0, v35
	v_not_b32_e32 v35, v36
	v_lshlrev_b32_e32 v40, 26, v33
	v_cmp_ne_u32_e32 vcc_lo, 0, v38
	v_ashrrev_i32_e32 v83, 31, v83
	v_lshlrev_b32_e32 v82, 25, v33
	v_ashrrev_i32_e32 v35, 31, v35
	v_lshlrev_b32_e32 v38, 24, v33
	s_wait_alu 0xfffd
	v_xor_b32_e32 v34, vcc_lo, v34
	v_cmp_gt_i32_e32 vcc_lo, 0, v36
	v_not_b32_e32 v36, v37
	s_wait_alu 0xf1ff
	v_xor_b32_e32 v83, s8, v83
	v_cmp_gt_i32_e64 s8, 0, v37
	v_and_b32_e32 v34, exec_lo, v34
	v_not_b32_e32 v37, v39
	v_ashrrev_i32_e32 v36, 31, v36
	s_wait_alu 0xfffd
	v_xor_b32_e32 v35, vcc_lo, v35
	v_cmp_gt_i32_e32 vcc_lo, 0, v39
	v_and_b32_e32 v34, v34, v83
	v_not_b32_e32 v39, v40
	v_ashrrev_i32_e32 v37, 31, v37
	s_wait_alu 0xf1ff
	v_xor_b32_e32 v36, s8, v36
	v_cmp_gt_i32_e64 s8, 0, v40
	v_and_b32_e32 v34, v34, v35
	v_not_b32_e32 v35, v82
	v_ashrrev_i32_e32 v39, 31, v39
	s_wait_alu 0xfffd
	v_xor_b32_e32 v37, vcc_lo, v37
	v_cmp_gt_i32_e32 vcc_lo, 0, v82
	v_and_b32_e32 v34, v34, v36
	v_not_b32_e32 v36, v38
	v_ashrrev_i32_e32 v35, 31, v35
	s_wait_alu 0xf1ff
	v_xor_b32_e32 v39, s8, v39
	v_lshlrev_b32_e32 v33, 4, v33
	v_and_b32_e32 v34, v34, v37
	v_cmp_gt_i32_e64 s8, 0, v38
	v_ashrrev_i32_e32 v36, 31, v36
	s_wait_alu 0xfffd
	v_xor_b32_e32 v35, vcc_lo, v35
	v_add_nc_u32_e32 v93, v0, v33
	v_and_b32_e32 v34, v34, v39
	s_wait_alu 0xf1ff
	v_xor_b32_e32 v33, s8, v36
	ds_load_b32 v91, v93 offset:16
	v_and_b32_e32 v34, v34, v35
	; wave barrier
	s_delay_alu instid0(VALU_DEP_1) | instskip(NEXT) | instid1(VALU_DEP_1)
	v_and_b32_e32 v33, v34, v33
	v_mbcnt_lo_u32_b32 v92, v33, 0
	v_cmp_ne_u32_e64 s8, 0, v33
	s_delay_alu instid0(VALU_DEP_2)
	v_cmp_eq_u32_e32 vcc_lo, 0, v92
	s_and_b32 s10, s8, vcc_lo
	s_wait_alu 0xfffe
	s_and_saveexec_b32 s8, s10
	s_cbranch_execz .LBB247_37
; %bb.36:
	s_wait_dscnt 0x0
	v_bcnt_u32_b32 v33, v33, v91
	ds_store_b32 v93, v33 offset:16
.LBB247_37:
	s_wait_alu 0xfffe
	s_or_b32 exec_lo, exec_lo, s8
	v_cmp_ne_u16_e32 vcc_lo, 0x7fff, v77
	; wave barrier
	s_wait_alu 0xfffd
	v_cndmask_b32_e32 v33, 0xffff8000, v77, vcc_lo
	s_delay_alu instid0(VALU_DEP_1) | instskip(NEXT) | instid1(VALU_DEP_1)
	v_and_b32_e32 v33, 0xffff, v33
	v_and_b32_e32 v33, s9, v33
	s_delay_alu instid0(VALU_DEP_1)
	v_and_b32_e32 v34, 1, v33
	v_lshlrev_b32_e32 v35, 30, v33
	v_lshlrev_b32_e32 v36, 29, v33
	;; [unrolled: 1-line block ×4, first 2 shown]
	v_add_co_u32 v34, s8, v34, -1
	s_wait_alu 0xf1ff
	v_cndmask_b32_e64 v38, 0, 1, s8
	v_not_b32_e32 v83, v35
	v_cmp_gt_i32_e64 s8, 0, v35
	v_not_b32_e32 v35, v36
	v_lshlrev_b32_e32 v40, 26, v33
	v_cmp_ne_u32_e32 vcc_lo, 0, v38
	v_ashrrev_i32_e32 v83, 31, v83
	v_lshlrev_b32_e32 v82, 25, v33
	v_ashrrev_i32_e32 v35, 31, v35
	v_lshlrev_b32_e32 v38, 24, v33
	s_wait_alu 0xfffd
	v_xor_b32_e32 v34, vcc_lo, v34
	v_cmp_gt_i32_e32 vcc_lo, 0, v36
	v_not_b32_e32 v36, v37
	s_wait_alu 0xf1ff
	v_xor_b32_e32 v83, s8, v83
	v_cmp_gt_i32_e64 s8, 0, v37
	v_and_b32_e32 v34, exec_lo, v34
	v_not_b32_e32 v37, v39
	v_ashrrev_i32_e32 v36, 31, v36
	s_wait_alu 0xfffd
	v_xor_b32_e32 v35, vcc_lo, v35
	v_cmp_gt_i32_e32 vcc_lo, 0, v39
	v_and_b32_e32 v34, v34, v83
	v_not_b32_e32 v39, v40
	v_ashrrev_i32_e32 v37, 31, v37
	s_wait_alu 0xf1ff
	v_xor_b32_e32 v36, s8, v36
	v_cmp_gt_i32_e64 s8, 0, v40
	v_and_b32_e32 v34, v34, v35
	v_not_b32_e32 v35, v82
	v_ashrrev_i32_e32 v39, 31, v39
	s_wait_alu 0xfffd
	v_xor_b32_e32 v37, vcc_lo, v37
	v_cmp_gt_i32_e32 vcc_lo, 0, v82
	v_and_b32_e32 v34, v34, v36
	v_not_b32_e32 v36, v38
	v_ashrrev_i32_e32 v35, 31, v35
	s_wait_alu 0xf1ff
	v_xor_b32_e32 v39, s8, v39
	v_lshlrev_b32_e32 v33, 4, v33
	v_and_b32_e32 v34, v34, v37
	v_cmp_gt_i32_e64 s8, 0, v38
	v_ashrrev_i32_e32 v36, 31, v36
	s_wait_alu 0xfffd
	v_xor_b32_e32 v35, vcc_lo, v35
	v_add_nc_u32_e32 v96, v0, v33
	v_and_b32_e32 v34, v34, v39
	s_wait_alu 0xf1ff
	v_xor_b32_e32 v33, s8, v36
	ds_load_b32 v94, v96 offset:16
	v_and_b32_e32 v34, v34, v35
	; wave barrier
	s_delay_alu instid0(VALU_DEP_1) | instskip(NEXT) | instid1(VALU_DEP_1)
	v_and_b32_e32 v33, v34, v33
	v_mbcnt_lo_u32_b32 v95, v33, 0
	v_cmp_ne_u32_e64 s8, 0, v33
	s_delay_alu instid0(VALU_DEP_2)
	v_cmp_eq_u32_e32 vcc_lo, 0, v95
	s_and_b32 s10, s8, vcc_lo
	s_wait_alu 0xfffe
	s_and_saveexec_b32 s8, s10
	s_cbranch_execz .LBB247_39
; %bb.38:
	s_wait_dscnt 0x0
	v_bcnt_u32_b32 v33, v33, v94
	ds_store_b32 v96, v33 offset:16
.LBB247_39:
	s_wait_alu 0xfffe
	s_or_b32 exec_lo, exec_lo, s8
	v_cmp_ne_u16_e32 vcc_lo, 0x7fff, v78
	; wave barrier
	s_wait_alu 0xfffd
	v_cndmask_b32_e32 v33, 0xffff8000, v78, vcc_lo
	s_delay_alu instid0(VALU_DEP_1) | instskip(NEXT) | instid1(VALU_DEP_1)
	v_and_b32_e32 v33, 0xffff, v33
	v_and_b32_e32 v33, s9, v33
	s_delay_alu instid0(VALU_DEP_1)
	v_and_b32_e32 v34, 1, v33
	v_lshlrev_b32_e32 v35, 30, v33
	v_lshlrev_b32_e32 v36, 29, v33
	;; [unrolled: 1-line block ×4, first 2 shown]
	v_add_co_u32 v34, s8, v34, -1
	s_wait_alu 0xf1ff
	v_cndmask_b32_e64 v38, 0, 1, s8
	v_not_b32_e32 v83, v35
	v_cmp_gt_i32_e64 s8, 0, v35
	v_not_b32_e32 v35, v36
	v_lshlrev_b32_e32 v40, 26, v33
	v_cmp_ne_u32_e32 vcc_lo, 0, v38
	v_ashrrev_i32_e32 v83, 31, v83
	v_lshlrev_b32_e32 v82, 25, v33
	v_ashrrev_i32_e32 v35, 31, v35
	v_lshlrev_b32_e32 v38, 24, v33
	s_wait_alu 0xfffd
	v_xor_b32_e32 v34, vcc_lo, v34
	v_cmp_gt_i32_e32 vcc_lo, 0, v36
	v_not_b32_e32 v36, v37
	s_wait_alu 0xf1ff
	v_xor_b32_e32 v83, s8, v83
	v_cmp_gt_i32_e64 s8, 0, v37
	v_and_b32_e32 v34, exec_lo, v34
	v_not_b32_e32 v37, v39
	v_ashrrev_i32_e32 v36, 31, v36
	s_wait_alu 0xfffd
	v_xor_b32_e32 v35, vcc_lo, v35
	v_cmp_gt_i32_e32 vcc_lo, 0, v39
	v_and_b32_e32 v34, v34, v83
	v_not_b32_e32 v39, v40
	v_ashrrev_i32_e32 v37, 31, v37
	s_wait_alu 0xf1ff
	v_xor_b32_e32 v36, s8, v36
	v_cmp_gt_i32_e64 s8, 0, v40
	v_and_b32_e32 v34, v34, v35
	v_not_b32_e32 v35, v82
	v_ashrrev_i32_e32 v39, 31, v39
	s_wait_alu 0xfffd
	v_xor_b32_e32 v37, vcc_lo, v37
	v_cmp_gt_i32_e32 vcc_lo, 0, v82
	v_and_b32_e32 v34, v34, v36
	v_not_b32_e32 v36, v38
	v_ashrrev_i32_e32 v35, 31, v35
	s_wait_alu 0xf1ff
	v_xor_b32_e32 v39, s8, v39
	v_lshlrev_b32_e32 v33, 4, v33
	v_and_b32_e32 v34, v34, v37
	v_cmp_gt_i32_e64 s8, 0, v38
	v_ashrrev_i32_e32 v36, 31, v36
	s_wait_alu 0xfffd
	v_xor_b32_e32 v35, vcc_lo, v35
	v_add_nc_u32_e32 v99, v0, v33
	v_and_b32_e32 v34, v34, v39
	s_wait_alu 0xf1ff
	v_xor_b32_e32 v33, s8, v36
	ds_load_b32 v97, v99 offset:16
	v_and_b32_e32 v34, v34, v35
	; wave barrier
	s_delay_alu instid0(VALU_DEP_1) | instskip(NEXT) | instid1(VALU_DEP_1)
	v_and_b32_e32 v33, v34, v33
	v_mbcnt_lo_u32_b32 v98, v33, 0
	v_cmp_ne_u32_e64 s8, 0, v33
	s_delay_alu instid0(VALU_DEP_2)
	v_cmp_eq_u32_e32 vcc_lo, 0, v98
	s_and_b32 s10, s8, vcc_lo
	s_wait_alu 0xfffe
	s_and_saveexec_b32 s8, s10
	s_cbranch_execz .LBB247_41
; %bb.40:
	s_wait_dscnt 0x0
	v_bcnt_u32_b32 v33, v33, v97
	ds_store_b32 v99, v33 offset:16
.LBB247_41:
	s_wait_alu 0xfffe
	s_or_b32 exec_lo, exec_lo, s8
	v_cmp_ne_u16_e32 vcc_lo, 0x7fff, v79
	; wave barrier
	s_wait_alu 0xfffd
	v_cndmask_b32_e32 v33, 0xffff8000, v79, vcc_lo
	s_delay_alu instid0(VALU_DEP_1) | instskip(NEXT) | instid1(VALU_DEP_1)
	v_and_b32_e32 v33, 0xffff, v33
	v_and_b32_e32 v33, s9, v33
	s_delay_alu instid0(VALU_DEP_1)
	v_and_b32_e32 v34, 1, v33
	v_lshlrev_b32_e32 v35, 30, v33
	v_lshlrev_b32_e32 v36, 29, v33
	;; [unrolled: 1-line block ×4, first 2 shown]
	v_add_co_u32 v34, s8, v34, -1
	s_wait_alu 0xf1ff
	v_cndmask_b32_e64 v38, 0, 1, s8
	v_not_b32_e32 v83, v35
	v_cmp_gt_i32_e64 s8, 0, v35
	v_not_b32_e32 v35, v36
	v_lshlrev_b32_e32 v40, 26, v33
	v_cmp_ne_u32_e32 vcc_lo, 0, v38
	v_ashrrev_i32_e32 v83, 31, v83
	v_lshlrev_b32_e32 v82, 25, v33
	v_ashrrev_i32_e32 v35, 31, v35
	v_lshlrev_b32_e32 v38, 24, v33
	s_wait_alu 0xfffd
	v_xor_b32_e32 v34, vcc_lo, v34
	v_cmp_gt_i32_e32 vcc_lo, 0, v36
	v_not_b32_e32 v36, v37
	s_wait_alu 0xf1ff
	v_xor_b32_e32 v83, s8, v83
	v_cmp_gt_i32_e64 s8, 0, v37
	v_and_b32_e32 v34, exec_lo, v34
	v_not_b32_e32 v37, v39
	v_ashrrev_i32_e32 v36, 31, v36
	s_wait_alu 0xfffd
	v_xor_b32_e32 v35, vcc_lo, v35
	v_cmp_gt_i32_e32 vcc_lo, 0, v39
	v_and_b32_e32 v34, v34, v83
	v_not_b32_e32 v39, v40
	v_ashrrev_i32_e32 v37, 31, v37
	s_wait_alu 0xf1ff
	v_xor_b32_e32 v36, s8, v36
	v_cmp_gt_i32_e64 s8, 0, v40
	v_and_b32_e32 v34, v34, v35
	v_not_b32_e32 v35, v82
	v_ashrrev_i32_e32 v39, 31, v39
	s_wait_alu 0xfffd
	v_xor_b32_e32 v37, vcc_lo, v37
	v_cmp_gt_i32_e32 vcc_lo, 0, v82
	v_and_b32_e32 v34, v34, v36
	v_not_b32_e32 v36, v38
	v_ashrrev_i32_e32 v35, 31, v35
	s_wait_alu 0xf1ff
	v_xor_b32_e32 v39, s8, v39
	v_lshlrev_b32_e32 v33, 4, v33
	v_and_b32_e32 v34, v34, v37
	v_cmp_gt_i32_e64 s8, 0, v38
	v_ashrrev_i32_e32 v36, 31, v36
	s_wait_alu 0xfffd
	v_xor_b32_e32 v35, vcc_lo, v35
	v_add_nc_u32_e32 v102, v0, v33
	v_and_b32_e32 v34, v34, v39
	s_wait_alu 0xf1ff
	v_xor_b32_e32 v33, s8, v36
	ds_load_b32 v100, v102 offset:16
	v_and_b32_e32 v34, v34, v35
	; wave barrier
	s_delay_alu instid0(VALU_DEP_1) | instskip(NEXT) | instid1(VALU_DEP_1)
	v_and_b32_e32 v33, v34, v33
	v_mbcnt_lo_u32_b32 v101, v33, 0
	v_cmp_ne_u32_e64 s8, 0, v33
	s_delay_alu instid0(VALU_DEP_2)
	v_cmp_eq_u32_e32 vcc_lo, 0, v101
	s_and_b32 s10, s8, vcc_lo
	s_wait_alu 0xfffe
	s_and_saveexec_b32 s8, s10
	s_cbranch_execz .LBB247_43
; %bb.42:
	s_wait_dscnt 0x0
	v_bcnt_u32_b32 v33, v33, v100
	ds_store_b32 v102, v33 offset:16
.LBB247_43:
	s_wait_alu 0xfffe
	s_or_b32 exec_lo, exec_lo, s8
	v_cmp_ne_u16_e32 vcc_lo, 0x7fff, v80
	; wave barrier
	s_wait_alu 0xfffd
	v_cndmask_b32_e32 v33, 0xffff8000, v80, vcc_lo
	s_delay_alu instid0(VALU_DEP_1) | instskip(NEXT) | instid1(VALU_DEP_1)
	v_and_b32_e32 v33, 0xffff, v33
	v_and_b32_e32 v33, s9, v33
	s_delay_alu instid0(VALU_DEP_1)
	v_and_b32_e32 v34, 1, v33
	v_lshlrev_b32_e32 v35, 30, v33
	v_lshlrev_b32_e32 v36, 29, v33
	;; [unrolled: 1-line block ×4, first 2 shown]
	v_add_co_u32 v34, s8, v34, -1
	s_wait_alu 0xf1ff
	v_cndmask_b32_e64 v38, 0, 1, s8
	v_not_b32_e32 v83, v35
	v_cmp_gt_i32_e64 s8, 0, v35
	v_not_b32_e32 v35, v36
	v_lshlrev_b32_e32 v40, 26, v33
	v_cmp_ne_u32_e32 vcc_lo, 0, v38
	v_ashrrev_i32_e32 v83, 31, v83
	v_lshlrev_b32_e32 v82, 25, v33
	v_ashrrev_i32_e32 v35, 31, v35
	v_lshlrev_b32_e32 v38, 24, v33
	s_wait_alu 0xfffd
	v_xor_b32_e32 v34, vcc_lo, v34
	v_cmp_gt_i32_e32 vcc_lo, 0, v36
	v_not_b32_e32 v36, v37
	s_wait_alu 0xf1ff
	v_xor_b32_e32 v83, s8, v83
	v_cmp_gt_i32_e64 s8, 0, v37
	v_and_b32_e32 v34, exec_lo, v34
	v_not_b32_e32 v37, v39
	v_ashrrev_i32_e32 v36, 31, v36
	s_wait_alu 0xfffd
	v_xor_b32_e32 v35, vcc_lo, v35
	v_cmp_gt_i32_e32 vcc_lo, 0, v39
	v_and_b32_e32 v34, v34, v83
	v_not_b32_e32 v39, v40
	v_ashrrev_i32_e32 v37, 31, v37
	s_wait_alu 0xf1ff
	v_xor_b32_e32 v36, s8, v36
	v_cmp_gt_i32_e64 s8, 0, v40
	v_and_b32_e32 v34, v34, v35
	v_not_b32_e32 v35, v82
	v_ashrrev_i32_e32 v39, 31, v39
	s_wait_alu 0xfffd
	v_xor_b32_e32 v37, vcc_lo, v37
	v_cmp_gt_i32_e32 vcc_lo, 0, v82
	v_and_b32_e32 v34, v34, v36
	v_not_b32_e32 v36, v38
	v_ashrrev_i32_e32 v35, 31, v35
	s_wait_alu 0xf1ff
	v_xor_b32_e32 v39, s8, v39
	v_lshlrev_b32_e32 v33, 4, v33
	v_and_b32_e32 v34, v34, v37
	v_cmp_gt_i32_e64 s8, 0, v38
	v_ashrrev_i32_e32 v36, 31, v36
	s_wait_alu 0xfffd
	v_xor_b32_e32 v35, vcc_lo, v35
	v_add_nc_u32_e32 v105, v0, v33
	v_and_b32_e32 v34, v34, v39
	s_wait_alu 0xf1ff
	v_xor_b32_e32 v33, s8, v36
	ds_load_b32 v103, v105 offset:16
	v_and_b32_e32 v34, v34, v35
	; wave barrier
	s_delay_alu instid0(VALU_DEP_1) | instskip(NEXT) | instid1(VALU_DEP_1)
	v_and_b32_e32 v33, v34, v33
	v_mbcnt_lo_u32_b32 v104, v33, 0
	v_cmp_ne_u32_e64 s8, 0, v33
	s_delay_alu instid0(VALU_DEP_2)
	v_cmp_eq_u32_e32 vcc_lo, 0, v104
	s_and_b32 s10, s8, vcc_lo
	s_wait_alu 0xfffe
	s_and_saveexec_b32 s8, s10
	s_cbranch_execz .LBB247_45
; %bb.44:
	s_wait_dscnt 0x0
	v_bcnt_u32_b32 v33, v33, v103
	ds_store_b32 v105, v33 offset:16
.LBB247_45:
	s_wait_alu 0xfffe
	s_or_b32 exec_lo, exec_lo, s8
	v_cmp_ne_u16_e32 vcc_lo, 0x7fff, v81
	; wave barrier
	s_wait_alu 0xfffd
	v_cndmask_b32_e32 v33, 0xffff8000, v81, vcc_lo
	s_delay_alu instid0(VALU_DEP_1) | instskip(NEXT) | instid1(VALU_DEP_1)
	v_and_b32_e32 v33, 0xffff, v33
	v_and_b32_e32 v33, s9, v33
	s_delay_alu instid0(VALU_DEP_1)
	v_and_b32_e32 v34, 1, v33
	v_lshlrev_b32_e32 v35, 30, v33
	v_lshlrev_b32_e32 v36, 29, v33
	;; [unrolled: 1-line block ×4, first 2 shown]
	v_add_co_u32 v34, s8, v34, -1
	s_wait_alu 0xf1ff
	v_cndmask_b32_e64 v38, 0, 1, s8
	v_not_b32_e32 v83, v35
	v_cmp_gt_i32_e64 s8, 0, v35
	v_not_b32_e32 v35, v36
	v_lshlrev_b32_e32 v40, 26, v33
	v_cmp_ne_u32_e32 vcc_lo, 0, v38
	v_ashrrev_i32_e32 v83, 31, v83
	v_lshlrev_b32_e32 v82, 25, v33
	v_ashrrev_i32_e32 v35, 31, v35
	v_lshlrev_b32_e32 v38, 24, v33
	s_wait_alu 0xfffd
	v_xor_b32_e32 v34, vcc_lo, v34
	v_cmp_gt_i32_e32 vcc_lo, 0, v36
	v_not_b32_e32 v36, v37
	s_wait_alu 0xf1ff
	v_xor_b32_e32 v83, s8, v83
	v_cmp_gt_i32_e64 s8, 0, v37
	v_and_b32_e32 v34, exec_lo, v34
	v_not_b32_e32 v37, v39
	v_ashrrev_i32_e32 v36, 31, v36
	s_wait_alu 0xfffd
	v_xor_b32_e32 v35, vcc_lo, v35
	v_cmp_gt_i32_e32 vcc_lo, 0, v39
	v_and_b32_e32 v34, v34, v83
	v_not_b32_e32 v39, v40
	v_ashrrev_i32_e32 v37, 31, v37
	s_wait_alu 0xf1ff
	v_xor_b32_e32 v36, s8, v36
	v_cmp_gt_i32_e64 s8, 0, v40
	v_and_b32_e32 v34, v34, v35
	v_not_b32_e32 v35, v82
	v_ashrrev_i32_e32 v39, 31, v39
	s_wait_alu 0xfffd
	v_xor_b32_e32 v37, vcc_lo, v37
	v_cmp_gt_i32_e32 vcc_lo, 0, v82
	v_and_b32_e32 v34, v34, v36
	v_not_b32_e32 v36, v38
	v_ashrrev_i32_e32 v35, 31, v35
	s_wait_alu 0xf1ff
	v_xor_b32_e32 v39, s8, v39
	v_lshlrev_b32_e32 v33, 4, v33
	v_and_b32_e32 v34, v34, v37
	v_cmp_gt_i32_e64 s8, 0, v38
	v_ashrrev_i32_e32 v36, 31, v36
	s_wait_alu 0xfffd
	v_xor_b32_e32 v35, vcc_lo, v35
	v_add_nc_u32_e32 v108, v0, v33
	v_and_b32_e32 v34, v34, v39
	v_min_u32_e32 v82, 0x60, v70
	s_wait_alu 0xf1ff
	v_xor_b32_e32 v33, s8, v36
	ds_load_b32 v106, v108 offset:16
	v_and_b32_e32 v34, v34, v35
	; wave barrier
	s_delay_alu instid0(VALU_DEP_1) | instskip(NEXT) | instid1(VALU_DEP_1)
	v_and_b32_e32 v33, v34, v33
	v_mbcnt_lo_u32_b32 v107, v33, 0
	v_cmp_ne_u32_e64 s8, 0, v33
	s_delay_alu instid0(VALU_DEP_2)
	v_cmp_eq_u32_e32 vcc_lo, 0, v107
	s_and_b32 s9, s8, vcc_lo
	s_wait_alu 0xfffe
	s_and_saveexec_b32 s8, s9
	s_cbranch_execz .LBB247_47
; %bb.46:
	s_wait_dscnt 0x0
	v_bcnt_u32_b32 v33, v33, v106
	ds_store_b32 v108, v33 offset:16
.LBB247_47:
	s_wait_alu 0xfffe
	s_or_b32 exec_lo, exec_lo, s8
	; wave barrier
	s_wait_loadcnt_dscnt 0x0
	s_barrier_signal -1
	s_barrier_wait -1
	global_inv scope:SCOPE_SE
	ds_load_b128 v[37:40], v67 offset:16
	ds_load_b128 v[33:36], v67 offset:32
	v_and_b32_e32 v109, 16, v69
	v_or_b32_e32 v82, 31, v82
	s_delay_alu instid0(VALU_DEP_2) | instskip(NEXT) | instid1(VALU_DEP_2)
	v_cmp_eq_u32_e64 s16, 0, v109
	v_cmp_eq_u32_e64 s14, v46, v82
	v_lshlrev_b32_e32 v82, 2, v68
	s_wait_dscnt 0x1
	v_add_nc_u32_e32 v83, v38, v37
	s_delay_alu instid0(VALU_DEP_1) | instskip(SKIP_1) | instid1(VALU_DEP_1)
	v_add3_u32 v83, v83, v39, v40
	s_wait_dscnt 0x0
	v_add3_u32 v83, v83, v33, v34
	s_delay_alu instid0(VALU_DEP_1) | instskip(SKIP_1) | instid1(VALU_DEP_2)
	v_add3_u32 v36, v83, v35, v36
	v_and_b32_e32 v83, 15, v69
	v_mov_b32_dpp v85, v36 row_shr:1 row_mask:0xf bank_mask:0xf
	s_delay_alu instid0(VALU_DEP_2)
	v_cmp_eq_u32_e64 s8, 0, v83
	v_cmp_lt_u32_e64 s10, 1, v83
	v_cmp_lt_u32_e64 s11, 3, v83
	;; [unrolled: 1-line block ×3, first 2 shown]
	s_wait_alu 0xf1ff
	v_cndmask_b32_e64 v85, v85, 0, s8
	s_delay_alu instid0(VALU_DEP_1) | instskip(NEXT) | instid1(VALU_DEP_1)
	v_add_nc_u32_e32 v36, v85, v36
	v_mov_b32_dpp v85, v36 row_shr:2 row_mask:0xf bank_mask:0xf
	s_delay_alu instid0(VALU_DEP_1) | instskip(NEXT) | instid1(VALU_DEP_1)
	v_cndmask_b32_e64 v85, 0, v85, s10
	v_add_nc_u32_e32 v36, v36, v85
	s_delay_alu instid0(VALU_DEP_1) | instskip(NEXT) | instid1(VALU_DEP_1)
	v_mov_b32_dpp v85, v36 row_shr:4 row_mask:0xf bank_mask:0xf
	v_cndmask_b32_e64 v85, 0, v85, s11
	s_delay_alu instid0(VALU_DEP_1) | instskip(NEXT) | instid1(VALU_DEP_1)
	v_add_nc_u32_e32 v36, v36, v85
	v_mov_b32_dpp v85, v36 row_shr:8 row_mask:0xf bank_mask:0xf
	s_delay_alu instid0(VALU_DEP_1) | instskip(SKIP_1) | instid1(VALU_DEP_2)
	v_cndmask_b32_e64 v83, 0, v85, s13
	v_bfe_i32 v85, v69, 4, 1
	v_add_nc_u32_e32 v83, v36, v83
	ds_swizzle_b32 v36, v83 offset:swizzle(BROADCAST,32,15)
	s_wait_dscnt 0x0
	v_and_b32_e32 v85, v85, v36
	v_mul_i32_i24_e32 v36, 0xffffffe4, v46
	s_delay_alu instid0(VALU_DEP_2)
	v_add_nc_u32_e32 v85, v83, v85
	s_and_saveexec_b32 s9, s14
; %bb.48:
	ds_store_b32 v82, v85
; %bb.49:
	s_wait_alu 0xfffe
	s_or_b32 exec_lo, exec_lo, s9
	v_and_b32_e32 v83, 3, v69
	v_cmp_gt_u32_e64 s15, 4, v46
	s_wait_loadcnt_dscnt 0x0
	s_barrier_signal -1
	s_barrier_wait -1
	v_cmp_eq_u32_e64 s12, 0, v83
	v_cmp_lt_u32_e64 s9, 1, v83
	v_add_nc_u32_e32 v83, v67, v36
	global_inv scope:SCOPE_SE
	s_and_saveexec_b32 s17, s15
	s_cbranch_execz .LBB247_51
; %bb.50:
	ds_load_b32 v36, v83
	s_wait_dscnt 0x0
	v_mov_b32_dpp v109, v36 row_shr:1 row_mask:0xf bank_mask:0xf
	s_delay_alu instid0(VALU_DEP_1) | instskip(NEXT) | instid1(VALU_DEP_1)
	v_cndmask_b32_e64 v109, v109, 0, s12
	v_add_nc_u32_e32 v36, v109, v36
	s_delay_alu instid0(VALU_DEP_1) | instskip(NEXT) | instid1(VALU_DEP_1)
	v_mov_b32_dpp v109, v36 row_shr:2 row_mask:0xf bank_mask:0xf
	v_cndmask_b32_e64 v109, 0, v109, s9
	s_delay_alu instid0(VALU_DEP_1)
	v_add_nc_u32_e32 v36, v36, v109
	ds_store_b32 v83, v36
.LBB247_51:
	s_or_b32 exec_lo, exec_lo, s17
	v_mul_u32_u24_e32 v36, 6, v84
	v_sub_co_u32 v109, vcc_lo, v69, 1
	v_cmp_lt_u32_e64 s17, 31, v46
	v_add_nc_u32_e32 v84, -4, v82
	v_mov_b32_e32 v110, 0
	s_wait_loadcnt_dscnt 0x0
	s_barrier_signal -1
	s_barrier_wait -1
	global_inv scope:SCOPE_SE
	s_and_saveexec_b32 s18, s17
; %bb.52:
	ds_load_b32 v110, v84
; %bb.53:
	s_wait_alu 0xfffe
	s_or_b32 exec_lo, exec_lo, s18
	v_cmp_gt_i32_e64 s18, 0, v109
	s_mov_b32 s24, 0
	s_min_u32 s19, s19, 8
	s_mov_b32 s25, s24
	s_mov_b32 s26, s24
	v_cndmask_b32_e64 v109, v109, v69, s18
	s_mov_b32 s27, s24
	s_wait_dscnt 0x0
	v_add_nc_u32_e32 v111, v110, v85
	v_cmp_eq_u32_e64 s18, 0, v46
	s_wait_alu 0xfffe
	s_lshl_b32 s19, -1, s19
	v_lshlrev_b32_e32 v85, 2, v109
	s_wait_alu 0xfffe
	s_not_b32 s21, s19
	ds_bpermute_b32 v109, v85, v111
	s_wait_dscnt 0x0
	s_wait_alu 0xfffd
	v_cndmask_b32_e32 v109, v109, v110, vcc_lo
	s_delay_alu instid0(VALU_DEP_1) | instskip(NEXT) | instid1(VALU_DEP_1)
	v_cndmask_b32_e64 v109, v109, 0, s18
	v_add_nc_u32_e32 v110, v109, v37
	s_delay_alu instid0(VALU_DEP_1) | instskip(NEXT) | instid1(VALU_DEP_1)
	v_add_nc_u32_e32 v111, v110, v38
	v_add_nc_u32_e32 v112, v111, v39
	s_delay_alu instid0(VALU_DEP_1) | instskip(NEXT) | instid1(VALU_DEP_1)
	v_add_nc_u32_e32 v37, v112, v40
	v_add_nc_u32_e32 v38, v37, v33
	s_delay_alu instid0(VALU_DEP_1) | instskip(NEXT) | instid1(VALU_DEP_1)
	v_add_nc_u32_e32 v39, v38, v34
	v_add_nc_u32_e32 v40, v39, v35
	ds_store_b128 v67, v[109:112] offset:16
	ds_store_b128 v67, v[37:40] offset:32
	s_wait_loadcnt_dscnt 0x0
	s_barrier_signal -1
	s_barrier_wait -1
	global_inv scope:SCOPE_SE
	ds_load_b32 v33, v87 offset:16
	ds_load_b32 v34, v90 offset:16
	;; [unrolled: 1-line block ×8, first 2 shown]
	v_add_nc_u32_e32 v90, v73, v36
	s_wait_loadcnt_dscnt 0x0
	s_barrier_signal -1
	s_barrier_wait -1
	global_inv scope:SCOPE_SE
	v_add_nc_u32_e32 v86, v33, v86
	v_add3_u32 v88, v89, v88, v34
	v_add3_u32 v89, v92, v91, v35
	;; [unrolled: 1-line block ×7, first 2 shown]
	v_lshlrev_b32_e32 v33, 1, v86
	v_lshlrev_b32_e32 v34, 1, v88
	;; [unrolled: 1-line block ×8, first 2 shown]
	ds_store_b16 v33, v74
	ds_store_b16 v34, v75
	;; [unrolled: 1-line block ×8, first 2 shown]
	s_wait_loadcnt_dscnt 0x0
	s_barrier_signal -1
	s_barrier_wait -1
	global_inv scope:SCOPE_SE
	ds_load_u16 v74, v73
	ds_load_u16 v75, v73 offset:64
	ds_load_u16 v76, v73 offset:128
	;; [unrolled: 1-line block ×7, first 2 shown]
	v_mad_co_u64_u32 v[86:87], null, v86, 6, v[33:34]
	v_mad_co_u64_u32 v[33:34], null, v88, 6, v[34:35]
	;; [unrolled: 1-line block ×3, first 2 shown]
	s_wait_loadcnt_dscnt 0x0
	s_barrier_signal -1
	s_barrier_wait -1
	global_inv scope:SCOPE_SE
	v_mad_co_u64_u32 v[35:36], null, v91, 6, v[36:37]
	v_lshrrev_b16 v81, 8, v74
	v_cmp_ne_u16_e64 s19, 0x7fff, v74
	ds_store_b64 v86, v[17:18]
	v_mad_co_u64_u32 v[36:37], null, v92, 6, v[37:38]
	v_mad_co_u64_u32 v[37:38], null, v93, 6, v[38:39]
	s_wait_alu 0xf1ff
	v_cndmask_b32_e64 v81, 0x80, v81, s19
	v_mad_co_u64_u32 v[38:39], null, v94, 6, v[39:40]
	v_mad_co_u64_u32 v[39:40], null, v95, 6, v[40:41]
	s_delay_alu instid0(VALU_DEP_3)
	v_and_b32_e32 v17, 0xffff, v81
	ds_store_b64 v33, v[19:20]
	ds_store_b64 v34, v[25:26]
	;; [unrolled: 1-line block ×7, first 2 shown]
	s_wait_alu 0xfffe
	v_and_b32_e32 v40, s21, v17
	s_wait_loadcnt_dscnt 0x0
	s_barrier_signal -1
	s_barrier_wait -1
	global_inv scope:SCOPE_SE
	v_and_b32_e32 v17, 1, v40
	v_lshlrev_b32_e32 v18, 30, v40
	v_lshlrev_b32_e32 v19, 29, v40
	;; [unrolled: 1-line block ×4, first 2 shown]
	v_add_co_u32 v17, s19, v17, -1
	s_wait_alu 0xf1ff
	v_cndmask_b32_e64 v21, 0, 1, s19
	v_not_b32_e32 v25, v18
	v_cmp_gt_i32_e64 s20, 0, v18
	v_not_b32_e32 v18, v19
	v_lshlrev_b32_e32 v23, 26, v40
	v_cmp_ne_u32_e64 s19, 0, v21
	v_ashrrev_i32_e32 v25, 31, v25
	v_lshlrev_b32_e32 v24, 25, v40
	v_ashrrev_i32_e32 v18, 31, v18
	v_lshlrev_b32_e32 v21, 24, v40
	s_wait_alu 0xf1ff
	v_xor_b32_e32 v17, s19, v17
	v_cmp_gt_i32_e64 s19, 0, v19
	v_not_b32_e32 v19, v20
	v_xor_b32_e32 v25, s20, v25
	v_cmp_gt_i32_e64 s20, 0, v20
	v_and_b32_e32 v17, exec_lo, v17
	v_not_b32_e32 v20, v22
	v_ashrrev_i32_e32 v19, 31, v19
	s_wait_alu 0xf1ff
	v_xor_b32_e32 v18, s19, v18
	v_cmp_gt_i32_e64 s19, 0, v22
	v_and_b32_e32 v17, v17, v25
	v_not_b32_e32 v22, v23
	v_ashrrev_i32_e32 v20, 31, v20
	v_xor_b32_e32 v19, s20, v19
	v_cmp_gt_i32_e64 s20, 0, v23
	v_and_b32_e32 v17, v17, v18
	v_not_b32_e32 v18, v24
	v_ashrrev_i32_e32 v22, 31, v22
	s_wait_alu 0xf1ff
	v_xor_b32_e32 v20, s19, v20
	v_cmp_gt_i32_e64 s19, 0, v24
	v_and_b32_e32 v17, v17, v19
	v_not_b32_e32 v19, v21
	v_ashrrev_i32_e32 v18, 31, v18
	v_xor_b32_e32 v22, s20, v22
	v_cmp_gt_i32_e64 s20, 0, v21
	v_and_b32_e32 v17, v17, v20
	v_ashrrev_i32_e32 v19, 31, v19
	s_wait_alu 0xf1ff
	v_xor_b32_e32 v18, s19, v18
	v_dual_mov_b32 v37, s27 :: v_dual_mov_b32 v36, s26
	v_and_b32_e32 v17, v17, v22
	v_xor_b32_e32 v33, s20, v19
	ds_load_2addr_b64 v[21:24], v90 offset1:32
	v_dual_mov_b32 v35, s25 :: v_dual_mov_b32 v34, s24
	v_and_b32_e32 v38, v17, v18
	ds_load_2addr_b64 v[29:32], v90 offset0:64 offset1:96
	ds_load_2addr_b64 v[25:28], v90 offset0:128 offset1:160
	;; [unrolled: 1-line block ×3, first 2 shown]
	v_lshl_add_u32 v86, v40, 4, v0
	s_wait_loadcnt_dscnt 0x0
	s_barrier_signal -1
	v_and_b32_e32 v33, v38, v33
	s_barrier_wait -1
	global_inv scope:SCOPE_SE
	ds_store_b128 v67, v[34:37] offset:16
	ds_store_b128 v67, v[34:37] offset:32
	s_wait_loadcnt_dscnt 0x0
	v_mbcnt_lo_u32_b32 v81, v33, 0
	v_cmp_ne_u32_e64 s20, 0, v33
	s_barrier_signal -1
	s_barrier_wait -1
	global_inv scope:SCOPE_SE
	v_cmp_eq_u32_e64 s19, 0, v81
	; wave barrier
	s_and_b32 s20, s20, s19
	s_wait_alu 0xfffe
	s_and_saveexec_b32 s19, s20
; %bb.54:
	v_bcnt_u32_b32 v33, v33, 0
	ds_store_b32 v86, v33 offset:16
; %bb.55:
	s_wait_alu 0xfffe
	s_or_b32 exec_lo, exec_lo, s19
	v_lshrrev_b16 v33, 8, v75
	v_cmp_ne_u16_e64 s19, 0x7fff, v75
	; wave barrier
	s_wait_alu 0xf1ff
	s_delay_alu instid0(VALU_DEP_1) | instskip(NEXT) | instid1(VALU_DEP_1)
	v_cndmask_b32_e64 v33, 0x80, v33, s19
	v_and_b32_e32 v33, s21, v33
	s_delay_alu instid0(VALU_DEP_1)
	v_and_b32_e32 v34, 1, v33
	v_lshlrev_b32_e32 v35, 30, v33
	v_lshlrev_b32_e32 v36, 29, v33
	;; [unrolled: 1-line block ×4, first 2 shown]
	v_add_co_u32 v34, s19, v34, -1
	s_wait_alu 0xf1ff
	v_cndmask_b32_e64 v38, 0, 1, s19
	v_not_b32_e32 v88, v35
	v_cmp_gt_i32_e64 s20, 0, v35
	v_not_b32_e32 v35, v36
	v_lshlrev_b32_e32 v40, 26, v33
	v_cmp_ne_u32_e64 s19, 0, v38
	v_ashrrev_i32_e32 v88, 31, v88
	v_lshlrev_b32_e32 v87, 25, v33
	v_ashrrev_i32_e32 v35, 31, v35
	v_lshlrev_b32_e32 v38, 24, v33
	s_wait_alu 0xf1ff
	v_xor_b32_e32 v34, s19, v34
	v_cmp_gt_i32_e64 s19, 0, v36
	v_not_b32_e32 v36, v37
	v_xor_b32_e32 v88, s20, v88
	v_cmp_gt_i32_e64 s20, 0, v37
	v_and_b32_e32 v34, exec_lo, v34
	v_not_b32_e32 v37, v39
	v_ashrrev_i32_e32 v36, 31, v36
	s_wait_alu 0xf1ff
	v_xor_b32_e32 v35, s19, v35
	v_cmp_gt_i32_e64 s19, 0, v39
	v_and_b32_e32 v34, v34, v88
	v_not_b32_e32 v39, v40
	v_ashrrev_i32_e32 v37, 31, v37
	v_xor_b32_e32 v36, s20, v36
	v_cmp_gt_i32_e64 s20, 0, v40
	v_and_b32_e32 v34, v34, v35
	v_not_b32_e32 v35, v87
	v_ashrrev_i32_e32 v39, 31, v39
	s_wait_alu 0xf1ff
	v_xor_b32_e32 v37, s19, v37
	v_cmp_gt_i32_e64 s19, 0, v87
	v_and_b32_e32 v34, v34, v36
	v_not_b32_e32 v36, v38
	v_ashrrev_i32_e32 v35, 31, v35
	v_xor_b32_e32 v39, s20, v39
	v_cmp_gt_i32_e64 s20, 0, v38
	v_and_b32_e32 v34, v34, v37
	v_ashrrev_i32_e32 v36, 31, v36
	s_wait_alu 0xf1ff
	v_xor_b32_e32 v35, s19, v35
	v_lshl_add_u32 v89, v33, 4, v0
	v_and_b32_e32 v34, v34, v39
	v_xor_b32_e32 v33, s20, v36
	ds_load_b32 v87, v89 offset:16
	v_and_b32_e32 v34, v34, v35
	; wave barrier
	s_delay_alu instid0(VALU_DEP_1) | instskip(NEXT) | instid1(VALU_DEP_1)
	v_and_b32_e32 v33, v34, v33
	v_mbcnt_lo_u32_b32 v88, v33, 0
	v_cmp_ne_u32_e64 s20, 0, v33
	s_delay_alu instid0(VALU_DEP_2)
	v_cmp_eq_u32_e64 s19, 0, v88
	s_and_b32 s20, s20, s19
	s_wait_alu 0xfffe
	s_and_saveexec_b32 s19, s20
	s_cbranch_execz .LBB247_57
; %bb.56:
	s_wait_dscnt 0x0
	v_bcnt_u32_b32 v33, v33, v87
	ds_store_b32 v89, v33 offset:16
.LBB247_57:
	s_wait_alu 0xfffe
	s_or_b32 exec_lo, exec_lo, s19
	v_lshrrev_b16 v33, 8, v76
	v_cmp_ne_u16_e64 s19, 0x7fff, v76
	; wave barrier
	s_wait_alu 0xf1ff
	s_delay_alu instid0(VALU_DEP_1) | instskip(NEXT) | instid1(VALU_DEP_1)
	v_cndmask_b32_e64 v33, 0x80, v33, s19
	v_and_b32_e32 v33, s21, v33
	s_delay_alu instid0(VALU_DEP_1)
	v_and_b32_e32 v34, 1, v33
	v_lshlrev_b32_e32 v35, 30, v33
	v_lshlrev_b32_e32 v36, 29, v33
	;; [unrolled: 1-line block ×4, first 2 shown]
	v_add_co_u32 v34, s19, v34, -1
	s_wait_alu 0xf1ff
	v_cndmask_b32_e64 v38, 0, 1, s19
	v_not_b32_e32 v91, v35
	v_cmp_gt_i32_e64 s20, 0, v35
	v_not_b32_e32 v35, v36
	v_lshlrev_b32_e32 v40, 26, v33
	v_cmp_ne_u32_e64 s19, 0, v38
	v_ashrrev_i32_e32 v91, 31, v91
	v_lshlrev_b32_e32 v90, 25, v33
	v_ashrrev_i32_e32 v35, 31, v35
	v_lshlrev_b32_e32 v38, 24, v33
	s_wait_alu 0xf1ff
	v_xor_b32_e32 v34, s19, v34
	v_cmp_gt_i32_e64 s19, 0, v36
	v_not_b32_e32 v36, v37
	v_xor_b32_e32 v91, s20, v91
	v_cmp_gt_i32_e64 s20, 0, v37
	v_and_b32_e32 v34, exec_lo, v34
	v_not_b32_e32 v37, v39
	v_ashrrev_i32_e32 v36, 31, v36
	s_wait_alu 0xf1ff
	v_xor_b32_e32 v35, s19, v35
	v_cmp_gt_i32_e64 s19, 0, v39
	v_and_b32_e32 v34, v34, v91
	v_not_b32_e32 v39, v40
	v_ashrrev_i32_e32 v37, 31, v37
	v_xor_b32_e32 v36, s20, v36
	v_cmp_gt_i32_e64 s20, 0, v40
	v_and_b32_e32 v34, v34, v35
	v_not_b32_e32 v35, v90
	v_ashrrev_i32_e32 v39, 31, v39
	s_wait_alu 0xf1ff
	v_xor_b32_e32 v37, s19, v37
	v_cmp_gt_i32_e64 s19, 0, v90
	v_and_b32_e32 v34, v34, v36
	v_not_b32_e32 v36, v38
	v_ashrrev_i32_e32 v35, 31, v35
	v_xor_b32_e32 v39, s20, v39
	v_cmp_gt_i32_e64 s20, 0, v38
	v_and_b32_e32 v34, v34, v37
	v_ashrrev_i32_e32 v36, 31, v36
	s_wait_alu 0xf1ff
	v_xor_b32_e32 v35, s19, v35
	v_lshl_add_u32 v92, v33, 4, v0
	v_and_b32_e32 v34, v34, v39
	v_xor_b32_e32 v33, s20, v36
	ds_load_b32 v90, v92 offset:16
	v_and_b32_e32 v34, v34, v35
	; wave barrier
	s_delay_alu instid0(VALU_DEP_1) | instskip(NEXT) | instid1(VALU_DEP_1)
	v_and_b32_e32 v33, v34, v33
	v_mbcnt_lo_u32_b32 v91, v33, 0
	v_cmp_ne_u32_e64 s20, 0, v33
	s_delay_alu instid0(VALU_DEP_2)
	v_cmp_eq_u32_e64 s19, 0, v91
	s_and_b32 s20, s20, s19
	s_wait_alu 0xfffe
	s_and_saveexec_b32 s19, s20
	s_cbranch_execz .LBB247_59
; %bb.58:
	s_wait_dscnt 0x0
	v_bcnt_u32_b32 v33, v33, v90
	ds_store_b32 v92, v33 offset:16
.LBB247_59:
	s_wait_alu 0xfffe
	s_or_b32 exec_lo, exec_lo, s19
	v_lshrrev_b16 v33, 8, v77
	v_cmp_ne_u16_e64 s19, 0x7fff, v77
	; wave barrier
	s_wait_alu 0xf1ff
	s_delay_alu instid0(VALU_DEP_1) | instskip(NEXT) | instid1(VALU_DEP_1)
	v_cndmask_b32_e64 v33, 0x80, v33, s19
	v_and_b32_e32 v33, s21, v33
	s_delay_alu instid0(VALU_DEP_1)
	v_and_b32_e32 v34, 1, v33
	v_lshlrev_b32_e32 v35, 30, v33
	v_lshlrev_b32_e32 v36, 29, v33
	;; [unrolled: 1-line block ×4, first 2 shown]
	v_add_co_u32 v34, s19, v34, -1
	s_wait_alu 0xf1ff
	v_cndmask_b32_e64 v38, 0, 1, s19
	v_not_b32_e32 v94, v35
	v_cmp_gt_i32_e64 s20, 0, v35
	v_not_b32_e32 v35, v36
	v_lshlrev_b32_e32 v40, 26, v33
	v_cmp_ne_u32_e64 s19, 0, v38
	v_ashrrev_i32_e32 v94, 31, v94
	v_lshlrev_b32_e32 v93, 25, v33
	v_ashrrev_i32_e32 v35, 31, v35
	v_lshlrev_b32_e32 v38, 24, v33
	s_wait_alu 0xf1ff
	v_xor_b32_e32 v34, s19, v34
	v_cmp_gt_i32_e64 s19, 0, v36
	v_not_b32_e32 v36, v37
	v_xor_b32_e32 v94, s20, v94
	v_cmp_gt_i32_e64 s20, 0, v37
	v_and_b32_e32 v34, exec_lo, v34
	v_not_b32_e32 v37, v39
	v_ashrrev_i32_e32 v36, 31, v36
	s_wait_alu 0xf1ff
	v_xor_b32_e32 v35, s19, v35
	v_cmp_gt_i32_e64 s19, 0, v39
	v_and_b32_e32 v34, v34, v94
	v_not_b32_e32 v39, v40
	v_ashrrev_i32_e32 v37, 31, v37
	v_xor_b32_e32 v36, s20, v36
	v_cmp_gt_i32_e64 s20, 0, v40
	v_and_b32_e32 v34, v34, v35
	v_not_b32_e32 v35, v93
	v_ashrrev_i32_e32 v39, 31, v39
	s_wait_alu 0xf1ff
	v_xor_b32_e32 v37, s19, v37
	v_cmp_gt_i32_e64 s19, 0, v93
	v_and_b32_e32 v34, v34, v36
	v_not_b32_e32 v36, v38
	v_ashrrev_i32_e32 v35, 31, v35
	v_xor_b32_e32 v39, s20, v39
	v_cmp_gt_i32_e64 s20, 0, v38
	v_and_b32_e32 v34, v34, v37
	v_ashrrev_i32_e32 v36, 31, v36
	s_wait_alu 0xf1ff
	v_xor_b32_e32 v35, s19, v35
	v_lshl_add_u32 v95, v33, 4, v0
	v_and_b32_e32 v34, v34, v39
	v_xor_b32_e32 v33, s20, v36
	ds_load_b32 v93, v95 offset:16
	v_and_b32_e32 v34, v34, v35
	; wave barrier
	s_delay_alu instid0(VALU_DEP_1) | instskip(NEXT) | instid1(VALU_DEP_1)
	v_and_b32_e32 v33, v34, v33
	v_mbcnt_lo_u32_b32 v94, v33, 0
	v_cmp_ne_u32_e64 s20, 0, v33
	s_delay_alu instid0(VALU_DEP_2)
	v_cmp_eq_u32_e64 s19, 0, v94
	s_and_b32 s20, s20, s19
	s_wait_alu 0xfffe
	s_and_saveexec_b32 s19, s20
	s_cbranch_execz .LBB247_61
; %bb.60:
	s_wait_dscnt 0x0
	v_bcnt_u32_b32 v33, v33, v93
	ds_store_b32 v95, v33 offset:16
.LBB247_61:
	s_wait_alu 0xfffe
	s_or_b32 exec_lo, exec_lo, s19
	v_lshrrev_b16 v33, 8, v78
	v_cmp_ne_u16_e64 s19, 0x7fff, v78
	; wave barrier
	s_wait_alu 0xf1ff
	s_delay_alu instid0(VALU_DEP_1) | instskip(NEXT) | instid1(VALU_DEP_1)
	v_cndmask_b32_e64 v33, 0x80, v33, s19
	v_and_b32_e32 v33, s21, v33
	s_delay_alu instid0(VALU_DEP_1)
	v_and_b32_e32 v34, 1, v33
	v_lshlrev_b32_e32 v35, 30, v33
	v_lshlrev_b32_e32 v36, 29, v33
	v_lshlrev_b32_e32 v37, 28, v33
	v_lshlrev_b32_e32 v39, 27, v33
	v_add_co_u32 v34, s19, v34, -1
	s_wait_alu 0xf1ff
	v_cndmask_b32_e64 v38, 0, 1, s19
	v_not_b32_e32 v97, v35
	v_cmp_gt_i32_e64 s20, 0, v35
	v_not_b32_e32 v35, v36
	v_lshlrev_b32_e32 v40, 26, v33
	v_cmp_ne_u32_e64 s19, 0, v38
	v_ashrrev_i32_e32 v97, 31, v97
	v_lshlrev_b32_e32 v96, 25, v33
	v_ashrrev_i32_e32 v35, 31, v35
	v_lshlrev_b32_e32 v38, 24, v33
	s_wait_alu 0xf1ff
	v_xor_b32_e32 v34, s19, v34
	v_cmp_gt_i32_e64 s19, 0, v36
	v_not_b32_e32 v36, v37
	v_xor_b32_e32 v97, s20, v97
	v_cmp_gt_i32_e64 s20, 0, v37
	v_and_b32_e32 v34, exec_lo, v34
	v_not_b32_e32 v37, v39
	v_ashrrev_i32_e32 v36, 31, v36
	s_wait_alu 0xf1ff
	v_xor_b32_e32 v35, s19, v35
	v_cmp_gt_i32_e64 s19, 0, v39
	v_and_b32_e32 v34, v34, v97
	v_not_b32_e32 v39, v40
	v_ashrrev_i32_e32 v37, 31, v37
	v_xor_b32_e32 v36, s20, v36
	v_cmp_gt_i32_e64 s20, 0, v40
	v_and_b32_e32 v34, v34, v35
	v_not_b32_e32 v35, v96
	v_ashrrev_i32_e32 v39, 31, v39
	s_wait_alu 0xf1ff
	v_xor_b32_e32 v37, s19, v37
	v_cmp_gt_i32_e64 s19, 0, v96
	v_and_b32_e32 v34, v34, v36
	v_not_b32_e32 v36, v38
	v_ashrrev_i32_e32 v35, 31, v35
	v_xor_b32_e32 v39, s20, v39
	v_cmp_gt_i32_e64 s20, 0, v38
	v_and_b32_e32 v34, v34, v37
	v_ashrrev_i32_e32 v36, 31, v36
	s_wait_alu 0xf1ff
	v_xor_b32_e32 v35, s19, v35
	v_lshl_add_u32 v98, v33, 4, v0
	v_and_b32_e32 v34, v34, v39
	v_xor_b32_e32 v33, s20, v36
	ds_load_b32 v96, v98 offset:16
	v_and_b32_e32 v34, v34, v35
	; wave barrier
	s_delay_alu instid0(VALU_DEP_1) | instskip(NEXT) | instid1(VALU_DEP_1)
	v_and_b32_e32 v33, v34, v33
	v_mbcnt_lo_u32_b32 v97, v33, 0
	v_cmp_ne_u32_e64 s20, 0, v33
	s_delay_alu instid0(VALU_DEP_2)
	v_cmp_eq_u32_e64 s19, 0, v97
	s_and_b32 s20, s20, s19
	s_wait_alu 0xfffe
	s_and_saveexec_b32 s19, s20
	s_cbranch_execz .LBB247_63
; %bb.62:
	s_wait_dscnt 0x0
	v_bcnt_u32_b32 v33, v33, v96
	ds_store_b32 v98, v33 offset:16
.LBB247_63:
	s_wait_alu 0xfffe
	s_or_b32 exec_lo, exec_lo, s19
	v_lshrrev_b16 v33, 8, v79
	v_cmp_ne_u16_e64 s19, 0x7fff, v79
	; wave barrier
	s_wait_alu 0xf1ff
	s_delay_alu instid0(VALU_DEP_1) | instskip(NEXT) | instid1(VALU_DEP_1)
	v_cndmask_b32_e64 v33, 0x80, v33, s19
	v_and_b32_e32 v33, s21, v33
	s_delay_alu instid0(VALU_DEP_1)
	v_and_b32_e32 v34, 1, v33
	v_lshlrev_b32_e32 v35, 30, v33
	v_lshlrev_b32_e32 v36, 29, v33
	;; [unrolled: 1-line block ×4, first 2 shown]
	v_add_co_u32 v34, s19, v34, -1
	s_wait_alu 0xf1ff
	v_cndmask_b32_e64 v38, 0, 1, s19
	v_not_b32_e32 v100, v35
	v_cmp_gt_i32_e64 s20, 0, v35
	v_not_b32_e32 v35, v36
	v_lshlrev_b32_e32 v40, 26, v33
	v_cmp_ne_u32_e64 s19, 0, v38
	v_ashrrev_i32_e32 v100, 31, v100
	v_lshlrev_b32_e32 v99, 25, v33
	v_ashrrev_i32_e32 v35, 31, v35
	v_lshlrev_b32_e32 v38, 24, v33
	s_wait_alu 0xf1ff
	v_xor_b32_e32 v34, s19, v34
	v_cmp_gt_i32_e64 s19, 0, v36
	v_not_b32_e32 v36, v37
	v_xor_b32_e32 v100, s20, v100
	v_cmp_gt_i32_e64 s20, 0, v37
	v_and_b32_e32 v34, exec_lo, v34
	v_not_b32_e32 v37, v39
	v_ashrrev_i32_e32 v36, 31, v36
	s_wait_alu 0xf1ff
	v_xor_b32_e32 v35, s19, v35
	v_cmp_gt_i32_e64 s19, 0, v39
	v_and_b32_e32 v34, v34, v100
	v_not_b32_e32 v39, v40
	v_ashrrev_i32_e32 v37, 31, v37
	v_xor_b32_e32 v36, s20, v36
	v_cmp_gt_i32_e64 s20, 0, v40
	v_and_b32_e32 v34, v34, v35
	v_not_b32_e32 v35, v99
	v_ashrrev_i32_e32 v39, 31, v39
	s_wait_alu 0xf1ff
	v_xor_b32_e32 v37, s19, v37
	v_cmp_gt_i32_e64 s19, 0, v99
	v_and_b32_e32 v34, v34, v36
	v_not_b32_e32 v36, v38
	v_ashrrev_i32_e32 v35, 31, v35
	v_xor_b32_e32 v39, s20, v39
	v_cmp_gt_i32_e64 s20, 0, v38
	v_and_b32_e32 v34, v34, v37
	v_ashrrev_i32_e32 v36, 31, v36
	s_wait_alu 0xf1ff
	v_xor_b32_e32 v35, s19, v35
	v_lshl_add_u32 v101, v33, 4, v0
	v_and_b32_e32 v34, v34, v39
	v_xor_b32_e32 v33, s20, v36
	ds_load_b32 v99, v101 offset:16
	v_and_b32_e32 v34, v34, v35
	; wave barrier
	s_delay_alu instid0(VALU_DEP_1) | instskip(NEXT) | instid1(VALU_DEP_1)
	v_and_b32_e32 v33, v34, v33
	v_mbcnt_lo_u32_b32 v100, v33, 0
	v_cmp_ne_u32_e64 s20, 0, v33
	s_delay_alu instid0(VALU_DEP_2)
	v_cmp_eq_u32_e64 s19, 0, v100
	s_and_b32 s20, s20, s19
	s_wait_alu 0xfffe
	s_and_saveexec_b32 s19, s20
	s_cbranch_execz .LBB247_65
; %bb.64:
	s_wait_dscnt 0x0
	v_bcnt_u32_b32 v33, v33, v99
	ds_store_b32 v101, v33 offset:16
.LBB247_65:
	s_wait_alu 0xfffe
	s_or_b32 exec_lo, exec_lo, s19
	v_lshrrev_b16 v33, 8, v80
	v_cmp_ne_u16_e64 s19, 0x7fff, v80
	; wave barrier
	s_wait_alu 0xf1ff
	s_delay_alu instid0(VALU_DEP_1) | instskip(NEXT) | instid1(VALU_DEP_1)
	v_cndmask_b32_e64 v33, 0x80, v33, s19
	v_and_b32_e32 v33, s21, v33
	s_delay_alu instid0(VALU_DEP_1)
	v_and_b32_e32 v34, 1, v33
	v_lshlrev_b32_e32 v35, 30, v33
	v_lshlrev_b32_e32 v36, 29, v33
	;; [unrolled: 1-line block ×4, first 2 shown]
	v_add_co_u32 v34, s19, v34, -1
	s_wait_alu 0xf1ff
	v_cndmask_b32_e64 v38, 0, 1, s19
	v_not_b32_e32 v103, v35
	v_cmp_gt_i32_e64 s20, 0, v35
	v_not_b32_e32 v35, v36
	v_lshlrev_b32_e32 v40, 26, v33
	v_cmp_ne_u32_e64 s19, 0, v38
	v_ashrrev_i32_e32 v103, 31, v103
	v_lshlrev_b32_e32 v102, 25, v33
	v_ashrrev_i32_e32 v35, 31, v35
	v_lshlrev_b32_e32 v38, 24, v33
	s_wait_alu 0xf1ff
	v_xor_b32_e32 v34, s19, v34
	v_cmp_gt_i32_e64 s19, 0, v36
	v_not_b32_e32 v36, v37
	v_xor_b32_e32 v103, s20, v103
	v_cmp_gt_i32_e64 s20, 0, v37
	v_and_b32_e32 v34, exec_lo, v34
	v_not_b32_e32 v37, v39
	v_ashrrev_i32_e32 v36, 31, v36
	s_wait_alu 0xf1ff
	v_xor_b32_e32 v35, s19, v35
	v_cmp_gt_i32_e64 s19, 0, v39
	v_and_b32_e32 v34, v34, v103
	v_not_b32_e32 v39, v40
	v_ashrrev_i32_e32 v37, 31, v37
	v_xor_b32_e32 v36, s20, v36
	v_cmp_gt_i32_e64 s20, 0, v40
	v_and_b32_e32 v34, v34, v35
	v_not_b32_e32 v35, v102
	v_ashrrev_i32_e32 v39, 31, v39
	s_wait_alu 0xf1ff
	v_xor_b32_e32 v37, s19, v37
	v_cmp_gt_i32_e64 s19, 0, v102
	v_and_b32_e32 v34, v34, v36
	v_not_b32_e32 v36, v38
	v_ashrrev_i32_e32 v35, 31, v35
	v_xor_b32_e32 v39, s20, v39
	v_cmp_gt_i32_e64 s20, 0, v38
	v_and_b32_e32 v34, v34, v37
	v_ashrrev_i32_e32 v36, 31, v36
	s_wait_alu 0xf1ff
	v_xor_b32_e32 v35, s19, v35
	v_lshl_add_u32 v104, v33, 4, v0
	v_and_b32_e32 v34, v34, v39
	v_xor_b32_e32 v33, s20, v36
	ds_load_b32 v102, v104 offset:16
	v_and_b32_e32 v34, v34, v35
	; wave barrier
	s_delay_alu instid0(VALU_DEP_1) | instskip(NEXT) | instid1(VALU_DEP_1)
	v_and_b32_e32 v33, v34, v33
	v_mbcnt_lo_u32_b32 v103, v33, 0
	v_cmp_ne_u32_e64 s20, 0, v33
	s_delay_alu instid0(VALU_DEP_2)
	v_cmp_eq_u32_e64 s19, 0, v103
	s_and_b32 s20, s20, s19
	s_wait_alu 0xfffe
	s_and_saveexec_b32 s19, s20
	s_cbranch_execz .LBB247_67
; %bb.66:
	s_wait_dscnt 0x0
	v_bcnt_u32_b32 v33, v33, v102
	ds_store_b32 v104, v33 offset:16
.LBB247_67:
	s_wait_alu 0xfffe
	s_or_b32 exec_lo, exec_lo, s19
	v_lshrrev_b16 v33, 8, v73
	v_cmp_ne_u16_e64 s19, 0x7fff, v73
	; wave barrier
	s_wait_alu 0xf1ff
	s_delay_alu instid0(VALU_DEP_1) | instskip(NEXT) | instid1(VALU_DEP_1)
	v_cndmask_b32_e64 v33, 0x80, v33, s19
	v_and_b32_e32 v33, s21, v33
	s_delay_alu instid0(VALU_DEP_1)
	v_and_b32_e32 v34, 1, v33
	v_lshlrev_b32_e32 v35, 30, v33
	v_lshlrev_b32_e32 v36, 29, v33
	;; [unrolled: 1-line block ×4, first 2 shown]
	v_add_co_u32 v34, s19, v34, -1
	s_wait_alu 0xf1ff
	v_cndmask_b32_e64 v38, 0, 1, s19
	v_not_b32_e32 v106, v35
	v_cmp_gt_i32_e64 s20, 0, v35
	v_not_b32_e32 v35, v36
	v_lshlrev_b32_e32 v40, 26, v33
	v_cmp_ne_u32_e64 s19, 0, v38
	v_ashrrev_i32_e32 v106, 31, v106
	v_lshlrev_b32_e32 v105, 25, v33
	v_ashrrev_i32_e32 v35, 31, v35
	v_lshlrev_b32_e32 v38, 24, v33
	s_wait_alu 0xf1ff
	v_xor_b32_e32 v34, s19, v34
	v_cmp_gt_i32_e64 s19, 0, v36
	v_not_b32_e32 v36, v37
	v_xor_b32_e32 v106, s20, v106
	v_cmp_gt_i32_e64 s20, 0, v37
	v_and_b32_e32 v34, exec_lo, v34
	v_not_b32_e32 v37, v39
	v_ashrrev_i32_e32 v36, 31, v36
	s_wait_alu 0xf1ff
	v_xor_b32_e32 v35, s19, v35
	v_cmp_gt_i32_e64 s19, 0, v39
	v_and_b32_e32 v34, v34, v106
	v_not_b32_e32 v39, v40
	v_ashrrev_i32_e32 v37, 31, v37
	v_xor_b32_e32 v36, s20, v36
	v_cmp_gt_i32_e64 s20, 0, v40
	v_and_b32_e32 v34, v34, v35
	v_not_b32_e32 v35, v105
	v_ashrrev_i32_e32 v39, 31, v39
	s_wait_alu 0xf1ff
	v_xor_b32_e32 v37, s19, v37
	v_cmp_gt_i32_e64 s19, 0, v105
	v_and_b32_e32 v34, v34, v36
	v_not_b32_e32 v36, v38
	v_ashrrev_i32_e32 v35, 31, v35
	v_xor_b32_e32 v39, s20, v39
	v_cmp_gt_i32_e64 s20, 0, v38
	v_and_b32_e32 v34, v34, v37
	v_ashrrev_i32_e32 v36, 31, v36
	s_wait_alu 0xf1ff
	v_xor_b32_e32 v35, s19, v35
	v_lshl_add_u32 v106, v33, 4, v0
	v_and_b32_e32 v34, v34, v39
	v_xor_b32_e32 v33, s20, v36
	ds_load_b32 v0, v106 offset:16
	v_and_b32_e32 v34, v34, v35
	; wave barrier
	s_delay_alu instid0(VALU_DEP_1) | instskip(NEXT) | instid1(VALU_DEP_1)
	v_and_b32_e32 v33, v34, v33
	v_mbcnt_lo_u32_b32 v105, v33, 0
	v_cmp_ne_u32_e64 s20, 0, v33
	s_delay_alu instid0(VALU_DEP_2)
	v_cmp_eq_u32_e64 s19, 0, v105
	s_and_b32 s20, s20, s19
	s_wait_alu 0xfffe
	s_and_saveexec_b32 s19, s20
	s_cbranch_execz .LBB247_69
; %bb.68:
	s_wait_dscnt 0x0
	v_bcnt_u32_b32 v33, v33, v0
	ds_store_b32 v106, v33 offset:16
.LBB247_69:
	s_wait_alu 0xfffe
	s_or_b32 exec_lo, exec_lo, s19
	; wave barrier
	s_wait_loadcnt_dscnt 0x0
	s_barrier_signal -1
	s_barrier_wait -1
	global_inv scope:SCOPE_SE
	ds_load_b128 v[37:40], v67 offset:16
	ds_load_b128 v[33:36], v67 offset:32
	s_wait_dscnt 0x1
	v_add_nc_u32_e32 v107, v38, v37
	s_delay_alu instid0(VALU_DEP_1) | instskip(SKIP_1) | instid1(VALU_DEP_1)
	v_add3_u32 v107, v107, v39, v40
	s_wait_dscnt 0x0
	v_add3_u32 v107, v107, v33, v34
	s_delay_alu instid0(VALU_DEP_1) | instskip(NEXT) | instid1(VALU_DEP_1)
	v_add3_u32 v36, v107, v35, v36
	v_mov_b32_dpp v107, v36 row_shr:1 row_mask:0xf bank_mask:0xf
	s_delay_alu instid0(VALU_DEP_1) | instskip(NEXT) | instid1(VALU_DEP_1)
	v_cndmask_b32_e64 v107, v107, 0, s8
	v_add_nc_u32_e32 v36, v107, v36
	s_delay_alu instid0(VALU_DEP_1) | instskip(NEXT) | instid1(VALU_DEP_1)
	v_mov_b32_dpp v107, v36 row_shr:2 row_mask:0xf bank_mask:0xf
	v_cndmask_b32_e64 v107, 0, v107, s10
	s_delay_alu instid0(VALU_DEP_1) | instskip(NEXT) | instid1(VALU_DEP_1)
	v_add_nc_u32_e32 v36, v36, v107
	v_mov_b32_dpp v107, v36 row_shr:4 row_mask:0xf bank_mask:0xf
	s_delay_alu instid0(VALU_DEP_1) | instskip(NEXT) | instid1(VALU_DEP_1)
	v_cndmask_b32_e64 v107, 0, v107, s11
	v_add_nc_u32_e32 v36, v36, v107
	s_delay_alu instid0(VALU_DEP_1) | instskip(NEXT) | instid1(VALU_DEP_1)
	v_mov_b32_dpp v107, v36 row_shr:8 row_mask:0xf bank_mask:0xf
	v_cndmask_b32_e64 v107, 0, v107, s13
	s_delay_alu instid0(VALU_DEP_1) | instskip(SKIP_3) | instid1(VALU_DEP_1)
	v_add_nc_u32_e32 v36, v36, v107
	ds_swizzle_b32 v107, v36 offset:swizzle(BROADCAST,32,15)
	s_wait_dscnt 0x0
	v_cndmask_b32_e64 v107, v107, 0, s16
	v_add_nc_u32_e32 v36, v36, v107
	s_and_saveexec_b32 s8, s14
; %bb.70:
	ds_store_b32 v82, v36
; %bb.71:
	s_wait_alu 0xfffe
	s_or_b32 exec_lo, exec_lo, s8
	s_wait_loadcnt_dscnt 0x0
	s_barrier_signal -1
	s_barrier_wait -1
	global_inv scope:SCOPE_SE
	s_and_saveexec_b32 s8, s15
	s_cbranch_execz .LBB247_73
; %bb.72:
	ds_load_b32 v82, v83
	s_wait_dscnt 0x0
	v_mov_b32_dpp v107, v82 row_shr:1 row_mask:0xf bank_mask:0xf
	s_delay_alu instid0(VALU_DEP_1) | instskip(NEXT) | instid1(VALU_DEP_1)
	v_cndmask_b32_e64 v107, v107, 0, s12
	v_add_nc_u32_e32 v82, v107, v82
	s_delay_alu instid0(VALU_DEP_1) | instskip(NEXT) | instid1(VALU_DEP_1)
	v_mov_b32_dpp v107, v82 row_shr:2 row_mask:0xf bank_mask:0xf
	v_cndmask_b32_e64 v107, 0, v107, s9
	s_delay_alu instid0(VALU_DEP_1)
	v_add_nc_u32_e32 v82, v82, v107
	ds_store_b32 v83, v82
.LBB247_73:
	s_wait_alu 0xfffe
	s_or_b32 exec_lo, exec_lo, s8
	v_mov_b32_e32 v82, 0
	s_wait_loadcnt_dscnt 0x0
	s_barrier_signal -1
	s_barrier_wait -1
	global_inv scope:SCOPE_SE
	s_and_saveexec_b32 s8, s17
; %bb.74:
	ds_load_b32 v82, v84
; %bb.75:
	s_wait_alu 0xfffe
	s_or_b32 exec_lo, exec_lo, s8
	s_wait_dscnt 0x0
	v_add_nc_u32_e32 v36, v82, v36
	ds_bpermute_b32 v36, v85, v36
	s_wait_dscnt 0x0
	v_cndmask_b32_e32 v36, v36, v82, vcc_lo
	s_delay_alu instid0(VALU_DEP_1) | instskip(NEXT) | instid1(VALU_DEP_1)
	v_cndmask_b32_e64 v36, v36, 0, s18
	v_add_nc_u32_e32 v37, v36, v37
	s_delay_alu instid0(VALU_DEP_1) | instskip(NEXT) | instid1(VALU_DEP_1)
	v_add_nc_u32_e32 v38, v37, v38
	v_add_nc_u32_e32 v39, v38, v39
	s_delay_alu instid0(VALU_DEP_1) | instskip(NEXT) | instid1(VALU_DEP_1)
	v_add_nc_u32_e32 v82, v39, v40
	;; [unrolled: 3-line block ×3, first 2 shown]
	v_add_nc_u32_e32 v85, v84, v35
	ds_store_b128 v67, v[36:39] offset:16
	ds_store_b128 v67, v[82:85] offset:32
	s_wait_loadcnt_dscnt 0x0
	s_barrier_signal -1
	s_barrier_wait -1
	global_inv scope:SCOPE_SE
	ds_load_b32 v33, v106 offset:16
	ds_load_b32 v34, v104 offset:16
	;; [unrolled: 1-line block ×8, first 2 shown]
	v_lshlrev_b32_e32 v82, 1, v66
	s_wait_loadcnt_dscnt 0x0
	s_barrier_signal -1
	s_barrier_wait -1
	global_inv scope:SCOPE_SE
	v_mad_u32_u24 v83, v46, 48, v82
	v_add3_u32 v84, v105, v0, v33
	v_add3_u32 v85, v103, v102, v34
	;; [unrolled: 1-line block ×3, first 2 shown]
	v_add_nc_u32_e32 v81, v36, v81
	v_add3_u32 v87, v88, v87, v37
	v_add3_u32 v88, v91, v90, v38
	;; [unrolled: 1-line block ×4, first 2 shown]
	v_lshlrev_b32_e32 v0, 1, v81
	v_lshlrev_b32_e32 v33, 1, v87
	;; [unrolled: 1-line block ×8, first 2 shown]
	ds_store_b16 v0, v74
	ds_store_b16 v33, v75
	;; [unrolled: 1-line block ×8, first 2 shown]
	v_mad_co_u64_u32 v[73:74], null, v81, 6, v[0:1]
	v_mad_co_u64_u32 v[74:75], null, v87, 6, v[33:34]
	v_mad_co_u64_u32 v[75:76], null, v88, 6, v[34:35]
	v_mad_co_u64_u32 v[76:77], null, v89, 6, v[35:36]
	s_wait_loadcnt_dscnt 0x0
	s_barrier_signal -1
	s_barrier_wait -1
	global_inv scope:SCOPE_SE
	v_mad_co_u64_u32 v[77:78], null, v40, 6, v[36:37]
	ds_load_b128 v[33:36], v82
	v_mad_co_u64_u32 v[78:79], null, v86, 6, v[37:38]
	v_mad_co_u64_u32 v[37:38], null, v85, 6, v[38:39]
	v_mad_co_u64_u32 v[38:39], null, v84, 6, v[39:40]
	s_wait_loadcnt_dscnt 0x0
	s_barrier_signal -1
	s_barrier_wait -1
	global_inv scope:SCOPE_SE
	ds_store_b64 v73, v[21:22]
	ds_store_b64 v74, v[23:24]
	;; [unrolled: 1-line block ×8, first 2 shown]
	s_wait_loadcnt_dscnt 0x0
	s_barrier_signal -1
	s_barrier_wait -1
	global_inv scope:SCOPE_SE
	ds_load_b128 v[29:32], v83
	ds_load_b128 v[25:28], v83 offset:16
	ds_load_b128 v[21:24], v83 offset:32
	;; [unrolled: 1-line block ×3, first 2 shown]
	v_cmp_lt_i16_e32 vcc_lo, -1, v33
	v_lshrrev_b32_e32 v0, 16, v33
	v_lshrrev_b32_e32 v38, 16, v34
	;; [unrolled: 1-line block ×4, first 2 shown]
	s_wait_alu 0xfffd
	v_cndmask_b32_e64 v37, 0xffff8000, -1, vcc_lo
	v_cmp_lt_i16_e32 vcc_lo, -1, v34
	s_wait_alu 0xfffd
	v_cndmask_b32_e64 v39, 0xffff8000, -1, vcc_lo
	v_cmp_lt_i16_e32 vcc_lo, -1, v35
	;; [unrolled: 3-line block ×5, first 2 shown]
	s_delay_alu instid0(VALU_DEP_2) | instskip(SKIP_3) | instid1(VALU_DEP_3)
	v_perm_b32 v0, v0, v37, 0x5040100
	s_wait_alu 0xfffd
	v_cndmask_b32_e64 v38, 0xffff8000, -1, vcc_lo
	v_cmp_lt_i16_e32 vcc_lo, -1, v40
	v_xor_b32_e32 v0, v0, v33
	s_delay_alu instid0(VALU_DEP_3) | instskip(SKIP_3) | instid1(VALU_DEP_3)
	v_perm_b32 v37, v38, v39, 0x5040100
	s_wait_alu 0xfffd
	v_cndmask_b32_e64 v40, 0xffff8000, -1, vcc_lo
	v_cmp_lt_i16_e32 vcc_lo, -1, v74
	v_xor_b32_e32 v34, v37, v34
	s_delay_alu instid0(VALU_DEP_3) | instskip(SKIP_2) | instid1(VALU_DEP_2)
	v_perm_b32 v38, v40, v73, 0x5040100
	s_wait_alu 0xfffd
	v_cndmask_b32_e64 v74, 0xffff8000, -1, vcc_lo
	v_xor_b32_e32 v33, v38, v35
	s_delay_alu instid0(VALU_DEP_2) | instskip(NEXT) | instid1(VALU_DEP_1)
	v_perm_b32 v39, v74, v75, 0x5040100
	v_xor_b32_e32 v35, v39, v36
	s_branch .LBB247_128
.LBB247_76:
	v_lshlrev_b64_e32 v[1:2], 3, v[41:42]
	v_dual_mov_b32 v43, v42 :: v_dual_mov_b32 v10, v42
	v_dual_mov_b32 v9, v42 :: v_dual_mov_b32 v12, v42
	v_mov_b32_e32 v11, v42
	s_delay_alu instid0(VALU_DEP_4)
	v_add_co_u32 v1, vcc_lo, s34, v1
	s_wait_alu 0xfffd
	v_add_co_ci_u32_e64 v2, null, s35, v2, vcc_lo
	v_dual_mov_b32 v3, v42 :: v_dual_mov_b32 v6, v42
	v_dual_mov_b32 v5, v42 :: v_dual_mov_b32 v8, v42
	global_load_b64 v[13:14], v[1:2], off
	v_dual_mov_b32 v1, v42 :: v_dual_mov_b32 v4, v42
	v_dual_mov_b32 v2, v42 :: v_dual_mov_b32 v7, v42
	s_or_b32 exec_lo, exec_lo, s9
	s_and_saveexec_b32 s9, s1
	s_cbranch_execz .LBB247_22
.LBB247_77:
	v_mul_lo_u32 v22, s28, v15
	v_mov_b32_e32 v23, 0
	s_delay_alu instid0(VALU_DEP_1) | instskip(NEXT) | instid1(VALU_DEP_1)
	v_lshlrev_b64_e32 v[22:23], 3, v[22:23]
	v_add_co_u32 v22, vcc_lo, s34, v22
	s_wait_alu 0xfffd
	s_delay_alu instid0(VALU_DEP_2)
	v_add_co_ci_u32_e64 v23, null, s35, v23, vcc_lo
	global_load_b64 v[42:43], v[22:23], off
	s_or_b32 exec_lo, exec_lo, s9
	s_and_saveexec_b32 s9, s2
	s_cbranch_execz .LBB247_23
.LBB247_78:
	v_mul_lo_u32 v9, s28, v16
	v_mov_b32_e32 v10, 0
	s_delay_alu instid0(VALU_DEP_1) | instskip(NEXT) | instid1(VALU_DEP_1)
	v_lshlrev_b64_e32 v[9:10], 3, v[9:10]
	v_add_co_u32 v9, vcc_lo, s34, v9
	s_wait_alu 0xfffd
	s_delay_alu instid0(VALU_DEP_2)
	v_add_co_ci_u32_e64 v10, null, s35, v10, vcc_lo
	global_load_b64 v[9:10], v[9:10], off
	s_or_b32 exec_lo, exec_lo, s9
	s_and_saveexec_b32 s9, s3
	s_cbranch_execz .LBB247_24
.LBB247_79:
	v_mul_lo_u32 v11, s28, v17
	v_mov_b32_e32 v12, 0
	s_delay_alu instid0(VALU_DEP_1) | instskip(NEXT) | instid1(VALU_DEP_1)
	v_lshlrev_b64_e32 v[11:12], 3, v[11:12]
	v_add_co_u32 v11, vcc_lo, s34, v11
	s_wait_alu 0xfffd
	s_delay_alu instid0(VALU_DEP_2)
	v_add_co_ci_u32_e64 v12, null, s35, v12, vcc_lo
	global_load_b64 v[11:12], v[11:12], off
	s_or_b32 exec_lo, exec_lo, s9
	s_and_saveexec_b32 s9, s4
	s_cbranch_execz .LBB247_25
.LBB247_80:
	v_mul_lo_u32 v1, s28, v18
	v_mov_b32_e32 v2, 0
	s_delay_alu instid0(VALU_DEP_1) | instskip(NEXT) | instid1(VALU_DEP_1)
	v_lshlrev_b64_e32 v[1:2], 3, v[1:2]
	v_add_co_u32 v1, vcc_lo, s34, v1
	s_wait_alu 0xfffd
	s_delay_alu instid0(VALU_DEP_2)
	v_add_co_ci_u32_e64 v2, null, s35, v2, vcc_lo
	global_load_b64 v[1:2], v[1:2], off
	s_or_b32 exec_lo, exec_lo, s9
	s_and_saveexec_b32 s9, s5
	s_cbranch_execz .LBB247_26
.LBB247_81:
	v_mul_lo_u32 v3, s28, v19
	v_mov_b32_e32 v4, 0
	s_delay_alu instid0(VALU_DEP_1) | instskip(NEXT) | instid1(VALU_DEP_1)
	v_lshlrev_b64_e32 v[3:4], 3, v[3:4]
	v_add_co_u32 v3, vcc_lo, s34, v3
	s_wait_alu 0xfffd
	s_delay_alu instid0(VALU_DEP_2)
	v_add_co_ci_u32_e64 v4, null, s35, v4, vcc_lo
	global_load_b64 v[3:4], v[3:4], off
	s_or_b32 exec_lo, exec_lo, s9
	s_and_saveexec_b32 s9, s6
	s_cbranch_execnz .LBB247_27
	s_branch .LBB247_28
.LBB247_82:
                                        ; implicit-def: $vgpr19_vgpr20
                                        ; implicit-def: $vgpr23_vgpr24
                                        ; implicit-def: $vgpr27_vgpr28
                                        ; implicit-def: $vgpr31_vgpr32
                                        ; implicit-def: $vgpr35
                                        ; implicit-def: $vgpr33
                                        ; implicit-def: $vgpr34
                                        ; implicit-def: $vgpr0
	s_cbranch_execz .LBB247_128
; %bb.83:
	v_lshrrev_b32_e32 v0, 16, v49
	v_cmp_gt_i16_e32 vcc_lo, 0, v49
	s_wait_dscnt 0x0
	v_lshrrev_b32_e32 v17, 16, v50
	v_lshrrev_b32_e32 v18, 16, v47
	;; [unrolled: 1-line block ×3, first 2 shown]
	v_or_b32_e32 v21, v69, v70
	s_wait_alu 0xfffd
	v_cndmask_b32_e64 v20, 0x7fff, 0, vcc_lo
	v_cmp_gt_i16_e32 vcc_lo, 0, v0
	v_and_or_b32 v36, 0x1f00, v66, v69
	s_mov_b32 s12, 0
	s_getpc_b64 s[8:9]
	s_sext_i32_i16 s9, s9
	s_add_co_u32 s8, s8, _ZN7rocprim17ROCPRIM_400000_NS16block_radix_sortI12hip_bfloat16Lj128ELj8ElLj1ELj1ELj0ELNS0_26block_radix_rank_algorithmE1ELNS0_18block_padding_hintE2ELNS0_4arch9wavefront6targetE0EE19radix_bits_per_passE@rel32@lo+8
	s_add_co_ci_u32 s9, s9, _ZN7rocprim17ROCPRIM_400000_NS16block_radix_sortI12hip_bfloat16Lj128ELj8ElLj1ELj1ELj0ELNS0_26block_radix_rank_algorithmE1ELNS0_18block_padding_hintE2ELNS0_4arch9wavefront6targetE0EE19radix_bits_per_passE@rel32@hi+16
	s_mov_b32 s13, s12
	s_wait_alu 0xfffd
	v_cndmask_b32_e64 v0, 0x7fff, 0, vcc_lo
	v_cmp_gt_i16_e32 vcc_lo, 0, v50
	s_mov_b32 s14, s12
	s_mov_b32 s15, s12
	v_lshlrev_b32_e32 v25, 1, v36
	v_perm_b32 v0, v0, v20, 0x5040100
	s_wait_alu 0xfffd
	v_cndmask_b32_e64 v22, 0x7fff, 0, vcc_lo
	v_cmp_gt_i16_e32 vcc_lo, 0, v17
	s_load_b32 s19, s[8:9], 0x0
	v_cndmask_b32_e64 v17, 0x7fff, 0, vcc_lo
	v_cmp_gt_i16_e32 vcc_lo, 0, v47
	s_delay_alu instid0(VALU_DEP_2)
	v_perm_b32 v20, v17, v22, 0x5040100
	s_wait_alu 0xfffd
	v_cndmask_b32_e64 v23, 0x7fff, 0, vcc_lo
	v_cmp_gt_i16_e32 vcc_lo, 0, v18
	v_xor_b32_e32 v17, v0, v49
	s_wait_alu 0xfffd
	v_cndmask_b32_e64 v18, 0x7fff, 0, vcc_lo
	v_cmp_gt_i16_e32 vcc_lo, 0, v48
	s_wait_kmcnt 0x0
	s_min_u32 s8, s19, 16
	s_delay_alu instid0(VALU_DEP_2)
	v_perm_b32 v22, v18, v23, 0x5040100
	s_wait_alu 0xfffd
	v_cndmask_b32_e64 v24, 0x7fff, 0, vcc_lo
	v_cmp_gt_i16_e32 vcc_lo, 0, v19
	v_lshlrev_b32_e32 v23, 4, v21
	v_xor_b32_e32 v18, v20, v50
	s_lshl_b32 s8, -1, s8
	s_wait_alu 0xfffd
	v_cndmask_b32_e64 v19, 0x7fff, 0, vcc_lo
	s_not_b32 s9, s8
	s_delay_alu instid0(VALU_DEP_1) | instskip(SKIP_1) | instid1(VALU_DEP_2)
	v_perm_b32 v24, v19, v24, 0x5040100
	v_xor_b32_e32 v19, v22, v47
	v_xor_b32_e32 v20, v24, v48
	ds_store_b128 v23, v[17:20]
	; wave barrier
	ds_load_u16 v26, v25
	ds_load_u16 v27, v25 offset:64
	ds_load_u16 v28, v25 offset:128
	;; [unrolled: 1-line block ×7, first 2 shown]
	s_wait_loadcnt_dscnt 0x0
	s_barrier_signal -1
	s_barrier_wait -1
	global_inv scope:SCOPE_SE
	v_cmp_ne_u16_e32 vcc_lo, 0x8000, v26
	s_wait_alu 0xfffd
	v_cndmask_b32_e32 v0, 0x7fff, v26, vcc_lo
	v_mad_u32_u24 v17, v21, 48, v23
	ds_store_b128 v17, v[13:16]
	ds_store_b128 v17, v[9:12] offset:16
	v_and_b32_e32 v0, 0xffff, v0
	ds_store_b128 v17, v[5:8] offset:32
	ds_store_b128 v17, v[1:4] offset:48
	v_mad_u32_u24 v12, v36, 6, v25
	; wave barrier
	v_and_b32_e32 v23, s9, v0
	ds_load_2addr_b64 v[8:11], v12 offset1:32
	ds_load_2addr_b64 v[0:3], v12 offset0:64 offset1:96
	v_and_b32_e32 v4, 1, v23
	v_lshlrev_b32_e32 v18, 30, v23
	v_lshlrev_b32_e32 v19, 29, v23
	;; [unrolled: 1-line block ×3, first 2 shown]
	s_delay_alu instid0(VALU_DEP_4)
	v_add_co_u32 v16, s8, v4, -1
	s_wait_alu 0xf1ff
	v_cndmask_b32_e64 v17, 0, 1, s8
	ds_load_2addr_b64 v[4:7], v12 offset0:128 offset1:160
	ds_load_2addr_b64 v[12:15], v12 offset0:192 offset1:224
	s_wait_loadcnt_dscnt 0x0
	s_barrier_signal -1
	v_cmp_ne_u32_e32 vcc_lo, 0, v17
	v_not_b32_e32 v17, v18
	s_barrier_wait -1
	global_inv scope:SCOPE_SE
	s_load_b32 s8, s[36:37], 0xc
	v_xor_b32_e32 v16, vcc_lo, v16
	v_cmp_gt_i32_e32 vcc_lo, 0, v18
	v_ashrrev_i32_e32 v17, 31, v17
	v_not_b32_e32 v18, v19
	s_delay_alu instid0(VALU_DEP_4) | instskip(SKIP_1) | instid1(VALU_DEP_3)
	v_and_b32_e32 v16, exec_lo, v16
	s_wait_alu 0xfffd
	v_xor_b32_e32 v17, vcc_lo, v17
	v_cmp_gt_i32_e32 vcc_lo, 0, v19
	v_ashrrev_i32_e32 v18, 31, v18
	v_not_b32_e32 v19, v20
	s_delay_alu instid0(VALU_DEP_4)
	v_and_b32_e32 v16, v16, v17
	v_lshlrev_b32_e32 v17, 27, v23
	s_wait_alu 0xfffd
	v_xor_b32_e32 v18, vcc_lo, v18
	v_cmp_gt_i32_e32 vcc_lo, 0, v20
	v_ashrrev_i32_e32 v19, 31, v19
	v_not_b32_e32 v20, v17
	s_delay_alu instid0(VALU_DEP_4)
	v_and_b32_e32 v16, v16, v18
	v_lshlrev_b32_e32 v18, 26, v23
	s_wait_alu 0xfffd
	v_xor_b32_e32 v19, vcc_lo, v19
	v_cmp_gt_i32_e32 vcc_lo, 0, v17
	v_ashrrev_i32_e32 v17, 31, v20
	s_wait_kmcnt 0x0
	s_lshr_b32 s10, s8, 16
	v_not_b32_e32 v20, v18
	v_and_b32_e32 v16, v16, v19
	v_lshlrev_b32_e32 v19, 25, v23
	s_wait_alu 0xfffd
	v_xor_b32_e32 v17, vcc_lo, v17
	v_cmp_gt_i32_e32 vcc_lo, 0, v18
	v_ashrrev_i32_e32 v18, 31, v20
	v_mad_u32_u24 v21, v72, s10, v71
	v_not_b32_e32 v20, v19
	v_and_b32_e32 v16, v16, v17
	v_lshlrev_b32_e32 v17, 24, v23
	s_wait_alu 0xfffd
	v_xor_b32_e32 v18, vcc_lo, v18
	v_cmp_gt_i32_e32 vcc_lo, 0, v19
	v_ashrrev_i32_e32 v19, 31, v20
	s_and_b32 s8, s8, 0xffff
	v_not_b32_e32 v20, v17
	v_and_b32_e32 v16, v16, v18
	s_wait_alu 0xfffe
	v_mad_co_u64_u32 v[21:22], null, v21, s8, v[46:47]
	s_wait_alu 0xfffd
	v_xor_b32_e32 v18, vcc_lo, v19
	v_cmp_gt_i32_e32 vcc_lo, 0, v17
	v_ashrrev_i32_e32 v17, 31, v20
	s_delay_alu instid0(VALU_DEP_3) | instskip(SKIP_2) | instid1(VALU_DEP_3)
	v_and_b32_e32 v16, v16, v18
	v_lshrrev_b32_e32 v21, 5, v21
	s_wait_alu 0xfffd
	v_xor_b32_e32 v22, vcc_lo, v17
	v_dual_mov_b32 v20, s15 :: v_dual_mov_b32 v19, s14
	v_dual_mov_b32 v18, s13 :: v_dual_mov_b32 v17, s12
	s_delay_alu instid0(VALU_DEP_3)
	v_and_b32_e32 v16, v16, v22
	ds_store_b128 v67, v[17:20] offset:16
	ds_store_b128 v67, v[17:20] offset:32
	v_mbcnt_lo_u32_b32 v38, v16, 0
	v_lshlrev_b32_e32 v24, 2, v21
	v_lshlrev_b32_e32 v17, 4, v23
	v_cmp_ne_u32_e64 s8, 0, v16
	s_wait_loadcnt_dscnt 0x0
	v_cmp_eq_u32_e32 vcc_lo, 0, v38
	s_barrier_signal -1
	v_add_nc_u32_e32 v39, v24, v17
	s_barrier_wait -1
	global_inv scope:SCOPE_SE
	s_and_b32 s10, s8, vcc_lo
	; wave barrier
	s_wait_alu 0xfffe
	s_and_saveexec_b32 s8, s10
; %bb.84:
	v_bcnt_u32_b32 v16, v16, 0
	ds_store_b32 v39, v16 offset:16
; %bb.85:
	s_wait_alu 0xfffe
	s_or_b32 exec_lo, exec_lo, s8
	v_cmp_ne_u16_e32 vcc_lo, 0x8000, v27
	; wave barrier
	s_wait_alu 0xfffd
	v_cndmask_b32_e32 v16, 0x7fff, v27, vcc_lo
	s_delay_alu instid0(VALU_DEP_1) | instskip(NEXT) | instid1(VALU_DEP_1)
	v_and_b32_e32 v16, 0xffff, v16
	v_and_b32_e32 v16, s9, v16
	s_delay_alu instid0(VALU_DEP_1)
	v_and_b32_e32 v17, 1, v16
	v_lshlrev_b32_e32 v18, 30, v16
	v_lshlrev_b32_e32 v19, 29, v16
	;; [unrolled: 1-line block ×4, first 2 shown]
	v_add_co_u32 v17, s8, v17, -1
	s_wait_alu 0xf1ff
	v_cndmask_b32_e64 v21, 0, 1, s8
	v_not_b32_e32 v35, v18
	v_cmp_gt_i32_e64 s8, 0, v18
	v_not_b32_e32 v18, v19
	v_lshlrev_b32_e32 v23, 26, v16
	v_cmp_ne_u32_e32 vcc_lo, 0, v21
	v_ashrrev_i32_e32 v35, 31, v35
	v_lshlrev_b32_e32 v34, 25, v16
	v_ashrrev_i32_e32 v18, 31, v18
	v_lshlrev_b32_e32 v21, 24, v16
	s_wait_alu 0xfffd
	v_xor_b32_e32 v17, vcc_lo, v17
	v_cmp_gt_i32_e32 vcc_lo, 0, v19
	v_not_b32_e32 v19, v20
	s_wait_alu 0xf1ff
	v_xor_b32_e32 v35, s8, v35
	v_cmp_gt_i32_e64 s8, 0, v20
	v_and_b32_e32 v17, exec_lo, v17
	v_not_b32_e32 v20, v22
	v_ashrrev_i32_e32 v19, 31, v19
	s_wait_alu 0xfffd
	v_xor_b32_e32 v18, vcc_lo, v18
	v_cmp_gt_i32_e32 vcc_lo, 0, v22
	v_and_b32_e32 v17, v17, v35
	v_not_b32_e32 v22, v23
	v_ashrrev_i32_e32 v20, 31, v20
	s_wait_alu 0xf1ff
	v_xor_b32_e32 v19, s8, v19
	v_cmp_gt_i32_e64 s8, 0, v23
	v_and_b32_e32 v17, v17, v18
	v_not_b32_e32 v18, v34
	v_ashrrev_i32_e32 v22, 31, v22
	s_wait_alu 0xfffd
	v_xor_b32_e32 v20, vcc_lo, v20
	v_cmp_gt_i32_e32 vcc_lo, 0, v34
	v_and_b32_e32 v17, v17, v19
	v_not_b32_e32 v19, v21
	v_ashrrev_i32_e32 v18, 31, v18
	s_wait_alu 0xf1ff
	v_xor_b32_e32 v22, s8, v22
	v_lshlrev_b32_e32 v16, 4, v16
	v_and_b32_e32 v17, v17, v20
	v_cmp_gt_i32_e64 s8, 0, v21
	v_ashrrev_i32_e32 v19, 31, v19
	s_wait_alu 0xfffd
	v_xor_b32_e32 v18, vcc_lo, v18
	v_add_nc_u32_e32 v48, v24, v16
	v_and_b32_e32 v17, v17, v22
	s_wait_alu 0xf1ff
	v_xor_b32_e32 v16, s8, v19
	ds_load_b32 v40, v48 offset:16
	v_and_b32_e32 v17, v17, v18
	; wave barrier
	s_delay_alu instid0(VALU_DEP_1) | instskip(NEXT) | instid1(VALU_DEP_1)
	v_and_b32_e32 v16, v17, v16
	v_mbcnt_lo_u32_b32 v47, v16, 0
	v_cmp_ne_u32_e64 s8, 0, v16
	s_delay_alu instid0(VALU_DEP_2)
	v_cmp_eq_u32_e32 vcc_lo, 0, v47
	s_and_b32 s10, s8, vcc_lo
	s_wait_alu 0xfffe
	s_and_saveexec_b32 s8, s10
	s_cbranch_execz .LBB247_87
; %bb.86:
	s_wait_dscnt 0x0
	v_bcnt_u32_b32 v16, v16, v40
	ds_store_b32 v48, v16 offset:16
.LBB247_87:
	s_wait_alu 0xfffe
	s_or_b32 exec_lo, exec_lo, s8
	v_cmp_ne_u16_e32 vcc_lo, 0x8000, v28
	; wave barrier
	s_wait_alu 0xfffd
	v_cndmask_b32_e32 v16, 0x7fff, v28, vcc_lo
	s_delay_alu instid0(VALU_DEP_1) | instskip(NEXT) | instid1(VALU_DEP_1)
	v_and_b32_e32 v16, 0xffff, v16
	v_and_b32_e32 v16, s9, v16
	s_delay_alu instid0(VALU_DEP_1)
	v_and_b32_e32 v17, 1, v16
	v_lshlrev_b32_e32 v18, 30, v16
	v_lshlrev_b32_e32 v19, 29, v16
	;; [unrolled: 1-line block ×4, first 2 shown]
	v_add_co_u32 v17, s8, v17, -1
	s_wait_alu 0xf1ff
	v_cndmask_b32_e64 v21, 0, 1, s8
	v_not_b32_e32 v35, v18
	v_cmp_gt_i32_e64 s8, 0, v18
	v_not_b32_e32 v18, v19
	v_lshlrev_b32_e32 v23, 26, v16
	v_cmp_ne_u32_e32 vcc_lo, 0, v21
	v_ashrrev_i32_e32 v35, 31, v35
	v_lshlrev_b32_e32 v34, 25, v16
	v_ashrrev_i32_e32 v18, 31, v18
	v_lshlrev_b32_e32 v21, 24, v16
	s_wait_alu 0xfffd
	v_xor_b32_e32 v17, vcc_lo, v17
	v_cmp_gt_i32_e32 vcc_lo, 0, v19
	v_not_b32_e32 v19, v20
	s_wait_alu 0xf1ff
	v_xor_b32_e32 v35, s8, v35
	v_cmp_gt_i32_e64 s8, 0, v20
	v_and_b32_e32 v17, exec_lo, v17
	v_not_b32_e32 v20, v22
	v_ashrrev_i32_e32 v19, 31, v19
	s_wait_alu 0xfffd
	v_xor_b32_e32 v18, vcc_lo, v18
	v_cmp_gt_i32_e32 vcc_lo, 0, v22
	v_and_b32_e32 v17, v17, v35
	v_not_b32_e32 v22, v23
	v_ashrrev_i32_e32 v20, 31, v20
	s_wait_alu 0xf1ff
	v_xor_b32_e32 v19, s8, v19
	v_cmp_gt_i32_e64 s8, 0, v23
	v_and_b32_e32 v17, v17, v18
	v_not_b32_e32 v18, v34
	v_ashrrev_i32_e32 v22, 31, v22
	s_wait_alu 0xfffd
	v_xor_b32_e32 v20, vcc_lo, v20
	v_cmp_gt_i32_e32 vcc_lo, 0, v34
	v_and_b32_e32 v17, v17, v19
	v_not_b32_e32 v19, v21
	v_ashrrev_i32_e32 v18, 31, v18
	s_wait_alu 0xf1ff
	v_xor_b32_e32 v22, s8, v22
	v_lshlrev_b32_e32 v16, 4, v16
	v_and_b32_e32 v17, v17, v20
	v_cmp_gt_i32_e64 s8, 0, v21
	v_ashrrev_i32_e32 v19, 31, v19
	s_wait_alu 0xfffd
	v_xor_b32_e32 v18, vcc_lo, v18
	v_add_nc_u32_e32 v71, v24, v16
	v_and_b32_e32 v17, v17, v22
	s_wait_alu 0xf1ff
	v_xor_b32_e32 v16, s8, v19
	ds_load_b32 v49, v71 offset:16
	v_and_b32_e32 v17, v17, v18
	; wave barrier
	s_delay_alu instid0(VALU_DEP_1) | instskip(NEXT) | instid1(VALU_DEP_1)
	v_and_b32_e32 v16, v17, v16
	v_mbcnt_lo_u32_b32 v50, v16, 0
	v_cmp_ne_u32_e64 s8, 0, v16
	s_delay_alu instid0(VALU_DEP_2)
	v_cmp_eq_u32_e32 vcc_lo, 0, v50
	s_and_b32 s10, s8, vcc_lo
	s_wait_alu 0xfffe
	s_and_saveexec_b32 s8, s10
	s_cbranch_execz .LBB247_89
; %bb.88:
	s_wait_dscnt 0x0
	v_bcnt_u32_b32 v16, v16, v49
	ds_store_b32 v71, v16 offset:16
.LBB247_89:
	s_wait_alu 0xfffe
	s_or_b32 exec_lo, exec_lo, s8
	v_cmp_ne_u16_e32 vcc_lo, 0x8000, v29
	; wave barrier
	s_wait_alu 0xfffd
	v_cndmask_b32_e32 v16, 0x7fff, v29, vcc_lo
	s_delay_alu instid0(VALU_DEP_1) | instskip(NEXT) | instid1(VALU_DEP_1)
	v_and_b32_e32 v16, 0xffff, v16
	v_and_b32_e32 v16, s9, v16
	s_delay_alu instid0(VALU_DEP_1)
	v_and_b32_e32 v17, 1, v16
	v_lshlrev_b32_e32 v18, 30, v16
	v_lshlrev_b32_e32 v19, 29, v16
	;; [unrolled: 1-line block ×4, first 2 shown]
	v_add_co_u32 v17, s8, v17, -1
	s_wait_alu 0xf1ff
	v_cndmask_b32_e64 v21, 0, 1, s8
	v_not_b32_e32 v35, v18
	v_cmp_gt_i32_e64 s8, 0, v18
	v_not_b32_e32 v18, v19
	v_lshlrev_b32_e32 v23, 26, v16
	v_cmp_ne_u32_e32 vcc_lo, 0, v21
	v_ashrrev_i32_e32 v35, 31, v35
	v_lshlrev_b32_e32 v34, 25, v16
	v_ashrrev_i32_e32 v18, 31, v18
	v_lshlrev_b32_e32 v21, 24, v16
	s_wait_alu 0xfffd
	v_xor_b32_e32 v17, vcc_lo, v17
	v_cmp_gt_i32_e32 vcc_lo, 0, v19
	v_not_b32_e32 v19, v20
	s_wait_alu 0xf1ff
	v_xor_b32_e32 v35, s8, v35
	v_cmp_gt_i32_e64 s8, 0, v20
	v_and_b32_e32 v17, exec_lo, v17
	v_not_b32_e32 v20, v22
	v_ashrrev_i32_e32 v19, 31, v19
	s_wait_alu 0xfffd
	v_xor_b32_e32 v18, vcc_lo, v18
	v_cmp_gt_i32_e32 vcc_lo, 0, v22
	v_and_b32_e32 v17, v17, v35
	v_not_b32_e32 v22, v23
	v_ashrrev_i32_e32 v20, 31, v20
	s_wait_alu 0xf1ff
	v_xor_b32_e32 v19, s8, v19
	v_cmp_gt_i32_e64 s8, 0, v23
	v_and_b32_e32 v17, v17, v18
	v_not_b32_e32 v18, v34
	v_ashrrev_i32_e32 v22, 31, v22
	s_wait_alu 0xfffd
	v_xor_b32_e32 v20, vcc_lo, v20
	v_cmp_gt_i32_e32 vcc_lo, 0, v34
	v_and_b32_e32 v17, v17, v19
	v_not_b32_e32 v19, v21
	v_ashrrev_i32_e32 v18, 31, v18
	s_wait_alu 0xf1ff
	v_xor_b32_e32 v22, s8, v22
	v_lshlrev_b32_e32 v16, 4, v16
	v_and_b32_e32 v17, v17, v20
	v_cmp_gt_i32_e64 s8, 0, v21
	v_ashrrev_i32_e32 v19, 31, v19
	s_wait_alu 0xfffd
	v_xor_b32_e32 v18, vcc_lo, v18
	v_add_nc_u32_e32 v74, v24, v16
	v_and_b32_e32 v17, v17, v22
	s_wait_alu 0xf1ff
	v_xor_b32_e32 v16, s8, v19
	ds_load_b32 v72, v74 offset:16
	v_and_b32_e32 v17, v17, v18
	; wave barrier
	s_delay_alu instid0(VALU_DEP_1) | instskip(NEXT) | instid1(VALU_DEP_1)
	v_and_b32_e32 v16, v17, v16
	v_mbcnt_lo_u32_b32 v73, v16, 0
	v_cmp_ne_u32_e64 s8, 0, v16
	s_delay_alu instid0(VALU_DEP_2)
	v_cmp_eq_u32_e32 vcc_lo, 0, v73
	s_and_b32 s10, s8, vcc_lo
	s_wait_alu 0xfffe
	s_and_saveexec_b32 s8, s10
	s_cbranch_execz .LBB247_91
; %bb.90:
	s_wait_dscnt 0x0
	v_bcnt_u32_b32 v16, v16, v72
	ds_store_b32 v74, v16 offset:16
.LBB247_91:
	s_wait_alu 0xfffe
	s_or_b32 exec_lo, exec_lo, s8
	v_cmp_ne_u16_e32 vcc_lo, 0x8000, v30
	; wave barrier
	s_wait_alu 0xfffd
	v_cndmask_b32_e32 v16, 0x7fff, v30, vcc_lo
	s_delay_alu instid0(VALU_DEP_1) | instskip(NEXT) | instid1(VALU_DEP_1)
	v_and_b32_e32 v16, 0xffff, v16
	v_and_b32_e32 v16, s9, v16
	s_delay_alu instid0(VALU_DEP_1)
	v_and_b32_e32 v17, 1, v16
	v_lshlrev_b32_e32 v18, 30, v16
	v_lshlrev_b32_e32 v19, 29, v16
	;; [unrolled: 1-line block ×4, first 2 shown]
	v_add_co_u32 v17, s8, v17, -1
	s_wait_alu 0xf1ff
	v_cndmask_b32_e64 v21, 0, 1, s8
	v_not_b32_e32 v35, v18
	v_cmp_gt_i32_e64 s8, 0, v18
	v_not_b32_e32 v18, v19
	v_lshlrev_b32_e32 v23, 26, v16
	v_cmp_ne_u32_e32 vcc_lo, 0, v21
	v_ashrrev_i32_e32 v35, 31, v35
	v_lshlrev_b32_e32 v34, 25, v16
	v_ashrrev_i32_e32 v18, 31, v18
	v_lshlrev_b32_e32 v21, 24, v16
	s_wait_alu 0xfffd
	v_xor_b32_e32 v17, vcc_lo, v17
	v_cmp_gt_i32_e32 vcc_lo, 0, v19
	v_not_b32_e32 v19, v20
	s_wait_alu 0xf1ff
	v_xor_b32_e32 v35, s8, v35
	v_cmp_gt_i32_e64 s8, 0, v20
	v_and_b32_e32 v17, exec_lo, v17
	v_not_b32_e32 v20, v22
	v_ashrrev_i32_e32 v19, 31, v19
	s_wait_alu 0xfffd
	v_xor_b32_e32 v18, vcc_lo, v18
	v_cmp_gt_i32_e32 vcc_lo, 0, v22
	v_and_b32_e32 v17, v17, v35
	v_not_b32_e32 v22, v23
	v_ashrrev_i32_e32 v20, 31, v20
	s_wait_alu 0xf1ff
	v_xor_b32_e32 v19, s8, v19
	v_cmp_gt_i32_e64 s8, 0, v23
	v_and_b32_e32 v17, v17, v18
	v_not_b32_e32 v18, v34
	v_ashrrev_i32_e32 v22, 31, v22
	s_wait_alu 0xfffd
	v_xor_b32_e32 v20, vcc_lo, v20
	v_cmp_gt_i32_e32 vcc_lo, 0, v34
	v_and_b32_e32 v17, v17, v19
	v_not_b32_e32 v19, v21
	v_ashrrev_i32_e32 v18, 31, v18
	s_wait_alu 0xf1ff
	v_xor_b32_e32 v22, s8, v22
	v_lshlrev_b32_e32 v16, 4, v16
	v_and_b32_e32 v17, v17, v20
	v_cmp_gt_i32_e64 s8, 0, v21
	v_ashrrev_i32_e32 v19, 31, v19
	s_wait_alu 0xfffd
	v_xor_b32_e32 v18, vcc_lo, v18
	v_add_nc_u32_e32 v77, v24, v16
	v_and_b32_e32 v17, v17, v22
	s_wait_alu 0xf1ff
	v_xor_b32_e32 v16, s8, v19
	ds_load_b32 v75, v77 offset:16
	v_and_b32_e32 v17, v17, v18
	; wave barrier
	s_delay_alu instid0(VALU_DEP_1) | instskip(NEXT) | instid1(VALU_DEP_1)
	v_and_b32_e32 v16, v17, v16
	v_mbcnt_lo_u32_b32 v76, v16, 0
	v_cmp_ne_u32_e64 s8, 0, v16
	s_delay_alu instid0(VALU_DEP_2)
	v_cmp_eq_u32_e32 vcc_lo, 0, v76
	s_and_b32 s10, s8, vcc_lo
	s_wait_alu 0xfffe
	s_and_saveexec_b32 s8, s10
	s_cbranch_execz .LBB247_93
; %bb.92:
	s_wait_dscnt 0x0
	v_bcnt_u32_b32 v16, v16, v75
	ds_store_b32 v77, v16 offset:16
.LBB247_93:
	s_wait_alu 0xfffe
	s_or_b32 exec_lo, exec_lo, s8
	v_cmp_ne_u16_e32 vcc_lo, 0x8000, v31
	; wave barrier
	s_wait_alu 0xfffd
	v_cndmask_b32_e32 v16, 0x7fff, v31, vcc_lo
	s_delay_alu instid0(VALU_DEP_1) | instskip(NEXT) | instid1(VALU_DEP_1)
	v_and_b32_e32 v16, 0xffff, v16
	v_and_b32_e32 v16, s9, v16
	s_delay_alu instid0(VALU_DEP_1)
	v_and_b32_e32 v17, 1, v16
	v_lshlrev_b32_e32 v18, 30, v16
	v_lshlrev_b32_e32 v19, 29, v16
	;; [unrolled: 1-line block ×4, first 2 shown]
	v_add_co_u32 v17, s8, v17, -1
	s_wait_alu 0xf1ff
	v_cndmask_b32_e64 v21, 0, 1, s8
	v_not_b32_e32 v35, v18
	v_cmp_gt_i32_e64 s8, 0, v18
	v_not_b32_e32 v18, v19
	v_lshlrev_b32_e32 v23, 26, v16
	v_cmp_ne_u32_e32 vcc_lo, 0, v21
	v_ashrrev_i32_e32 v35, 31, v35
	v_lshlrev_b32_e32 v34, 25, v16
	v_ashrrev_i32_e32 v18, 31, v18
	v_lshlrev_b32_e32 v21, 24, v16
	s_wait_alu 0xfffd
	v_xor_b32_e32 v17, vcc_lo, v17
	v_cmp_gt_i32_e32 vcc_lo, 0, v19
	v_not_b32_e32 v19, v20
	s_wait_alu 0xf1ff
	v_xor_b32_e32 v35, s8, v35
	v_cmp_gt_i32_e64 s8, 0, v20
	v_and_b32_e32 v17, exec_lo, v17
	v_not_b32_e32 v20, v22
	v_ashrrev_i32_e32 v19, 31, v19
	s_wait_alu 0xfffd
	v_xor_b32_e32 v18, vcc_lo, v18
	v_cmp_gt_i32_e32 vcc_lo, 0, v22
	v_and_b32_e32 v17, v17, v35
	v_not_b32_e32 v22, v23
	v_ashrrev_i32_e32 v20, 31, v20
	s_wait_alu 0xf1ff
	v_xor_b32_e32 v19, s8, v19
	v_cmp_gt_i32_e64 s8, 0, v23
	v_and_b32_e32 v17, v17, v18
	v_not_b32_e32 v18, v34
	v_ashrrev_i32_e32 v22, 31, v22
	s_wait_alu 0xfffd
	v_xor_b32_e32 v20, vcc_lo, v20
	v_cmp_gt_i32_e32 vcc_lo, 0, v34
	v_and_b32_e32 v17, v17, v19
	v_not_b32_e32 v19, v21
	v_ashrrev_i32_e32 v18, 31, v18
	s_wait_alu 0xf1ff
	v_xor_b32_e32 v22, s8, v22
	v_lshlrev_b32_e32 v16, 4, v16
	v_and_b32_e32 v17, v17, v20
	v_cmp_gt_i32_e64 s8, 0, v21
	v_ashrrev_i32_e32 v19, 31, v19
	s_wait_alu 0xfffd
	v_xor_b32_e32 v18, vcc_lo, v18
	v_add_nc_u32_e32 v80, v24, v16
	v_and_b32_e32 v17, v17, v22
	s_wait_alu 0xf1ff
	v_xor_b32_e32 v16, s8, v19
	ds_load_b32 v78, v80 offset:16
	v_and_b32_e32 v17, v17, v18
	; wave barrier
	s_delay_alu instid0(VALU_DEP_1) | instskip(NEXT) | instid1(VALU_DEP_1)
	v_and_b32_e32 v16, v17, v16
	v_mbcnt_lo_u32_b32 v79, v16, 0
	v_cmp_ne_u32_e64 s8, 0, v16
	s_delay_alu instid0(VALU_DEP_2)
	v_cmp_eq_u32_e32 vcc_lo, 0, v79
	s_and_b32 s10, s8, vcc_lo
	s_wait_alu 0xfffe
	s_and_saveexec_b32 s8, s10
	s_cbranch_execz .LBB247_95
; %bb.94:
	s_wait_dscnt 0x0
	v_bcnt_u32_b32 v16, v16, v78
	ds_store_b32 v80, v16 offset:16
.LBB247_95:
	s_wait_alu 0xfffe
	s_or_b32 exec_lo, exec_lo, s8
	v_cmp_ne_u16_e32 vcc_lo, 0x8000, v32
	; wave barrier
	s_wait_alu 0xfffd
	v_cndmask_b32_e32 v16, 0x7fff, v32, vcc_lo
	s_delay_alu instid0(VALU_DEP_1) | instskip(NEXT) | instid1(VALU_DEP_1)
	v_and_b32_e32 v16, 0xffff, v16
	v_and_b32_e32 v16, s9, v16
	s_delay_alu instid0(VALU_DEP_1)
	v_and_b32_e32 v17, 1, v16
	v_lshlrev_b32_e32 v18, 30, v16
	v_lshlrev_b32_e32 v19, 29, v16
	;; [unrolled: 1-line block ×4, first 2 shown]
	v_add_co_u32 v17, s8, v17, -1
	s_wait_alu 0xf1ff
	v_cndmask_b32_e64 v21, 0, 1, s8
	v_not_b32_e32 v35, v18
	v_cmp_gt_i32_e64 s8, 0, v18
	v_not_b32_e32 v18, v19
	v_lshlrev_b32_e32 v23, 26, v16
	v_cmp_ne_u32_e32 vcc_lo, 0, v21
	v_ashrrev_i32_e32 v35, 31, v35
	v_lshlrev_b32_e32 v34, 25, v16
	v_ashrrev_i32_e32 v18, 31, v18
	v_lshlrev_b32_e32 v21, 24, v16
	s_wait_alu 0xfffd
	v_xor_b32_e32 v17, vcc_lo, v17
	v_cmp_gt_i32_e32 vcc_lo, 0, v19
	v_not_b32_e32 v19, v20
	s_wait_alu 0xf1ff
	v_xor_b32_e32 v35, s8, v35
	v_cmp_gt_i32_e64 s8, 0, v20
	v_and_b32_e32 v17, exec_lo, v17
	v_not_b32_e32 v20, v22
	v_ashrrev_i32_e32 v19, 31, v19
	s_wait_alu 0xfffd
	v_xor_b32_e32 v18, vcc_lo, v18
	v_cmp_gt_i32_e32 vcc_lo, 0, v22
	v_and_b32_e32 v17, v17, v35
	v_not_b32_e32 v22, v23
	v_ashrrev_i32_e32 v20, 31, v20
	s_wait_alu 0xf1ff
	v_xor_b32_e32 v19, s8, v19
	v_cmp_gt_i32_e64 s8, 0, v23
	v_and_b32_e32 v17, v17, v18
	v_not_b32_e32 v18, v34
	v_ashrrev_i32_e32 v22, 31, v22
	s_wait_alu 0xfffd
	v_xor_b32_e32 v20, vcc_lo, v20
	v_cmp_gt_i32_e32 vcc_lo, 0, v34
	v_and_b32_e32 v17, v17, v19
	v_not_b32_e32 v19, v21
	v_ashrrev_i32_e32 v18, 31, v18
	s_wait_alu 0xf1ff
	v_xor_b32_e32 v22, s8, v22
	v_lshlrev_b32_e32 v16, 4, v16
	v_and_b32_e32 v17, v17, v20
	v_cmp_gt_i32_e64 s8, 0, v21
	v_ashrrev_i32_e32 v19, 31, v19
	s_wait_alu 0xfffd
	v_xor_b32_e32 v18, vcc_lo, v18
	v_add_nc_u32_e32 v83, v24, v16
	v_and_b32_e32 v17, v17, v22
	s_wait_alu 0xf1ff
	v_xor_b32_e32 v16, s8, v19
	ds_load_b32 v81, v83 offset:16
	v_and_b32_e32 v17, v17, v18
	; wave barrier
	s_delay_alu instid0(VALU_DEP_1) | instskip(NEXT) | instid1(VALU_DEP_1)
	v_and_b32_e32 v16, v17, v16
	v_mbcnt_lo_u32_b32 v82, v16, 0
	v_cmp_ne_u32_e64 s8, 0, v16
	s_delay_alu instid0(VALU_DEP_2)
	v_cmp_eq_u32_e32 vcc_lo, 0, v82
	s_and_b32 s10, s8, vcc_lo
	s_wait_alu 0xfffe
	s_and_saveexec_b32 s8, s10
	s_cbranch_execz .LBB247_97
; %bb.96:
	s_wait_dscnt 0x0
	v_bcnt_u32_b32 v16, v16, v81
	ds_store_b32 v83, v16 offset:16
.LBB247_97:
	s_wait_alu 0xfffe
	s_or_b32 exec_lo, exec_lo, s8
	v_cmp_ne_u16_e32 vcc_lo, 0x8000, v33
	; wave barrier
	s_wait_alu 0xfffd
	v_cndmask_b32_e32 v16, 0x7fff, v33, vcc_lo
	s_delay_alu instid0(VALU_DEP_1) | instskip(NEXT) | instid1(VALU_DEP_1)
	v_and_b32_e32 v16, 0xffff, v16
	v_and_b32_e32 v16, s9, v16
	s_delay_alu instid0(VALU_DEP_1)
	v_and_b32_e32 v17, 1, v16
	v_lshlrev_b32_e32 v18, 30, v16
	v_lshlrev_b32_e32 v19, 29, v16
	;; [unrolled: 1-line block ×4, first 2 shown]
	v_add_co_u32 v17, s8, v17, -1
	s_wait_alu 0xf1ff
	v_cndmask_b32_e64 v21, 0, 1, s8
	v_not_b32_e32 v35, v18
	v_cmp_gt_i32_e64 s8, 0, v18
	v_not_b32_e32 v18, v19
	v_lshlrev_b32_e32 v23, 26, v16
	v_cmp_ne_u32_e32 vcc_lo, 0, v21
	v_ashrrev_i32_e32 v35, 31, v35
	v_lshlrev_b32_e32 v34, 25, v16
	v_ashrrev_i32_e32 v18, 31, v18
	v_lshlrev_b32_e32 v21, 24, v16
	s_wait_alu 0xfffd
	v_xor_b32_e32 v17, vcc_lo, v17
	v_cmp_gt_i32_e32 vcc_lo, 0, v19
	v_not_b32_e32 v19, v20
	s_wait_alu 0xf1ff
	v_xor_b32_e32 v35, s8, v35
	v_cmp_gt_i32_e64 s8, 0, v20
	v_and_b32_e32 v17, exec_lo, v17
	v_not_b32_e32 v20, v22
	v_ashrrev_i32_e32 v19, 31, v19
	s_wait_alu 0xfffd
	v_xor_b32_e32 v18, vcc_lo, v18
	v_cmp_gt_i32_e32 vcc_lo, 0, v22
	v_and_b32_e32 v17, v17, v35
	v_not_b32_e32 v22, v23
	v_ashrrev_i32_e32 v20, 31, v20
	s_wait_alu 0xf1ff
	v_xor_b32_e32 v19, s8, v19
	v_cmp_gt_i32_e64 s8, 0, v23
	v_and_b32_e32 v17, v17, v18
	v_not_b32_e32 v18, v34
	v_ashrrev_i32_e32 v22, 31, v22
	s_wait_alu 0xfffd
	v_xor_b32_e32 v20, vcc_lo, v20
	v_cmp_gt_i32_e32 vcc_lo, 0, v34
	v_and_b32_e32 v17, v17, v19
	v_not_b32_e32 v19, v21
	v_ashrrev_i32_e32 v18, 31, v18
	s_wait_alu 0xf1ff
	v_xor_b32_e32 v22, s8, v22
	v_lshlrev_b32_e32 v16, 4, v16
	v_and_b32_e32 v17, v17, v20
	v_cmp_gt_i32_e64 s8, 0, v21
	v_ashrrev_i32_e32 v19, 31, v19
	s_wait_alu 0xfffd
	v_xor_b32_e32 v18, vcc_lo, v18
	v_add_nc_u32_e32 v86, v24, v16
	v_and_b32_e32 v17, v17, v22
	v_min_u32_e32 v34, 0x60, v70
	s_wait_alu 0xf1ff
	v_xor_b32_e32 v16, s8, v19
	ds_load_b32 v84, v86 offset:16
	v_and_b32_e32 v17, v17, v18
	; wave barrier
	s_delay_alu instid0(VALU_DEP_1) | instskip(NEXT) | instid1(VALU_DEP_1)
	v_and_b32_e32 v16, v17, v16
	v_mbcnt_lo_u32_b32 v85, v16, 0
	v_cmp_ne_u32_e64 s8, 0, v16
	s_delay_alu instid0(VALU_DEP_2)
	v_cmp_eq_u32_e32 vcc_lo, 0, v85
	s_and_b32 s9, s8, vcc_lo
	s_wait_alu 0xfffe
	s_and_saveexec_b32 s8, s9
	s_cbranch_execz .LBB247_99
; %bb.98:
	s_wait_dscnt 0x0
	v_bcnt_u32_b32 v16, v16, v84
	ds_store_b32 v86, v16 offset:16
.LBB247_99:
	s_wait_alu 0xfffe
	s_or_b32 exec_lo, exec_lo, s8
	; wave barrier
	s_wait_loadcnt_dscnt 0x0
	s_barrier_signal -1
	s_barrier_wait -1
	global_inv scope:SCOPE_SE
	ds_load_b128 v[20:23], v67 offset:16
	ds_load_b128 v[16:19], v67 offset:32
	v_and_b32_e32 v70, 16, v69
	v_or_b32_e32 v34, 31, v34
	s_delay_alu instid0(VALU_DEP_2) | instskip(NEXT) | instid1(VALU_DEP_2)
	v_cmp_eq_u32_e64 s16, 0, v70
	v_cmp_eq_u32_e64 s14, v46, v34
	v_lshlrev_b32_e32 v34, 2, v68
	s_wait_dscnt 0x1
	v_add_nc_u32_e32 v35, v21, v20
	s_delay_alu instid0(VALU_DEP_1) | instskip(SKIP_1) | instid1(VALU_DEP_1)
	v_add3_u32 v35, v35, v22, v23
	s_wait_dscnt 0x0
	v_add3_u32 v35, v35, v16, v17
	s_delay_alu instid0(VALU_DEP_1) | instskip(SKIP_1) | instid1(VALU_DEP_2)
	v_add3_u32 v19, v35, v18, v19
	v_and_b32_e32 v35, 15, v69
	v_mov_b32_dpp v37, v19 row_shr:1 row_mask:0xf bank_mask:0xf
	s_delay_alu instid0(VALU_DEP_2)
	v_cmp_eq_u32_e64 s8, 0, v35
	v_cmp_lt_u32_e64 s10, 1, v35
	v_cmp_lt_u32_e64 s11, 3, v35
	;; [unrolled: 1-line block ×3, first 2 shown]
	s_wait_alu 0xf1ff
	v_cndmask_b32_e64 v37, v37, 0, s8
	s_delay_alu instid0(VALU_DEP_1) | instskip(NEXT) | instid1(VALU_DEP_1)
	v_add_nc_u32_e32 v19, v37, v19
	v_mov_b32_dpp v37, v19 row_shr:2 row_mask:0xf bank_mask:0xf
	s_delay_alu instid0(VALU_DEP_1) | instskip(NEXT) | instid1(VALU_DEP_1)
	v_cndmask_b32_e64 v37, 0, v37, s10
	v_add_nc_u32_e32 v19, v19, v37
	s_delay_alu instid0(VALU_DEP_1) | instskip(NEXT) | instid1(VALU_DEP_1)
	v_mov_b32_dpp v37, v19 row_shr:4 row_mask:0xf bank_mask:0xf
	v_cndmask_b32_e64 v37, 0, v37, s11
	s_delay_alu instid0(VALU_DEP_1) | instskip(NEXT) | instid1(VALU_DEP_1)
	v_add_nc_u32_e32 v19, v19, v37
	v_mov_b32_dpp v37, v19 row_shr:8 row_mask:0xf bank_mask:0xf
	s_delay_alu instid0(VALU_DEP_1) | instskip(SKIP_1) | instid1(VALU_DEP_2)
	v_cndmask_b32_e64 v35, 0, v37, s13
	v_bfe_i32 v37, v69, 4, 1
	v_add_nc_u32_e32 v35, v19, v35
	ds_swizzle_b32 v19, v35 offset:swizzle(BROADCAST,32,15)
	s_wait_dscnt 0x0
	v_and_b32_e32 v37, v37, v19
	v_mul_i32_i24_e32 v19, 0xffffffe4, v46
	s_delay_alu instid0(VALU_DEP_2)
	v_add_nc_u32_e32 v37, v35, v37
	s_and_saveexec_b32 s9, s14
; %bb.100:
	ds_store_b32 v34, v37
; %bb.101:
	s_wait_alu 0xfffe
	s_or_b32 exec_lo, exec_lo, s9
	v_and_b32_e32 v35, 3, v69
	v_cmp_gt_u32_e64 s15, 4, v46
	s_wait_loadcnt_dscnt 0x0
	s_barrier_signal -1
	s_barrier_wait -1
	v_cmp_eq_u32_e64 s12, 0, v35
	v_cmp_lt_u32_e64 s9, 1, v35
	v_add_nc_u32_e32 v35, v67, v19
	global_inv scope:SCOPE_SE
	s_and_saveexec_b32 s17, s15
	s_cbranch_execz .LBB247_103
; %bb.102:
	ds_load_b32 v19, v35
	s_wait_dscnt 0x0
	v_mov_b32_dpp v68, v19 row_shr:1 row_mask:0xf bank_mask:0xf
	s_delay_alu instid0(VALU_DEP_1) | instskip(NEXT) | instid1(VALU_DEP_1)
	v_cndmask_b32_e64 v68, v68, 0, s12
	v_add_nc_u32_e32 v19, v68, v19
	s_delay_alu instid0(VALU_DEP_1) | instskip(NEXT) | instid1(VALU_DEP_1)
	v_mov_b32_dpp v68, v19 row_shr:2 row_mask:0xf bank_mask:0xf
	v_cndmask_b32_e64 v68, 0, v68, s9
	s_delay_alu instid0(VALU_DEP_1)
	v_add_nc_u32_e32 v19, v19, v68
	ds_store_b32 v35, v19
.LBB247_103:
	s_or_b32 exec_lo, exec_lo, s17
	v_mul_u32_u24_e32 v19, 6, v36
	v_sub_co_u32 v68, vcc_lo, v69, 1
	v_cmp_lt_u32_e64 s17, 31, v46
	v_add_nc_u32_e32 v36, -4, v34
	v_mov_b32_e32 v70, 0
	s_wait_loadcnt_dscnt 0x0
	s_barrier_signal -1
	s_barrier_wait -1
	global_inv scope:SCOPE_SE
	s_and_saveexec_b32 s18, s17
; %bb.104:
	ds_load_b32 v70, v36
; %bb.105:
	s_wait_alu 0xfffe
	s_or_b32 exec_lo, exec_lo, s18
	v_cmp_gt_i32_e64 s18, 0, v68
	s_mov_b32 s24, 0
	s_min_u32 s19, s19, 8
	s_mov_b32 s25, s24
	s_mov_b32 s26, s24
	v_cndmask_b32_e64 v68, v68, v69, s18
	s_wait_dscnt 0x0
	v_add_nc_u32_e32 v69, v70, v37
	s_mov_b32 s27, s24
	v_cmp_eq_u32_e64 s18, 0, v46
	s_wait_alu 0xfffe
	s_lshl_b32 s19, -1, s19
	v_lshlrev_b32_e32 v37, 2, v68
	s_wait_alu 0xfffe
	s_not_b32 s21, s19
	ds_bpermute_b32 v68, v37, v69
	s_wait_dscnt 0x0
	s_wait_alu 0xfffd
	v_cndmask_b32_e32 v68, v68, v70, vcc_lo
	s_delay_alu instid0(VALU_DEP_1) | instskip(NEXT) | instid1(VALU_DEP_1)
	v_cndmask_b32_e64 v87, v68, 0, s18
	v_add_nc_u32_e32 v88, v87, v20
	s_delay_alu instid0(VALU_DEP_1) | instskip(NEXT) | instid1(VALU_DEP_1)
	v_add_nc_u32_e32 v89, v88, v21
	v_add_nc_u32_e32 v90, v89, v22
	s_delay_alu instid0(VALU_DEP_1) | instskip(NEXT) | instid1(VALU_DEP_1)
	v_add_nc_u32_e32 v20, v90, v23
	;; [unrolled: 3-line block ×3, first 2 shown]
	v_add_nc_u32_e32 v23, v22, v18
	ds_store_b128 v67, v[87:90] offset:16
	ds_store_b128 v67, v[20:23] offset:32
	s_wait_loadcnt_dscnt 0x0
	s_barrier_signal -1
	s_barrier_wait -1
	global_inv scope:SCOPE_SE
	ds_load_b32 v16, v39 offset:16
	ds_load_b32 v17, v48 offset:16
	;; [unrolled: 1-line block ×8, first 2 shown]
	v_add_nc_u32_e32 v48, v25, v19
	s_wait_loadcnt_dscnt 0x0
	s_barrier_signal -1
	s_barrier_wait -1
	global_inv scope:SCOPE_SE
	v_add_nc_u32_e32 v38, v16, v38
	v_add3_u32 v40, v47, v40, v17
	v_add3_u32 v47, v50, v49, v18
	;; [unrolled: 1-line block ×7, first 2 shown]
	v_lshlrev_b32_e32 v16, 1, v38
	v_lshlrev_b32_e32 v17, 1, v40
	;; [unrolled: 1-line block ×8, first 2 shown]
	ds_store_b16 v16, v26
	ds_store_b16 v17, v27
	;; [unrolled: 1-line block ×8, first 2 shown]
	s_wait_loadcnt_dscnt 0x0
	s_barrier_signal -1
	s_barrier_wait -1
	global_inv scope:SCOPE_SE
	ds_load_u16 v26, v25
	ds_load_u16 v27, v25 offset:64
	ds_load_u16 v28, v25 offset:128
	;; [unrolled: 1-line block ×7, first 2 shown]
	v_mad_co_u64_u32 v[38:39], null, v38, 6, v[16:17]
	v_mad_co_u64_u32 v[16:17], null, v40, 6, v[17:18]
	;; [unrolled: 1-line block ×3, first 2 shown]
	s_wait_loadcnt_dscnt 0x0
	s_barrier_signal -1
	s_barrier_wait -1
	global_inv scope:SCOPE_SE
	v_mad_co_u64_u32 v[18:19], null, v49, 6, v[19:20]
	v_lshrrev_b16 v33, 8, v26
	v_cmp_ne_u16_e64 s19, 0x8000, v26
	ds_store_b64 v38, v[8:9]
	v_mad_co_u64_u32 v[19:20], null, v50, 6, v[20:21]
	v_mad_co_u64_u32 v[20:21], null, v68, 6, v[21:22]
	s_wait_alu 0xf1ff
	v_cndmask_b32_e64 v33, 0x7f, v33, s19
	v_mad_co_u64_u32 v[21:22], null, v69, 6, v[22:23]
	v_mad_co_u64_u32 v[22:23], null, v70, 6, v[23:24]
	s_delay_alu instid0(VALU_DEP_3)
	v_and_b32_e32 v8, 0xffff, v33
	ds_store_b64 v16, v[10:11]
	ds_store_b64 v17, v[0:1]
	;; [unrolled: 1-line block ×7, first 2 shown]
	s_wait_alu 0xfffe
	v_and_b32_e32 v23, s21, v8
	s_wait_loadcnt_dscnt 0x0
	s_barrier_signal -1
	s_barrier_wait -1
	global_inv scope:SCOPE_SE
	v_and_b32_e32 v0, 1, v23
	v_lshlrev_b32_e32 v1, 30, v23
	v_lshlrev_b32_e32 v2, 29, v23
	;; [unrolled: 1-line block ×4, first 2 shown]
	v_add_co_u32 v0, s19, v0, -1
	s_wait_alu 0xf1ff
	v_cndmask_b32_e64 v4, 0, 1, s19
	v_not_b32_e32 v8, v1
	v_cmp_gt_i32_e64 s20, 0, v1
	v_not_b32_e32 v1, v2
	v_lshlrev_b32_e32 v6, 26, v23
	v_cmp_ne_u32_e64 s19, 0, v4
	v_ashrrev_i32_e32 v8, 31, v8
	v_lshlrev_b32_e32 v7, 25, v23
	v_ashrrev_i32_e32 v1, 31, v1
	v_lshlrev_b32_e32 v4, 24, v23
	s_wait_alu 0xf1ff
	v_xor_b32_e32 v0, s19, v0
	v_cmp_gt_i32_e64 s19, 0, v2
	v_not_b32_e32 v2, v3
	v_xor_b32_e32 v8, s20, v8
	v_cmp_gt_i32_e64 s20, 0, v3
	v_and_b32_e32 v0, exec_lo, v0
	v_not_b32_e32 v3, v5
	v_ashrrev_i32_e32 v2, 31, v2
	s_wait_alu 0xf1ff
	v_xor_b32_e32 v1, s19, v1
	v_cmp_gt_i32_e64 s19, 0, v5
	v_and_b32_e32 v0, v0, v8
	v_not_b32_e32 v5, v6
	v_ashrrev_i32_e32 v3, 31, v3
	v_xor_b32_e32 v2, s20, v2
	v_cmp_gt_i32_e64 s20, 0, v6
	v_and_b32_e32 v0, v0, v1
	v_not_b32_e32 v1, v7
	v_ashrrev_i32_e32 v5, 31, v5
	s_wait_alu 0xf1ff
	v_xor_b32_e32 v3, s19, v3
	v_cmp_gt_i32_e64 s19, 0, v7
	v_and_b32_e32 v0, v0, v2
	v_not_b32_e32 v2, v4
	v_ashrrev_i32_e32 v1, 31, v1
	v_xor_b32_e32 v5, s20, v5
	v_cmp_gt_i32_e64 s20, 0, v4
	v_and_b32_e32 v0, v0, v3
	v_ashrrev_i32_e32 v2, 31, v2
	s_wait_alu 0xf1ff
	v_xor_b32_e32 v1, s19, v1
	v_dual_mov_b32 v17, s24 :: v_dual_mov_b32 v18, s25
	v_and_b32_e32 v0, v0, v5
	v_xor_b32_e32 v16, s20, v2
	ds_load_2addr_b64 v[4:7], v48 offset1:32
	v_dual_mov_b32 v19, s26 :: v_dual_mov_b32 v20, s27
	v_and_b32_e32 v21, v0, v1
	ds_load_2addr_b64 v[12:15], v48 offset0:64 offset1:96
	ds_load_2addr_b64 v[8:11], v48 offset0:128 offset1:160
	;; [unrolled: 1-line block ×3, first 2 shown]
	v_lshl_add_u32 v38, v23, 4, v24
	s_wait_loadcnt_dscnt 0x0
	s_barrier_signal -1
	v_and_b32_e32 v16, v21, v16
	s_barrier_wait -1
	global_inv scope:SCOPE_SE
	ds_store_b128 v67, v[17:20] offset:16
	ds_store_b128 v67, v[17:20] offset:32
	s_wait_loadcnt_dscnt 0x0
	v_mbcnt_lo_u32_b32 v33, v16, 0
	v_cmp_ne_u32_e64 s20, 0, v16
	s_barrier_signal -1
	s_barrier_wait -1
	global_inv scope:SCOPE_SE
	v_cmp_eq_u32_e64 s19, 0, v33
	; wave barrier
	s_and_b32 s20, s20, s19
	s_wait_alu 0xfffe
	s_and_saveexec_b32 s19, s20
; %bb.106:
	v_bcnt_u32_b32 v16, v16, 0
	ds_store_b32 v38, v16 offset:16
; %bb.107:
	s_wait_alu 0xfffe
	s_or_b32 exec_lo, exec_lo, s19
	v_lshrrev_b16 v16, 8, v27
	v_cmp_ne_u16_e64 s19, 0x8000, v27
	; wave barrier
	s_wait_alu 0xf1ff
	s_delay_alu instid0(VALU_DEP_1) | instskip(NEXT) | instid1(VALU_DEP_1)
	v_cndmask_b32_e64 v16, 0x7f, v16, s19
	v_and_b32_e32 v16, s21, v16
	s_delay_alu instid0(VALU_DEP_1)
	v_and_b32_e32 v17, 1, v16
	v_lshlrev_b32_e32 v18, 30, v16
	v_lshlrev_b32_e32 v19, 29, v16
	;; [unrolled: 1-line block ×4, first 2 shown]
	v_add_co_u32 v17, s19, v17, -1
	s_wait_alu 0xf1ff
	v_cndmask_b32_e64 v21, 0, 1, s19
	v_not_b32_e32 v40, v18
	v_cmp_gt_i32_e64 s20, 0, v18
	v_not_b32_e32 v18, v19
	v_lshlrev_b32_e32 v23, 26, v16
	v_cmp_ne_u32_e64 s19, 0, v21
	v_ashrrev_i32_e32 v40, 31, v40
	v_lshlrev_b32_e32 v39, 25, v16
	v_ashrrev_i32_e32 v18, 31, v18
	v_lshlrev_b32_e32 v21, 24, v16
	s_wait_alu 0xf1ff
	v_xor_b32_e32 v17, s19, v17
	v_cmp_gt_i32_e64 s19, 0, v19
	v_not_b32_e32 v19, v20
	v_xor_b32_e32 v40, s20, v40
	v_cmp_gt_i32_e64 s20, 0, v20
	v_and_b32_e32 v17, exec_lo, v17
	v_not_b32_e32 v20, v22
	v_ashrrev_i32_e32 v19, 31, v19
	s_wait_alu 0xf1ff
	v_xor_b32_e32 v18, s19, v18
	v_cmp_gt_i32_e64 s19, 0, v22
	v_and_b32_e32 v17, v17, v40
	v_not_b32_e32 v22, v23
	v_ashrrev_i32_e32 v20, 31, v20
	v_xor_b32_e32 v19, s20, v19
	v_cmp_gt_i32_e64 s20, 0, v23
	v_and_b32_e32 v17, v17, v18
	v_not_b32_e32 v18, v39
	v_ashrrev_i32_e32 v22, 31, v22
	s_wait_alu 0xf1ff
	v_xor_b32_e32 v20, s19, v20
	v_cmp_gt_i32_e64 s19, 0, v39
	v_and_b32_e32 v17, v17, v19
	v_not_b32_e32 v19, v21
	v_ashrrev_i32_e32 v18, 31, v18
	v_xor_b32_e32 v22, s20, v22
	v_cmp_gt_i32_e64 s20, 0, v21
	v_and_b32_e32 v17, v17, v20
	v_ashrrev_i32_e32 v19, 31, v19
	s_wait_alu 0xf1ff
	v_xor_b32_e32 v18, s19, v18
	v_lshl_add_u32 v47, v16, 4, v24
	v_and_b32_e32 v17, v17, v22
	v_xor_b32_e32 v16, s20, v19
	ds_load_b32 v39, v47 offset:16
	v_and_b32_e32 v17, v17, v18
	; wave barrier
	s_delay_alu instid0(VALU_DEP_1) | instskip(NEXT) | instid1(VALU_DEP_1)
	v_and_b32_e32 v16, v17, v16
	v_mbcnt_lo_u32_b32 v40, v16, 0
	v_cmp_ne_u32_e64 s20, 0, v16
	s_delay_alu instid0(VALU_DEP_2)
	v_cmp_eq_u32_e64 s19, 0, v40
	s_and_b32 s20, s20, s19
	s_wait_alu 0xfffe
	s_and_saveexec_b32 s19, s20
	s_cbranch_execz .LBB247_109
; %bb.108:
	s_wait_dscnt 0x0
	v_bcnt_u32_b32 v16, v16, v39
	ds_store_b32 v47, v16 offset:16
.LBB247_109:
	s_wait_alu 0xfffe
	s_or_b32 exec_lo, exec_lo, s19
	v_lshrrev_b16 v16, 8, v28
	v_cmp_ne_u16_e64 s19, 0x8000, v28
	; wave barrier
	s_wait_alu 0xf1ff
	s_delay_alu instid0(VALU_DEP_1) | instskip(NEXT) | instid1(VALU_DEP_1)
	v_cndmask_b32_e64 v16, 0x7f, v16, s19
	v_and_b32_e32 v16, s21, v16
	s_delay_alu instid0(VALU_DEP_1)
	v_and_b32_e32 v17, 1, v16
	v_lshlrev_b32_e32 v18, 30, v16
	v_lshlrev_b32_e32 v19, 29, v16
	;; [unrolled: 1-line block ×4, first 2 shown]
	v_add_co_u32 v17, s19, v17, -1
	s_wait_alu 0xf1ff
	v_cndmask_b32_e64 v21, 0, 1, s19
	v_not_b32_e32 v49, v18
	v_cmp_gt_i32_e64 s20, 0, v18
	v_not_b32_e32 v18, v19
	v_lshlrev_b32_e32 v23, 26, v16
	v_cmp_ne_u32_e64 s19, 0, v21
	v_ashrrev_i32_e32 v49, 31, v49
	v_lshlrev_b32_e32 v48, 25, v16
	v_ashrrev_i32_e32 v18, 31, v18
	v_lshlrev_b32_e32 v21, 24, v16
	s_wait_alu 0xf1ff
	v_xor_b32_e32 v17, s19, v17
	v_cmp_gt_i32_e64 s19, 0, v19
	v_not_b32_e32 v19, v20
	v_xor_b32_e32 v49, s20, v49
	v_cmp_gt_i32_e64 s20, 0, v20
	v_and_b32_e32 v17, exec_lo, v17
	v_not_b32_e32 v20, v22
	v_ashrrev_i32_e32 v19, 31, v19
	s_wait_alu 0xf1ff
	v_xor_b32_e32 v18, s19, v18
	v_cmp_gt_i32_e64 s19, 0, v22
	v_and_b32_e32 v17, v17, v49
	v_not_b32_e32 v22, v23
	v_ashrrev_i32_e32 v20, 31, v20
	v_xor_b32_e32 v19, s20, v19
	v_cmp_gt_i32_e64 s20, 0, v23
	v_and_b32_e32 v17, v17, v18
	v_not_b32_e32 v18, v48
	v_ashrrev_i32_e32 v22, 31, v22
	s_wait_alu 0xf1ff
	v_xor_b32_e32 v20, s19, v20
	v_cmp_gt_i32_e64 s19, 0, v48
	v_and_b32_e32 v17, v17, v19
	v_not_b32_e32 v19, v21
	v_ashrrev_i32_e32 v18, 31, v18
	v_xor_b32_e32 v22, s20, v22
	v_cmp_gt_i32_e64 s20, 0, v21
	v_and_b32_e32 v17, v17, v20
	v_ashrrev_i32_e32 v19, 31, v19
	s_wait_alu 0xf1ff
	v_xor_b32_e32 v18, s19, v18
	v_lshl_add_u32 v50, v16, 4, v24
	v_and_b32_e32 v17, v17, v22
	v_xor_b32_e32 v16, s20, v19
	ds_load_b32 v48, v50 offset:16
	v_and_b32_e32 v17, v17, v18
	; wave barrier
	s_delay_alu instid0(VALU_DEP_1) | instskip(NEXT) | instid1(VALU_DEP_1)
	v_and_b32_e32 v16, v17, v16
	v_mbcnt_lo_u32_b32 v49, v16, 0
	v_cmp_ne_u32_e64 s20, 0, v16
	s_delay_alu instid0(VALU_DEP_2)
	v_cmp_eq_u32_e64 s19, 0, v49
	s_and_b32 s20, s20, s19
	s_wait_alu 0xfffe
	s_and_saveexec_b32 s19, s20
	s_cbranch_execz .LBB247_111
; %bb.110:
	s_wait_dscnt 0x0
	v_bcnt_u32_b32 v16, v16, v48
	ds_store_b32 v50, v16 offset:16
.LBB247_111:
	s_wait_alu 0xfffe
	s_or_b32 exec_lo, exec_lo, s19
	v_lshrrev_b16 v16, 8, v29
	v_cmp_ne_u16_e64 s19, 0x8000, v29
	; wave barrier
	s_wait_alu 0xf1ff
	s_delay_alu instid0(VALU_DEP_1) | instskip(NEXT) | instid1(VALU_DEP_1)
	v_cndmask_b32_e64 v16, 0x7f, v16, s19
	v_and_b32_e32 v16, s21, v16
	s_delay_alu instid0(VALU_DEP_1)
	v_and_b32_e32 v17, 1, v16
	v_lshlrev_b32_e32 v18, 30, v16
	v_lshlrev_b32_e32 v19, 29, v16
	;; [unrolled: 1-line block ×4, first 2 shown]
	v_add_co_u32 v17, s19, v17, -1
	s_wait_alu 0xf1ff
	v_cndmask_b32_e64 v21, 0, 1, s19
	v_not_b32_e32 v69, v18
	v_cmp_gt_i32_e64 s20, 0, v18
	v_not_b32_e32 v18, v19
	v_lshlrev_b32_e32 v23, 26, v16
	v_cmp_ne_u32_e64 s19, 0, v21
	v_ashrrev_i32_e32 v69, 31, v69
	v_lshlrev_b32_e32 v68, 25, v16
	v_ashrrev_i32_e32 v18, 31, v18
	v_lshlrev_b32_e32 v21, 24, v16
	s_wait_alu 0xf1ff
	v_xor_b32_e32 v17, s19, v17
	v_cmp_gt_i32_e64 s19, 0, v19
	v_not_b32_e32 v19, v20
	v_xor_b32_e32 v69, s20, v69
	v_cmp_gt_i32_e64 s20, 0, v20
	v_and_b32_e32 v17, exec_lo, v17
	v_not_b32_e32 v20, v22
	v_ashrrev_i32_e32 v19, 31, v19
	s_wait_alu 0xf1ff
	v_xor_b32_e32 v18, s19, v18
	v_cmp_gt_i32_e64 s19, 0, v22
	v_and_b32_e32 v17, v17, v69
	v_not_b32_e32 v22, v23
	v_ashrrev_i32_e32 v20, 31, v20
	v_xor_b32_e32 v19, s20, v19
	v_cmp_gt_i32_e64 s20, 0, v23
	v_and_b32_e32 v17, v17, v18
	v_not_b32_e32 v18, v68
	v_ashrrev_i32_e32 v22, 31, v22
	s_wait_alu 0xf1ff
	v_xor_b32_e32 v20, s19, v20
	v_cmp_gt_i32_e64 s19, 0, v68
	v_and_b32_e32 v17, v17, v19
	v_not_b32_e32 v19, v21
	v_ashrrev_i32_e32 v18, 31, v18
	v_xor_b32_e32 v22, s20, v22
	v_cmp_gt_i32_e64 s20, 0, v21
	v_and_b32_e32 v17, v17, v20
	v_ashrrev_i32_e32 v19, 31, v19
	s_wait_alu 0xf1ff
	v_xor_b32_e32 v18, s19, v18
	v_lshl_add_u32 v70, v16, 4, v24
	v_and_b32_e32 v17, v17, v22
	v_xor_b32_e32 v16, s20, v19
	ds_load_b32 v68, v70 offset:16
	v_and_b32_e32 v17, v17, v18
	; wave barrier
	s_delay_alu instid0(VALU_DEP_1) | instskip(NEXT) | instid1(VALU_DEP_1)
	v_and_b32_e32 v16, v17, v16
	v_mbcnt_lo_u32_b32 v69, v16, 0
	v_cmp_ne_u32_e64 s20, 0, v16
	s_delay_alu instid0(VALU_DEP_2)
	v_cmp_eq_u32_e64 s19, 0, v69
	s_and_b32 s20, s20, s19
	s_wait_alu 0xfffe
	s_and_saveexec_b32 s19, s20
	s_cbranch_execz .LBB247_113
; %bb.112:
	s_wait_dscnt 0x0
	v_bcnt_u32_b32 v16, v16, v68
	ds_store_b32 v70, v16 offset:16
.LBB247_113:
	s_wait_alu 0xfffe
	s_or_b32 exec_lo, exec_lo, s19
	v_lshrrev_b16 v16, 8, v30
	v_cmp_ne_u16_e64 s19, 0x8000, v30
	; wave barrier
	s_wait_alu 0xf1ff
	s_delay_alu instid0(VALU_DEP_1) | instskip(NEXT) | instid1(VALU_DEP_1)
	v_cndmask_b32_e64 v16, 0x7f, v16, s19
	v_and_b32_e32 v16, s21, v16
	s_delay_alu instid0(VALU_DEP_1)
	v_and_b32_e32 v17, 1, v16
	v_lshlrev_b32_e32 v18, 30, v16
	v_lshlrev_b32_e32 v19, 29, v16
	;; [unrolled: 1-line block ×4, first 2 shown]
	v_add_co_u32 v17, s19, v17, -1
	s_wait_alu 0xf1ff
	v_cndmask_b32_e64 v21, 0, 1, s19
	v_not_b32_e32 v72, v18
	v_cmp_gt_i32_e64 s20, 0, v18
	v_not_b32_e32 v18, v19
	v_lshlrev_b32_e32 v23, 26, v16
	v_cmp_ne_u32_e64 s19, 0, v21
	v_ashrrev_i32_e32 v72, 31, v72
	v_lshlrev_b32_e32 v71, 25, v16
	v_ashrrev_i32_e32 v18, 31, v18
	v_lshlrev_b32_e32 v21, 24, v16
	s_wait_alu 0xf1ff
	v_xor_b32_e32 v17, s19, v17
	v_cmp_gt_i32_e64 s19, 0, v19
	v_not_b32_e32 v19, v20
	v_xor_b32_e32 v72, s20, v72
	v_cmp_gt_i32_e64 s20, 0, v20
	v_and_b32_e32 v17, exec_lo, v17
	v_not_b32_e32 v20, v22
	v_ashrrev_i32_e32 v19, 31, v19
	s_wait_alu 0xf1ff
	v_xor_b32_e32 v18, s19, v18
	v_cmp_gt_i32_e64 s19, 0, v22
	v_and_b32_e32 v17, v17, v72
	v_not_b32_e32 v22, v23
	v_ashrrev_i32_e32 v20, 31, v20
	v_xor_b32_e32 v19, s20, v19
	v_cmp_gt_i32_e64 s20, 0, v23
	v_and_b32_e32 v17, v17, v18
	v_not_b32_e32 v18, v71
	v_ashrrev_i32_e32 v22, 31, v22
	s_wait_alu 0xf1ff
	v_xor_b32_e32 v20, s19, v20
	v_cmp_gt_i32_e64 s19, 0, v71
	v_and_b32_e32 v17, v17, v19
	v_not_b32_e32 v19, v21
	v_ashrrev_i32_e32 v18, 31, v18
	v_xor_b32_e32 v22, s20, v22
	v_cmp_gt_i32_e64 s20, 0, v21
	v_and_b32_e32 v17, v17, v20
	v_ashrrev_i32_e32 v19, 31, v19
	s_wait_alu 0xf1ff
	v_xor_b32_e32 v18, s19, v18
	v_lshl_add_u32 v73, v16, 4, v24
	v_and_b32_e32 v17, v17, v22
	v_xor_b32_e32 v16, s20, v19
	ds_load_b32 v71, v73 offset:16
	v_and_b32_e32 v17, v17, v18
	; wave barrier
	s_delay_alu instid0(VALU_DEP_1) | instskip(NEXT) | instid1(VALU_DEP_1)
	v_and_b32_e32 v16, v17, v16
	v_mbcnt_lo_u32_b32 v72, v16, 0
	v_cmp_ne_u32_e64 s20, 0, v16
	s_delay_alu instid0(VALU_DEP_2)
	v_cmp_eq_u32_e64 s19, 0, v72
	s_and_b32 s20, s20, s19
	s_wait_alu 0xfffe
	s_and_saveexec_b32 s19, s20
	s_cbranch_execz .LBB247_115
; %bb.114:
	s_wait_dscnt 0x0
	v_bcnt_u32_b32 v16, v16, v71
	ds_store_b32 v73, v16 offset:16
.LBB247_115:
	s_wait_alu 0xfffe
	s_or_b32 exec_lo, exec_lo, s19
	v_lshrrev_b16 v16, 8, v31
	v_cmp_ne_u16_e64 s19, 0x8000, v31
	; wave barrier
	s_wait_alu 0xf1ff
	s_delay_alu instid0(VALU_DEP_1) | instskip(NEXT) | instid1(VALU_DEP_1)
	v_cndmask_b32_e64 v16, 0x7f, v16, s19
	v_and_b32_e32 v16, s21, v16
	s_delay_alu instid0(VALU_DEP_1)
	v_and_b32_e32 v17, 1, v16
	v_lshlrev_b32_e32 v18, 30, v16
	v_lshlrev_b32_e32 v19, 29, v16
	;; [unrolled: 1-line block ×4, first 2 shown]
	v_add_co_u32 v17, s19, v17, -1
	s_wait_alu 0xf1ff
	v_cndmask_b32_e64 v21, 0, 1, s19
	v_not_b32_e32 v75, v18
	v_cmp_gt_i32_e64 s20, 0, v18
	v_not_b32_e32 v18, v19
	v_lshlrev_b32_e32 v23, 26, v16
	v_cmp_ne_u32_e64 s19, 0, v21
	v_ashrrev_i32_e32 v75, 31, v75
	v_lshlrev_b32_e32 v74, 25, v16
	v_ashrrev_i32_e32 v18, 31, v18
	v_lshlrev_b32_e32 v21, 24, v16
	s_wait_alu 0xf1ff
	v_xor_b32_e32 v17, s19, v17
	v_cmp_gt_i32_e64 s19, 0, v19
	v_not_b32_e32 v19, v20
	v_xor_b32_e32 v75, s20, v75
	v_cmp_gt_i32_e64 s20, 0, v20
	v_and_b32_e32 v17, exec_lo, v17
	v_not_b32_e32 v20, v22
	v_ashrrev_i32_e32 v19, 31, v19
	s_wait_alu 0xf1ff
	v_xor_b32_e32 v18, s19, v18
	v_cmp_gt_i32_e64 s19, 0, v22
	v_and_b32_e32 v17, v17, v75
	v_not_b32_e32 v22, v23
	v_ashrrev_i32_e32 v20, 31, v20
	v_xor_b32_e32 v19, s20, v19
	v_cmp_gt_i32_e64 s20, 0, v23
	v_and_b32_e32 v17, v17, v18
	v_not_b32_e32 v18, v74
	v_ashrrev_i32_e32 v22, 31, v22
	s_wait_alu 0xf1ff
	v_xor_b32_e32 v20, s19, v20
	v_cmp_gt_i32_e64 s19, 0, v74
	v_and_b32_e32 v17, v17, v19
	v_not_b32_e32 v19, v21
	v_ashrrev_i32_e32 v18, 31, v18
	v_xor_b32_e32 v22, s20, v22
	v_cmp_gt_i32_e64 s20, 0, v21
	v_and_b32_e32 v17, v17, v20
	v_ashrrev_i32_e32 v19, 31, v19
	s_wait_alu 0xf1ff
	v_xor_b32_e32 v18, s19, v18
	v_lshl_add_u32 v76, v16, 4, v24
	v_and_b32_e32 v17, v17, v22
	v_xor_b32_e32 v16, s20, v19
	ds_load_b32 v74, v76 offset:16
	v_and_b32_e32 v17, v17, v18
	; wave barrier
	s_delay_alu instid0(VALU_DEP_1) | instskip(NEXT) | instid1(VALU_DEP_1)
	v_and_b32_e32 v16, v17, v16
	v_mbcnt_lo_u32_b32 v75, v16, 0
	v_cmp_ne_u32_e64 s20, 0, v16
	s_delay_alu instid0(VALU_DEP_2)
	v_cmp_eq_u32_e64 s19, 0, v75
	s_and_b32 s20, s20, s19
	s_wait_alu 0xfffe
	s_and_saveexec_b32 s19, s20
	s_cbranch_execz .LBB247_117
; %bb.116:
	s_wait_dscnt 0x0
	v_bcnt_u32_b32 v16, v16, v74
	ds_store_b32 v76, v16 offset:16
.LBB247_117:
	s_wait_alu 0xfffe
	s_or_b32 exec_lo, exec_lo, s19
	v_lshrrev_b16 v16, 8, v32
	v_cmp_ne_u16_e64 s19, 0x8000, v32
	; wave barrier
	s_wait_alu 0xf1ff
	s_delay_alu instid0(VALU_DEP_1) | instskip(NEXT) | instid1(VALU_DEP_1)
	v_cndmask_b32_e64 v16, 0x7f, v16, s19
	v_and_b32_e32 v16, s21, v16
	s_delay_alu instid0(VALU_DEP_1)
	v_and_b32_e32 v17, 1, v16
	v_lshlrev_b32_e32 v18, 30, v16
	v_lshlrev_b32_e32 v19, 29, v16
	;; [unrolled: 1-line block ×4, first 2 shown]
	v_add_co_u32 v17, s19, v17, -1
	s_wait_alu 0xf1ff
	v_cndmask_b32_e64 v21, 0, 1, s19
	v_not_b32_e32 v78, v18
	v_cmp_gt_i32_e64 s20, 0, v18
	v_not_b32_e32 v18, v19
	v_lshlrev_b32_e32 v23, 26, v16
	v_cmp_ne_u32_e64 s19, 0, v21
	v_ashrrev_i32_e32 v78, 31, v78
	v_lshlrev_b32_e32 v77, 25, v16
	v_ashrrev_i32_e32 v18, 31, v18
	v_lshlrev_b32_e32 v21, 24, v16
	s_wait_alu 0xf1ff
	v_xor_b32_e32 v17, s19, v17
	v_cmp_gt_i32_e64 s19, 0, v19
	v_not_b32_e32 v19, v20
	v_xor_b32_e32 v78, s20, v78
	v_cmp_gt_i32_e64 s20, 0, v20
	v_and_b32_e32 v17, exec_lo, v17
	v_not_b32_e32 v20, v22
	v_ashrrev_i32_e32 v19, 31, v19
	s_wait_alu 0xf1ff
	v_xor_b32_e32 v18, s19, v18
	v_cmp_gt_i32_e64 s19, 0, v22
	v_and_b32_e32 v17, v17, v78
	v_not_b32_e32 v22, v23
	v_ashrrev_i32_e32 v20, 31, v20
	v_xor_b32_e32 v19, s20, v19
	v_cmp_gt_i32_e64 s20, 0, v23
	v_and_b32_e32 v17, v17, v18
	v_not_b32_e32 v18, v77
	v_ashrrev_i32_e32 v22, 31, v22
	s_wait_alu 0xf1ff
	v_xor_b32_e32 v20, s19, v20
	v_cmp_gt_i32_e64 s19, 0, v77
	v_and_b32_e32 v17, v17, v19
	v_not_b32_e32 v19, v21
	v_ashrrev_i32_e32 v18, 31, v18
	v_xor_b32_e32 v22, s20, v22
	v_cmp_gt_i32_e64 s20, 0, v21
	v_and_b32_e32 v17, v17, v20
	v_ashrrev_i32_e32 v19, 31, v19
	s_wait_alu 0xf1ff
	v_xor_b32_e32 v18, s19, v18
	v_lshl_add_u32 v79, v16, 4, v24
	v_and_b32_e32 v17, v17, v22
	v_xor_b32_e32 v16, s20, v19
	ds_load_b32 v77, v79 offset:16
	v_and_b32_e32 v17, v17, v18
	; wave barrier
	s_delay_alu instid0(VALU_DEP_1) | instskip(NEXT) | instid1(VALU_DEP_1)
	v_and_b32_e32 v16, v17, v16
	v_mbcnt_lo_u32_b32 v78, v16, 0
	v_cmp_ne_u32_e64 s20, 0, v16
	s_delay_alu instid0(VALU_DEP_2)
	v_cmp_eq_u32_e64 s19, 0, v78
	s_and_b32 s20, s20, s19
	s_wait_alu 0xfffe
	s_and_saveexec_b32 s19, s20
	s_cbranch_execz .LBB247_119
; %bb.118:
	s_wait_dscnt 0x0
	v_bcnt_u32_b32 v16, v16, v77
	ds_store_b32 v79, v16 offset:16
.LBB247_119:
	s_wait_alu 0xfffe
	s_or_b32 exec_lo, exec_lo, s19
	v_lshrrev_b16 v16, 8, v25
	v_cmp_ne_u16_e64 s19, 0x8000, v25
	; wave barrier
	s_wait_alu 0xf1ff
	s_delay_alu instid0(VALU_DEP_1) | instskip(NEXT) | instid1(VALU_DEP_1)
	v_cndmask_b32_e64 v16, 0x7f, v16, s19
	v_and_b32_e32 v16, s21, v16
	s_delay_alu instid0(VALU_DEP_1)
	v_and_b32_e32 v17, 1, v16
	v_lshlrev_b32_e32 v18, 30, v16
	v_lshlrev_b32_e32 v19, 29, v16
	;; [unrolled: 1-line block ×4, first 2 shown]
	v_add_co_u32 v17, s19, v17, -1
	s_wait_alu 0xf1ff
	v_cndmask_b32_e64 v21, 0, 1, s19
	v_not_b32_e32 v81, v18
	v_cmp_gt_i32_e64 s20, 0, v18
	v_not_b32_e32 v18, v19
	v_lshlrev_b32_e32 v23, 26, v16
	v_cmp_ne_u32_e64 s19, 0, v21
	v_ashrrev_i32_e32 v81, 31, v81
	v_lshlrev_b32_e32 v80, 25, v16
	v_ashrrev_i32_e32 v18, 31, v18
	v_lshlrev_b32_e32 v21, 24, v16
	s_wait_alu 0xf1ff
	v_xor_b32_e32 v17, s19, v17
	v_cmp_gt_i32_e64 s19, 0, v19
	v_not_b32_e32 v19, v20
	v_xor_b32_e32 v81, s20, v81
	v_cmp_gt_i32_e64 s20, 0, v20
	v_and_b32_e32 v17, exec_lo, v17
	v_not_b32_e32 v20, v22
	v_ashrrev_i32_e32 v19, 31, v19
	s_wait_alu 0xf1ff
	v_xor_b32_e32 v18, s19, v18
	v_cmp_gt_i32_e64 s19, 0, v22
	v_and_b32_e32 v17, v17, v81
	v_not_b32_e32 v22, v23
	v_ashrrev_i32_e32 v20, 31, v20
	v_xor_b32_e32 v19, s20, v19
	v_cmp_gt_i32_e64 s20, 0, v23
	v_and_b32_e32 v17, v17, v18
	v_not_b32_e32 v18, v80
	v_ashrrev_i32_e32 v22, 31, v22
	s_wait_alu 0xf1ff
	v_xor_b32_e32 v20, s19, v20
	v_cmp_gt_i32_e64 s19, 0, v80
	v_and_b32_e32 v17, v17, v19
	v_not_b32_e32 v19, v21
	v_ashrrev_i32_e32 v18, 31, v18
	v_xor_b32_e32 v22, s20, v22
	v_cmp_gt_i32_e64 s20, 0, v21
	v_and_b32_e32 v17, v17, v20
	v_ashrrev_i32_e32 v19, 31, v19
	s_wait_alu 0xf1ff
	v_xor_b32_e32 v18, s19, v18
	v_lshl_add_u32 v81, v16, 4, v24
	v_and_b32_e32 v17, v17, v22
	v_xor_b32_e32 v16, s20, v19
	ds_load_b32 v24, v81 offset:16
	v_and_b32_e32 v17, v17, v18
	; wave barrier
	s_delay_alu instid0(VALU_DEP_1) | instskip(NEXT) | instid1(VALU_DEP_1)
	v_and_b32_e32 v16, v17, v16
	v_mbcnt_lo_u32_b32 v80, v16, 0
	v_cmp_ne_u32_e64 s20, 0, v16
	s_delay_alu instid0(VALU_DEP_2)
	v_cmp_eq_u32_e64 s19, 0, v80
	s_and_b32 s20, s20, s19
	s_wait_alu 0xfffe
	s_and_saveexec_b32 s19, s20
	s_cbranch_execz .LBB247_121
; %bb.120:
	s_wait_dscnt 0x0
	v_bcnt_u32_b32 v16, v16, v24
	ds_store_b32 v81, v16 offset:16
.LBB247_121:
	s_wait_alu 0xfffe
	s_or_b32 exec_lo, exec_lo, s19
	; wave barrier
	s_wait_loadcnt_dscnt 0x0
	s_barrier_signal -1
	s_barrier_wait -1
	global_inv scope:SCOPE_SE
	ds_load_b128 v[20:23], v67 offset:16
	ds_load_b128 v[16:19], v67 offset:32
	s_wait_dscnt 0x1
	v_add_nc_u32_e32 v82, v21, v20
	s_delay_alu instid0(VALU_DEP_1) | instskip(SKIP_1) | instid1(VALU_DEP_1)
	v_add3_u32 v82, v82, v22, v23
	s_wait_dscnt 0x0
	v_add3_u32 v82, v82, v16, v17
	s_delay_alu instid0(VALU_DEP_1) | instskip(NEXT) | instid1(VALU_DEP_1)
	v_add3_u32 v19, v82, v18, v19
	v_mov_b32_dpp v82, v19 row_shr:1 row_mask:0xf bank_mask:0xf
	s_delay_alu instid0(VALU_DEP_1) | instskip(NEXT) | instid1(VALU_DEP_1)
	v_cndmask_b32_e64 v82, v82, 0, s8
	v_add_nc_u32_e32 v19, v82, v19
	s_delay_alu instid0(VALU_DEP_1) | instskip(NEXT) | instid1(VALU_DEP_1)
	v_mov_b32_dpp v82, v19 row_shr:2 row_mask:0xf bank_mask:0xf
	v_cndmask_b32_e64 v82, 0, v82, s10
	s_delay_alu instid0(VALU_DEP_1) | instskip(NEXT) | instid1(VALU_DEP_1)
	v_add_nc_u32_e32 v19, v19, v82
	v_mov_b32_dpp v82, v19 row_shr:4 row_mask:0xf bank_mask:0xf
	s_delay_alu instid0(VALU_DEP_1) | instskip(NEXT) | instid1(VALU_DEP_1)
	v_cndmask_b32_e64 v82, 0, v82, s11
	v_add_nc_u32_e32 v19, v19, v82
	s_delay_alu instid0(VALU_DEP_1) | instskip(NEXT) | instid1(VALU_DEP_1)
	v_mov_b32_dpp v82, v19 row_shr:8 row_mask:0xf bank_mask:0xf
	v_cndmask_b32_e64 v82, 0, v82, s13
	s_delay_alu instid0(VALU_DEP_1) | instskip(SKIP_3) | instid1(VALU_DEP_1)
	v_add_nc_u32_e32 v19, v19, v82
	ds_swizzle_b32 v82, v19 offset:swizzle(BROADCAST,32,15)
	s_wait_dscnt 0x0
	v_cndmask_b32_e64 v82, v82, 0, s16
	v_add_nc_u32_e32 v19, v19, v82
	s_and_saveexec_b32 s8, s14
; %bb.122:
	ds_store_b32 v34, v19
; %bb.123:
	s_wait_alu 0xfffe
	s_or_b32 exec_lo, exec_lo, s8
	s_wait_loadcnt_dscnt 0x0
	s_barrier_signal -1
	s_barrier_wait -1
	global_inv scope:SCOPE_SE
	s_and_saveexec_b32 s8, s15
	s_cbranch_execz .LBB247_125
; %bb.124:
	ds_load_b32 v34, v35
	s_wait_dscnt 0x0
	v_mov_b32_dpp v82, v34 row_shr:1 row_mask:0xf bank_mask:0xf
	s_delay_alu instid0(VALU_DEP_1) | instskip(NEXT) | instid1(VALU_DEP_1)
	v_cndmask_b32_e64 v82, v82, 0, s12
	v_add_nc_u32_e32 v34, v82, v34
	s_delay_alu instid0(VALU_DEP_1) | instskip(NEXT) | instid1(VALU_DEP_1)
	v_mov_b32_dpp v82, v34 row_shr:2 row_mask:0xf bank_mask:0xf
	v_cndmask_b32_e64 v82, 0, v82, s9
	s_delay_alu instid0(VALU_DEP_1)
	v_add_nc_u32_e32 v34, v34, v82
	ds_store_b32 v35, v34
.LBB247_125:
	s_wait_alu 0xfffe
	s_or_b32 exec_lo, exec_lo, s8
	v_mov_b32_e32 v34, 0
	s_wait_loadcnt_dscnt 0x0
	s_barrier_signal -1
	s_barrier_wait -1
	global_inv scope:SCOPE_SE
	s_and_saveexec_b32 s8, s17
; %bb.126:
	ds_load_b32 v34, v36
; %bb.127:
	s_wait_alu 0xfffe
	s_or_b32 exec_lo, exec_lo, s8
	s_wait_dscnt 0x0
	v_add_nc_u32_e32 v19, v34, v19
	ds_bpermute_b32 v19, v37, v19
	s_wait_dscnt 0x0
	v_cndmask_b32_e32 v19, v19, v34, vcc_lo
	s_delay_alu instid0(VALU_DEP_1) | instskip(NEXT) | instid1(VALU_DEP_1)
	v_cndmask_b32_e64 v19, v19, 0, s18
	v_add_nc_u32_e32 v20, v19, v20
	s_delay_alu instid0(VALU_DEP_1) | instskip(NEXT) | instid1(VALU_DEP_1)
	v_add_nc_u32_e32 v21, v20, v21
	v_add_nc_u32_e32 v22, v21, v22
	s_delay_alu instid0(VALU_DEP_1) | instskip(NEXT) | instid1(VALU_DEP_1)
	v_add_nc_u32_e32 v34, v22, v23
	;; [unrolled: 3-line block ×3, first 2 shown]
	v_add_nc_u32_e32 v37, v36, v18
	ds_store_b128 v67, v[19:22] offset:16
	ds_store_b128 v67, v[34:37] offset:32
	s_wait_loadcnt_dscnt 0x0
	s_barrier_signal -1
	s_barrier_wait -1
	global_inv scope:SCOPE_SE
	ds_load_b32 v16, v81 offset:16
	ds_load_b32 v17, v79 offset:16
	;; [unrolled: 1-line block ×8, first 2 shown]
	v_lshlrev_b32_e32 v34, 1, v66
	s_wait_loadcnt_dscnt 0x0
	s_barrier_signal -1
	s_barrier_wait -1
	global_inv scope:SCOPE_SE
	v_mad_u32_u24 v37, v46, 48, v34
	v_add3_u32 v35, v80, v24, v16
	v_add3_u32 v36, v78, v77, v17
	v_add3_u32 v38, v75, v74, v18
	v_add_nc_u32_e32 v24, v19, v33
	v_add3_u32 v33, v40, v39, v20
	v_add3_u32 v39, v49, v48, v21
	;; [unrolled: 1-line block ×4, first 2 shown]
	v_lshlrev_b32_e32 v16, 1, v24
	v_lshlrev_b32_e32 v17, 1, v33
	;; [unrolled: 1-line block ×8, first 2 shown]
	ds_store_b16 v16, v26
	ds_store_b16 v17, v27
	;; [unrolled: 1-line block ×8, first 2 shown]
	v_mad_co_u64_u32 v[24:25], null, v24, 6, v[16:17]
	v_mad_co_u64_u32 v[16:17], null, v33, 6, v[17:18]
	;; [unrolled: 1-line block ×7, first 2 shown]
	s_wait_loadcnt_dscnt 0x0
	s_barrier_signal -1
	s_barrier_wait -1
	global_inv scope:SCOPE_SE
	v_mad_co_u64_u32 v[22:23], null, v35, 6, v[23:24]
	ds_load_b128 v[33:36], v34
	s_wait_loadcnt_dscnt 0x0
	s_barrier_signal -1
	s_barrier_wait -1
	global_inv scope:SCOPE_SE
	ds_store_b64 v24, v[4:5]
	ds_store_b64 v16, v[6:7]
	;; [unrolled: 1-line block ×8, first 2 shown]
	s_wait_loadcnt_dscnt 0x0
	s_barrier_signal -1
	s_barrier_wait -1
	global_inv scope:SCOPE_SE
	ds_load_b128 v[29:32], v37
	ds_load_b128 v[25:28], v37 offset:16
	ds_load_b128 v[21:24], v37 offset:32
	;; [unrolled: 1-line block ×3, first 2 shown]
	v_cmp_gt_i16_e32 vcc_lo, 0, v33
	v_lshrrev_b32_e32 v0, 16, v33
	v_lshrrev_b32_e32 v2, 16, v34
	;; [unrolled: 1-line block ×4, first 2 shown]
	s_wait_alu 0xfffd
	v_cndmask_b32_e64 v1, 0x7fff, 0, vcc_lo
	v_cmp_gt_i16_e32 vcc_lo, 0, v34
	s_wait_alu 0xfffd
	v_cndmask_b32_e64 v3, 0x7fff, 0, vcc_lo
	v_cmp_gt_i16_e32 vcc_lo, 0, v35
	;; [unrolled: 3-line block ×5, first 2 shown]
	s_delay_alu instid0(VALU_DEP_2) | instskip(SKIP_3) | instid1(VALU_DEP_3)
	v_perm_b32 v0, v0, v1, 0x5040100
	s_wait_alu 0xfffd
	v_cndmask_b32_e64 v2, 0x7fff, 0, vcc_lo
	v_cmp_gt_i16_e32 vcc_lo, 0, v4
	v_xor_b32_e32 v0, v0, v33
	s_delay_alu instid0(VALU_DEP_3) | instskip(SKIP_3) | instid1(VALU_DEP_3)
	v_perm_b32 v1, v2, v3, 0x5040100
	s_wait_alu 0xfffd
	v_cndmask_b32_e64 v4, 0x7fff, 0, vcc_lo
	v_cmp_gt_i16_e32 vcc_lo, 0, v6
	v_xor_b32_e32 v34, v1, v34
	s_delay_alu instid0(VALU_DEP_3) | instskip(SKIP_2) | instid1(VALU_DEP_2)
	v_perm_b32 v2, v4, v5, 0x5040100
	s_wait_alu 0xfffd
	v_cndmask_b32_e64 v6, 0x7fff, 0, vcc_lo
	v_xor_b32_e32 v33, v2, v35
	s_delay_alu instid0(VALU_DEP_2) | instskip(NEXT) | instid1(VALU_DEP_1)
	v_perm_b32 v3, v6, v7, 0x5040100
	v_xor_b32_e32 v35, v3, v36
.LBB247_128:
	s_wait_loadcnt_dscnt 0x0
	s_barrier_signal -1
	s_barrier_wait -1
	global_inv scope:SCOPE_SE
	ds_store_2addr_b32 v58, v0, v34 offset1:1
	ds_store_2addr_b32 v58, v33, v35 offset0:2 offset1:3
	s_wait_loadcnt_dscnt 0x0
	s_barrier_signal -1
	s_barrier_wait -1
	global_inv scope:SCOPE_SE
	ds_load_u16 v8, v45 offset:256
	ds_load_u16 v7, v52 offset:512
	;; [unrolled: 1-line block ×7, first 2 shown]
	v_mov_b32_e32 v45, 0
	s_delay_alu instid0(VALU_DEP_1) | instskip(NEXT) | instid1(VALU_DEP_1)
	v_lshlrev_b64_e32 v[0:1], 1, v[44:45]
	v_add_co_u32 v0, vcc_lo, s30, v0
	s_wait_alu 0xfffd
	s_delay_alu instid0(VALU_DEP_2)
	v_add_co_ci_u32_e64 v1, null, s31, v1, vcc_lo
	s_and_saveexec_b32 s8, s0
	s_cbranch_execnz .LBB247_147
; %bb.129:
	s_wait_alu 0xfffe
	s_or_b32 exec_lo, exec_lo, s8
	s_and_saveexec_b32 s8, s1
	s_cbranch_execnz .LBB247_148
.LBB247_130:
	s_wait_alu 0xfffe
	s_or_b32 exec_lo, exec_lo, s8
	s_and_saveexec_b32 s8, s2
	s_cbranch_execnz .LBB247_149
.LBB247_131:
	s_wait_alu 0xfffe
	s_or_b32 exec_lo, exec_lo, s8
	s_and_saveexec_b32 s8, s3
	s_cbranch_execnz .LBB247_150
.LBB247_132:
	s_wait_alu 0xfffe
	s_or_b32 exec_lo, exec_lo, s8
	s_and_saveexec_b32 s8, s4
	s_cbranch_execnz .LBB247_151
.LBB247_133:
	s_wait_alu 0xfffe
	s_or_b32 exec_lo, exec_lo, s8
	s_and_saveexec_b32 s8, s5
	s_cbranch_execnz .LBB247_152
.LBB247_134:
	s_wait_alu 0xfffe
	s_or_b32 exec_lo, exec_lo, s8
	s_and_saveexec_b32 s8, s6
	s_cbranch_execnz .LBB247_153
.LBB247_135:
	s_wait_alu 0xfffe
	s_or_b32 exec_lo, exec_lo, s8
	s_and_saveexec_b32 s8, s7
	s_cbranch_execz .LBB247_137
.LBB247_136:
	s_mul_i32 s10, s22, 0x380
	s_mov_b32 s11, 0
	s_wait_alu 0xfffe
	s_lshl_b64 s[10:11], s[10:11], 1
	s_wait_alu 0xfffe
	v_add_co_u32 v0, vcc_lo, v0, s10
	s_wait_alu 0xfffd
	v_add_co_ci_u32_e64 v1, null, s11, v1, vcc_lo
	s_wait_dscnt 0x0
	global_store_b16 v[0:1], v2, off
.LBB247_137:
	s_wait_alu 0xfffe
	s_or_b32 exec_lo, exec_lo, s8
	s_wait_storecnt 0x0
	s_wait_loadcnt_dscnt 0x0
	s_barrier_signal -1
	s_barrier_wait -1
	global_inv scope:SCOPE_SE
	ds_store_2addr_b64 v65, v[29:30], v[31:32] offset1:1
	ds_store_2addr_b64 v65, v[25:26], v[27:28] offset0:2 offset1:3
	ds_store_2addr_b64 v65, v[21:22], v[23:24] offset0:4 offset1:5
	;; [unrolled: 1-line block ×3, first 2 shown]
	s_wait_loadcnt_dscnt 0x0
	s_barrier_signal -1
	s_barrier_wait -1
	global_inv scope:SCOPE_SE
	ds_load_b64 v[14:15], v60 offset:1024
	ds_load_b64 v[12:13], v61 offset:2048
	;; [unrolled: 1-line block ×7, first 2 shown]
	v_mov_b32_e32 v42, 0
	s_delay_alu instid0(VALU_DEP_1) | instskip(NEXT) | instid1(VALU_DEP_1)
	v_lshlrev_b64_e32 v[2:3], 3, v[41:42]
	v_add_co_u32 v2, vcc_lo, s34, v2
	s_wait_alu 0xfffd
	s_delay_alu instid0(VALU_DEP_2)
	v_add_co_ci_u32_e64 v3, null, s35, v3, vcc_lo
	s_and_saveexec_b32 s8, s0
	s_cbranch_execnz .LBB247_154
; %bb.138:
	s_wait_alu 0xfffe
	s_or_b32 exec_lo, exec_lo, s8
	s_and_saveexec_b32 s0, s1
	s_cbranch_execnz .LBB247_155
.LBB247_139:
	s_or_b32 exec_lo, exec_lo, s0
	s_and_saveexec_b32 s0, s2
	s_cbranch_execnz .LBB247_156
.LBB247_140:
	s_or_b32 exec_lo, exec_lo, s0
	s_and_saveexec_b32 s0, s3
	s_cbranch_execnz .LBB247_157
.LBB247_141:
	s_or_b32 exec_lo, exec_lo, s0
	s_and_saveexec_b32 s0, s4
	s_cbranch_execnz .LBB247_158
.LBB247_142:
	s_or_b32 exec_lo, exec_lo, s0
	s_and_saveexec_b32 s0, s5
	s_cbranch_execnz .LBB247_159
.LBB247_143:
	s_or_b32 exec_lo, exec_lo, s0
	s_and_saveexec_b32 s0, s6
	s_cbranch_execnz .LBB247_160
.LBB247_144:
	s_or_b32 exec_lo, exec_lo, s0
	s_and_saveexec_b32 s0, s7
	s_cbranch_execz .LBB247_146
.LBB247_145:
	s_mul_i32 s0, s28, 0x380
	s_mov_b32 s1, 0
	s_delay_alu instid0(SALU_CYCLE_1) | instskip(NEXT) | instid1(SALU_CYCLE_1)
	s_lshl_b64 s[0:1], s[0:1], 3
	v_add_co_u32 v2, vcc_lo, v2, s0
	s_wait_alu 0xfffd
	v_add_co_ci_u32_e64 v3, null, s1, v3, vcc_lo
	s_wait_dscnt 0x0
	global_store_b64 v[2:3], v[0:1], off
.LBB247_146:
	s_nop 0
	s_sendmsg sendmsg(MSG_DEALLOC_VGPRS)
	s_endpgm
.LBB247_147:
	ds_load_u16 v9, v51
	s_wait_dscnt 0x0
	global_store_b16 v[0:1], v9, off
	s_wait_alu 0xfffe
	s_or_b32 exec_lo, exec_lo, s8
	s_and_saveexec_b32 s8, s1
	s_cbranch_execz .LBB247_130
.LBB247_148:
	s_lshl_b32 s10, s22, 7
	s_mov_b32 s11, 0
	s_wait_alu 0xfffe
	s_lshl_b64 s[10:11], s[10:11], 1
	s_wait_alu 0xfffe
	v_add_co_u32 v9, vcc_lo, v0, s10
	s_wait_alu 0xfffd
	v_add_co_ci_u32_e64 v10, null, s11, v1, vcc_lo
	s_wait_dscnt 0x6
	global_store_b16 v[9:10], v8, off
	s_or_b32 exec_lo, exec_lo, s8
	s_and_saveexec_b32 s8, s2
	s_cbranch_execz .LBB247_131
.LBB247_149:
	s_lshl_b32 s10, s22, 8
	s_mov_b32 s11, 0
	s_wait_alu 0xfffe
	s_lshl_b64 s[10:11], s[10:11], 1
	s_wait_dscnt 0x6
	s_wait_alu 0xfffe
	v_add_co_u32 v8, vcc_lo, v0, s10
	s_wait_alu 0xfffd
	v_add_co_ci_u32_e64 v9, null, s11, v1, vcc_lo
	s_wait_dscnt 0x5
	global_store_b16 v[8:9], v7, off
	s_or_b32 exec_lo, exec_lo, s8
	s_and_saveexec_b32 s8, s3
	s_cbranch_execz .LBB247_132
.LBB247_150:
	s_mul_i32 s10, s22, 0x180
	s_mov_b32 s11, 0
	s_wait_alu 0xfffe
	s_lshl_b64 s[10:11], s[10:11], 1
	s_wait_dscnt 0x5
	s_wait_alu 0xfffe
	v_add_co_u32 v7, vcc_lo, v0, s10
	s_wait_alu 0xfffd
	v_add_co_ci_u32_e64 v8, null, s11, v1, vcc_lo
	s_wait_dscnt 0x4
	global_store_b16 v[7:8], v6, off
	s_or_b32 exec_lo, exec_lo, s8
	s_and_saveexec_b32 s8, s4
	s_cbranch_execz .LBB247_133
.LBB247_151:
	s_lshl_b32 s10, s22, 9
	s_mov_b32 s11, 0
	s_wait_alu 0xfffe
	s_lshl_b64 s[10:11], s[10:11], 1
	s_wait_dscnt 0x4
	s_wait_alu 0xfffe
	v_add_co_u32 v6, vcc_lo, v0, s10
	s_wait_alu 0xfffd
	v_add_co_ci_u32_e64 v7, null, s11, v1, vcc_lo
	s_wait_dscnt 0x3
	global_store_b16 v[6:7], v5, off
	s_or_b32 exec_lo, exec_lo, s8
	s_and_saveexec_b32 s8, s5
	s_cbranch_execz .LBB247_134
.LBB247_152:
	s_mul_i32 s10, s22, 0x280
	s_mov_b32 s11, 0
	s_wait_alu 0xfffe
	s_lshl_b64 s[10:11], s[10:11], 1
	s_wait_dscnt 0x3
	s_wait_alu 0xfffe
	v_add_co_u32 v5, vcc_lo, v0, s10
	s_wait_alu 0xfffd
	v_add_co_ci_u32_e64 v6, null, s11, v1, vcc_lo
	s_wait_dscnt 0x2
	global_store_b16 v[5:6], v4, off
	s_or_b32 exec_lo, exec_lo, s8
	s_and_saveexec_b32 s8, s6
	s_cbranch_execz .LBB247_135
.LBB247_153:
	s_mul_i32 s10, s22, 0x300
	s_mov_b32 s11, 0
	s_wait_alu 0xfffe
	s_lshl_b64 s[10:11], s[10:11], 1
	s_wait_dscnt 0x2
	s_wait_alu 0xfffe
	v_add_co_u32 v4, vcc_lo, v0, s10
	s_wait_alu 0xfffd
	v_add_co_ci_u32_e64 v5, null, s11, v1, vcc_lo
	s_wait_dscnt 0x1
	global_store_b16 v[4:5], v3, off
	s_or_b32 exec_lo, exec_lo, s8
	s_and_saveexec_b32 s8, s7
	s_cbranch_execnz .LBB247_136
	s_branch .LBB247_137
.LBB247_154:
	ds_load_b64 v[16:17], v59
	s_wait_dscnt 0x0
	global_store_b64 v[2:3], v[16:17], off
	s_wait_alu 0xfffe
	s_or_b32 exec_lo, exec_lo, s8
	s_and_saveexec_b32 s0, s1
	s_cbranch_execz .LBB247_139
.LBB247_155:
	s_lshl_b32 s8, s28, 7
	s_mov_b32 s9, 0
	s_wait_alu 0xfffe
	s_lshl_b64 s[8:9], s[8:9], 3
	s_wait_alu 0xfffe
	v_add_co_u32 v16, vcc_lo, v2, s8
	s_wait_alu 0xfffd
	v_add_co_ci_u32_e64 v17, null, s9, v3, vcc_lo
	s_wait_dscnt 0x6
	global_store_b64 v[16:17], v[14:15], off
	s_or_b32 exec_lo, exec_lo, s0
	s_and_saveexec_b32 s0, s2
	s_cbranch_execz .LBB247_140
.LBB247_156:
	s_lshl_b32 s8, s28, 8
	s_mov_b32 s9, 0
	s_wait_alu 0xfffe
	s_lshl_b64 s[8:9], s[8:9], 3
	s_wait_dscnt 0x6
	s_wait_alu 0xfffe
	v_add_co_u32 v14, vcc_lo, v2, s8
	s_wait_alu 0xfffd
	v_add_co_ci_u32_e64 v15, null, s9, v3, vcc_lo
	s_wait_dscnt 0x5
	global_store_b64 v[14:15], v[12:13], off
	s_or_b32 exec_lo, exec_lo, s0
	s_and_saveexec_b32 s0, s3
	s_cbranch_execz .LBB247_141
.LBB247_157:
	s_mul_i32 s2, s28, 0x180
	s_mov_b32 s3, 0
	s_wait_alu 0xfffe
	s_lshl_b64 s[2:3], s[2:3], 3
	s_wait_dscnt 0x5
	s_wait_alu 0xfffe
	v_add_co_u32 v12, vcc_lo, v2, s2
	s_wait_alu 0xfffd
	v_add_co_ci_u32_e64 v13, null, s3, v3, vcc_lo
	s_wait_dscnt 0x4
	global_store_b64 v[12:13], v[10:11], off
	s_or_b32 exec_lo, exec_lo, s0
	s_and_saveexec_b32 s0, s4
	s_cbranch_execz .LBB247_142
.LBB247_158:
	s_lshl_b32 s2, s28, 9
	s_mov_b32 s3, 0
	s_wait_alu 0xfffe
	s_lshl_b64 s[2:3], s[2:3], 3
	s_wait_dscnt 0x4
	s_wait_alu 0xfffe
	v_add_co_u32 v10, vcc_lo, v2, s2
	s_wait_alu 0xfffd
	v_add_co_ci_u32_e64 v11, null, s3, v3, vcc_lo
	s_wait_dscnt 0x3
	global_store_b64 v[10:11], v[8:9], off
	s_or_b32 exec_lo, exec_lo, s0
	s_and_saveexec_b32 s0, s5
	s_cbranch_execz .LBB247_143
.LBB247_159:
	s_mul_i32 s2, s28, 0x280
	s_mov_b32 s3, 0
	s_wait_alu 0xfffe
	s_lshl_b64 s[2:3], s[2:3], 3
	s_wait_dscnt 0x3
	s_wait_alu 0xfffe
	v_add_co_u32 v8, vcc_lo, v2, s2
	s_wait_alu 0xfffd
	v_add_co_ci_u32_e64 v9, null, s3, v3, vcc_lo
	s_wait_dscnt 0x2
	global_store_b64 v[8:9], v[6:7], off
	s_or_b32 exec_lo, exec_lo, s0
	s_and_saveexec_b32 s0, s6
	s_cbranch_execz .LBB247_144
.LBB247_160:
	s_mul_i32 s2, s28, 0x300
	s_mov_b32 s3, 0
	s_wait_alu 0xfffe
	s_lshl_b64 s[2:3], s[2:3], 3
	s_wait_dscnt 0x2
	s_wait_alu 0xfffe
	v_add_co_u32 v6, vcc_lo, v2, s2
	s_wait_alu 0xfffd
	v_add_co_ci_u32_e64 v7, null, s3, v3, vcc_lo
	s_wait_dscnt 0x1
	global_store_b64 v[6:7], v[4:5], off
	s_or_b32 exec_lo, exec_lo, s0
	s_and_saveexec_b32 s0, s7
	s_cbranch_execnz .LBB247_145
	s_branch .LBB247_146
	.section	.rodata,"a",@progbits
	.p2align	6, 0x0
	.amdhsa_kernel _ZN2at6native18radixSortKVInPlaceILi2ELin1ELi128ELi8EN3c108BFloat16EljEEvNS_4cuda6detail10TensorInfoIT3_T5_EES8_S8_S8_NS6_IT4_S8_EES8_b
		.amdhsa_group_segment_fixed_size 8448
		.amdhsa_private_segment_fixed_size 0
		.amdhsa_kernarg_size 712
		.amdhsa_user_sgpr_count 2
		.amdhsa_user_sgpr_dispatch_ptr 0
		.amdhsa_user_sgpr_queue_ptr 0
		.amdhsa_user_sgpr_kernarg_segment_ptr 1
		.amdhsa_user_sgpr_dispatch_id 0
		.amdhsa_user_sgpr_private_segment_size 0
		.amdhsa_wavefront_size32 1
		.amdhsa_uses_dynamic_stack 0
		.amdhsa_enable_private_segment 0
		.amdhsa_system_sgpr_workgroup_id_x 1
		.amdhsa_system_sgpr_workgroup_id_y 1
		.amdhsa_system_sgpr_workgroup_id_z 1
		.amdhsa_system_sgpr_workgroup_info 0
		.amdhsa_system_vgpr_workitem_id 2
		.amdhsa_next_free_vgpr 113
		.amdhsa_next_free_sgpr 38
		.amdhsa_reserve_vcc 1
		.amdhsa_float_round_mode_32 0
		.amdhsa_float_round_mode_16_64 0
		.amdhsa_float_denorm_mode_32 3
		.amdhsa_float_denorm_mode_16_64 3
		.amdhsa_fp16_overflow 0
		.amdhsa_workgroup_processor_mode 1
		.amdhsa_memory_ordered 1
		.amdhsa_forward_progress 1
		.amdhsa_inst_pref_size 180
		.amdhsa_round_robin_scheduling 0
		.amdhsa_exception_fp_ieee_invalid_op 0
		.amdhsa_exception_fp_denorm_src 0
		.amdhsa_exception_fp_ieee_div_zero 0
		.amdhsa_exception_fp_ieee_overflow 0
		.amdhsa_exception_fp_ieee_underflow 0
		.amdhsa_exception_fp_ieee_inexact 0
		.amdhsa_exception_int_div_zero 0
	.end_amdhsa_kernel
	.section	.text._ZN2at6native18radixSortKVInPlaceILi2ELin1ELi128ELi8EN3c108BFloat16EljEEvNS_4cuda6detail10TensorInfoIT3_T5_EES8_S8_S8_NS6_IT4_S8_EES8_b,"axG",@progbits,_ZN2at6native18radixSortKVInPlaceILi2ELin1ELi128ELi8EN3c108BFloat16EljEEvNS_4cuda6detail10TensorInfoIT3_T5_EES8_S8_S8_NS6_IT4_S8_EES8_b,comdat
.Lfunc_end247:
	.size	_ZN2at6native18radixSortKVInPlaceILi2ELin1ELi128ELi8EN3c108BFloat16EljEEvNS_4cuda6detail10TensorInfoIT3_T5_EES8_S8_S8_NS6_IT4_S8_EES8_b, .Lfunc_end247-_ZN2at6native18radixSortKVInPlaceILi2ELin1ELi128ELi8EN3c108BFloat16EljEEvNS_4cuda6detail10TensorInfoIT3_T5_EES8_S8_S8_NS6_IT4_S8_EES8_b
                                        ; -- End function
	.set _ZN2at6native18radixSortKVInPlaceILi2ELin1ELi128ELi8EN3c108BFloat16EljEEvNS_4cuda6detail10TensorInfoIT3_T5_EES8_S8_S8_NS6_IT4_S8_EES8_b.num_vgpr, 113
	.set _ZN2at6native18radixSortKVInPlaceILi2ELin1ELi128ELi8EN3c108BFloat16EljEEvNS_4cuda6detail10TensorInfoIT3_T5_EES8_S8_S8_NS6_IT4_S8_EES8_b.num_agpr, 0
	.set _ZN2at6native18radixSortKVInPlaceILi2ELin1ELi128ELi8EN3c108BFloat16EljEEvNS_4cuda6detail10TensorInfoIT3_T5_EES8_S8_S8_NS6_IT4_S8_EES8_b.numbered_sgpr, 38
	.set _ZN2at6native18radixSortKVInPlaceILi2ELin1ELi128ELi8EN3c108BFloat16EljEEvNS_4cuda6detail10TensorInfoIT3_T5_EES8_S8_S8_NS6_IT4_S8_EES8_b.num_named_barrier, 0
	.set _ZN2at6native18radixSortKVInPlaceILi2ELin1ELi128ELi8EN3c108BFloat16EljEEvNS_4cuda6detail10TensorInfoIT3_T5_EES8_S8_S8_NS6_IT4_S8_EES8_b.private_seg_size, 0
	.set _ZN2at6native18radixSortKVInPlaceILi2ELin1ELi128ELi8EN3c108BFloat16EljEEvNS_4cuda6detail10TensorInfoIT3_T5_EES8_S8_S8_NS6_IT4_S8_EES8_b.uses_vcc, 1
	.set _ZN2at6native18radixSortKVInPlaceILi2ELin1ELi128ELi8EN3c108BFloat16EljEEvNS_4cuda6detail10TensorInfoIT3_T5_EES8_S8_S8_NS6_IT4_S8_EES8_b.uses_flat_scratch, 0
	.set _ZN2at6native18radixSortKVInPlaceILi2ELin1ELi128ELi8EN3c108BFloat16EljEEvNS_4cuda6detail10TensorInfoIT3_T5_EES8_S8_S8_NS6_IT4_S8_EES8_b.has_dyn_sized_stack, 0
	.set _ZN2at6native18radixSortKVInPlaceILi2ELin1ELi128ELi8EN3c108BFloat16EljEEvNS_4cuda6detail10TensorInfoIT3_T5_EES8_S8_S8_NS6_IT4_S8_EES8_b.has_recursion, 0
	.set _ZN2at6native18radixSortKVInPlaceILi2ELin1ELi128ELi8EN3c108BFloat16EljEEvNS_4cuda6detail10TensorInfoIT3_T5_EES8_S8_S8_NS6_IT4_S8_EES8_b.has_indirect_call, 0
	.section	.AMDGPU.csdata,"",@progbits
; Kernel info:
; codeLenInByte = 22964
; TotalNumSgprs: 40
; NumVgprs: 113
; ScratchSize: 0
; MemoryBound: 0
; FloatMode: 240
; IeeeMode: 1
; LDSByteSize: 8448 bytes/workgroup (compile time only)
; SGPRBlocks: 0
; VGPRBlocks: 14
; NumSGPRsForWavesPerEU: 40
; NumVGPRsForWavesPerEU: 113
; Occupancy: 12
; WaveLimiterHint : 1
; COMPUTE_PGM_RSRC2:SCRATCH_EN: 0
; COMPUTE_PGM_RSRC2:USER_SGPR: 2
; COMPUTE_PGM_RSRC2:TRAP_HANDLER: 0
; COMPUTE_PGM_RSRC2:TGID_X_EN: 1
; COMPUTE_PGM_RSRC2:TGID_Y_EN: 1
; COMPUTE_PGM_RSRC2:TGID_Z_EN: 1
; COMPUTE_PGM_RSRC2:TIDIG_COMP_CNT: 2
	.section	.text._ZN2at6native18radixSortKVInPlaceILi2ELin1ELi32ELi4EN3c108BFloat16EljEEvNS_4cuda6detail10TensorInfoIT3_T5_EES8_S8_S8_NS6_IT4_S8_EES8_b,"axG",@progbits,_ZN2at6native18radixSortKVInPlaceILi2ELin1ELi32ELi4EN3c108BFloat16EljEEvNS_4cuda6detail10TensorInfoIT3_T5_EES8_S8_S8_NS6_IT4_S8_EES8_b,comdat
	.protected	_ZN2at6native18radixSortKVInPlaceILi2ELin1ELi32ELi4EN3c108BFloat16EljEEvNS_4cuda6detail10TensorInfoIT3_T5_EES8_S8_S8_NS6_IT4_S8_EES8_b ; -- Begin function _ZN2at6native18radixSortKVInPlaceILi2ELin1ELi32ELi4EN3c108BFloat16EljEEvNS_4cuda6detail10TensorInfoIT3_T5_EES8_S8_S8_NS6_IT4_S8_EES8_b
	.globl	_ZN2at6native18radixSortKVInPlaceILi2ELin1ELi32ELi4EN3c108BFloat16EljEEvNS_4cuda6detail10TensorInfoIT3_T5_EES8_S8_S8_NS6_IT4_S8_EES8_b
	.p2align	8
	.type	_ZN2at6native18radixSortKVInPlaceILi2ELin1ELi32ELi4EN3c108BFloat16EljEEvNS_4cuda6detail10TensorInfoIT3_T5_EES8_S8_S8_NS6_IT4_S8_EES8_b,@function
_ZN2at6native18radixSortKVInPlaceILi2ELin1ELi32ELi4EN3c108BFloat16EljEEvNS_4cuda6detail10TensorInfoIT3_T5_EES8_S8_S8_NS6_IT4_S8_EES8_b: ; @_ZN2at6native18radixSortKVInPlaceILi2ELin1ELi32ELi4EN3c108BFloat16EljEEvNS_4cuda6detail10TensorInfoIT3_T5_EES8_S8_S8_NS6_IT4_S8_EES8_b
; %bb.0:
	s_clause 0x1
	s_load_b64 s[2:3], s[0:1], 0x1c8
	s_load_b96 s[12:14], s[0:1], 0xd8
	s_lshr_b32 s4, ttmp7, 16
	s_wait_kmcnt 0x0
	s_mul_i32 s3, s3, s4
	s_and_b32 s4, ttmp7, 0xffff
	s_delay_alu instid0(SALU_CYCLE_1) | instskip(NEXT) | instid1(SALU_CYCLE_1)
	s_add_co_i32 s3, s3, s4
	s_mul_i32 s2, s3, s2
	s_delay_alu instid0(SALU_CYCLE_1) | instskip(NEXT) | instid1(SALU_CYCLE_1)
	s_add_co_i32 s2, s2, ttmp9
	s_cmp_ge_u32 s2, s12
	s_cbranch_scc1 .LBB248_74
; %bb.1:
	s_clause 0x2
	s_load_b32 s12, s[0:1], 0xc
	s_load_b64 s[8:9], s[0:1], 0x6c
	s_load_b32 s15, s[0:1], 0x1b8
	s_add_nc_u64 s[6:7], s[0:1], 0xe8
	s_wait_kmcnt 0x0
	s_cvt_f32_u32 s3, s12
	s_delay_alu instid0(SALU_CYCLE_3) | instskip(NEXT) | instid1(TRANS32_DEP_1)
	v_rcp_iflag_f32_e32 v1, s3
	v_readfirstlane_b32 s3, v1
	s_mul_f32 s3, s3, 0x4f7ffffe
	s_wait_alu 0xfffe
	s_delay_alu instid0(SALU_CYCLE_2) | instskip(SKIP_2) | instid1(SALU_CYCLE_1)
	s_cvt_u32_f32 s4, s3
	s_sub_co_i32 s3, 0, s12
	s_wait_alu 0xfffe
	s_mul_i32 s5, s3, s4
	s_mov_b32 s3, 0
	s_mul_hi_u32 s5, s4, s5
	s_wait_alu 0xfffe
	s_mov_b32 s11, s3
	s_add_co_i32 s10, s4, s5
	s_cmp_lt_i32 s15, 2
	s_mov_b32 s4, s2
	s_mov_b32 s5, s3
	s_cbranch_scc1 .LBB248_4
; %bb.2:
	s_add_co_i32 s4, s15, -1
	s_mov_b32 s5, 0
	s_add_co_i32 s15, s15, 1
	s_lshl_b64 s[16:17], s[4:5], 2
	s_mov_b32 s4, s2
	s_add_nc_u64 s[16:17], s[6:7], s[16:17]
	s_delay_alu instid0(SALU_CYCLE_1)
	s_add_nc_u64 s[16:17], s[16:17], 8
.LBB248_3:                              ; =>This Inner Loop Header: Depth=1
	s_clause 0x1
	s_load_b32 s18, s[16:17], 0x0
	s_load_b32 s19, s[16:17], 0x64
	s_mov_b32 s22, s4
	s_add_nc_u64 s[16:17], s[16:17], -4
	s_wait_kmcnt 0x0
	s_cvt_f32_u32 s20, s18
	s_sub_co_i32 s21, 0, s18
	s_wait_alu 0xfffe
	s_delay_alu instid0(SALU_CYCLE_1) | instskip(NEXT) | instid1(TRANS32_DEP_1)
	v_rcp_iflag_f32_e32 v1, s20
	v_readfirstlane_b32 s20, v1
	s_mul_f32 s20, s20, 0x4f7ffffe
	s_wait_alu 0xfffe
	s_delay_alu instid0(SALU_CYCLE_2) | instskip(SKIP_1) | instid1(SALU_CYCLE_2)
	s_cvt_u32_f32 s20, s20
	s_wait_alu 0xfffe
	s_mul_i32 s21, s21, s20
	s_wait_alu 0xfffe
	s_mul_hi_u32 s21, s20, s21
	s_wait_alu 0xfffe
	s_add_co_i32 s20, s20, s21
	s_wait_alu 0xfffe
	s_mul_hi_u32 s4, s4, s20
	s_delay_alu instid0(SALU_CYCLE_1)
	s_mul_i32 s20, s4, s18
	s_add_co_i32 s21, s4, 1
	s_wait_alu 0xfffe
	s_sub_co_i32 s20, s22, s20
	s_wait_alu 0xfffe
	s_sub_co_i32 s23, s20, s18
	s_cmp_ge_u32 s20, s18
	s_cselect_b32 s4, s21, s4
	s_cselect_b32 s20, s23, s20
	s_add_co_i32 s21, s4, 1
	s_wait_alu 0xfffe
	s_cmp_ge_u32 s20, s18
	s_cselect_b32 s4, s21, s4
	s_add_co_i32 s15, s15, -1
	s_mul_i32 s18, s4, s18
	s_delay_alu instid0(SALU_CYCLE_1) | instskip(NEXT) | instid1(SALU_CYCLE_1)
	s_sub_co_i32 s18, s22, s18
	s_mul_i32 s18, s19, s18
	s_delay_alu instid0(SALU_CYCLE_1)
	s_add_co_i32 s5, s18, s5
	s_cmp_gt_u32 s15, 2
	s_cbranch_scc1 .LBB248_3
.LBB248_4:
	s_mul_u64 s[10:11], s[2:3], s[10:11]
	s_clause 0x1
	s_load_b64 s[18:19], s[0:1], 0x0
	s_load_b64 s[16:17], s[0:1], 0x1c0
	s_mul_i32 s3, s11, s12
	s_add_nc_u64 s[22:23], s[0:1], 0x1c8
	s_wait_alu 0xfffe
	s_sub_co_i32 s0, s2, s3
	s_add_co_i32 s1, s11, 1
	s_sub_co_i32 s3, s0, s12
	s_cmp_ge_u32 s0, s12
	v_and_b32_e32 v21, 0x3ff, v0
	s_cselect_b32 s1, s1, s11
	s_wait_alu 0xfffe
	s_cselect_b32 s0, s3, s0
	s_add_co_i32 s3, s1, 1
	s_cmp_ge_u32 s0, s12
	v_mul_lo_u32 v17, s14, v21
	s_wait_alu 0xfffe
	s_cselect_b32 s0, s3, s1
	s_mov_b32 s3, 0
	s_mul_i32 s1, s0, s12
	s_mul_i32 s0, s0, s8
	s_sub_co_i32 s1, s2, s1
	s_delay_alu instid0(SALU_CYCLE_1) | instskip(NEXT) | instid1(SALU_CYCLE_1)
	s_mul_i32 s1, s1, s9
	s_add_co_i32 s2, s0, s1
	s_wait_kmcnt 0x0
	s_bitcmp1_b32 s17, 0
	s_mov_b32 s0, 0xffff
	s_cselect_b32 s8, -1, 0
	s_delay_alu instid0(SALU_CYCLE_1)
	s_and_b32 s1, s8, exec_lo
	s_cselect_b32 s9, s0, 0x7fff
	v_cmp_gt_u32_e64 s0, s13, v21
	v_mov_b32_e32 v1, s9
	s_wait_alu 0xfffe
	s_lshl_b64 s[2:3], s[2:3], 1
	s_wait_alu 0xfffe
	s_add_nc_u64 s[18:19], s[18:19], s[2:3]
	s_and_saveexec_b32 s1, s0
	s_cbranch_execz .LBB248_6
; %bb.5:
	v_mov_b32_e32 v18, 0
	s_delay_alu instid0(VALU_DEP_1) | instskip(NEXT) | instid1(VALU_DEP_1)
	v_lshlrev_b64_e32 v[1:2], 1, v[17:18]
	v_add_co_u32 v1, vcc_lo, s18, v1
	s_delay_alu instid0(VALU_DEP_1)
	v_add_co_ci_u32_e64 v2, null, s19, v2, vcc_lo
	global_load_u16 v1, v[1:2], off
.LBB248_6:
	s_or_b32 exec_lo, exec_lo, s1
	v_dual_mov_b32 v2, s9 :: v_dual_add_nc_u32 v9, 32, v21
	s_delay_alu instid0(VALU_DEP_1)
	v_cmp_gt_u32_e64 s1, s13, v9
	s_and_saveexec_b32 s2, s1
	s_cbranch_execz .LBB248_8
; %bb.7:
	v_mul_lo_u32 v2, s14, v9
	v_mov_b32_e32 v3, 0
	s_delay_alu instid0(VALU_DEP_1) | instskip(NEXT) | instid1(VALU_DEP_1)
	v_lshlrev_b64_e32 v[2:3], 1, v[2:3]
	v_add_co_u32 v2, vcc_lo, s18, v2
	s_wait_alu 0xfffd
	s_delay_alu instid0(VALU_DEP_2)
	v_add_co_ci_u32_e64 v3, null, s19, v3, vcc_lo
	global_load_u16 v2, v[2:3], off
.LBB248_8:
	s_wait_alu 0xfffe
	s_or_b32 exec_lo, exec_lo, s2
	v_dual_mov_b32 v3, s9 :: v_dual_add_nc_u32 v10, 64, v21
	s_delay_alu instid0(VALU_DEP_1)
	v_cmp_gt_u32_e64 s2, s13, v10
	s_and_saveexec_b32 s3, s2
	s_cbranch_execz .LBB248_10
; %bb.9:
	v_mul_lo_u32 v3, s14, v10
	v_mov_b32_e32 v4, 0
	s_delay_alu instid0(VALU_DEP_1) | instskip(NEXT) | instid1(VALU_DEP_1)
	v_lshlrev_b64_e32 v[3:4], 1, v[3:4]
	v_add_co_u32 v3, vcc_lo, s18, v3
	s_wait_alu 0xfffd
	s_delay_alu instid0(VALU_DEP_2)
	v_add_co_ci_u32_e64 v4, null, s19, v4, vcc_lo
	global_load_u16 v3, v[3:4], off
.LBB248_10:
	s_wait_alu 0xfffe
	s_or_b32 exec_lo, exec_lo, s3
	s_clause 0x1
	s_load_b32 s10, s[6:7], 0x6c
	s_load_b64 s[6:7], s[6:7], 0x0
	v_dual_mov_b32 v4, s9 :: v_dual_add_nc_u32 v11, 0x60, v21
	s_delay_alu instid0(VALU_DEP_1)
	v_cmp_gt_u32_e64 s3, s13, v11
	s_and_saveexec_b32 s9, s3
	s_cbranch_execz .LBB248_12
; %bb.11:
	v_mul_lo_u32 v4, s14, v11
	v_mov_b32_e32 v5, 0
	s_delay_alu instid0(VALU_DEP_1) | instskip(NEXT) | instid1(VALU_DEP_1)
	v_lshlrev_b64_e32 v[4:5], 1, v[4:5]
	v_add_co_u32 v4, vcc_lo, s18, v4
	s_wait_alu 0xfffd
	s_delay_alu instid0(VALU_DEP_2)
	v_add_co_ci_u32_e64 v5, null, s19, v5, vcc_lo
	global_load_u16 v4, v[4:5], off
.LBB248_12:
	s_wait_alu 0xfffe
	s_or_b32 exec_lo, exec_lo, s9
	v_lshrrev_b32_e32 v5, 4, v21
	v_lshrrev_b32_e32 v6, 4, v9
	v_lshlrev_b32_e32 v7, 1, v21
	v_lshrrev_b32_e32 v8, 4, v10
	v_lshrrev_b32_e32 v13, 2, v21
	v_and_b32_e32 v5, 60, v5
	v_and_b32_e32 v6, 0x7c, v6
	v_lshrrev_b32_e32 v12, 4, v11
	v_and_b32_e32 v8, 0x7c, v8
	s_wait_kmcnt 0x0
	s_mul_i32 s4, s10, s4
	v_add_nc_u32_e32 v32, v5, v7
	v_add_nc_u32_e32 v18, v6, v7
	v_and_b32_e32 v5, 0xfc, v13
	v_and_b32_e32 v12, 0x7c, v12
	v_mul_lo_u32 v19, s16, v21
	s_wait_loadcnt 0x0
	ds_store_b16 v32, v1
	ds_store_b16 v18, v2 offset:64
	v_mov_b32_e32 v1, 0
	v_lshl_add_u32 v35, v21, 3, v5
	v_dual_mov_b32 v2, 0 :: v_dual_add_nc_u32 v33, v8, v7
	v_add_nc_u32_e32 v34, v12, v7
	ds_store_b16 v33, v3 offset:128
	ds_store_b16 v34, v4 offset:192
	s_wait_dscnt 0x0
	; wave barrier
	global_inv scope:SCOPE_SE
	ds_load_2addr_b32 v[22:23], v35 offset1:1
	s_add_co_i32 s4, s4, s5
	s_mov_b32 s5, 0
	v_mov_b32_e32 v3, 0
	v_mov_b32_e32 v4, 0
	s_lshl_b64 s[4:5], s[4:5], 3
	s_wait_loadcnt_dscnt 0x0
	s_add_nc_u64 s[20:21], s[6:7], s[4:5]
	; wave barrier
	global_inv scope:SCOPE_SE
	s_and_saveexec_b32 s4, s0
	s_cbranch_execz .LBB248_14
; %bb.13:
	v_mov_b32_e32 v20, 0
	s_delay_alu instid0(VALU_DEP_1) | instskip(SKIP_1) | instid1(VALU_DEP_1)
	v_lshlrev_b64_e32 v[3:4], 3, v[19:20]
	s_wait_alu 0xfffe
	v_add_co_u32 v3, vcc_lo, s20, v3
	s_wait_alu 0xfffd
	s_delay_alu instid0(VALU_DEP_2)
	v_add_co_ci_u32_e64 v4, null, s21, v4, vcc_lo
	global_load_b64 v[3:4], v[3:4], off
.LBB248_14:
	s_or_b32 exec_lo, exec_lo, s4
	s_and_saveexec_b32 s4, s1
	s_cbranch_execz .LBB248_16
; %bb.15:
	v_mul_lo_u32 v1, s16, v9
	v_mov_b32_e32 v2, 0
	s_delay_alu instid0(VALU_DEP_1) | instskip(SKIP_1) | instid1(VALU_DEP_1)
	v_lshlrev_b64_e32 v[1:2], 3, v[1:2]
	s_wait_alu 0xfffe
	v_add_co_u32 v1, vcc_lo, s20, v1
	s_wait_alu 0xfffd
	s_delay_alu instid0(VALU_DEP_2)
	v_add_co_ci_u32_e64 v2, null, s21, v2, vcc_lo
	global_load_b64 v[1:2], v[1:2], off
.LBB248_16:
	s_or_b32 exec_lo, exec_lo, s4
	v_mov_b32_e32 v5, 0
	v_dual_mov_b32 v6, 0 :: v_dual_mov_b32 v7, 0
	v_mov_b32_e32 v8, 0
	s_and_saveexec_b32 s4, s2
	s_cbranch_execz .LBB248_18
; %bb.17:
	v_mul_lo_u32 v7, s16, v10
	v_mov_b32_e32 v8, 0
	s_delay_alu instid0(VALU_DEP_1) | instskip(SKIP_1) | instid1(VALU_DEP_1)
	v_lshlrev_b64_e32 v[7:8], 3, v[7:8]
	s_wait_alu 0xfffe
	v_add_co_u32 v7, vcc_lo, s20, v7
	s_wait_alu 0xfffd
	s_delay_alu instid0(VALU_DEP_2)
	v_add_co_ci_u32_e64 v8, null, s21, v8, vcc_lo
	global_load_b64 v[7:8], v[7:8], off
.LBB248_18:
	s_or_b32 exec_lo, exec_lo, s4
	v_lshrrev_b32_e32 v12, 5, v21
	v_lshrrev_b32_e32 v9, 5, v9
	;; [unrolled: 1-line block ×4, first 2 shown]
	v_lshlrev_b32_e32 v41, 2, v21
	v_lshrrev_b32_e32 v14, 3, v21
	s_xor_b32 s6, s8, -1
	s_and_saveexec_b32 s4, s3
	s_cbranch_execz .LBB248_20
; %bb.19:
	v_mul_lo_u32 v5, s16, v11
	v_mov_b32_e32 v6, 0
	s_delay_alu instid0(VALU_DEP_1) | instskip(SKIP_1) | instid1(VALU_DEP_1)
	v_lshlrev_b64_e32 v[5:6], 3, v[5:6]
	s_wait_alu 0xfffe
	v_add_co_u32 v5, vcc_lo, s20, v5
	s_wait_alu 0xfffd
	s_delay_alu instid0(VALU_DEP_2)
	v_add_co_ci_u32_e64 v6, null, s21, v6, vcc_lo
	global_load_b64 v[5:6], v[5:6], off
.LBB248_20:
	s_or_b32 exec_lo, exec_lo, s4
	v_lshlrev_b32_e32 v11, 3, v21
	v_lshlrev_b32_e32 v40, 3, v41
	v_mbcnt_lo_u32_b32 v44, -1, 0
	v_lshrrev_b32_e32 v48, 16, v22
	v_lshrrev_b32_e32 v47, 16, v23
	v_lshl_add_u32 v36, v12, 3, v11
	v_lshl_add_u32 v39, v14, 3, v40
	v_lshl_add_u32 v20, v9, 3, v11
	v_lshl_add_u32 v37, v10, 3, v11
	v_lshl_add_u32 v38, v13, 3, v11
	s_wait_loadcnt 0x0
	ds_store_b64 v36, v[3:4]
	ds_store_b64 v20, v[1:2] offset:256
	ds_store_b64 v37, v[7:8] offset:512
	;; [unrolled: 1-line block ×3, first 2 shown]
	s_wait_dscnt 0x0
	; wave barrier
	global_inv scope:SCOPE_SE
	ds_load_2addr_b64 v[5:8], v39 offset1:1
	ds_load_2addr_b64 v[1:4], v39 offset0:2 offset1:3
	v_and_b32_e32 v43, 3, v44
	v_and_b32_e32 v45, 28, v44
	s_and_b32 vcc_lo, exec_lo, s6
	v_bfe_u32 v46, v0, 10, 10
	v_bfe_u32 v0, v0, 20, 10
	v_cmp_eq_u32_e64 s5, 1, v43
	v_cmp_eq_u32_e64 s4, 2, v43
	;; [unrolled: 1-line block ×3, first 2 shown]
	v_lshlrev_b32_e32 v42, 5, v21
	s_mov_b32 s7, -1
	; wave barrier
	s_wait_loadcnt_dscnt 0x0
	global_inv scope:SCOPE_SE
                                        ; implicit-def: $vgpr14
                                        ; implicit-def: $vgpr13
	s_wait_alu 0xfffe
	s_cbranch_vccz .LBB248_42
; %bb.21:
	v_cmp_lt_i16_e32 vcc_lo, -1, v22
	s_getpc_b64 s[8:9]
	s_wait_alu 0xfffe
	s_sext_i32_i16 s9, s9
	s_add_co_u32 s8, s8, _ZN7rocprim17ROCPRIM_400000_NS16block_radix_sortI12hip_bfloat16Lj32ELj4ElLj1ELj1ELj0ELNS0_26block_radix_rank_algorithmE1ELNS0_18block_padding_hintE2ELNS0_4arch9wavefront6targetE0EE19radix_bits_per_passE@rel32@lo+12
	s_wait_alu 0xfffe
	s_add_co_ci_u32 s9, s9, _ZN7rocprim17ROCPRIM_400000_NS16block_radix_sortI12hip_bfloat16Lj32ELj4ElLj1ELj1ELj0ELNS0_26block_radix_rank_algorithmE1ELNS0_18block_padding_hintE2ELNS0_4arch9wavefront6targetE0EE19radix_bits_per_passE@rel32@hi+24
	s_wait_loadcnt 0x0
	s_load_b32 s13, s[8:9], 0x0
	; wave barrier
	global_inv scope:SCOPE_SE
	v_cndmask_b32_e64 v9, -1, 0xffff8000, vcc_lo
	v_cmp_lt_i16_e32 vcc_lo, -1, v48
	s_load_b32 s9, s[22:23], 0xc
	ds_bpermute_b32 v56, v45, v5
	ds_bpermute_b32 v31, v45, v6
	v_xor_b32_e32 v9, v9, v22
	v_cndmask_b32_e64 v10, -1, 0xffff8000, vcc_lo
	v_cmp_lt_i16_e32 vcc_lo, -1, v23
	ds_bpermute_b32 v49, v45, v7
	ds_bpermute_b32 v28, v45, v8
	v_and_b32_e32 v9, 0xffff, v9
	v_xor_b32_e32 v10, v10, v48
	s_wait_alu 0xfffd
	v_cndmask_b32_e64 v11, -1, 0xffff8000, vcc_lo
	v_cmp_lt_i16_e32 vcc_lo, -1, v47
	ds_bpermute_b32 v29, v45, v1
	ds_bpermute_b32 v13, v45, v9
	v_dual_mov_b32 v83, 0 :: v_dual_and_b32 v10, 0xffff, v10
	s_wait_alu 0xfffd
	v_cndmask_b32_e64 v12, -1, 0xffff8000, vcc_lo
	v_xor_b32_e32 v11, v11, v23
	s_wait_kmcnt 0x0
	s_min_u32 s7, s13, 16
	ds_bpermute_b32 v14, v45, v10
	s_lshl_b32 s7, -1, s7
	v_xor_b32_e32 v12, v12, v47
	v_and_b32_e32 v11, 0xffff, v11
	s_not_b32 s8, s7
	ds_bpermute_b32 v25, v45, v2
	ds_bpermute_b32 v26, v45, v3
	v_and_b32_e32 v12, 0xffff, v12
	ds_bpermute_b32 v15, v45, v11
	ds_bpermute_b32 v27, v45, v4
	ds_bpermute_b32 v63, v45, v5 offset:32
	ds_bpermute_b32 v64, v45, v6 offset:32
	ds_bpermute_b32 v16, v45, v12
	ds_bpermute_b32 v55, v45, v7 offset:32
	ds_bpermute_b32 v57, v45, v8 offset:32
	;; [unrolled: 1-line block ×7, first 2 shown]
	s_wait_dscnt 0xe
	v_cndmask_b32_e64 v13, v13, v14, s5
	ds_bpermute_b32 v66, v45, v6 offset:64
	ds_bpermute_b32 v60, v45, v7 offset:64
	;; [unrolled: 1-line block ×7, first 2 shown]
	s_wait_dscnt 0x12
	v_cndmask_b32_e64 v13, v13, v15, s4
	ds_bpermute_b32 v67, v45, v5 offset:96
	ds_bpermute_b32 v68, v45, v9 offset:32
	;; [unrolled: 1-line block ×4, first 2 shown]
	s_wait_dscnt 0x12
	v_cndmask_b32_e64 v62, v13, v16, s6
	ds_bpermute_b32 v80, v45, v12 offset:32
	ds_bpermute_b32 v14, v45, v10 offset:64
	;; [unrolled: 1-line block ×4, first 2 shown]
	v_and_b32_e32 v13, 0xffff, v62
	v_cmp_ne_u16_e32 vcc_lo, 0x7fff, v62
	ds_bpermute_b32 v12, v45, v12 offset:96
	ds_store_2addr_b32 v42, v83, v83 offset0:1 offset1:2
	ds_store_2addr_b32 v42, v83, v83 offset0:3 offset1:4
	;; [unrolled: 1-line block ×4, first 2 shown]
	; wave barrier
	s_wait_loadcnt_dscnt 0x0
	global_inv scope:SCOPE_SE
	s_wait_alu 0xfffd
	v_cndmask_b32_e32 v13, 0x8000, v13, vcc_lo
	; wave barrier
	s_wait_alu 0xfffe
	s_delay_alu instid0(VALU_DEP_1)
	v_and_b32_e32 v78, s8, v13
	ds_bpermute_b32 v13, v45, v9 offset:64
	ds_bpermute_b32 v9, v45, v9 offset:96
	v_and_b32_e32 v15, 1, v78
	v_lshlrev_b32_e32 v24, 30, v78
	v_lshlrev_b32_e32 v72, 28, v78
	s_delay_alu instid0(VALU_DEP_3)
	v_add_co_u32 v69, s7, v15, -1
	s_wait_alu 0xf1ff
	v_cndmask_b32_e64 v70, 0, 1, s7
	v_not_b32_e32 v71, v24
	v_cmp_gt_i32_e64 s7, 0, v24
	ds_bpermute_b32 v15, v45, v11 offset:64
	ds_bpermute_b32 v11, v45, v11 offset:96
	v_cmp_ne_u32_e32 vcc_lo, 0, v70
	v_lshlrev_b32_e32 v70, 29, v78
	v_ashrrev_i32_e32 v24, 31, v71
	s_wait_alu 0xfffd
	v_xor_b32_e32 v69, vcc_lo, v69
	s_delay_alu instid0(VALU_DEP_3)
	v_not_b32_e32 v71, v70
	s_wait_alu 0xf1ff
	v_xor_b32_e32 v24, s7, v24
	v_cmp_gt_i32_e32 vcc_lo, 0, v70
	s_lshr_b32 s7, s9, 16
	v_and_b32_e32 v69, exec_lo, v69
	v_ashrrev_i32_e32 v70, 31, v71
	v_not_b32_e32 v71, v72
	s_wait_alu 0xfffe
	v_mad_u32_u24 v75, v0, s7, v46
	s_and_b32 s9, s9, 0xffff
	v_and_b32_e32 v24, v69, v24
	v_lshlrev_b32_e32 v69, 27, v78
	s_wait_alu 0xfffd
	v_xor_b32_e32 v70, vcc_lo, v70
	v_cmp_gt_i32_e32 vcc_lo, 0, v72
	v_ashrrev_i32_e32 v72, 31, v71
	s_wait_alu 0xfffe
	v_mad_co_u64_u32 v[81:82], null, v75, s9, v[21:22]
	v_not_b32_e32 v73, v69
	v_and_b32_e32 v24, v24, v70
	v_lshlrev_b32_e32 v70, 26, v78
	s_wait_alu 0xfffd
	v_xor_b32_e32 v72, vcc_lo, v72
	v_cmp_gt_i32_e32 vcc_lo, 0, v69
	v_ashrrev_i32_e32 v73, 31, v73
	ds_bpermute_b32 v71, v45, v6 offset:96
	v_not_b32_e32 v74, v70
	v_and_b32_e32 v24, v24, v72
	v_lshlrev_b32_e32 v72, 25, v78
	s_wait_alu 0xfffd
	v_xor_b32_e32 v73, vcc_lo, v73
	v_cmp_gt_i32_e32 vcc_lo, 0, v70
	v_ashrrev_i32_e32 v70, 31, v74
	ds_bpermute_b32 v69, v45, v7 offset:96
	;; [unrolled: 8-line block ×3, first 2 shown]
	v_not_b32_e32 v74, v73
	v_and_b32_e32 v24, v24, v70
	v_lshrrev_b32_e32 v82, 5, v81
	s_wait_alu 0xfffd
	v_xor_b32_e32 v70, vcc_lo, v72
	v_cmp_gt_i32_e32 vcc_lo, 0, v73
	v_ashrrev_i32_e32 v72, 31, v74
	ds_bpermute_b32 v73, v45, v1 offset:96
	ds_bpermute_b32 v74, v45, v2 offset:96
	v_and_b32_e32 v24, v24, v70
	ds_bpermute_b32 v70, v45, v3 offset:96
	s_wait_alu 0xfffd
	v_xor_b32_e32 v76, vcc_lo, v72
	ds_bpermute_b32 v72, v45, v4 offset:96
	v_and_b32_e32 v81, v24, v76
	v_lshlrev_b32_e32 v24, 2, v82
	s_delay_alu instid0(VALU_DEP_2) | instskip(SKIP_1) | instid1(VALU_DEP_3)
	v_mbcnt_lo_u32_b32 v76, v81, 0
	v_cmp_ne_u32_e64 s7, 0, v81
	v_lshl_add_u32 v78, v78, 2, v24
	s_delay_alu instid0(VALU_DEP_3)
	v_cmp_eq_u32_e32 vcc_lo, 0, v76
	s_and_b32 s9, s7, vcc_lo
	s_wait_alu 0xfffe
	s_and_saveexec_b32 s7, s9
; %bb.22:
	v_bcnt_u32_b32 v81, v81, 0
	ds_store_b32 v78, v81 offset:4
; %bb.23:
	s_wait_alu 0xfffe
	s_or_b32 exec_lo, exec_lo, s7
	v_cndmask_b32_e64 v68, v68, v77, s5
	; wave barrier
	s_delay_alu instid0(VALU_DEP_1) | instskip(NEXT) | instid1(VALU_DEP_1)
	v_cndmask_b32_e64 v68, v68, v79, s4
	v_cndmask_b32_e64 v77, v68, v80, s6
	s_delay_alu instid0(VALU_DEP_1) | instskip(SKIP_2) | instid1(VALU_DEP_2)
	v_and_b32_e32 v68, 0xffff, v77
	v_cmp_ne_u16_e32 vcc_lo, 0x7fff, v77
	s_wait_alu 0xfffd
	v_cndmask_b32_e32 v68, 0x8000, v68, vcc_lo
	s_delay_alu instid0(VALU_DEP_1) | instskip(NEXT) | instid1(VALU_DEP_1)
	v_and_b32_e32 v68, s8, v68
	v_and_b32_e32 v79, 1, v68
	v_lshlrev_b32_e32 v80, 30, v68
	v_lshlrev_b32_e32 v81, 29, v68
	;; [unrolled: 1-line block ×4, first 2 shown]
	v_add_co_u32 v79, s7, v79, -1
	s_wait_alu 0xf1ff
	v_cndmask_b32_e64 v83, 0, 1, s7
	v_not_b32_e32 v87, v80
	v_cmp_gt_i32_e64 s7, 0, v80
	v_not_b32_e32 v80, v81
	v_lshlrev_b32_e32 v85, 26, v68
	v_cmp_ne_u32_e32 vcc_lo, 0, v83
	v_ashrrev_i32_e32 v87, 31, v87
	v_lshlrev_b32_e32 v86, 25, v68
	v_ashrrev_i32_e32 v80, 31, v80
	v_lshlrev_b32_e32 v83, 24, v68
	s_wait_alu 0xfffd
	v_xor_b32_e32 v79, vcc_lo, v79
	v_cmp_gt_i32_e32 vcc_lo, 0, v81
	v_not_b32_e32 v81, v82
	s_wait_alu 0xf1ff
	v_xor_b32_e32 v87, s7, v87
	v_cmp_gt_i32_e64 s7, 0, v82
	v_and_b32_e32 v79, exec_lo, v79
	v_not_b32_e32 v82, v84
	v_ashrrev_i32_e32 v81, 31, v81
	s_wait_alu 0xfffd
	v_xor_b32_e32 v80, vcc_lo, v80
	v_cmp_gt_i32_e32 vcc_lo, 0, v84
	v_and_b32_e32 v79, v79, v87
	v_not_b32_e32 v84, v85
	v_ashrrev_i32_e32 v82, 31, v82
	s_wait_alu 0xf1ff
	v_xor_b32_e32 v81, s7, v81
	v_cmp_gt_i32_e64 s7, 0, v85
	v_and_b32_e32 v79, v79, v80
	v_not_b32_e32 v80, v86
	v_ashrrev_i32_e32 v84, 31, v84
	s_wait_alu 0xfffd
	v_xor_b32_e32 v82, vcc_lo, v82
	v_cmp_gt_i32_e32 vcc_lo, 0, v86
	v_and_b32_e32 v79, v79, v81
	v_not_b32_e32 v81, v83
	v_ashrrev_i32_e32 v80, 31, v80
	s_wait_alu 0xf1ff
	v_xor_b32_e32 v84, s7, v84
	v_cmp_gt_i32_e64 s7, 0, v83
	v_and_b32_e32 v79, v79, v82
	v_ashrrev_i32_e32 v81, 31, v81
	s_wait_alu 0xfffd
	v_xor_b32_e32 v80, vcc_lo, v80
	v_lshl_add_u32 v82, v68, 2, v24
	v_and_b32_e32 v79, v79, v84
	s_wait_alu 0xf1ff
	v_xor_b32_e32 v68, s7, v81
	s_delay_alu instid0(VALU_DEP_2) | instskip(SKIP_2) | instid1(VALU_DEP_1)
	v_and_b32_e32 v80, v79, v80
	ds_load_b32 v79, v82 offset:4
	; wave barrier
	v_and_b32_e32 v68, v80, v68
	v_mbcnt_lo_u32_b32 v80, v68, 0
	v_cmp_ne_u32_e64 s7, 0, v68
	s_delay_alu instid0(VALU_DEP_2)
	v_cmp_eq_u32_e32 vcc_lo, 0, v80
	s_and_b32 s9, s7, vcc_lo
	s_wait_alu 0xfffe
	s_and_saveexec_b32 s7, s9
	s_cbranch_execz .LBB248_25
; %bb.24:
	s_wait_dscnt 0x0
	v_bcnt_u32_b32 v68, v68, v79
	ds_store_b32 v82, v68 offset:4
.LBB248_25:
	s_wait_alu 0xfffe
	s_or_b32 exec_lo, exec_lo, s7
	s_wait_dscnt 0xb
	v_cndmask_b32_e64 v13, v13, v14, s5
	; wave barrier
	s_wait_dscnt 0x9
	s_delay_alu instid0(VALU_DEP_1) | instskip(NEXT) | instid1(VALU_DEP_1)
	v_cndmask_b32_e64 v13, v13, v15, s4
	v_cndmask_b32_e64 v81, v13, v16, s6
	s_delay_alu instid0(VALU_DEP_1) | instskip(SKIP_2) | instid1(VALU_DEP_2)
	v_and_b32_e32 v13, 0xffff, v81
	v_cmp_ne_u16_e32 vcc_lo, 0x7fff, v81
	s_wait_alu 0xfffd
	v_cndmask_b32_e32 v13, 0x8000, v13, vcc_lo
	s_delay_alu instid0(VALU_DEP_1) | instskip(NEXT) | instid1(VALU_DEP_1)
	v_and_b32_e32 v13, s8, v13
	v_and_b32_e32 v14, 1, v13
	v_lshlrev_b32_e32 v15, 30, v13
	v_lshlrev_b32_e32 v16, 29, v13
	;; [unrolled: 1-line block ×4, first 2 shown]
	v_add_co_u32 v14, s7, v14, -1
	s_wait_alu 0xf1ff
	v_cndmask_b32_e64 v83, 0, 1, s7
	v_not_b32_e32 v87, v15
	v_cmp_gt_i32_e64 s7, 0, v15
	v_not_b32_e32 v15, v16
	v_lshlrev_b32_e32 v85, 26, v13
	v_cmp_ne_u32_e32 vcc_lo, 0, v83
	v_ashrrev_i32_e32 v87, 31, v87
	v_lshlrev_b32_e32 v86, 25, v13
	v_ashrrev_i32_e32 v15, 31, v15
	v_lshlrev_b32_e32 v83, 24, v13
	s_wait_alu 0xfffd
	v_xor_b32_e32 v14, vcc_lo, v14
	v_cmp_gt_i32_e32 vcc_lo, 0, v16
	v_not_b32_e32 v16, v68
	s_wait_alu 0xf1ff
	v_xor_b32_e32 v87, s7, v87
	v_cmp_gt_i32_e64 s7, 0, v68
	v_and_b32_e32 v14, exec_lo, v14
	v_not_b32_e32 v68, v84
	v_ashrrev_i32_e32 v16, 31, v16
	s_wait_alu 0xfffd
	v_xor_b32_e32 v15, vcc_lo, v15
	v_cmp_gt_i32_e32 vcc_lo, 0, v84
	v_and_b32_e32 v14, v14, v87
	v_not_b32_e32 v84, v85
	v_ashrrev_i32_e32 v68, 31, v68
	s_wait_alu 0xf1ff
	v_xor_b32_e32 v16, s7, v16
	v_cmp_gt_i32_e64 s7, 0, v85
	v_and_b32_e32 v14, v14, v15
	v_not_b32_e32 v15, v86
	v_ashrrev_i32_e32 v84, 31, v84
	s_wait_alu 0xfffd
	v_xor_b32_e32 v68, vcc_lo, v68
	v_cmp_gt_i32_e32 vcc_lo, 0, v86
	v_and_b32_e32 v14, v14, v16
	v_not_b32_e32 v16, v83
	v_ashrrev_i32_e32 v15, 31, v15
	s_wait_alu 0xf1ff
	v_xor_b32_e32 v84, s7, v84
	v_cmp_gt_i32_e64 s7, 0, v83
	v_and_b32_e32 v14, v14, v68
	v_ashrrev_i32_e32 v16, 31, v16
	s_wait_alu 0xfffd
	v_xor_b32_e32 v15, vcc_lo, v15
	v_lshl_add_u32 v86, v13, 2, v24
	v_and_b32_e32 v14, v14, v84
	s_wait_alu 0xf1ff
	v_xor_b32_e32 v13, s7, v16
	ds_load_b32 v83, v86 offset:4
	v_and_b32_e32 v14, v14, v15
	; wave barrier
	s_delay_alu instid0(VALU_DEP_1) | instskip(NEXT) | instid1(VALU_DEP_1)
	v_and_b32_e32 v13, v14, v13
	v_mbcnt_lo_u32_b32 v84, v13, 0
	v_cmp_ne_u32_e64 s7, 0, v13
	s_delay_alu instid0(VALU_DEP_2)
	v_cmp_eq_u32_e32 vcc_lo, 0, v84
	s_and_b32 s9, s7, vcc_lo
	s_wait_alu 0xfffe
	s_and_saveexec_b32 s7, s9
	s_cbranch_execz .LBB248_27
; %bb.26:
	s_wait_dscnt 0x0
	v_bcnt_u32_b32 v13, v13, v83
	ds_store_b32 v86, v13 offset:4
.LBB248_27:
	s_wait_alu 0xfffe
	s_or_b32 exec_lo, exec_lo, s7
	v_cndmask_b32_e64 v9, v9, v10, s5
	; wave barrier
	v_and_or_b32 v90, 0xf80, v41, v44
	s_wait_dscnt 0x9
	s_delay_alu instid0(VALU_DEP_2) | instskip(NEXT) | instid1(VALU_DEP_1)
	v_cndmask_b32_e64 v9, v9, v11, s4
	v_cndmask_b32_e64 v85, v9, v12, s6
	s_delay_alu instid0(VALU_DEP_1) | instskip(SKIP_2) | instid1(VALU_DEP_2)
	v_and_b32_e32 v9, 0xffff, v85
	v_cmp_ne_u16_e32 vcc_lo, 0x7fff, v85
	s_wait_alu 0xfffd
	v_cndmask_b32_e32 v9, 0x8000, v9, vcc_lo
	s_delay_alu instid0(VALU_DEP_1) | instskip(NEXT) | instid1(VALU_DEP_1)
	v_and_b32_e32 v9, s8, v9
	v_and_b32_e32 v10, 1, v9
	v_lshlrev_b32_e32 v11, 30, v9
	v_lshlrev_b32_e32 v12, 29, v9
	;; [unrolled: 1-line block ×4, first 2 shown]
	v_add_co_u32 v10, s7, v10, -1
	s_wait_alu 0xf1ff
	v_cndmask_b32_e64 v14, 0, 1, s7
	v_not_b32_e32 v87, v11
	v_cmp_gt_i32_e64 s7, 0, v11
	v_not_b32_e32 v11, v12
	v_lshlrev_b32_e32 v16, 26, v9
	v_cmp_ne_u32_e32 vcc_lo, 0, v14
	v_ashrrev_i32_e32 v87, 31, v87
	v_lshlrev_b32_e32 v68, 25, v9
	v_ashrrev_i32_e32 v11, 31, v11
	v_lshlrev_b32_e32 v14, 24, v9
	s_wait_alu 0xfffd
	v_xor_b32_e32 v10, vcc_lo, v10
	v_cmp_gt_i32_e32 vcc_lo, 0, v12
	v_not_b32_e32 v12, v13
	s_wait_alu 0xf1ff
	v_xor_b32_e32 v87, s7, v87
	v_cmp_gt_i32_e64 s7, 0, v13
	v_and_b32_e32 v10, exec_lo, v10
	v_not_b32_e32 v13, v15
	v_ashrrev_i32_e32 v12, 31, v12
	s_wait_alu 0xfffd
	v_xor_b32_e32 v11, vcc_lo, v11
	v_cmp_gt_i32_e32 vcc_lo, 0, v15
	v_and_b32_e32 v10, v10, v87
	v_not_b32_e32 v15, v16
	v_ashrrev_i32_e32 v13, 31, v13
	s_wait_alu 0xf1ff
	v_xor_b32_e32 v12, s7, v12
	v_cmp_gt_i32_e64 s7, 0, v16
	v_and_b32_e32 v10, v10, v11
	v_not_b32_e32 v11, v68
	v_ashrrev_i32_e32 v15, 31, v15
	s_wait_alu 0xfffd
	v_xor_b32_e32 v13, vcc_lo, v13
	v_cmp_gt_i32_e32 vcc_lo, 0, v68
	v_and_b32_e32 v10, v10, v12
	v_not_b32_e32 v12, v14
	v_ashrrev_i32_e32 v11, 31, v11
	s_wait_alu 0xf1ff
	v_xor_b32_e32 v15, s7, v15
	v_cmp_gt_i32_e64 s7, 0, v14
	v_and_b32_e32 v10, v10, v13
	v_ashrrev_i32_e32 v12, 31, v12
	s_wait_alu 0xfffd
	v_xor_b32_e32 v11, vcc_lo, v11
	v_lshl_add_u32 v89, v9, 2, v24
	v_and_b32_e32 v10, v10, v15
	s_wait_alu 0xf1ff
	v_xor_b32_e32 v9, s7, v12
	ds_load_b32 v87, v89 offset:4
	v_and_b32_e32 v10, v10, v11
	; wave barrier
	s_delay_alu instid0(VALU_DEP_1) | instskip(NEXT) | instid1(VALU_DEP_1)
	v_and_b32_e32 v9, v10, v9
	v_mbcnt_lo_u32_b32 v88, v9, 0
	v_cmp_ne_u32_e64 s7, 0, v9
	s_delay_alu instid0(VALU_DEP_2)
	v_cmp_eq_u32_e32 vcc_lo, 0, v88
	s_and_b32 s8, s7, vcc_lo
	s_wait_alu 0xfffe
	s_and_saveexec_b32 s7, s8
	s_cbranch_execz .LBB248_29
; %bb.28:
	s_wait_dscnt 0x0
	v_bcnt_u32_b32 v9, v9, v87
	ds_store_b32 v89, v9 offset:4
.LBB248_29:
	s_wait_alu 0xfffe
	s_or_b32 exec_lo, exec_lo, s7
	; wave barrier
	; wave barrier
	s_wait_loadcnt_dscnt 0x0
	global_inv scope:SCOPE_SE
	ds_load_2addr_b32 v[15:16], v42 offset0:1 offset1:2
	ds_load_2addr_b32 v[13:14], v42 offset0:3 offset1:4
	ds_load_2addr_b32 v[11:12], v42 offset0:5 offset1:6
	ds_load_2addr_b32 v[9:10], v42 offset0:7 offset1:8
	v_and_b32_e32 v92, 16, v44
	v_cmp_eq_u32_e64 s10, 31, v21
	s_delay_alu instid0(VALU_DEP_2) | instskip(SKIP_3) | instid1(VALU_DEP_1)
	v_cmp_eq_u32_e64 s11, 0, v92
	s_wait_dscnt 0x3
	v_add_nc_u32_e32 v68, v16, v15
	s_wait_dscnt 0x2
	v_add3_u32 v68, v68, v13, v14
	s_wait_dscnt 0x1
	s_delay_alu instid0(VALU_DEP_1) | instskip(SKIP_1) | instid1(VALU_DEP_1)
	v_add3_u32 v68, v68, v11, v12
	s_wait_dscnt 0x0
	v_add3_u32 v10, v68, v9, v10
	v_and_b32_e32 v68, 15, v44
	s_delay_alu instid0(VALU_DEP_2) | instskip(NEXT) | instid1(VALU_DEP_2)
	v_mov_b32_dpp v91, v10 row_shr:1 row_mask:0xf bank_mask:0xf
	v_cmp_eq_u32_e32 vcc_lo, 0, v68
	v_cmp_lt_u32_e64 s7, 1, v68
	v_cmp_lt_u32_e64 s8, 3, v68
	;; [unrolled: 1-line block ×3, first 2 shown]
	s_wait_alu 0xfffd
	v_cndmask_b32_e64 v91, v91, 0, vcc_lo
	s_delay_alu instid0(VALU_DEP_1) | instskip(NEXT) | instid1(VALU_DEP_1)
	v_add_nc_u32_e32 v10, v91, v10
	v_mov_b32_dpp v91, v10 row_shr:2 row_mask:0xf bank_mask:0xf
	s_wait_alu 0xf1ff
	s_delay_alu instid0(VALU_DEP_1) | instskip(NEXT) | instid1(VALU_DEP_1)
	v_cndmask_b32_e64 v91, 0, v91, s7
	v_add_nc_u32_e32 v10, v10, v91
	s_delay_alu instid0(VALU_DEP_1) | instskip(NEXT) | instid1(VALU_DEP_1)
	v_mov_b32_dpp v91, v10 row_shr:4 row_mask:0xf bank_mask:0xf
	v_cndmask_b32_e64 v91, 0, v91, s8
	s_delay_alu instid0(VALU_DEP_1) | instskip(NEXT) | instid1(VALU_DEP_1)
	v_add_nc_u32_e32 v10, v10, v91
	v_mov_b32_dpp v91, v10 row_shr:8 row_mask:0xf bank_mask:0xf
	s_delay_alu instid0(VALU_DEP_1) | instskip(NEXT) | instid1(VALU_DEP_1)
	v_cndmask_b32_e64 v68, 0, v91, s9
	v_add_nc_u32_e32 v91, v10, v68
	v_bfe_i32 v68, v44, 4, 1
	ds_swizzle_b32 v10, v91 offset:swizzle(BROADCAST,32,15)
	s_wait_dscnt 0x0
	v_and_b32_e32 v93, v68, v10
	v_sub_co_u32 v68, s15, v44, 1
	v_mul_u32_u24_e32 v10, 6, v90
	s_delay_alu instid0(VALU_DEP_3)
	v_add_nc_u32_e32 v91, v91, v93
	s_and_saveexec_b32 s12, s10
; %bb.30:
	v_mov_b32_e32 v92, 0
	ds_store_b32 v92, v91
; %bb.31:
	s_wait_alu 0xfffe
	s_or_b32 exec_lo, exec_lo, s12
	v_cmp_gt_i32_e64 s12, 0, v68
	; wave barrier
	s_wait_loadcnt_dscnt 0x0
	global_inv scope:SCOPE_SE
	s_min_u32 s13, s13, 8
	s_wait_alu 0xfffe
	s_lshl_b32 s13, -1, s13
	v_cndmask_b32_e64 v68, v68, v44, s12
	v_cmp_eq_u32_e64 s12, 0, v21
	s_wait_alu 0xfffe
	s_not_b32 s13, s13
	v_lshlrev_b32_e32 v68, 2, v68
	s_or_b32 s15, s12, s15
	v_cmp_eq_u32_e64 s12, 0, v43
	ds_bpermute_b32 v91, v68, v91
	s_wait_dscnt 0x0
	s_wait_alu 0xfffe
	v_cndmask_b32_e64 v91, v91, 0, s15
	s_delay_alu instid0(VALU_DEP_1) | instskip(NEXT) | instid1(VALU_DEP_1)
	v_add_nc_u32_e32 v15, v91, v15
	v_add_nc_u32_e32 v16, v15, v16
	s_delay_alu instid0(VALU_DEP_1) | instskip(NEXT) | instid1(VALU_DEP_1)
	v_add_nc_u32_e32 v13, v16, v13
	v_add_nc_u32_e32 v14, v13, v14
	;; [unrolled: 3-line block ×3, first 2 shown]
	s_delay_alu instid0(VALU_DEP_1)
	v_add_nc_u32_e32 v9, v12, v9
	ds_store_2addr_b32 v42, v91, v15 offset0:1 offset1:2
	ds_store_2addr_b32 v42, v16, v13 offset0:3 offset1:4
	;; [unrolled: 1-line block ×4, first 2 shown]
	; wave barrier
	s_wait_loadcnt_dscnt 0x0
	global_inv scope:SCOPE_SE
	ds_load_b32 v9, v78 offset:4
	ds_load_b32 v11, v82 offset:4
	;; [unrolled: 1-line block ×4, first 2 shown]
	s_wait_alu 0xf1ff
	v_cndmask_b32_e64 v14, 0, v56, s12
	v_lshlrev_b32_e32 v15, 1, v90
	v_cndmask_b32_e64 v56, 0, v64, s12
	v_cndmask_b32_e64 v64, 0, v66, s12
	v_cndmask_b32_e64 v66, 0, v71, s12
	v_cndmask_b32_e64 v14, v14, v49, s5
	v_cndmask_b32_e64 v16, 0, v31, s12
	v_cndmask_b32_e64 v31, 0, v63, s12
	v_cndmask_b32_e64 v63, 0, v65, s12
	v_cndmask_b32_e64 v65, 0, v67, s12
	v_cndmask_b32_e64 v14, v14, v29, s4
	v_add_nc_u32_e32 v67, v15, v10
	; wave barrier
	s_wait_loadcnt_dscnt 0x0
	global_inv scope:SCOPE_SE
	v_cndmask_b32_e64 v16, v16, v28, s5
	v_cndmask_b32_e64 v28, v56, v57, s5
	v_add_nc_u32_e32 v29, v9, v76
	v_add3_u32 v71, v80, v79, v11
	v_add3_u32 v76, v84, v83, v12
	;; [unrolled: 1-line block ×3, first 2 shown]
	v_cndmask_b32_e64 v31, v31, v55, s5
	v_lshlrev_b32_e32 v9, 1, v29
	v_lshlrev_b32_e32 v10, 1, v71
	;; [unrolled: 1-line block ×4, first 2 shown]
	ds_store_b16 v9, v62
	ds_store_b16 v10, v77
	;; [unrolled: 1-line block ×4, first 2 shown]
	; wave barrier
	s_wait_loadcnt_dscnt 0x0
	global_inv scope:SCOPE_SE
	ds_load_u16 v49, v15
	v_cndmask_b32_e64 v16, v16, v25, s4
	v_cndmask_b32_e64 v55, v64, v61, s5
	;; [unrolled: 1-line block ×10, first 2 shown]
	ds_load_u16 v50, v15 offset:64
	ds_load_u16 v52, v15 offset:128
	;; [unrolled: 1-line block ×3, first 2 shown]
	v_cndmask_b32_e64 v15, v25, v30, s6
	v_cndmask_b32_e64 v26, v31, v54, s6
	;; [unrolled: 1-line block ×5, first 2 shown]
	; wave barrier
	s_wait_loadcnt_dscnt 0x0
	global_inv scope:SCOPE_SE
	v_cndmask_b32_e64 v55, v60, v73, s4
	v_lshrrev_b16 v27, 8, v49
	v_cmp_ne_u16_e64 s12, 0x7fff, v49
	v_cndmask_b32_e64 v25, v28, v51, s6
	v_cndmask_b32_e64 v28, v56, v72, s6
	s_wait_alu 0xf1ff
	s_delay_alu instid0(VALU_DEP_3) | instskip(SKIP_1) | instid1(VALU_DEP_2)
	v_cndmask_b32_e64 v30, 0x80, v27, s12
	v_cndmask_b32_e64 v27, v55, v70, s6
	v_and_b32_e32 v31, 0xffff, v30
	v_mad_co_u64_u32 v[29:30], null, v29, 6, v[9:10]
	v_mad_co_u64_u32 v[9:10], null, v71, 6, v[10:11]
	s_delay_alu instid0(VALU_DEP_3) | instskip(SKIP_2) | instid1(VALU_DEP_3)
	v_and_b32_e32 v30, s13, v31
	v_mad_co_u64_u32 v[10:11], null, v76, 6, v[11:12]
	v_mad_co_u64_u32 v[11:12], null, v78, 6, v[12:13]
	v_and_b32_e32 v12, 1, v30
	ds_store_b64 v29, v[13:14]
	v_lshlrev_b32_e32 v13, 30, v30
	v_lshlrev_b32_e32 v14, 29, v30
	;; [unrolled: 1-line block ×3, first 2 shown]
	v_add_co_u32 v12, s6, v12, -1
	s_wait_alu 0xf1ff
	v_cndmask_b32_e64 v31, 0, 1, s6
	v_not_b32_e32 v56, v13
	v_cmp_gt_i32_e64 s12, 0, v13
	v_not_b32_e32 v13, v14
	v_lshlrev_b32_e32 v51, 27, v30
	v_cmp_ne_u32_e64 s6, 0, v31
	v_ashrrev_i32_e32 v56, 31, v56
	v_lshlrev_b32_e32 v54, 26, v30
	v_ashrrev_i32_e32 v13, 31, v13
	v_lshlrev_b32_e32 v55, 25, v30
	s_wait_alu 0xf1ff
	v_xor_b32_e32 v12, s6, v12
	v_cmp_gt_i32_e64 s6, 0, v14
	v_not_b32_e32 v14, v29
	v_xor_b32_e32 v56, s12, v56
	v_cmp_gt_i32_e64 s12, 0, v29
	v_and_b32_e32 v12, exec_lo, v12
	v_not_b32_e32 v29, v51
	v_ashrrev_i32_e32 v14, 31, v14
	s_wait_alu 0xf1ff
	v_xor_b32_e32 v13, s6, v13
	v_cmp_gt_i32_e64 s6, 0, v51
	v_and_b32_e32 v12, v12, v56
	v_not_b32_e32 v51, v54
	v_ashrrev_i32_e32 v29, 31, v29
	v_xor_b32_e32 v14, s12, v14
	v_lshlrev_b32_e32 v31, 24, v30
	v_and_b32_e32 v12, v12, v13
	v_cmp_gt_i32_e64 s12, 0, v54
	v_not_b32_e32 v13, v55
	v_ashrrev_i32_e32 v51, 31, v51
	s_wait_alu 0xf1ff
	v_xor_b32_e32 v29, s6, v29
	v_and_b32_e32 v12, v12, v14
	v_cmp_gt_i32_e64 s6, 0, v55
	v_not_b32_e32 v14, v31
	v_ashrrev_i32_e32 v13, 31, v13
	v_xor_b32_e32 v51, s12, v51
	v_and_b32_e32 v12, v12, v29
	ds_store_b64 v9, v[15:16]
	v_cmp_gt_i32_e64 s12, 0, v31
	v_ashrrev_i32_e32 v9, 31, v14
	s_wait_alu 0xf1ff
	v_xor_b32_e32 v13, s6, v13
	v_and_b32_e32 v12, v12, v51
	ds_store_b64 v10, v[25:26]
	ds_store_b64 v11, v[27:28]
	s_wait_loadcnt_dscnt 0x0
	v_xor_b32_e32 v25, s12, v9
	; wave barrier
	global_inv scope:SCOPE_SE
	v_and_b32_e32 v26, v12, v13
	ds_load_2addr_b64 v[13:16], v67 offset1:32
	ds_load_2addr_b64 v[9:12], v67 offset0:64 offset1:96
	v_lshl_add_u32 v54, v30, 2, v24
	; wave barrier
	s_wait_loadcnt_dscnt 0x0
	global_inv scope:SCOPE_SE
	v_dual_mov_b32 v26, 0 :: v_dual_and_b32 v25, v26, v25
	ds_store_2addr_b32 v42, v26, v26 offset0:1 offset1:2
	ds_store_2addr_b32 v42, v26, v26 offset0:3 offset1:4
	;; [unrolled: 1-line block ×4, first 2 shown]
	v_mbcnt_lo_u32_b32 v51, v25, 0
	v_cmp_ne_u32_e64 s12, 0, v25
	; wave barrier
	s_wait_loadcnt_dscnt 0x0
	global_inv scope:SCOPE_SE
	v_cmp_eq_u32_e64 s6, 0, v51
	; wave barrier
	s_and_b32 s12, s12, s6
	s_wait_alu 0xfffe
	s_and_saveexec_b32 s6, s12
; %bb.32:
	v_bcnt_u32_b32 v25, v25, 0
	ds_store_b32 v54, v25 offset:4
; %bb.33:
	s_wait_alu 0xfffe
	s_or_b32 exec_lo, exec_lo, s6
	v_lshrrev_b16 v25, 8, v50
	v_cmp_ne_u16_e64 s6, 0x7fff, v50
	; wave barrier
	s_wait_alu 0xf1ff
	s_delay_alu instid0(VALU_DEP_1) | instskip(NEXT) | instid1(VALU_DEP_1)
	v_cndmask_b32_e64 v25, 0x80, v25, s6
	v_and_b32_e32 v25, s13, v25
	s_delay_alu instid0(VALU_DEP_1)
	v_and_b32_e32 v26, 1, v25
	v_lshlrev_b32_e32 v27, 30, v25
	v_lshlrev_b32_e32 v28, 29, v25
	v_lshlrev_b32_e32 v29, 28, v25
	v_lshlrev_b32_e32 v31, 27, v25
	v_add_co_u32 v26, s6, v26, -1
	s_wait_alu 0xf1ff
	v_cndmask_b32_e64 v30, 0, 1, s6
	v_not_b32_e32 v57, v27
	v_cmp_gt_i32_e64 s12, 0, v27
	v_not_b32_e32 v27, v28
	v_lshlrev_b32_e32 v55, 26, v25
	v_cmp_ne_u32_e64 s6, 0, v30
	v_ashrrev_i32_e32 v57, 31, v57
	v_lshlrev_b32_e32 v56, 25, v25
	v_ashrrev_i32_e32 v27, 31, v27
	v_lshlrev_b32_e32 v30, 24, v25
	s_wait_alu 0xf1ff
	v_xor_b32_e32 v26, s6, v26
	v_cmp_gt_i32_e64 s6, 0, v28
	v_not_b32_e32 v28, v29
	v_xor_b32_e32 v57, s12, v57
	v_cmp_gt_i32_e64 s12, 0, v29
	v_and_b32_e32 v26, exec_lo, v26
	v_not_b32_e32 v29, v31
	v_ashrrev_i32_e32 v28, 31, v28
	s_wait_alu 0xf1ff
	v_xor_b32_e32 v27, s6, v27
	v_cmp_gt_i32_e64 s6, 0, v31
	v_and_b32_e32 v26, v26, v57
	v_not_b32_e32 v31, v55
	v_ashrrev_i32_e32 v29, 31, v29
	v_xor_b32_e32 v28, s12, v28
	v_cmp_gt_i32_e64 s12, 0, v55
	v_and_b32_e32 v26, v26, v27
	v_not_b32_e32 v27, v56
	v_ashrrev_i32_e32 v31, 31, v31
	s_wait_alu 0xf1ff
	v_xor_b32_e32 v29, s6, v29
	v_cmp_gt_i32_e64 s6, 0, v56
	v_and_b32_e32 v26, v26, v28
	v_not_b32_e32 v28, v30
	v_ashrrev_i32_e32 v27, 31, v27
	v_xor_b32_e32 v31, s12, v31
	v_cmp_gt_i32_e64 s12, 0, v30
	v_and_b32_e32 v26, v26, v29
	v_ashrrev_i32_e32 v28, 31, v28
	s_wait_alu 0xf1ff
	v_xor_b32_e32 v27, s6, v27
	v_lshl_add_u32 v57, v25, 2, v24
	v_and_b32_e32 v26, v26, v31
	v_xor_b32_e32 v25, s12, v28
	ds_load_b32 v55, v57 offset:4
	v_and_b32_e32 v26, v26, v27
	; wave barrier
	s_delay_alu instid0(VALU_DEP_1) | instskip(NEXT) | instid1(VALU_DEP_1)
	v_and_b32_e32 v25, v26, v25
	v_mbcnt_lo_u32_b32 v56, v25, 0
	v_cmp_ne_u32_e64 s12, 0, v25
	s_delay_alu instid0(VALU_DEP_2)
	v_cmp_eq_u32_e64 s6, 0, v56
	s_and_b32 s12, s12, s6
	s_wait_alu 0xfffe
	s_and_saveexec_b32 s6, s12
	s_cbranch_execz .LBB248_35
; %bb.34:
	s_wait_dscnt 0x0
	v_bcnt_u32_b32 v25, v25, v55
	ds_store_b32 v57, v25 offset:4
.LBB248_35:
	s_wait_alu 0xfffe
	s_or_b32 exec_lo, exec_lo, s6
	v_lshrrev_b16 v25, 8, v52
	v_cmp_ne_u16_e64 s6, 0x7fff, v52
	; wave barrier
	s_wait_alu 0xf1ff
	s_delay_alu instid0(VALU_DEP_1) | instskip(NEXT) | instid1(VALU_DEP_1)
	v_cndmask_b32_e64 v25, 0x80, v25, s6
	v_and_b32_e32 v25, s13, v25
	s_delay_alu instid0(VALU_DEP_1)
	v_and_b32_e32 v26, 1, v25
	v_lshlrev_b32_e32 v27, 30, v25
	v_lshlrev_b32_e32 v28, 29, v25
	;; [unrolled: 1-line block ×4, first 2 shown]
	v_add_co_u32 v26, s6, v26, -1
	s_wait_alu 0xf1ff
	v_cndmask_b32_e64 v30, 0, 1, s6
	v_not_b32_e32 v60, v27
	v_cmp_gt_i32_e64 s12, 0, v27
	v_not_b32_e32 v27, v28
	v_lshlrev_b32_e32 v58, 26, v25
	v_cmp_ne_u32_e64 s6, 0, v30
	v_ashrrev_i32_e32 v60, 31, v60
	v_lshlrev_b32_e32 v59, 25, v25
	v_ashrrev_i32_e32 v27, 31, v27
	v_lshlrev_b32_e32 v30, 24, v25
	s_wait_alu 0xf1ff
	v_xor_b32_e32 v26, s6, v26
	v_cmp_gt_i32_e64 s6, 0, v28
	v_not_b32_e32 v28, v29
	v_xor_b32_e32 v60, s12, v60
	v_cmp_gt_i32_e64 s12, 0, v29
	v_and_b32_e32 v26, exec_lo, v26
	v_not_b32_e32 v29, v31
	v_ashrrev_i32_e32 v28, 31, v28
	s_wait_alu 0xf1ff
	v_xor_b32_e32 v27, s6, v27
	v_cmp_gt_i32_e64 s6, 0, v31
	v_and_b32_e32 v26, v26, v60
	v_not_b32_e32 v31, v58
	v_ashrrev_i32_e32 v29, 31, v29
	v_xor_b32_e32 v28, s12, v28
	v_cmp_gt_i32_e64 s12, 0, v58
	v_and_b32_e32 v26, v26, v27
	v_not_b32_e32 v27, v59
	v_ashrrev_i32_e32 v31, 31, v31
	s_wait_alu 0xf1ff
	v_xor_b32_e32 v29, s6, v29
	v_cmp_gt_i32_e64 s6, 0, v59
	v_and_b32_e32 v26, v26, v28
	v_not_b32_e32 v28, v30
	v_ashrrev_i32_e32 v27, 31, v27
	v_xor_b32_e32 v31, s12, v31
	v_cmp_gt_i32_e64 s12, 0, v30
	v_and_b32_e32 v26, v26, v29
	v_ashrrev_i32_e32 v28, 31, v28
	s_wait_alu 0xf1ff
	v_xor_b32_e32 v27, s6, v27
	v_lshl_add_u32 v60, v25, 2, v24
	v_and_b32_e32 v26, v26, v31
	v_xor_b32_e32 v25, s12, v28
	ds_load_b32 v58, v60 offset:4
	v_and_b32_e32 v26, v26, v27
	; wave barrier
	s_delay_alu instid0(VALU_DEP_1) | instskip(NEXT) | instid1(VALU_DEP_1)
	v_and_b32_e32 v25, v26, v25
	v_mbcnt_lo_u32_b32 v59, v25, 0
	v_cmp_ne_u32_e64 s12, 0, v25
	s_delay_alu instid0(VALU_DEP_2)
	v_cmp_eq_u32_e64 s6, 0, v59
	s_and_b32 s12, s12, s6
	s_wait_alu 0xfffe
	s_and_saveexec_b32 s6, s12
	s_cbranch_execz .LBB248_37
; %bb.36:
	s_wait_dscnt 0x0
	v_bcnt_u32_b32 v25, v25, v58
	ds_store_b32 v60, v25 offset:4
.LBB248_37:
	s_wait_alu 0xfffe
	s_or_b32 exec_lo, exec_lo, s6
	v_lshrrev_b16 v25, 8, v53
	v_cmp_ne_u16_e64 s6, 0x7fff, v53
	; wave barrier
	s_wait_alu 0xf1ff
	s_delay_alu instid0(VALU_DEP_1) | instskip(NEXT) | instid1(VALU_DEP_1)
	v_cndmask_b32_e64 v25, 0x80, v25, s6
	v_and_b32_e32 v25, s13, v25
	s_delay_alu instid0(VALU_DEP_1)
	v_and_b32_e32 v26, 1, v25
	v_lshlrev_b32_e32 v27, 30, v25
	v_lshlrev_b32_e32 v28, 29, v25
	;; [unrolled: 1-line block ×4, first 2 shown]
	v_add_co_u32 v26, s6, v26, -1
	s_wait_alu 0xf1ff
	v_cndmask_b32_e64 v30, 0, 1, s6
	v_not_b32_e32 v63, v27
	v_cmp_gt_i32_e64 s12, 0, v27
	v_not_b32_e32 v27, v28
	v_lshlrev_b32_e32 v61, 26, v25
	v_cmp_ne_u32_e64 s6, 0, v30
	v_ashrrev_i32_e32 v63, 31, v63
	v_lshlrev_b32_e32 v62, 25, v25
	v_ashrrev_i32_e32 v27, 31, v27
	v_lshlrev_b32_e32 v30, 24, v25
	s_wait_alu 0xf1ff
	v_xor_b32_e32 v26, s6, v26
	v_cmp_gt_i32_e64 s6, 0, v28
	v_not_b32_e32 v28, v29
	v_xor_b32_e32 v63, s12, v63
	v_cmp_gt_i32_e64 s12, 0, v29
	v_and_b32_e32 v26, exec_lo, v26
	v_not_b32_e32 v29, v31
	v_ashrrev_i32_e32 v28, 31, v28
	s_wait_alu 0xf1ff
	v_xor_b32_e32 v27, s6, v27
	v_cmp_gt_i32_e64 s6, 0, v31
	v_and_b32_e32 v26, v26, v63
	v_not_b32_e32 v31, v61
	v_ashrrev_i32_e32 v29, 31, v29
	v_xor_b32_e32 v28, s12, v28
	v_cmp_gt_i32_e64 s12, 0, v61
	v_and_b32_e32 v26, v26, v27
	v_not_b32_e32 v27, v62
	v_ashrrev_i32_e32 v31, 31, v31
	s_wait_alu 0xf1ff
	v_xor_b32_e32 v29, s6, v29
	v_cmp_gt_i32_e64 s6, 0, v62
	v_and_b32_e32 v26, v26, v28
	v_not_b32_e32 v28, v30
	v_ashrrev_i32_e32 v27, 31, v27
	v_xor_b32_e32 v31, s12, v31
	v_cmp_gt_i32_e64 s12, 0, v30
	v_and_b32_e32 v26, v26, v29
	v_ashrrev_i32_e32 v28, 31, v28
	s_wait_alu 0xf1ff
	v_xor_b32_e32 v27, s6, v27
	v_lshl_add_u32 v63, v25, 2, v24
	v_and_b32_e32 v26, v26, v31
	v_xor_b32_e32 v24, s12, v28
	ds_load_b32 v61, v63 offset:4
	v_and_b32_e32 v25, v26, v27
	; wave barrier
	s_delay_alu instid0(VALU_DEP_1) | instskip(NEXT) | instid1(VALU_DEP_1)
	v_and_b32_e32 v24, v25, v24
	v_mbcnt_lo_u32_b32 v62, v24, 0
	v_cmp_ne_u32_e64 s12, 0, v24
	s_delay_alu instid0(VALU_DEP_2)
	v_cmp_eq_u32_e64 s6, 0, v62
	s_and_b32 s12, s12, s6
	s_wait_alu 0xfffe
	s_and_saveexec_b32 s6, s12
	s_cbranch_execz .LBB248_39
; %bb.38:
	s_wait_dscnt 0x0
	v_bcnt_u32_b32 v24, v24, v61
	ds_store_b32 v63, v24 offset:4
.LBB248_39:
	s_wait_alu 0xfffe
	s_or_b32 exec_lo, exec_lo, s6
	; wave barrier
	; wave barrier
	s_wait_loadcnt_dscnt 0x0
	global_inv scope:SCOPE_SE
	ds_load_2addr_b32 v[30:31], v42 offset0:1 offset1:2
	ds_load_2addr_b32 v[28:29], v42 offset0:3 offset1:4
	;; [unrolled: 1-line block ×4, first 2 shown]
	s_wait_dscnt 0x3
	v_add_nc_u32_e32 v64, v31, v30
	s_wait_dscnt 0x2
	s_delay_alu instid0(VALU_DEP_1) | instskip(SKIP_1) | instid1(VALU_DEP_1)
	v_add3_u32 v64, v64, v28, v29
	s_wait_dscnt 0x1
	v_add3_u32 v64, v64, v26, v27
	s_wait_dscnt 0x0
	s_delay_alu instid0(VALU_DEP_1) | instskip(NEXT) | instid1(VALU_DEP_1)
	v_add3_u32 v25, v64, v24, v25
	v_mov_b32_dpp v64, v25 row_shr:1 row_mask:0xf bank_mask:0xf
	s_delay_alu instid0(VALU_DEP_1) | instskip(NEXT) | instid1(VALU_DEP_1)
	v_cndmask_b32_e64 v64, v64, 0, vcc_lo
	v_add_nc_u32_e32 v25, v64, v25
	s_delay_alu instid0(VALU_DEP_1) | instskip(NEXT) | instid1(VALU_DEP_1)
	v_mov_b32_dpp v64, v25 row_shr:2 row_mask:0xf bank_mask:0xf
	v_cndmask_b32_e64 v64, 0, v64, s7
	s_mov_b32 s7, 0
	s_delay_alu instid0(VALU_DEP_1) | instskip(NEXT) | instid1(VALU_DEP_1)
	v_add_nc_u32_e32 v25, v25, v64
	v_mov_b32_dpp v64, v25 row_shr:4 row_mask:0xf bank_mask:0xf
	s_delay_alu instid0(VALU_DEP_1) | instskip(NEXT) | instid1(VALU_DEP_1)
	v_cndmask_b32_e64 v64, 0, v64, s8
	v_add_nc_u32_e32 v25, v25, v64
	s_delay_alu instid0(VALU_DEP_1) | instskip(NEXT) | instid1(VALU_DEP_1)
	v_mov_b32_dpp v64, v25 row_shr:8 row_mask:0xf bank_mask:0xf
	v_cndmask_b32_e64 v64, 0, v64, s9
	s_delay_alu instid0(VALU_DEP_1) | instskip(SKIP_3) | instid1(VALU_DEP_1)
	v_add_nc_u32_e32 v25, v25, v64
	ds_swizzle_b32 v64, v25 offset:swizzle(BROADCAST,32,15)
	s_wait_dscnt 0x0
	v_cndmask_b32_e64 v64, v64, 0, s11
	v_add_nc_u32_e32 v25, v25, v64
	s_and_saveexec_b32 s6, s10
; %bb.40:
	v_mov_b32_e32 v64, 0
	ds_store_b32 v64, v25
; %bb.41:
	s_wait_alu 0xfffe
	s_or_b32 exec_lo, exec_lo, s6
	ds_bpermute_b32 v25, v68, v25
	; wave barrier
	s_wait_loadcnt_dscnt 0x0
	global_inv scope:SCOPE_SE
	v_cndmask_b32_e64 v25, v25, 0, s15
	s_delay_alu instid0(VALU_DEP_1) | instskip(NEXT) | instid1(VALU_DEP_1)
	v_add_nc_u32_e32 v30, v25, v30
	v_add_nc_u32_e32 v31, v30, v31
	s_delay_alu instid0(VALU_DEP_1) | instskip(NEXT) | instid1(VALU_DEP_1)
	v_add_nc_u32_e32 v28, v31, v28
	v_add_nc_u32_e32 v29, v28, v29
	;; [unrolled: 3-line block ×3, first 2 shown]
	s_delay_alu instid0(VALU_DEP_1)
	v_add_nc_u32_e32 v24, v27, v24
	ds_store_2addr_b32 v42, v25, v30 offset0:1 offset1:2
	ds_store_2addr_b32 v42, v31, v28 offset0:3 offset1:4
	;; [unrolled: 1-line block ×4, first 2 shown]
	; wave barrier
	s_wait_loadcnt_dscnt 0x0
	global_inv scope:SCOPE_SE
	ds_load_b32 v24, v54 offset:4
	ds_load_b32 v25, v57 offset:4
	;; [unrolled: 1-line block ×4, first 2 shown]
	v_lshlrev_b32_e32 v28, 1, v41
	; wave barrier
	s_wait_loadcnt_dscnt 0x0
	global_inv scope:SCOPE_SE
	v_add_nc_u32_e32 v30, v24, v51
	v_add3_u32 v51, v56, v55, v25
	v_add3_u32 v54, v59, v58, v26
	;; [unrolled: 1-line block ×3, first 2 shown]
	s_delay_alu instid0(VALU_DEP_4) | instskip(NEXT) | instid1(VALU_DEP_4)
	v_lshlrev_b32_e32 v24, 1, v30
	v_lshlrev_b32_e32 v25, 1, v51
	s_delay_alu instid0(VALU_DEP_4) | instskip(NEXT) | instid1(VALU_DEP_4)
	v_lshlrev_b32_e32 v26, 1, v54
	v_lshlrev_b32_e32 v27, 1, v55
	ds_store_b16 v24, v49
	ds_store_b16 v25, v50
	;; [unrolled: 1-line block ×4, first 2 shown]
	; wave barrier
	s_wait_loadcnt_dscnt 0x0
	global_inv scope:SCOPE_SE
	ds_load_b64 v[28:29], v28
	v_mad_co_u64_u32 v[30:31], null, v30, 6, v[24:25]
	v_mad_co_u64_u32 v[24:25], null, v51, 6, v[25:26]
	;; [unrolled: 1-line block ×3, first 2 shown]
	; wave barrier
	s_wait_loadcnt_dscnt 0x0
	global_inv scope:SCOPE_SE
	ds_store_b64 v30, v[13:14]
	ds_store_b64 v24, v[15:16]
	v_cmp_lt_i16_e32 vcc_lo, -1, v28
	v_lshrrev_b32_e32 v26, 16, v28
	v_lshrrev_b32_e32 v49, 16, v29
	s_wait_alu 0xfffd
	v_cndmask_b32_e64 v31, 0xffff8000, -1, vcc_lo
	v_cmp_lt_i16_e32 vcc_lo, -1, v29
	s_wait_alu 0xfffd
	v_cndmask_b32_e64 v50, 0xffff8000, -1, vcc_lo
	v_cmp_lt_i16_e32 vcc_lo, -1, v26
	v_mad_co_u64_u32 v[26:27], null, v55, 6, v[27:28]
	ds_store_b64 v25, v[9:10]
	ds_store_b64 v26, v[11:12]
	s_wait_alu 0xfffd
	v_cndmask_b32_e64 v51, 0xffff8000, -1, vcc_lo
	v_cmp_lt_i16_e32 vcc_lo, -1, v49
	; wave barrier
	s_wait_loadcnt_dscnt 0x0
	global_inv scope:SCOPE_SE
	v_perm_b32 v27, v51, v31, 0x5040100
	s_wait_alu 0xfffd
	v_cndmask_b32_e64 v49, 0xffff8000, -1, vcc_lo
	s_delay_alu instid0(VALU_DEP_2) | instskip(NEXT) | instid1(VALU_DEP_2)
	v_xor_b32_e32 v13, v27, v28
	v_perm_b32 v31, v49, v50, 0x5040100
	s_delay_alu instid0(VALU_DEP_1)
	v_xor_b32_e32 v14, v31, v29
.LBB248_42:
	s_and_b32 vcc_lo, exec_lo, s7
	s_wait_alu 0xfffe
	s_cbranch_vccz .LBB248_64
; %bb.43:
	v_cmp_gt_i16_e32 vcc_lo, 0, v22
	s_getpc_b64 s[6:7]
	s_wait_alu 0xfffe
	s_sext_i32_i16 s7, s7
	s_add_co_u32 s6, s6, _ZN7rocprim17ROCPRIM_400000_NS16block_radix_sortI12hip_bfloat16Lj32ELj4ElLj1ELj1ELj0ELNS0_26block_radix_rank_algorithmE1ELNS0_18block_padding_hintE2ELNS0_4arch9wavefront6targetE0EE19radix_bits_per_passE@rel32@lo+12
	s_wait_alu 0xfffe
	s_add_co_ci_u32 s7, s7, _ZN7rocprim17ROCPRIM_400000_NS16block_radix_sortI12hip_bfloat16Lj32ELj4ElLj1ELj1ELj0ELNS0_26block_radix_rank_algorithmE1ELNS0_18block_padding_hintE2ELNS0_4arch9wavefront6targetE0EE19radix_bits_per_passE@rel32@hi+24
	ds_bpermute_b32 v27, v45, v5
	s_load_b32 s13, s[6:7], 0x0
	ds_bpermute_b32 v50, v45, v5 offset:32
	v_cndmask_b32_e64 v9, 0x7fff, 0, vcc_lo
	v_cmp_gt_i16_e32 vcc_lo, 0, v48
	ds_bpermute_b32 v52, v45, v5 offset:64
	ds_bpermute_b32 v54, v45, v5 offset:96
	ds_bpermute_b32 v15, v45, v6
	v_xor_b32_e32 v9, v9, v22
	s_wait_alu 0xfffd
	v_cndmask_b32_e64 v10, 0x7fff, 0, vcc_lo
	v_cmp_gt_i16_e32 vcc_lo, 0, v23
	ds_bpermute_b32 v51, v45, v6 offset:32
	ds_bpermute_b32 v53, v45, v6 offset:64
	v_and_b32_e32 v55, 0xffff, v9
	v_xor_b32_e32 v10, v10, v48
	s_wait_alu 0xfffd
	v_cndmask_b32_e64 v11, 0x7fff, 0, vcc_lo
	v_cmp_gt_i16_e32 vcc_lo, 0, v47
	s_wait_loadcnt_dscnt 0x0
	ds_bpermute_b32 v14, v45, v55
	ds_bpermute_b32 v61, v45, v55 offset:32
	v_xor_b32_e32 v11, v11, v23
	s_wait_alu 0xfffd
	v_cndmask_b32_e64 v12, 0x7fff, 0, vcc_lo
	v_cmp_eq_u32_e32 vcc_lo, 3, v43
	s_wait_kmcnt 0x0
	s_min_u32 s7, s13, 16
	ds_bpermute_b32 v65, v45, v55 offset:64
	v_and_b32_e32 v57, 0xffff, v11
	v_xor_b32_e32 v9, v12, v47
	; wave barrier
	s_wait_dscnt 0x0
	global_inv scope:SCOPE_SE
	ds_bpermute_b32 v16, v45, v7
	ds_bpermute_b32 v26, v45, v7 offset:32
	ds_bpermute_b32 v23, v45, v57
	v_and_b32_e32 v58, 0xffff, v9
	ds_bpermute_b32 v64, v45, v57 offset:32
	ds_bpermute_b32 v69, v45, v57 offset:64
	;; [unrolled: 1-line block ×4, first 2 shown]
	ds_bpermute_b32 v29, v45, v58
	v_and_b32_e32 v56, 0xffff, v10
	ds_bpermute_b32 v66, v45, v58 offset:32
	ds_bpermute_b32 v72, v45, v58 offset:64
	ds_bpermute_b32 v13, v45, v1
	ds_bpermute_b32 v24, v45, v1 offset:32
	ds_bpermute_b32 v22, v45, v56
	ds_bpermute_b32 v12, v45, v8
	;; [unrolled: 1-line block ×5, first 2 shown]
	ds_bpermute_b32 v28, v45, v8 offset:32
	ds_bpermute_b32 v25, v45, v2 offset:32
	;; [unrolled: 1-line block ×4, first 2 shown]
	s_wait_dscnt 0x8
	v_cndmask_b32_e64 v30, v14, v22, s5
	ds_bpermute_b32 v22, v45, v4 offset:32
	ds_bpermute_b32 v14, v45, v3 offset:32
	v_cndmask_b32_e64 v23, v30, v23, s4
	ds_bpermute_b32 v30, v45, v2 offset:64
	s_wait_alu 0xfffd
	v_cndmask_b32_e32 v49, v23, v29, vcc_lo
	ds_bpermute_b32 v63, v45, v56 offset:32
	ds_bpermute_b32 v67, v45, v56 offset:64
	;; [unrolled: 1-line block ×4, first 2 shown]
	v_and_b32_e32 v59, 0xffff, v49
	v_cmp_ne_u16_e64 s6, 0x8000, v49
	ds_bpermute_b32 v23, v45, v3 offset:64
	s_wait_alu 0xf1ff
	v_cndmask_b32_e64 v5, 0x7fff, v59, s6
	s_wait_alu 0xfffe
	s_lshl_b32 s6, -1, s7
	s_wait_alu 0xfffe
	s_not_b32 s8, s6
	s_wait_alu 0xfffe
	v_and_b32_e32 v62, s8, v5
	s_delay_alu instid0(VALU_DEP_1) | instskip(SKIP_2) | instid1(VALU_DEP_3)
	v_and_b32_e32 v5, 1, v62
	v_lshlrev_b32_e32 v71, 30, v62
	v_lshlrev_b32_e32 v56, 29, v62
	v_add_co_u32 v59, s6, v5, -1
	s_wait_alu 0xf1ff
	v_cndmask_b32_e64 v60, 0, 1, s6
	ds_bpermute_b32 v5, v45, v55 offset:96
	v_not_b32_e32 v55, v71
	v_cmp_gt_i32_e64 s7, 0, v71
	ds_bpermute_b32 v71, v45, v58 offset:96
	v_cmp_ne_u32_e64 s6, 0, v60
	v_not_b32_e32 v58, v56
	v_ashrrev_i32_e32 v55, 31, v55
	s_wait_alu 0xf1ff
	s_delay_alu instid0(VALU_DEP_3) | instskip(SKIP_1) | instid1(VALU_DEP_3)
	v_xor_b32_e32 v57, s6, v59
	v_lshlrev_b32_e32 v59, 28, v62
	v_xor_b32_e32 v55, s7, v55
	v_cmp_gt_i32_e64 s6, 0, v56
	v_ashrrev_i32_e32 v56, 31, v58
	v_and_b32_e32 v57, exec_lo, v57
	v_not_b32_e32 v58, v59
	s_load_b32 s7, s[22:23], 0xc
	s_delay_alu instid0(VALU_DEP_3) | instskip(NEXT) | instid1(VALU_DEP_3)
	v_xor_b32_e32 v60, s6, v56
	v_and_b32_e32 v55, v57, v55
	v_lshlrev_b32_e32 v57, 27, v62
	v_cmp_gt_i32_e64 s6, 0, v59
	v_ashrrev_i32_e32 v58, 31, v58
	ds_bpermute_b32 v56, v45, v6 offset:96
	v_and_b32_e32 v59, v55, v60
	v_not_b32_e32 v6, v57
	v_lshlrev_b32_e32 v60, 26, v62
	s_wait_alu 0xf1ff
	v_xor_b32_e32 v58, s6, v58
	v_cmp_gt_i32_e64 s6, 0, v57
	ds_bpermute_b32 v55, v45, v7 offset:96
	v_ashrrev_i32_e32 v6, 31, v6
	v_not_b32_e32 v7, v60
	v_and_b32_e32 v57, v59, v58
	v_lshlrev_b32_e32 v58, 25, v62
	s_wait_alu 0xf1ff
	v_xor_b32_e32 v6, s6, v6
	v_cmp_gt_i32_e64 s6, 0, v60
	v_ashrrev_i32_e32 v7, 31, v7
	v_not_b32_e32 v59, v58
	s_wait_kmcnt 0x0
	s_lshr_b32 s9, s7, 16
	v_and_b32_e32 v6, v57, v6
	v_lshlrev_b32_e32 v57, 24, v62
	v_xor_b32_e32 v7, s6, v7
	v_cmp_gt_i32_e64 s6, 0, v58
	v_ashrrev_i32_e32 v58, 31, v59
	s_wait_alu 0xfffe
	v_mad_u32_u24 v0, v0, s9, v46
	v_not_b32_e32 v59, v57
	v_and_b32_e32 v46, v6, v7
	s_and_b32 s7, s7, 0xffff
	v_xor_b32_e32 v58, s6, v58
	v_cmp_gt_i32_e64 s6, 0, v57
	v_ashrrev_i32_e32 v60, 31, v59
	s_wait_dscnt 0xb
	s_wait_alu 0xfffe
	v_mad_co_u64_u32 v[6:7], null, v0, s7, v[21:22]
	ds_bpermute_b32 v57, v45, v1 offset:96
	v_and_b32_e32 v0, v46, v58
	s_wait_alu 0xf1ff
	v_xor_b32_e32 v1, s6, v60
	ds_bpermute_b32 v59, v45, v8 offset:96
	ds_bpermute_b32 v58, v45, v2 offset:96
	;; [unrolled: 1-line block ×4, first 2 shown]
	v_and_b32_e32 v0, v0, v1
	v_lshrrev_b32_e32 v2, 5, v6
	v_mov_b32_e32 v1, 0
	ds_store_2addr_b32 v42, v1, v1 offset0:1 offset1:2
	ds_store_2addr_b32 v42, v1, v1 offset0:3 offset1:4
	;; [unrolled: 1-line block ×4, first 2 shown]
	v_mbcnt_lo_u32_b32 v60, v0, 0
	v_lshlrev_b32_e32 v8, 2, v2
	v_cmp_ne_u32_e64 s7, 0, v0
	; wave barrier
	s_wait_loadcnt_dscnt 0x0
	global_inv scope:SCOPE_SE
	v_cmp_eq_u32_e64 s6, 0, v60
	v_lshl_add_u32 v62, v62, 2, v8
	; wave barrier
	s_and_b32 s7, s7, s6
	s_wait_alu 0xfffe
	s_and_saveexec_b32 s6, s7
; %bb.44:
	v_bcnt_u32_b32 v0, v0, 0
	ds_store_b32 v62, v0 offset:4
; %bb.45:
	s_wait_alu 0xfffe
	s_or_b32 exec_lo, exec_lo, s6
	v_cndmask_b32_e64 v0, v61, v63, s5
	; wave barrier
	s_delay_alu instid0(VALU_DEP_1) | instskip(NEXT) | instid1(VALU_DEP_1)
	v_cndmask_b32_e64 v0, v0, v64, s4
	v_cndmask_b32_e32 v61, v0, v66, vcc_lo
	s_delay_alu instid0(VALU_DEP_1) | instskip(SKIP_2) | instid1(VALU_DEP_1)
	v_and_b32_e32 v0, 0xffff, v61
	v_cmp_ne_u16_e64 s6, 0x8000, v61
	s_wait_alu 0xf1ff
	v_cndmask_b32_e64 v0, 0x7fff, v0, s6
	s_delay_alu instid0(VALU_DEP_1) | instskip(NEXT) | instid1(VALU_DEP_1)
	v_and_b32_e32 v0, s8, v0
	v_and_b32_e32 v1, 1, v0
	v_lshlrev_b32_e32 v2, 30, v0
	v_lshlrev_b32_e32 v3, 29, v0
	;; [unrolled: 1-line block ×4, first 2 shown]
	v_add_co_u32 v1, s6, v1, -1
	s_wait_alu 0xf1ff
	v_cndmask_b32_e64 v6, 0, 1, s6
	v_not_b32_e32 v66, v2
	v_cmp_gt_i32_e64 s7, 0, v2
	v_not_b32_e32 v2, v3
	v_lshlrev_b32_e32 v63, 26, v0
	v_cmp_ne_u32_e64 s6, 0, v6
	v_ashrrev_i32_e32 v66, 31, v66
	v_lshlrev_b32_e32 v64, 25, v0
	v_ashrrev_i32_e32 v2, 31, v2
	v_lshlrev_b32_e32 v6, 24, v0
	s_wait_alu 0xf1ff
	v_xor_b32_e32 v1, s6, v1
	v_cmp_gt_i32_e64 s6, 0, v3
	v_not_b32_e32 v3, v4
	v_xor_b32_e32 v66, s7, v66
	v_cmp_gt_i32_e64 s7, 0, v4
	v_and_b32_e32 v1, exec_lo, v1
	v_not_b32_e32 v4, v7
	v_ashrrev_i32_e32 v3, 31, v3
	s_wait_alu 0xf1ff
	v_xor_b32_e32 v2, s6, v2
	v_cmp_gt_i32_e64 s6, 0, v7
	v_and_b32_e32 v1, v1, v66
	v_not_b32_e32 v7, v63
	v_ashrrev_i32_e32 v4, 31, v4
	v_xor_b32_e32 v3, s7, v3
	v_cmp_gt_i32_e64 s7, 0, v63
	v_and_b32_e32 v1, v1, v2
	v_not_b32_e32 v2, v64
	v_ashrrev_i32_e32 v7, 31, v7
	s_wait_alu 0xf1ff
	v_xor_b32_e32 v4, s6, v4
	v_cmp_gt_i32_e64 s6, 0, v64
	v_and_b32_e32 v1, v1, v3
	v_not_b32_e32 v3, v6
	v_ashrrev_i32_e32 v2, 31, v2
	v_xor_b32_e32 v7, s7, v7
	v_cmp_gt_i32_e64 s7, 0, v6
	v_and_b32_e32 v1, v1, v4
	v_ashrrev_i32_e32 v3, 31, v3
	s_wait_alu 0xf1ff
	v_xor_b32_e32 v2, s6, v2
	v_lshl_add_u32 v66, v0, 2, v8
	v_and_b32_e32 v1, v1, v7
	v_xor_b32_e32 v0, s7, v3
	ds_load_b32 v63, v66 offset:4
	v_and_b32_e32 v1, v1, v2
	; wave barrier
	s_delay_alu instid0(VALU_DEP_1) | instskip(NEXT) | instid1(VALU_DEP_1)
	v_and_b32_e32 v0, v1, v0
	v_mbcnt_lo_u32_b32 v64, v0, 0
	v_cmp_ne_u32_e64 s7, 0, v0
	s_delay_alu instid0(VALU_DEP_2)
	v_cmp_eq_u32_e64 s6, 0, v64
	s_and_b32 s7, s7, s6
	s_wait_alu 0xfffe
	s_and_saveexec_b32 s6, s7
	s_cbranch_execz .LBB248_47
; %bb.46:
	s_wait_dscnt 0x0
	v_bcnt_u32_b32 v0, v0, v63
	ds_store_b32 v66, v0 offset:4
.LBB248_47:
	s_wait_alu 0xfffe
	s_or_b32 exec_lo, exec_lo, s6
	v_cndmask_b32_e64 v0, v65, v67, s5
	; wave barrier
	s_delay_alu instid0(VALU_DEP_1) | instskip(NEXT) | instid1(VALU_DEP_1)
	v_cndmask_b32_e64 v0, v0, v69, s4
	v_cndmask_b32_e32 v65, v0, v72, vcc_lo
	s_delay_alu instid0(VALU_DEP_1) | instskip(SKIP_2) | instid1(VALU_DEP_1)
	v_and_b32_e32 v0, 0xffff, v65
	v_cmp_ne_u16_e64 s6, 0x8000, v65
	s_wait_alu 0xf1ff
	v_cndmask_b32_e64 v0, 0x7fff, v0, s6
	s_delay_alu instid0(VALU_DEP_1) | instskip(NEXT) | instid1(VALU_DEP_1)
	v_and_b32_e32 v0, s8, v0
	v_and_b32_e32 v1, 1, v0
	v_lshlrev_b32_e32 v2, 30, v0
	v_lshlrev_b32_e32 v3, 29, v0
	;; [unrolled: 1-line block ×4, first 2 shown]
	v_add_co_u32 v1, s6, v1, -1
	s_wait_alu 0xf1ff
	v_cndmask_b32_e64 v6, 0, 1, s6
	v_not_b32_e32 v72, v2
	v_cmp_gt_i32_e64 s7, 0, v2
	v_not_b32_e32 v2, v3
	v_lshlrev_b32_e32 v67, 26, v0
	v_cmp_ne_u32_e64 s6, 0, v6
	v_ashrrev_i32_e32 v72, 31, v72
	v_lshlrev_b32_e32 v69, 25, v0
	v_ashrrev_i32_e32 v2, 31, v2
	v_lshlrev_b32_e32 v6, 24, v0
	s_wait_alu 0xf1ff
	v_xor_b32_e32 v1, s6, v1
	v_cmp_gt_i32_e64 s6, 0, v3
	v_not_b32_e32 v3, v4
	v_xor_b32_e32 v72, s7, v72
	v_cmp_gt_i32_e64 s7, 0, v4
	v_and_b32_e32 v1, exec_lo, v1
	v_not_b32_e32 v4, v7
	v_ashrrev_i32_e32 v3, 31, v3
	s_wait_alu 0xf1ff
	v_xor_b32_e32 v2, s6, v2
	v_cmp_gt_i32_e64 s6, 0, v7
	v_and_b32_e32 v1, v1, v72
	v_not_b32_e32 v7, v67
	v_ashrrev_i32_e32 v4, 31, v4
	v_xor_b32_e32 v3, s7, v3
	v_cmp_gt_i32_e64 s7, 0, v67
	v_and_b32_e32 v1, v1, v2
	v_not_b32_e32 v2, v69
	v_ashrrev_i32_e32 v7, 31, v7
	s_wait_alu 0xf1ff
	v_xor_b32_e32 v4, s6, v4
	v_cmp_gt_i32_e64 s6, 0, v69
	v_and_b32_e32 v1, v1, v3
	v_not_b32_e32 v3, v6
	v_ashrrev_i32_e32 v2, 31, v2
	v_xor_b32_e32 v7, s7, v7
	v_cmp_gt_i32_e64 s7, 0, v6
	v_and_b32_e32 v1, v1, v4
	v_ashrrev_i32_e32 v3, 31, v3
	s_wait_alu 0xf1ff
	v_xor_b32_e32 v2, s6, v2
	v_lshl_add_u32 v72, v0, 2, v8
	v_and_b32_e32 v1, v1, v7
	v_xor_b32_e32 v0, s7, v3
	ds_load_b32 v67, v72 offset:4
	v_and_b32_e32 v1, v1, v2
	; wave barrier
	s_delay_alu instid0(VALU_DEP_1) | instskip(NEXT) | instid1(VALU_DEP_1)
	v_and_b32_e32 v0, v1, v0
	v_mbcnt_lo_u32_b32 v69, v0, 0
	v_cmp_ne_u32_e64 s7, 0, v0
	s_delay_alu instid0(VALU_DEP_2)
	v_cmp_eq_u32_e64 s6, 0, v69
	s_and_b32 s7, s7, s6
	s_wait_alu 0xfffe
	s_and_saveexec_b32 s6, s7
	s_cbranch_execz .LBB248_49
; %bb.48:
	s_wait_dscnt 0x0
	v_bcnt_u32_b32 v0, v0, v67
	ds_store_b32 v72, v0 offset:4
.LBB248_49:
	s_wait_alu 0xfffe
	s_or_b32 exec_lo, exec_lo, s6
	v_cndmask_b32_e64 v0, v5, v68, s5
	; wave barrier
	v_and_or_b32 v74, 0xf80, v41, v44
	s_delay_alu instid0(VALU_DEP_2) | instskip(NEXT) | instid1(VALU_DEP_1)
	v_cndmask_b32_e64 v0, v0, v70, s4
	v_cndmask_b32_e32 v68, v0, v71, vcc_lo
	s_delay_alu instid0(VALU_DEP_1) | instskip(SKIP_2) | instid1(VALU_DEP_1)
	v_and_b32_e32 v0, 0xffff, v68
	v_cmp_ne_u16_e64 s6, 0x8000, v68
	s_wait_alu 0xf1ff
	v_cndmask_b32_e64 v0, 0x7fff, v0, s6
	s_delay_alu instid0(VALU_DEP_1) | instskip(NEXT) | instid1(VALU_DEP_1)
	v_and_b32_e32 v0, s8, v0
	v_and_b32_e32 v1, 1, v0
	v_lshlrev_b32_e32 v2, 30, v0
	v_lshlrev_b32_e32 v3, 29, v0
	;; [unrolled: 1-line block ×4, first 2 shown]
	v_add_co_u32 v1, s6, v1, -1
	s_wait_alu 0xf1ff
	v_cndmask_b32_e64 v5, 0, 1, s6
	v_not_b32_e32 v71, v2
	v_cmp_gt_i32_e64 s7, 0, v2
	v_not_b32_e32 v2, v3
	v_lshlrev_b32_e32 v7, 26, v0
	v_cmp_ne_u32_e64 s6, 0, v5
	v_ashrrev_i32_e32 v71, 31, v71
	v_lshlrev_b32_e32 v70, 25, v0
	v_ashrrev_i32_e32 v2, 31, v2
	v_lshlrev_b32_e32 v5, 24, v0
	s_wait_alu 0xf1ff
	v_xor_b32_e32 v1, s6, v1
	v_cmp_gt_i32_e64 s6, 0, v3
	v_not_b32_e32 v3, v4
	v_xor_b32_e32 v71, s7, v71
	v_cmp_gt_i32_e64 s7, 0, v4
	v_and_b32_e32 v1, exec_lo, v1
	v_not_b32_e32 v4, v6
	v_ashrrev_i32_e32 v3, 31, v3
	s_wait_alu 0xf1ff
	v_xor_b32_e32 v2, s6, v2
	v_cmp_gt_i32_e64 s6, 0, v6
	v_and_b32_e32 v1, v1, v71
	v_not_b32_e32 v6, v7
	v_ashrrev_i32_e32 v4, 31, v4
	v_xor_b32_e32 v3, s7, v3
	v_cmp_gt_i32_e64 s7, 0, v7
	v_and_b32_e32 v1, v1, v2
	v_not_b32_e32 v2, v70
	v_ashrrev_i32_e32 v6, 31, v6
	s_wait_alu 0xf1ff
	v_xor_b32_e32 v4, s6, v4
	v_cmp_gt_i32_e64 s6, 0, v70
	v_and_b32_e32 v1, v1, v3
	v_not_b32_e32 v3, v5
	v_ashrrev_i32_e32 v2, 31, v2
	v_xor_b32_e32 v6, s7, v6
	v_cmp_gt_i32_e64 s7, 0, v5
	v_and_b32_e32 v1, v1, v4
	v_ashrrev_i32_e32 v3, 31, v3
	s_wait_alu 0xf1ff
	v_xor_b32_e32 v2, s6, v2
	v_lshl_add_u32 v73, v0, 2, v8
	v_and_b32_e32 v1, v1, v6
	v_xor_b32_e32 v0, s7, v3
	ds_load_b32 v70, v73 offset:4
	v_and_b32_e32 v1, v1, v2
	; wave barrier
	s_delay_alu instid0(VALU_DEP_1) | instskip(NEXT) | instid1(VALU_DEP_1)
	v_and_b32_e32 v0, v1, v0
	v_mbcnt_lo_u32_b32 v71, v0, 0
	v_cmp_ne_u32_e64 s7, 0, v0
	s_delay_alu instid0(VALU_DEP_2)
	v_cmp_eq_u32_e64 s6, 0, v71
	s_and_b32 s7, s7, s6
	s_wait_alu 0xfffe
	s_and_saveexec_b32 s6, s7
	s_cbranch_execz .LBB248_51
; %bb.50:
	s_wait_dscnt 0x0
	v_bcnt_u32_b32 v0, v0, v70
	ds_store_b32 v73, v0 offset:4
.LBB248_51:
	s_wait_alu 0xfffe
	s_or_b32 exec_lo, exec_lo, s6
	; wave barrier
	; wave barrier
	s_wait_loadcnt_dscnt 0x0
	global_inv scope:SCOPE_SE
	ds_load_2addr_b32 v[6:7], v42 offset0:1 offset1:2
	ds_load_2addr_b32 v[4:5], v42 offset0:3 offset1:4
	;; [unrolled: 1-line block ×4, first 2 shown]
	v_and_b32_e32 v77, 16, v44
	v_cmp_eq_u32_e64 s10, 31, v21
	s_delay_alu instid0(VALU_DEP_2) | instskip(SKIP_3) | instid1(VALU_DEP_1)
	v_cmp_eq_u32_e64 s11, 0, v77
	s_wait_dscnt 0x3
	v_add_nc_u32_e32 v75, v7, v6
	s_wait_dscnt 0x2
	v_add3_u32 v75, v75, v4, v5
	s_wait_dscnt 0x1
	s_delay_alu instid0(VALU_DEP_1) | instskip(SKIP_1) | instid1(VALU_DEP_1)
	v_add3_u32 v75, v75, v2, v3
	s_wait_dscnt 0x0
	v_add3_u32 v1, v75, v0, v1
	v_and_b32_e32 v75, 15, v44
	s_delay_alu instid0(VALU_DEP_2) | instskip(NEXT) | instid1(VALU_DEP_2)
	v_mov_b32_dpp v76, v1 row_shr:1 row_mask:0xf bank_mask:0xf
	v_cmp_eq_u32_e64 s6, 0, v75
	v_cmp_lt_u32_e64 s7, 1, v75
	v_cmp_lt_u32_e64 s8, 3, v75
	;; [unrolled: 1-line block ×3, first 2 shown]
	s_wait_alu 0xf1ff
	v_cndmask_b32_e64 v76, v76, 0, s6
	s_delay_alu instid0(VALU_DEP_1) | instskip(NEXT) | instid1(VALU_DEP_1)
	v_add_nc_u32_e32 v1, v76, v1
	v_mov_b32_dpp v76, v1 row_shr:2 row_mask:0xf bank_mask:0xf
	s_delay_alu instid0(VALU_DEP_1) | instskip(NEXT) | instid1(VALU_DEP_1)
	v_cndmask_b32_e64 v76, 0, v76, s7
	v_add_nc_u32_e32 v1, v1, v76
	s_delay_alu instid0(VALU_DEP_1) | instskip(NEXT) | instid1(VALU_DEP_1)
	v_mov_b32_dpp v76, v1 row_shr:4 row_mask:0xf bank_mask:0xf
	v_cndmask_b32_e64 v76, 0, v76, s8
	s_delay_alu instid0(VALU_DEP_1) | instskip(NEXT) | instid1(VALU_DEP_1)
	v_add_nc_u32_e32 v1, v1, v76
	v_mov_b32_dpp v76, v1 row_shr:8 row_mask:0xf bank_mask:0xf
	s_delay_alu instid0(VALU_DEP_1) | instskip(SKIP_1) | instid1(VALU_DEP_2)
	v_cndmask_b32_e64 v75, 0, v76, s9
	v_bfe_i32 v76, v44, 4, 1
	v_add_nc_u32_e32 v75, v1, v75
	ds_swizzle_b32 v1, v75 offset:swizzle(BROADCAST,32,15)
	s_wait_dscnt 0x0
	v_and_b32_e32 v78, v76, v1
	v_sub_co_u32 v76, s15, v44, 1
	v_mul_u32_u24_e32 v1, 6, v74
	s_delay_alu instid0(VALU_DEP_3)
	v_add_nc_u32_e32 v75, v75, v78
	s_and_saveexec_b32 s12, s10
; %bb.52:
	v_mov_b32_e32 v77, 0
	ds_store_b32 v77, v75
; %bb.53:
	s_wait_alu 0xfffe
	s_or_b32 exec_lo, exec_lo, s12
	v_cmp_gt_i32_e64 s12, 0, v76
	; wave barrier
	s_wait_loadcnt_dscnt 0x0
	global_inv scope:SCOPE_SE
	s_min_u32 s13, s13, 8
	s_wait_alu 0xfffe
	s_lshl_b32 s13, -1, s13
	v_cndmask_b32_e64 v44, v76, v44, s12
	v_cmp_eq_u32_e64 s12, 0, v21
	s_wait_alu 0xfffe
	s_not_b32 s13, s13
	v_lshlrev_b32_e32 v44, 2, v44
	s_or_b32 s15, s12, s15
	v_cmp_eq_u32_e64 s12, 0, v43
	ds_bpermute_b32 v75, v44, v75
	s_wait_alu 0xf1ff
	v_cndmask_b32_e64 v43, 0, v53, s12
	s_wait_dscnt 0x0
	s_wait_alu 0xfffe
	v_cndmask_b32_e64 v21, v75, 0, s15
	s_delay_alu instid0(VALU_DEP_1) | instskip(NEXT) | instid1(VALU_DEP_1)
	v_add_nc_u32_e32 v6, v21, v6
	v_add_nc_u32_e32 v7, v6, v7
	s_delay_alu instid0(VALU_DEP_1) | instskip(NEXT) | instid1(VALU_DEP_1)
	v_add_nc_u32_e32 v4, v7, v4
	v_add_nc_u32_e32 v5, v4, v5
	;; [unrolled: 3-line block ×3, first 2 shown]
	s_delay_alu instid0(VALU_DEP_1)
	v_add_nc_u32_e32 v0, v3, v0
	ds_store_2addr_b32 v42, v21, v6 offset0:1 offset1:2
	ds_store_2addr_b32 v42, v7, v4 offset0:3 offset1:4
	ds_store_2addr_b32 v42, v5, v2 offset0:5 offset1:6
	ds_store_2addr_b32 v42, v3, v0 offset0:7 offset1:8
	; wave barrier
	s_wait_loadcnt_dscnt 0x0
	global_inv scope:SCOPE_SE
	ds_load_b32 v0, v62 offset:4
	ds_load_b32 v2, v66 offset:4
	;; [unrolled: 1-line block ×4, first 2 shown]
	v_cndmask_b32_e64 v5, 0, v27, s12
	v_cndmask_b32_e64 v7, 0, v15, s12
	;; [unrolled: 1-line block ×13, first 2 shown]
	v_lshlrev_b32_e32 v6, 1, v74
	v_cndmask_b32_e64 v50, 0, v54, s12
	; wave barrier
	s_wait_loadcnt_dscnt 0x0
	global_inv scope:SCOPE_SE
	v_add3_u32 v53, v64, v63, v2
	v_add3_u32 v54, v69, v67, v3
	;; [unrolled: 1-line block ×3, first 2 shown]
	v_cndmask_b32_e32 v4, v5, v10, vcc_lo
	v_cndmask_b32_e64 v10, v12, v25, s4
	v_cndmask_b32_e64 v12, v26, v29, s4
	;; [unrolled: 1-line block ×3, first 2 shown]
	v_add_nc_u32_e32 v13, v0, v60
	v_add_nc_u32_e32 v52, v6, v1
	v_lshlrev_b32_e32 v1, 1, v53
	v_lshlrev_b32_e32 v2, 1, v54
	;; [unrolled: 1-line block ×4, first 2 shown]
	ds_store_b16 v0, v49
	ds_store_b16 v1, v61
	;; [unrolled: 1-line block ×4, first 2 shown]
	; wave barrier
	s_wait_loadcnt_dscnt 0x0
	global_inv scope:SCOPE_SE
	ds_load_u16 v16, v6
	v_cndmask_b32_e64 v21, v43, v47, s5
	v_cndmask_b32_e64 v28, v50, v55, s5
	;; [unrolled: 1-line block ×4, first 2 shown]
	s_delay_alu instid0(VALU_DEP_4) | instskip(NEXT) | instid1(VALU_DEP_4)
	v_cndmask_b32_e64 v15, v21, v30, s4
	v_cndmask_b32_e64 v25, v28, v57, s4
	s_delay_alu instid0(VALU_DEP_4)
	v_cndmask_b32_e32 v5, v7, v11, vcc_lo
	v_cndmask_b32_e32 v7, v10, v22, vcc_lo
	ds_load_u16 v21, v6 offset:64
	ds_load_u16 v22, v6 offset:128
	;; [unrolled: 1-line block ×3, first 2 shown]
	v_cndmask_b32_e32 v6, v9, v14, vcc_lo
	v_dual_cndmask_b32 v10, v15, v48 :: v_dual_cndmask_b32 v9, v12, v23
	v_cndmask_b32_e32 v12, v26, v45, vcc_lo
	; wave barrier
	s_wait_loadcnt_dscnt 0x0
	global_inv scope:SCOPE_SE
	v_lshrrev_b16 v11, 8, v16
	v_cmp_ne_u16_e64 s4, 0x8000, v16
	s_wait_alu 0xf1ff
	s_delay_alu instid0(VALU_DEP_1) | instskip(SKIP_1) | instid1(VALU_DEP_2)
	v_cndmask_b32_e64 v14, 0x7f, v11, s4
	v_cndmask_b32_e32 v11, v25, v46, vcc_lo
	v_and_b32_e32 v15, 0xffff, v14
	v_mad_co_u64_u32 v[13:14], null, v13, 6, v[0:1]
	v_mad_co_u64_u32 v[0:1], null, v53, 6, v[1:2]
	s_delay_alu instid0(VALU_DEP_3) | instskip(SKIP_2) | instid1(VALU_DEP_3)
	v_and_b32_e32 v14, s13, v15
	v_mad_co_u64_u32 v[1:2], null, v54, 6, v[2:3]
	v_mad_co_u64_u32 v[2:3], null, v56, 6, v[3:4]
	v_and_b32_e32 v3, 1, v14
	ds_store_b64 v13, v[4:5]
	v_lshlrev_b32_e32 v4, 30, v14
	v_lshlrev_b32_e32 v5, 29, v14
	;; [unrolled: 1-line block ×3, first 2 shown]
	v_add_co_u32 v3, s4, v3, -1
	s_wait_alu 0xf1ff
	v_cndmask_b32_e64 v15, 0, 1, s4
	v_not_b32_e32 v27, v4
	v_cmp_gt_i32_e64 s4, 0, v4
	v_not_b32_e32 v4, v5
	v_lshlrev_b32_e32 v23, 27, v14
	v_cmp_ne_u32_e32 vcc_lo, 0, v15
	v_ashrrev_i32_e32 v27, 31, v27
	v_lshlrev_b32_e32 v25, 26, v14
	v_ashrrev_i32_e32 v4, 31, v4
	v_lshlrev_b32_e32 v26, 25, v14
	s_wait_alu 0xfffd
	v_xor_b32_e32 v3, vcc_lo, v3
	v_cmp_gt_i32_e32 vcc_lo, 0, v5
	v_not_b32_e32 v5, v13
	s_wait_alu 0xf1ff
	v_xor_b32_e32 v27, s4, v27
	v_cmp_gt_i32_e64 s4, 0, v13
	v_and_b32_e32 v3, exec_lo, v3
	v_not_b32_e32 v13, v23
	v_ashrrev_i32_e32 v5, 31, v5
	s_wait_alu 0xfffd
	v_xor_b32_e32 v4, vcc_lo, v4
	v_cmp_gt_i32_e32 vcc_lo, 0, v23
	v_and_b32_e32 v3, v3, v27
	v_not_b32_e32 v23, v25
	v_ashrrev_i32_e32 v13, 31, v13
	s_wait_alu 0xf1ff
	v_xor_b32_e32 v5, s4, v5
	v_lshlrev_b32_e32 v15, 24, v14
	v_and_b32_e32 v3, v3, v4
	v_cmp_gt_i32_e64 s4, 0, v25
	v_not_b32_e32 v4, v26
	v_ashrrev_i32_e32 v23, 31, v23
	s_wait_alu 0xfffd
	v_xor_b32_e32 v13, vcc_lo, v13
	v_and_b32_e32 v3, v3, v5
	v_cmp_gt_i32_e32 vcc_lo, 0, v26
	v_not_b32_e32 v5, v15
	v_ashrrev_i32_e32 v4, 31, v4
	s_wait_alu 0xf1ff
	v_xor_b32_e32 v23, s4, v23
	v_and_b32_e32 v3, v3, v13
	ds_store_b64 v0, v[6:7]
	v_cmp_gt_i32_e64 s4, 0, v15
	v_ashrrev_i32_e32 v0, 31, v5
	s_wait_alu 0xfffd
	v_xor_b32_e32 v4, vcc_lo, v4
	v_and_b32_e32 v3, v3, v23
	ds_store_b64 v1, v[9:10]
	ds_store_b64 v2, v[11:12]
	s_wait_loadcnt_dscnt 0x0
	s_wait_alu 0xf1ff
	v_xor_b32_e32 v9, s4, v0
	; wave barrier
	global_inv scope:SCOPE_SE
	v_and_b32_e32 v10, v3, v4
	ds_load_2addr_b64 v[4:7], v52 offset1:32
	ds_load_2addr_b64 v[0:3], v52 offset0:64 offset1:96
	v_lshl_add_u32 v25, v14, 2, v8
	; wave barrier
	s_wait_loadcnt_dscnt 0x0
	global_inv scope:SCOPE_SE
	v_dual_mov_b32 v10, 0 :: v_dual_and_b32 v9, v10, v9
	ds_store_2addr_b32 v42, v10, v10 offset0:1 offset1:2
	ds_store_2addr_b32 v42, v10, v10 offset0:3 offset1:4
	;; [unrolled: 1-line block ×4, first 2 shown]
	v_mbcnt_lo_u32_b32 v23, v9, 0
	v_cmp_ne_u32_e64 s4, 0, v9
	; wave barrier
	s_wait_loadcnt_dscnt 0x0
	global_inv scope:SCOPE_SE
	v_cmp_eq_u32_e32 vcc_lo, 0, v23
	; wave barrier
	s_and_b32 s5, s4, vcc_lo
	s_wait_alu 0xfffe
	s_and_saveexec_b32 s4, s5
; %bb.54:
	v_bcnt_u32_b32 v9, v9, 0
	ds_store_b32 v25, v9 offset:4
; %bb.55:
	s_wait_alu 0xfffe
	s_or_b32 exec_lo, exec_lo, s4
	v_lshrrev_b16 v9, 8, v21
	v_cmp_ne_u16_e32 vcc_lo, 0x8000, v21
	; wave barrier
	s_wait_alu 0xfffd
	s_delay_alu instid0(VALU_DEP_2) | instskip(NEXT) | instid1(VALU_DEP_1)
	v_cndmask_b32_e32 v9, 0x7f, v9, vcc_lo
	v_and_b32_e32 v9, s13, v9
	s_delay_alu instid0(VALU_DEP_1)
	v_and_b32_e32 v10, 1, v9
	v_lshlrev_b32_e32 v11, 30, v9
	v_lshlrev_b32_e32 v12, 29, v9
	;; [unrolled: 1-line block ×4, first 2 shown]
	v_add_co_u32 v10, s4, v10, -1
	s_wait_alu 0xf1ff
	v_cndmask_b32_e64 v14, 0, 1, s4
	v_not_b32_e32 v28, v11
	v_cmp_gt_i32_e64 s4, 0, v11
	v_not_b32_e32 v11, v12
	v_lshlrev_b32_e32 v26, 26, v9
	v_cmp_ne_u32_e32 vcc_lo, 0, v14
	v_ashrrev_i32_e32 v28, 31, v28
	v_lshlrev_b32_e32 v27, 25, v9
	v_ashrrev_i32_e32 v11, 31, v11
	v_lshlrev_b32_e32 v14, 24, v9
	s_wait_alu 0xfffd
	v_xor_b32_e32 v10, vcc_lo, v10
	v_cmp_gt_i32_e32 vcc_lo, 0, v12
	v_not_b32_e32 v12, v13
	s_wait_alu 0xf1ff
	v_xor_b32_e32 v28, s4, v28
	v_cmp_gt_i32_e64 s4, 0, v13
	v_and_b32_e32 v10, exec_lo, v10
	v_not_b32_e32 v13, v15
	v_ashrrev_i32_e32 v12, 31, v12
	s_wait_alu 0xfffd
	v_xor_b32_e32 v11, vcc_lo, v11
	v_cmp_gt_i32_e32 vcc_lo, 0, v15
	v_and_b32_e32 v10, v10, v28
	v_not_b32_e32 v15, v26
	v_ashrrev_i32_e32 v13, 31, v13
	s_wait_alu 0xf1ff
	v_xor_b32_e32 v12, s4, v12
	v_cmp_gt_i32_e64 s4, 0, v26
	v_and_b32_e32 v10, v10, v11
	v_not_b32_e32 v11, v27
	v_ashrrev_i32_e32 v15, 31, v15
	s_wait_alu 0xfffd
	v_xor_b32_e32 v13, vcc_lo, v13
	v_cmp_gt_i32_e32 vcc_lo, 0, v27
	v_and_b32_e32 v10, v10, v12
	v_not_b32_e32 v12, v14
	v_ashrrev_i32_e32 v11, 31, v11
	s_wait_alu 0xf1ff
	v_xor_b32_e32 v15, s4, v15
	v_cmp_gt_i32_e64 s4, 0, v14
	v_and_b32_e32 v10, v10, v13
	v_ashrrev_i32_e32 v12, 31, v12
	s_wait_alu 0xfffd
	v_xor_b32_e32 v11, vcc_lo, v11
	v_lshl_add_u32 v28, v9, 2, v8
	v_and_b32_e32 v10, v10, v15
	s_wait_alu 0xf1ff
	v_xor_b32_e32 v9, s4, v12
	ds_load_b32 v26, v28 offset:4
	v_and_b32_e32 v10, v10, v11
	; wave barrier
	s_delay_alu instid0(VALU_DEP_1) | instskip(NEXT) | instid1(VALU_DEP_1)
	v_and_b32_e32 v9, v10, v9
	v_mbcnt_lo_u32_b32 v27, v9, 0
	v_cmp_ne_u32_e64 s4, 0, v9
	s_delay_alu instid0(VALU_DEP_2)
	v_cmp_eq_u32_e32 vcc_lo, 0, v27
	s_and_b32 s5, s4, vcc_lo
	s_wait_alu 0xfffe
	s_and_saveexec_b32 s4, s5
	s_cbranch_execz .LBB248_57
; %bb.56:
	s_wait_dscnt 0x0
	v_bcnt_u32_b32 v9, v9, v26
	ds_store_b32 v28, v9 offset:4
.LBB248_57:
	s_wait_alu 0xfffe
	s_or_b32 exec_lo, exec_lo, s4
	v_lshrrev_b16 v9, 8, v22
	v_cmp_ne_u16_e32 vcc_lo, 0x8000, v22
	; wave barrier
	s_wait_alu 0xfffd
	s_delay_alu instid0(VALU_DEP_2) | instskip(NEXT) | instid1(VALU_DEP_1)
	v_cndmask_b32_e32 v9, 0x7f, v9, vcc_lo
	v_and_b32_e32 v9, s13, v9
	s_delay_alu instid0(VALU_DEP_1)
	v_and_b32_e32 v10, 1, v9
	v_lshlrev_b32_e32 v11, 30, v9
	v_lshlrev_b32_e32 v12, 29, v9
	;; [unrolled: 1-line block ×4, first 2 shown]
	v_add_co_u32 v10, s4, v10, -1
	s_wait_alu 0xf1ff
	v_cndmask_b32_e64 v14, 0, 1, s4
	v_not_b32_e32 v31, v11
	v_cmp_gt_i32_e64 s4, 0, v11
	v_not_b32_e32 v11, v12
	v_lshlrev_b32_e32 v29, 26, v9
	v_cmp_ne_u32_e32 vcc_lo, 0, v14
	v_ashrrev_i32_e32 v31, 31, v31
	v_lshlrev_b32_e32 v30, 25, v9
	v_ashrrev_i32_e32 v11, 31, v11
	v_lshlrev_b32_e32 v14, 24, v9
	s_wait_alu 0xfffd
	v_xor_b32_e32 v10, vcc_lo, v10
	v_cmp_gt_i32_e32 vcc_lo, 0, v12
	v_not_b32_e32 v12, v13
	s_wait_alu 0xf1ff
	v_xor_b32_e32 v31, s4, v31
	v_cmp_gt_i32_e64 s4, 0, v13
	v_and_b32_e32 v10, exec_lo, v10
	v_not_b32_e32 v13, v15
	v_ashrrev_i32_e32 v12, 31, v12
	s_wait_alu 0xfffd
	v_xor_b32_e32 v11, vcc_lo, v11
	v_cmp_gt_i32_e32 vcc_lo, 0, v15
	v_and_b32_e32 v10, v10, v31
	v_not_b32_e32 v15, v29
	v_ashrrev_i32_e32 v13, 31, v13
	s_wait_alu 0xf1ff
	v_xor_b32_e32 v12, s4, v12
	v_cmp_gt_i32_e64 s4, 0, v29
	v_and_b32_e32 v10, v10, v11
	v_not_b32_e32 v11, v30
	v_ashrrev_i32_e32 v15, 31, v15
	s_wait_alu 0xfffd
	v_xor_b32_e32 v13, vcc_lo, v13
	v_cmp_gt_i32_e32 vcc_lo, 0, v30
	v_and_b32_e32 v10, v10, v12
	v_not_b32_e32 v12, v14
	v_ashrrev_i32_e32 v11, 31, v11
	s_wait_alu 0xf1ff
	v_xor_b32_e32 v15, s4, v15
	v_cmp_gt_i32_e64 s4, 0, v14
	v_and_b32_e32 v10, v10, v13
	v_ashrrev_i32_e32 v12, 31, v12
	s_wait_alu 0xfffd
	v_xor_b32_e32 v11, vcc_lo, v11
	v_lshl_add_u32 v31, v9, 2, v8
	v_and_b32_e32 v10, v10, v15
	s_wait_alu 0xf1ff
	v_xor_b32_e32 v9, s4, v12
	ds_load_b32 v29, v31 offset:4
	v_and_b32_e32 v10, v10, v11
	; wave barrier
	s_delay_alu instid0(VALU_DEP_1) | instskip(NEXT) | instid1(VALU_DEP_1)
	v_and_b32_e32 v9, v10, v9
	v_mbcnt_lo_u32_b32 v30, v9, 0
	v_cmp_ne_u32_e64 s4, 0, v9
	s_delay_alu instid0(VALU_DEP_2)
	v_cmp_eq_u32_e32 vcc_lo, 0, v30
	s_and_b32 s5, s4, vcc_lo
	s_wait_alu 0xfffe
	s_and_saveexec_b32 s4, s5
	s_cbranch_execz .LBB248_59
; %bb.58:
	s_wait_dscnt 0x0
	v_bcnt_u32_b32 v9, v9, v29
	ds_store_b32 v31, v9 offset:4
.LBB248_59:
	s_wait_alu 0xfffe
	s_or_b32 exec_lo, exec_lo, s4
	v_lshrrev_b16 v9, 8, v24
	v_cmp_ne_u16_e32 vcc_lo, 0x8000, v24
	; wave barrier
	s_wait_alu 0xfffd
	s_delay_alu instid0(VALU_DEP_2) | instskip(NEXT) | instid1(VALU_DEP_1)
	v_cndmask_b32_e32 v9, 0x7f, v9, vcc_lo
	v_and_b32_e32 v9, s13, v9
	s_delay_alu instid0(VALU_DEP_1)
	v_and_b32_e32 v10, 1, v9
	v_lshlrev_b32_e32 v11, 30, v9
	v_lshlrev_b32_e32 v12, 29, v9
	;; [unrolled: 1-line block ×4, first 2 shown]
	v_add_co_u32 v10, s4, v10, -1
	s_wait_alu 0xf1ff
	v_cndmask_b32_e64 v14, 0, 1, s4
	v_not_b32_e32 v46, v11
	v_cmp_gt_i32_e64 s4, 0, v11
	v_not_b32_e32 v11, v12
	v_lshlrev_b32_e32 v43, 26, v9
	v_cmp_ne_u32_e32 vcc_lo, 0, v14
	v_ashrrev_i32_e32 v46, 31, v46
	v_lshlrev_b32_e32 v45, 25, v9
	v_ashrrev_i32_e32 v11, 31, v11
	v_lshlrev_b32_e32 v14, 24, v9
	s_wait_alu 0xfffd
	v_xor_b32_e32 v10, vcc_lo, v10
	v_cmp_gt_i32_e32 vcc_lo, 0, v12
	v_not_b32_e32 v12, v13
	s_wait_alu 0xf1ff
	v_xor_b32_e32 v46, s4, v46
	v_cmp_gt_i32_e64 s4, 0, v13
	v_and_b32_e32 v10, exec_lo, v10
	v_not_b32_e32 v13, v15
	v_ashrrev_i32_e32 v12, 31, v12
	s_wait_alu 0xfffd
	v_xor_b32_e32 v11, vcc_lo, v11
	v_cmp_gt_i32_e32 vcc_lo, 0, v15
	v_and_b32_e32 v10, v10, v46
	v_not_b32_e32 v15, v43
	v_ashrrev_i32_e32 v13, 31, v13
	s_wait_alu 0xf1ff
	v_xor_b32_e32 v12, s4, v12
	v_cmp_gt_i32_e64 s4, 0, v43
	v_and_b32_e32 v10, v10, v11
	v_not_b32_e32 v11, v45
	v_ashrrev_i32_e32 v15, 31, v15
	s_wait_alu 0xfffd
	v_xor_b32_e32 v13, vcc_lo, v13
	v_cmp_gt_i32_e32 vcc_lo, 0, v45
	v_and_b32_e32 v10, v10, v12
	v_not_b32_e32 v12, v14
	v_ashrrev_i32_e32 v11, 31, v11
	s_wait_alu 0xf1ff
	v_xor_b32_e32 v15, s4, v15
	v_cmp_gt_i32_e64 s4, 0, v14
	v_and_b32_e32 v10, v10, v13
	v_ashrrev_i32_e32 v12, 31, v12
	s_wait_alu 0xfffd
	v_xor_b32_e32 v11, vcc_lo, v11
	v_lshl_add_u32 v46, v9, 2, v8
	v_and_b32_e32 v10, v10, v15
	s_wait_alu 0xf1ff
	v_xor_b32_e32 v8, s4, v12
	ds_load_b32 v43, v46 offset:4
	v_and_b32_e32 v9, v10, v11
	; wave barrier
	s_delay_alu instid0(VALU_DEP_1) | instskip(NEXT) | instid1(VALU_DEP_1)
	v_and_b32_e32 v8, v9, v8
	v_mbcnt_lo_u32_b32 v45, v8, 0
	v_cmp_ne_u32_e64 s4, 0, v8
	s_delay_alu instid0(VALU_DEP_2)
	v_cmp_eq_u32_e32 vcc_lo, 0, v45
	s_and_b32 s5, s4, vcc_lo
	s_wait_alu 0xfffe
	s_and_saveexec_b32 s4, s5
	s_cbranch_execz .LBB248_61
; %bb.60:
	s_wait_dscnt 0x0
	v_bcnt_u32_b32 v8, v8, v43
	ds_store_b32 v46, v8 offset:4
.LBB248_61:
	s_wait_alu 0xfffe
	s_or_b32 exec_lo, exec_lo, s4
	; wave barrier
	; wave barrier
	s_wait_loadcnt_dscnt 0x0
	global_inv scope:SCOPE_SE
	ds_load_2addr_b32 v[14:15], v42 offset0:1 offset1:2
	ds_load_2addr_b32 v[12:13], v42 offset0:3 offset1:4
	;; [unrolled: 1-line block ×4, first 2 shown]
	s_wait_dscnt 0x3
	v_add_nc_u32_e32 v47, v15, v14
	s_wait_dscnt 0x2
	s_delay_alu instid0(VALU_DEP_1) | instskip(SKIP_1) | instid1(VALU_DEP_1)
	v_add3_u32 v47, v47, v12, v13
	s_wait_dscnt 0x1
	v_add3_u32 v47, v47, v10, v11
	s_wait_dscnt 0x0
	s_delay_alu instid0(VALU_DEP_1) | instskip(NEXT) | instid1(VALU_DEP_1)
	v_add3_u32 v9, v47, v8, v9
	v_mov_b32_dpp v47, v9 row_shr:1 row_mask:0xf bank_mask:0xf
	s_delay_alu instid0(VALU_DEP_1) | instskip(NEXT) | instid1(VALU_DEP_1)
	v_cndmask_b32_e64 v47, v47, 0, s6
	v_add_nc_u32_e32 v9, v47, v9
	s_delay_alu instid0(VALU_DEP_1) | instskip(NEXT) | instid1(VALU_DEP_1)
	v_mov_b32_dpp v47, v9 row_shr:2 row_mask:0xf bank_mask:0xf
	v_cndmask_b32_e64 v47, 0, v47, s7
	s_delay_alu instid0(VALU_DEP_1) | instskip(NEXT) | instid1(VALU_DEP_1)
	v_add_nc_u32_e32 v9, v9, v47
	v_mov_b32_dpp v47, v9 row_shr:4 row_mask:0xf bank_mask:0xf
	s_delay_alu instid0(VALU_DEP_1) | instskip(NEXT) | instid1(VALU_DEP_1)
	v_cndmask_b32_e64 v47, 0, v47, s8
	v_add_nc_u32_e32 v9, v9, v47
	s_delay_alu instid0(VALU_DEP_1) | instskip(NEXT) | instid1(VALU_DEP_1)
	v_mov_b32_dpp v47, v9 row_shr:8 row_mask:0xf bank_mask:0xf
	v_cndmask_b32_e64 v47, 0, v47, s9
	s_delay_alu instid0(VALU_DEP_1) | instskip(SKIP_3) | instid1(VALU_DEP_1)
	v_add_nc_u32_e32 v9, v9, v47
	ds_swizzle_b32 v47, v9 offset:swizzle(BROADCAST,32,15)
	s_wait_dscnt 0x0
	v_cndmask_b32_e64 v47, v47, 0, s11
	v_add_nc_u32_e32 v9, v9, v47
	s_and_saveexec_b32 s4, s10
; %bb.62:
	v_mov_b32_e32 v47, 0
	ds_store_b32 v47, v9
; %bb.63:
	s_wait_alu 0xfffe
	s_or_b32 exec_lo, exec_lo, s4
	ds_bpermute_b32 v9, v44, v9
	; wave barrier
	s_wait_loadcnt_dscnt 0x0
	global_inv scope:SCOPE_SE
	v_cndmask_b32_e64 v9, v9, 0, s15
	s_delay_alu instid0(VALU_DEP_1) | instskip(NEXT) | instid1(VALU_DEP_1)
	v_add_nc_u32_e32 v14, v9, v14
	v_add_nc_u32_e32 v15, v14, v15
	s_delay_alu instid0(VALU_DEP_1) | instskip(NEXT) | instid1(VALU_DEP_1)
	v_add_nc_u32_e32 v12, v15, v12
	v_add_nc_u32_e32 v13, v12, v13
	;; [unrolled: 3-line block ×3, first 2 shown]
	s_delay_alu instid0(VALU_DEP_1)
	v_add_nc_u32_e32 v8, v11, v8
	ds_store_2addr_b32 v42, v9, v14 offset0:1 offset1:2
	ds_store_2addr_b32 v42, v15, v12 offset0:3 offset1:4
	;; [unrolled: 1-line block ×4, first 2 shown]
	; wave barrier
	s_wait_loadcnt_dscnt 0x0
	global_inv scope:SCOPE_SE
	ds_load_b32 v8, v25 offset:4
	ds_load_b32 v9, v28 offset:4
	;; [unrolled: 1-line block ×4, first 2 shown]
	v_lshlrev_b32_e32 v12, 1, v41
	; wave barrier
	s_wait_loadcnt_dscnt 0x0
	global_inv scope:SCOPE_SE
	v_add_nc_u32_e32 v15, v8, v23
	v_add3_u32 v23, v27, v26, v9
	v_add3_u32 v25, v30, v29, v10
	;; [unrolled: 1-line block ×3, first 2 shown]
	s_delay_alu instid0(VALU_DEP_4) | instskip(NEXT) | instid1(VALU_DEP_4)
	v_lshlrev_b32_e32 v8, 1, v15
	v_lshlrev_b32_e32 v9, 1, v23
	s_delay_alu instid0(VALU_DEP_4) | instskip(NEXT) | instid1(VALU_DEP_4)
	v_lshlrev_b32_e32 v10, 1, v25
	v_lshlrev_b32_e32 v11, 1, v26
	ds_store_b16 v8, v16
	ds_store_b16 v9, v21
	;; [unrolled: 1-line block ×4, first 2 shown]
	; wave barrier
	s_wait_loadcnt_dscnt 0x0
	global_inv scope:SCOPE_SE
	ds_load_b64 v[13:14], v12
	v_mad_co_u64_u32 v[15:16], null, v15, 6, v[8:9]
	v_mad_co_u64_u32 v[8:9], null, v23, 6, v[9:10]
	;; [unrolled: 1-line block ×3, first 2 shown]
	; wave barrier
	s_wait_loadcnt_dscnt 0x0
	global_inv scope:SCOPE_SE
	ds_store_b64 v15, v[4:5]
	ds_store_b64 v8, v[6:7]
	v_cmp_gt_i16_e32 vcc_lo, 0, v13
	v_lshrrev_b32_e32 v10, 16, v13
	v_lshrrev_b32_e32 v16, 16, v14
	s_wait_alu 0xfffd
	v_cndmask_b32_e64 v12, 0x7fff, 0, vcc_lo
	v_cmp_gt_i16_e32 vcc_lo, 0, v14
	s_wait_alu 0xfffd
	v_cndmask_b32_e64 v21, 0x7fff, 0, vcc_lo
	v_cmp_gt_i16_e32 vcc_lo, 0, v10
	v_mad_co_u64_u32 v[10:11], null, v26, 6, v[11:12]
	ds_store_b64 v9, v[0:1]
	ds_store_b64 v10, v[2:3]
	s_wait_alu 0xfffd
	v_cndmask_b32_e64 v22, 0x7fff, 0, vcc_lo
	v_cmp_gt_i16_e32 vcc_lo, 0, v16
	; wave barrier
	s_wait_loadcnt_dscnt 0x0
	global_inv scope:SCOPE_SE
	v_perm_b32 v11, v22, v12, 0x5040100
	s_wait_alu 0xfffd
	v_cndmask_b32_e64 v16, 0x7fff, 0, vcc_lo
	s_delay_alu instid0(VALU_DEP_2) | instskip(NEXT) | instid1(VALU_DEP_2)
	v_xor_b32_e32 v13, v11, v13
	v_perm_b32 v12, v16, v21, 0x5040100
	s_delay_alu instid0(VALU_DEP_1)
	v_xor_b32_e32 v14, v12, v14
.LBB248_64:
	ds_load_b128 v[0:3], v40
	ds_load_b128 v[4:7], v40 offset:16
	; wave barrier
	s_wait_loadcnt_dscnt 0x0
	global_inv scope:SCOPE_SE
	ds_store_2addr_b32 v35, v13, v14 offset1:1
	; wave barrier
	s_wait_loadcnt_dscnt 0x0
	global_inv scope:SCOPE_SE
	ds_load_u16 v12, v18 offset:64
	ds_load_u16 v11, v33 offset:128
	;; [unrolled: 1-line block ×3, first 2 shown]
	v_mov_b32_e32 v18, 0
	s_delay_alu instid0(VALU_DEP_1) | instskip(NEXT) | instid1(VALU_DEP_1)
	v_lshlrev_b64_e32 v[8:9], 1, v[17:18]
	v_add_co_u32 v8, vcc_lo, s18, v8
	s_wait_alu 0xfffd
	s_delay_alu instid0(VALU_DEP_2)
	v_add_co_ci_u32_e64 v9, null, s19, v9, vcc_lo
	s_and_saveexec_b32 s4, s0
	s_cbranch_execnz .LBB248_75
; %bb.65:
	s_wait_alu 0xfffe
	s_or_b32 exec_lo, exec_lo, s4
	s_and_saveexec_b32 s4, s1
	s_cbranch_execnz .LBB248_76
.LBB248_66:
	s_wait_alu 0xfffe
	s_or_b32 exec_lo, exec_lo, s4
	s_and_saveexec_b32 s4, s2
	s_cbranch_execnz .LBB248_77
.LBB248_67:
	s_wait_alu 0xfffe
	s_or_b32 exec_lo, exec_lo, s4
	s_and_saveexec_b32 s4, s3
	s_cbranch_execz .LBB248_69
.LBB248_68:
	s_mul_i32 s6, s14, 0x60
	s_mov_b32 s7, 0
	s_wait_alu 0xfffe
	s_lshl_b64 s[6:7], s[6:7], 1
	s_wait_alu 0xfffe
	v_add_co_u32 v8, vcc_lo, v8, s6
	s_wait_alu 0xfffd
	v_add_co_ci_u32_e64 v9, null, s7, v9, vcc_lo
	s_wait_dscnt 0x0
	global_store_b16 v[8:9], v10, off
.LBB248_69:
	s_wait_alu 0xfffe
	s_or_b32 exec_lo, exec_lo, s4
	s_wait_storecnt 0x0
	; wave barrier
	s_wait_loadcnt_dscnt 0x0
	global_inv scope:SCOPE_SE
	ds_store_2addr_b64 v39, v[0:1], v[2:3] offset1:1
	ds_store_2addr_b64 v39, v[4:5], v[6:7] offset0:2 offset1:3
	; wave barrier
	s_wait_loadcnt_dscnt 0x0
	global_inv scope:SCOPE_SE
	ds_load_b64 v[6:7], v20 offset:256
	ds_load_b64 v[4:5], v37 offset:512
	;; [unrolled: 1-line block ×3, first 2 shown]
	v_mov_b32_e32 v20, 0
	s_delay_alu instid0(VALU_DEP_1) | instskip(NEXT) | instid1(VALU_DEP_1)
	v_lshlrev_b64_e32 v[2:3], 3, v[19:20]
	v_add_co_u32 v2, vcc_lo, s20, v2
	s_wait_alu 0xfffd
	s_delay_alu instid0(VALU_DEP_2)
	v_add_co_ci_u32_e64 v3, null, s21, v3, vcc_lo
	s_and_saveexec_b32 s4, s0
	s_cbranch_execnz .LBB248_78
; %bb.70:
	s_wait_alu 0xfffe
	s_or_b32 exec_lo, exec_lo, s4
	s_and_saveexec_b32 s0, s1
	s_cbranch_execnz .LBB248_79
.LBB248_71:
	s_or_b32 exec_lo, exec_lo, s0
	s_and_saveexec_b32 s0, s2
	s_cbranch_execnz .LBB248_80
.LBB248_72:
	s_or_b32 exec_lo, exec_lo, s0
	s_and_saveexec_b32 s0, s3
	s_cbranch_execz .LBB248_74
.LBB248_73:
	s_mul_i32 s0, s16, 0x60
	s_mov_b32 s1, 0
	s_delay_alu instid0(SALU_CYCLE_1) | instskip(NEXT) | instid1(SALU_CYCLE_1)
	s_lshl_b64 s[0:1], s[0:1], 3
	v_add_co_u32 v2, vcc_lo, v2, s0
	s_wait_alu 0xfffd
	v_add_co_ci_u32_e64 v3, null, s1, v3, vcc_lo
	s_wait_dscnt 0x0
	global_store_b64 v[2:3], v[0:1], off
.LBB248_74:
	s_endpgm
.LBB248_75:
	ds_load_u16 v13, v32
	s_wait_dscnt 0x0
	global_store_b16 v[8:9], v13, off
	s_wait_alu 0xfffe
	s_or_b32 exec_lo, exec_lo, s4
	s_and_saveexec_b32 s4, s1
	s_cbranch_execz .LBB248_66
.LBB248_76:
	s_lshl_b32 s6, s14, 5
	s_mov_b32 s7, 0
	s_wait_alu 0xfffe
	s_lshl_b64 s[6:7], s[6:7], 1
	s_wait_alu 0xfffe
	v_add_co_u32 v13, vcc_lo, v8, s6
	s_wait_alu 0xfffd
	v_add_co_ci_u32_e64 v14, null, s7, v9, vcc_lo
	s_wait_dscnt 0x2
	global_store_b16 v[13:14], v12, off
	s_or_b32 exec_lo, exec_lo, s4
	s_and_saveexec_b32 s4, s2
	s_cbranch_execz .LBB248_67
.LBB248_77:
	s_lshl_b32 s6, s14, 6
	s_mov_b32 s7, 0
	s_wait_alu 0xfffe
	s_lshl_b64 s[6:7], s[6:7], 1
	s_wait_dscnt 0x2
	s_wait_alu 0xfffe
	v_add_co_u32 v12, vcc_lo, v8, s6
	s_wait_alu 0xfffd
	v_add_co_ci_u32_e64 v13, null, s7, v9, vcc_lo
	s_wait_dscnt 0x1
	global_store_b16 v[12:13], v11, off
	s_or_b32 exec_lo, exec_lo, s4
	s_and_saveexec_b32 s4, s3
	s_cbranch_execnz .LBB248_68
	s_branch .LBB248_69
.LBB248_78:
	ds_load_b64 v[8:9], v36
	s_wait_dscnt 0x0
	global_store_b64 v[2:3], v[8:9], off
	s_wait_alu 0xfffe
	s_or_b32 exec_lo, exec_lo, s4
	s_and_saveexec_b32 s0, s1
	s_cbranch_execz .LBB248_71
.LBB248_79:
	s_lshl_b32 s4, s16, 5
	s_mov_b32 s5, 0
	s_wait_alu 0xfffe
	s_lshl_b64 s[4:5], s[4:5], 3
	s_wait_alu 0xfffe
	v_add_co_u32 v8, vcc_lo, v2, s4
	s_wait_alu 0xfffd
	v_add_co_ci_u32_e64 v9, null, s5, v3, vcc_lo
	s_wait_dscnt 0x2
	global_store_b64 v[8:9], v[6:7], off
	s_or_b32 exec_lo, exec_lo, s0
	s_and_saveexec_b32 s0, s2
	s_cbranch_execz .LBB248_72
.LBB248_80:
	s_lshl_b32 s4, s16, 6
	s_mov_b32 s5, 0
	s_wait_alu 0xfffe
	s_lshl_b64 s[4:5], s[4:5], 3
	s_wait_dscnt 0x2
	s_wait_alu 0xfffe
	v_add_co_u32 v6, vcc_lo, v2, s4
	s_wait_alu 0xfffd
	v_add_co_ci_u32_e64 v7, null, s5, v3, vcc_lo
	s_wait_dscnt 0x1
	global_store_b64 v[6:7], v[4:5], off
	s_or_b32 exec_lo, exec_lo, s0
	s_and_saveexec_b32 s0, s3
	s_cbranch_execnz .LBB248_73
	s_branch .LBB248_74
	.section	.rodata,"a",@progbits
	.p2align	6, 0x0
	.amdhsa_kernel _ZN2at6native18radixSortKVInPlaceILi2ELin1ELi32ELi4EN3c108BFloat16EljEEvNS_4cuda6detail10TensorInfoIT3_T5_EES8_S8_S8_NS6_IT4_S8_EES8_b
		.amdhsa_group_segment_fixed_size 1056
		.amdhsa_private_segment_fixed_size 0
		.amdhsa_kernarg_size 712
		.amdhsa_user_sgpr_count 2
		.amdhsa_user_sgpr_dispatch_ptr 0
		.amdhsa_user_sgpr_queue_ptr 0
		.amdhsa_user_sgpr_kernarg_segment_ptr 1
		.amdhsa_user_sgpr_dispatch_id 0
		.amdhsa_user_sgpr_private_segment_size 0
		.amdhsa_wavefront_size32 1
		.amdhsa_uses_dynamic_stack 0
		.amdhsa_enable_private_segment 0
		.amdhsa_system_sgpr_workgroup_id_x 1
		.amdhsa_system_sgpr_workgroup_id_y 1
		.amdhsa_system_sgpr_workgroup_id_z 1
		.amdhsa_system_sgpr_workgroup_info 0
		.amdhsa_system_vgpr_workitem_id 2
		.amdhsa_next_free_vgpr 94
		.amdhsa_next_free_sgpr 24
		.amdhsa_reserve_vcc 1
		.amdhsa_float_round_mode_32 0
		.amdhsa_float_round_mode_16_64 0
		.amdhsa_float_denorm_mode_32 3
		.amdhsa_float_denorm_mode_16_64 3
		.amdhsa_fp16_overflow 0
		.amdhsa_workgroup_processor_mode 1
		.amdhsa_memory_ordered 1
		.amdhsa_forward_progress 1
		.amdhsa_inst_pref_size 111
		.amdhsa_round_robin_scheduling 0
		.amdhsa_exception_fp_ieee_invalid_op 0
		.amdhsa_exception_fp_denorm_src 0
		.amdhsa_exception_fp_ieee_div_zero 0
		.amdhsa_exception_fp_ieee_overflow 0
		.amdhsa_exception_fp_ieee_underflow 0
		.amdhsa_exception_fp_ieee_inexact 0
		.amdhsa_exception_int_div_zero 0
	.end_amdhsa_kernel
	.section	.text._ZN2at6native18radixSortKVInPlaceILi2ELin1ELi32ELi4EN3c108BFloat16EljEEvNS_4cuda6detail10TensorInfoIT3_T5_EES8_S8_S8_NS6_IT4_S8_EES8_b,"axG",@progbits,_ZN2at6native18radixSortKVInPlaceILi2ELin1ELi32ELi4EN3c108BFloat16EljEEvNS_4cuda6detail10TensorInfoIT3_T5_EES8_S8_S8_NS6_IT4_S8_EES8_b,comdat
.Lfunc_end248:
	.size	_ZN2at6native18radixSortKVInPlaceILi2ELin1ELi32ELi4EN3c108BFloat16EljEEvNS_4cuda6detail10TensorInfoIT3_T5_EES8_S8_S8_NS6_IT4_S8_EES8_b, .Lfunc_end248-_ZN2at6native18radixSortKVInPlaceILi2ELin1ELi32ELi4EN3c108BFloat16EljEEvNS_4cuda6detail10TensorInfoIT3_T5_EES8_S8_S8_NS6_IT4_S8_EES8_b
                                        ; -- End function
	.set _ZN2at6native18radixSortKVInPlaceILi2ELin1ELi32ELi4EN3c108BFloat16EljEEvNS_4cuda6detail10TensorInfoIT3_T5_EES8_S8_S8_NS6_IT4_S8_EES8_b.num_vgpr, 94
	.set _ZN2at6native18radixSortKVInPlaceILi2ELin1ELi32ELi4EN3c108BFloat16EljEEvNS_4cuda6detail10TensorInfoIT3_T5_EES8_S8_S8_NS6_IT4_S8_EES8_b.num_agpr, 0
	.set _ZN2at6native18radixSortKVInPlaceILi2ELin1ELi32ELi4EN3c108BFloat16EljEEvNS_4cuda6detail10TensorInfoIT3_T5_EES8_S8_S8_NS6_IT4_S8_EES8_b.numbered_sgpr, 24
	.set _ZN2at6native18radixSortKVInPlaceILi2ELin1ELi32ELi4EN3c108BFloat16EljEEvNS_4cuda6detail10TensorInfoIT3_T5_EES8_S8_S8_NS6_IT4_S8_EES8_b.num_named_barrier, 0
	.set _ZN2at6native18radixSortKVInPlaceILi2ELin1ELi32ELi4EN3c108BFloat16EljEEvNS_4cuda6detail10TensorInfoIT3_T5_EES8_S8_S8_NS6_IT4_S8_EES8_b.private_seg_size, 0
	.set _ZN2at6native18radixSortKVInPlaceILi2ELin1ELi32ELi4EN3c108BFloat16EljEEvNS_4cuda6detail10TensorInfoIT3_T5_EES8_S8_S8_NS6_IT4_S8_EES8_b.uses_vcc, 1
	.set _ZN2at6native18radixSortKVInPlaceILi2ELin1ELi32ELi4EN3c108BFloat16EljEEvNS_4cuda6detail10TensorInfoIT3_T5_EES8_S8_S8_NS6_IT4_S8_EES8_b.uses_flat_scratch, 0
	.set _ZN2at6native18radixSortKVInPlaceILi2ELin1ELi32ELi4EN3c108BFloat16EljEEvNS_4cuda6detail10TensorInfoIT3_T5_EES8_S8_S8_NS6_IT4_S8_EES8_b.has_dyn_sized_stack, 0
	.set _ZN2at6native18radixSortKVInPlaceILi2ELin1ELi32ELi4EN3c108BFloat16EljEEvNS_4cuda6detail10TensorInfoIT3_T5_EES8_S8_S8_NS6_IT4_S8_EES8_b.has_recursion, 0
	.set _ZN2at6native18radixSortKVInPlaceILi2ELin1ELi32ELi4EN3c108BFloat16EljEEvNS_4cuda6detail10TensorInfoIT3_T5_EES8_S8_S8_NS6_IT4_S8_EES8_b.has_indirect_call, 0
	.section	.AMDGPU.csdata,"",@progbits
; Kernel info:
; codeLenInByte = 14108
; TotalNumSgprs: 26
; NumVgprs: 94
; ScratchSize: 0
; MemoryBound: 0
; FloatMode: 240
; IeeeMode: 1
; LDSByteSize: 1056 bytes/workgroup (compile time only)
; SGPRBlocks: 0
; VGPRBlocks: 11
; NumSGPRsForWavesPerEU: 26
; NumVGPRsForWavesPerEU: 94
; Occupancy: 16
; WaveLimiterHint : 1
; COMPUTE_PGM_RSRC2:SCRATCH_EN: 0
; COMPUTE_PGM_RSRC2:USER_SGPR: 2
; COMPUTE_PGM_RSRC2:TRAP_HANDLER: 0
; COMPUTE_PGM_RSRC2:TGID_X_EN: 1
; COMPUTE_PGM_RSRC2:TGID_Y_EN: 1
; COMPUTE_PGM_RSRC2:TGID_Z_EN: 1
; COMPUTE_PGM_RSRC2:TIDIG_COMP_CNT: 2
	.section	.text._ZN2at6native18radixSortKVInPlaceILi2ELin1ELi16ELi2EN3c108BFloat16EljEEvNS_4cuda6detail10TensorInfoIT3_T5_EES8_S8_S8_NS6_IT4_S8_EES8_b,"axG",@progbits,_ZN2at6native18radixSortKVInPlaceILi2ELin1ELi16ELi2EN3c108BFloat16EljEEvNS_4cuda6detail10TensorInfoIT3_T5_EES8_S8_S8_NS6_IT4_S8_EES8_b,comdat
	.protected	_ZN2at6native18radixSortKVInPlaceILi2ELin1ELi16ELi2EN3c108BFloat16EljEEvNS_4cuda6detail10TensorInfoIT3_T5_EES8_S8_S8_NS6_IT4_S8_EES8_b ; -- Begin function _ZN2at6native18radixSortKVInPlaceILi2ELin1ELi16ELi2EN3c108BFloat16EljEEvNS_4cuda6detail10TensorInfoIT3_T5_EES8_S8_S8_NS6_IT4_S8_EES8_b
	.globl	_ZN2at6native18radixSortKVInPlaceILi2ELin1ELi16ELi2EN3c108BFloat16EljEEvNS_4cuda6detail10TensorInfoIT3_T5_EES8_S8_S8_NS6_IT4_S8_EES8_b
	.p2align	8
	.type	_ZN2at6native18radixSortKVInPlaceILi2ELin1ELi16ELi2EN3c108BFloat16EljEEvNS_4cuda6detail10TensorInfoIT3_T5_EES8_S8_S8_NS6_IT4_S8_EES8_b,@function
_ZN2at6native18radixSortKVInPlaceILi2ELin1ELi16ELi2EN3c108BFloat16EljEEvNS_4cuda6detail10TensorInfoIT3_T5_EES8_S8_S8_NS6_IT4_S8_EES8_b: ; @_ZN2at6native18radixSortKVInPlaceILi2ELin1ELi16ELi2EN3c108BFloat16EljEEvNS_4cuda6detail10TensorInfoIT3_T5_EES8_S8_S8_NS6_IT4_S8_EES8_b
; %bb.0:
	s_clause 0x1
	s_load_b64 s[2:3], s[0:1], 0x1c8
	s_load_b96 s[8:10], s[0:1], 0xd8
	s_lshr_b32 s4, ttmp7, 16
	s_wait_kmcnt 0x0
	s_mul_i32 s3, s3, s4
	s_and_b32 s4, ttmp7, 0xffff
	s_delay_alu instid0(SALU_CYCLE_1) | instskip(NEXT) | instid1(SALU_CYCLE_1)
	s_add_co_i32 s3, s3, s4
	s_mul_i32 s2, s3, s2
	s_delay_alu instid0(SALU_CYCLE_1) | instskip(NEXT) | instid1(SALU_CYCLE_1)
	s_add_co_i32 s6, s2, ttmp9
	s_cmp_ge_u32 s6, s8
	s_cbranch_scc1 .LBB249_112
; %bb.1:
	s_clause 0x2
	s_load_b32 s8, s[0:1], 0xc
	s_load_b64 s[14:15], s[0:1], 0x6c
	s_load_b32 s11, s[0:1], 0x1b8
	s_mov_b32 s7, 0
	s_add_nc_u64 s[4:5], s[0:1], 0xe8
	s_mov_b32 s13, s7
	s_wait_kmcnt 0x0
	s_cvt_f32_u32 s2, s8
	s_sub_co_i32 s3, 0, s8
	s_delay_alu instid0(SALU_CYCLE_2) | instskip(NEXT) | instid1(TRANS32_DEP_1)
	v_rcp_iflag_f32_e32 v1, s2
	v_readfirstlane_b32 s2, v1
	s_mul_f32 s2, s2, 0x4f7ffffe
	s_wait_alu 0xfffe
	s_delay_alu instid0(SALU_CYCLE_2) | instskip(SKIP_1) | instid1(SALU_CYCLE_2)
	s_cvt_u32_f32 s2, s2
	s_wait_alu 0xfffe
	s_mul_i32 s3, s3, s2
	s_wait_alu 0xfffe
	s_mul_hi_u32 s3, s2, s3
	s_wait_alu 0xfffe
	s_add_co_i32 s12, s2, s3
	s_cmp_lt_i32 s11, 2
	s_mov_b32 s2, s6
	s_mov_b32 s3, s7
	s_cbranch_scc1 .LBB249_4
; %bb.2:
	s_add_co_i32 s2, s11, -1
	s_mov_b32 s3, 0
	s_add_co_i32 s11, s11, 1
	s_wait_alu 0xfffe
	s_lshl_b64 s[16:17], s[2:3], 2
	s_mov_b32 s2, s6
	s_add_nc_u64 s[16:17], s[4:5], s[16:17]
	s_delay_alu instid0(SALU_CYCLE_1)
	s_add_nc_u64 s[16:17], s[16:17], 8
.LBB249_3:                              ; =>This Inner Loop Header: Depth=1
	s_clause 0x1
	s_load_b32 s18, s[16:17], 0x0
	s_load_b32 s19, s[16:17], 0x64
	s_mov_b32 s22, s2
	s_add_nc_u64 s[16:17], s[16:17], -4
	s_wait_kmcnt 0x0
	s_cvt_f32_u32 s20, s18
	s_sub_co_i32 s21, 0, s18
	s_wait_alu 0xfffe
	s_delay_alu instid0(SALU_CYCLE_1) | instskip(NEXT) | instid1(TRANS32_DEP_1)
	v_rcp_iflag_f32_e32 v1, s20
	v_readfirstlane_b32 s20, v1
	s_mul_f32 s20, s20, 0x4f7ffffe
	s_wait_alu 0xfffe
	s_delay_alu instid0(SALU_CYCLE_2) | instskip(SKIP_1) | instid1(SALU_CYCLE_2)
	s_cvt_u32_f32 s20, s20
	s_wait_alu 0xfffe
	s_mul_i32 s21, s21, s20
	s_wait_alu 0xfffe
	s_mul_hi_u32 s21, s20, s21
	s_wait_alu 0xfffe
	s_add_co_i32 s20, s20, s21
	s_wait_alu 0xfffe
	s_mul_hi_u32 s2, s2, s20
	s_wait_alu 0xfffe
	s_mul_i32 s20, s2, s18
	s_add_co_i32 s21, s2, 1
	s_wait_alu 0xfffe
	s_sub_co_i32 s20, s22, s20
	s_wait_alu 0xfffe
	s_sub_co_i32 s23, s20, s18
	s_cmp_ge_u32 s20, s18
	s_cselect_b32 s2, s21, s2
	s_cselect_b32 s20, s23, s20
	s_wait_alu 0xfffe
	s_add_co_i32 s21, s2, 1
	s_cmp_ge_u32 s20, s18
	s_wait_alu 0xfffe
	s_cselect_b32 s2, s21, s2
	s_add_co_i32 s11, s11, -1
	s_wait_alu 0xfffe
	s_mul_i32 s18, s2, s18
	s_delay_alu instid0(SALU_CYCLE_1) | instskip(NEXT) | instid1(SALU_CYCLE_1)
	s_sub_co_i32 s18, s22, s18
	s_mul_i32 s18, s19, s18
	s_delay_alu instid0(SALU_CYCLE_1)
	s_add_co_i32 s3, s18, s3
	s_cmp_gt_u32 s11, 2
	s_cbranch_scc1 .LBB249_3
.LBB249_4:
	s_mul_u64 s[18:19], s[6:7], s[12:13]
	s_clause 0x1
	s_load_b64 s[16:17], s[0:1], 0x0
	s_load_b64 s[12:13], s[0:1], 0x1c0
	s_mul_i32 s7, s19, s8
	s_add_co_i32 s1, s19, 1
	s_sub_co_i32 s0, s6, s7
	v_mul_lo_u32 v20, s10, v0
	s_sub_co_i32 s7, s0, s8
	s_cmp_ge_u32 s0, s8
	s_cselect_b32 s1, s1, s19
	s_cselect_b32 s0, s7, s0
	s_add_co_i32 s7, s1, 1
	s_cmp_ge_u32 s0, s8
	s_cselect_b32 s0, s7, s1
	s_delay_alu instid0(SALU_CYCLE_1) | instskip(SKIP_2) | instid1(SALU_CYCLE_1)
	s_mul_i32 s1, s0, s8
	s_mul_i32 s0, s0, s14
	s_sub_co_i32 s1, s6, s1
	s_mul_i32 s1, s1, s15
	s_mov_b32 s15, 0
	s_add_co_i32 s14, s0, s1
	s_wait_kmcnt 0x0
	s_bitcmp1_b32 s13, 0
	s_mov_b32 s0, 0xffff
	s_cselect_b32 s6, -1, 0
	s_delay_alu instid0(SALU_CYCLE_1) | instskip(SKIP_4) | instid1(SALU_CYCLE_1)
	s_and_b32 s1, s6, exec_lo
	s_cselect_b32 s8, s0, 0x7fff
	v_cmp_gt_u32_e64 s0, s9, v0
	v_mov_b32_e32 v1, s8
	s_lshl_b64 s[14:15], s[14:15], 1
	s_add_nc_u64 s[14:15], s[16:17], s[14:15]
	s_and_saveexec_b32 s1, s0
	s_cbranch_execz .LBB249_6
; %bb.5:
	v_mov_b32_e32 v21, 0
	s_delay_alu instid0(VALU_DEP_1) | instskip(NEXT) | instid1(VALU_DEP_1)
	v_lshlrev_b64_e32 v[1:2], 1, v[20:21]
	v_add_co_u32 v1, vcc_lo, s14, v1
	s_delay_alu instid0(VALU_DEP_1)
	v_add_co_ci_u32_e64 v2, null, s15, v2, vcc_lo
	global_load_u16 v1, v[1:2], off
.LBB249_6:
	s_or_b32 exec_lo, exec_lo, s1
	s_clause 0x1
	s_load_b32 s7, s[4:5], 0x6c
	s_load_b64 s[4:5], s[4:5], 0x0
	v_or_b32_e32 v3, 16, v0
	v_mov_b32_e32 v2, s8
	s_delay_alu instid0(VALU_DEP_2)
	v_cmp_gt_u32_e64 s1, s9, v3
	s_and_saveexec_b32 s8, s1
	s_cbranch_execz .LBB249_8
; %bb.7:
	v_mul_lo_u32 v4, s10, v3
	v_mov_b32_e32 v5, 0
	s_delay_alu instid0(VALU_DEP_1) | instskip(NEXT) | instid1(VALU_DEP_1)
	v_lshlrev_b64_e32 v[4:5], 1, v[4:5]
	v_add_co_u32 v4, vcc_lo, s14, v4
	s_wait_alu 0xfffd
	s_delay_alu instid0(VALU_DEP_2)
	v_add_co_ci_u32_e64 v5, null, s15, v5, vcc_lo
	global_load_u16 v2, v[4:5], off
.LBB249_8:
	s_wait_alu 0xfffe
	s_or_b32 exec_lo, exec_lo, s8
	v_lshlrev_b32_e32 v22, 1, v0
	v_dual_mov_b32 v18, 0 :: v_dual_lshlrev_b32 v21, 2, v0
	s_wait_kmcnt 0x0
	s_mul_i32 s2, s7, s2
	v_mul_lo_u32 v17, s12, v0
	s_wait_loadcnt 0x0
	ds_store_b16 v22, v1
	ds_store_b16 v22, v2 offset:32
	s_wait_dscnt 0x0
	; wave barrier
	global_inv scope:SCOPE_SE
	ds_load_b32 v27, v21
	s_wait_alu 0xfffe
	s_add_co_i32 s2, s2, s3
	s_mov_b32 s3, 0
	v_mov_b32_e32 v1, 0
	v_dual_mov_b32 v2, 0 :: v_dual_mov_b32 v19, v18
	s_wait_alu 0xfffe
	s_lshl_b64 s[2:3], s[2:3], 3
	s_wait_loadcnt_dscnt 0x0
	s_wait_alu 0xfffe
	s_add_nc_u64 s[8:9], s[4:5], s[2:3]
	; wave barrier
	global_inv scope:SCOPE_SE
	s_and_saveexec_b32 s2, s0
	s_cbranch_execz .LBB249_10
; %bb.9:
	v_lshlrev_b64_e32 v[1:2], 3, v[17:18]
	v_mov_b32_e32 v19, v18
	s_wait_alu 0xfffe
	s_delay_alu instid0(VALU_DEP_2) | instskip(SKIP_1) | instid1(VALU_DEP_3)
	v_add_co_u32 v1, vcc_lo, s8, v1
	s_wait_alu 0xfffd
	v_add_co_ci_u32_e64 v2, null, s9, v2, vcc_lo
	global_load_b64 v[1:2], v[1:2], off
.LBB249_10:
	s_wait_alu 0xfffe
	s_or_b32 exec_lo, exec_lo, s2
	s_xor_b32 s16, s6, -1
	s_and_saveexec_b32 s2, s1
	s_cbranch_execz .LBB249_12
; %bb.11:
	v_mul_lo_u32 v3, s12, v3
	v_mov_b32_e32 v4, 0
	s_delay_alu instid0(VALU_DEP_1) | instskip(NEXT) | instid1(VALU_DEP_1)
	v_lshlrev_b64_e32 v[3:4], 3, v[3:4]
	v_add_co_u32 v3, vcc_lo, s8, v3
	s_wait_alu 0xfffd
	s_delay_alu instid0(VALU_DEP_2)
	v_add_co_ci_u32_e64 v4, null, s9, v4, vcc_lo
	global_load_b64 v[18:19], v[3:4], off
.LBB249_12:
	s_wait_alu 0xfffe
	s_or_b32 exec_lo, exec_lo, s2
	v_mbcnt_lo_u32_b32 v5, -1, 0
	v_lshlrev_b32_e32 v23, 3, v0
	s_getpc_b64 s[2:3]
	s_wait_alu 0xfffe
	s_sext_i32_i16 s3, s3
	s_add_co_u32 s2, s2, _ZN7rocprim17ROCPRIM_400000_NS16block_radix_sortI12hip_bfloat16Lj16ELj2ElLj1ELj1ELj0ELNS0_26block_radix_rank_algorithmE1ELNS0_18block_padding_hintE2ELNS0_4arch9wavefront6targetE0EE19radix_bits_per_passE@rel32@lo+12
	s_wait_alu 0xfffe
	s_add_co_ci_u32 s3, s3, _ZN7rocprim17ROCPRIM_400000_NS16block_radix_sortI12hip_bfloat16Lj16ELj2ElLj1ELj1ELj0ELNS0_26block_radix_rank_algorithmE1ELNS0_18block_padding_hintE2ELNS0_4arch9wavefront6targetE0EE19radix_bits_per_passE@rel32@hi+24
	v_lshlrev_b32_e32 v25, 5, v0
	s_load_b32 s13, s[2:3], 0x0
	v_sub_co_u32 v7, s11, v5, 1
	v_and_b32_e32 v8, 16, v5
	s_wait_loadcnt 0x0
	ds_store_2addr_b64 v23, v[1:2], v[18:19] offset1:16
	s_wait_dscnt 0x0
	; wave barrier
	global_inv scope:SCOPE_SE
	v_and_b32_e32 v6, 15, v5
	v_cmp_lt_i32_e32 vcc_lo, v7, v8
	v_lshlrev_b32_e32 v24, 3, v22
	v_mad_i32_i24 v19, 0xffffffe4, v0, v25
	v_lshrrev_b32_e32 v28, 16, v27
	v_cmp_gt_u32_e64 s7, 0x80, v0
	s_wait_alu 0xfffd
	v_cndmask_b32_e32 v5, v7, v5, vcc_lo
	ds_load_2addr_b64 v[1:4], v24 offset1:1
	v_cmp_eq_u32_e64 s5, 0, v6
	v_cmp_lt_u32_e64 s3, 1, v6
	v_cmp_lt_u32_e64 s6, 3, v6
	;; [unrolled: 1-line block ×3, first 2 shown]
	v_cmp_eq_u32_e64 s2, 15, v0
	v_lshlrev_b32_e32 v26, 2, v5
	v_mad_u32_u24 v18, v0, 12, v19
	s_and_b32 vcc_lo, exec_lo, s16
	s_mov_b32 s16, -1
	; wave barrier
	s_wait_loadcnt_dscnt 0x0
	global_inv scope:SCOPE_SE
	s_wait_alu 0xfffe
	s_cbranch_vccz .LBB249_58
; %bb.13:
	s_and_saveexec_b32 s16, s7
	s_cbranch_execz .LBB249_22
; %bb.14:
	v_mov_b32_e32 v5, 0
	v_cmp_gt_u32_e32 vcc_lo, 0x70, v0
	ds_store_b32 v21, v5
	s_and_b32 exec_lo, exec_lo, vcc_lo
	s_cbranch_execz .LBB249_22
; %bb.15:
	v_cmp_gt_u32_e32 vcc_lo, 0x60, v0
	ds_store_b32 v21, v5 offset:64
	s_and_b32 exec_lo, exec_lo, vcc_lo
	s_cbranch_execz .LBB249_22
; %bb.16:
	v_mov_b32_e32 v5, 0
	v_cmp_gt_u32_e32 vcc_lo, 0x50, v0
	ds_store_b32 v21, v5 offset:128
	s_and_b32 exec_lo, exec_lo, vcc_lo
	s_cbranch_execz .LBB249_22
; %bb.17:
	v_cmp_gt_u32_e32 vcc_lo, 64, v0
	ds_store_b32 v21, v5 offset:192
	s_and_b32 exec_lo, exec_lo, vcc_lo
	s_cbranch_execz .LBB249_22
; %bb.18:
	v_mov_b32_e32 v5, 0
	v_cmp_gt_u32_e32 vcc_lo, 48, v0
	ds_store_b32 v21, v5 offset:256
	;; [unrolled: 11-line block ×3, first 2 shown]
	s_and_b32 exec_lo, exec_lo, vcc_lo
; %bb.21:
	ds_store_b32 v21, v5 offset:448
.LBB249_22:
	s_or_b32 exec_lo, exec_lo, s16
	v_cmp_lt_i16_e32 vcc_lo, -1, v27
	s_wait_kmcnt 0x0
	s_min_u32 s16, s13, 16
	s_delay_alu instid0(SALU_CYCLE_1) | instskip(NEXT) | instid1(SALU_CYCLE_1)
	s_lshl_b32 s16, -1, s16
	s_not_b32 s16, s16
	s_wait_alu 0xfffd
	v_cndmask_b32_e64 v5, -1, 0xffff8000, vcc_lo
	s_delay_alu instid0(VALU_DEP_1) | instskip(NEXT) | instid1(VALU_DEP_1)
	v_xor_b32_e32 v13, v5, v27
	v_cmp_ne_u16_e32 vcc_lo, 0x7fff, v13
	s_wait_alu 0xfffd
	v_cndmask_b32_e32 v5, 0xffff8000, v13, vcc_lo
	v_cmp_lt_i16_e32 vcc_lo, -1, v28
	s_delay_alu instid0(VALU_DEP_2) | instskip(SKIP_2) | instid1(VALU_DEP_2)
	v_and_b32_e32 v5, 0xffff, v5
	s_wait_alu 0xfffd
	v_cndmask_b32_e64 v7, -1, 0xffff8000, vcc_lo
	v_and_b32_e32 v5, s16, v5
	s_delay_alu instid0(VALU_DEP_2) | instskip(NEXT) | instid1(VALU_DEP_1)
	v_xor_b32_e32 v14, v7, v28
	v_cmp_ne_u16_e32 vcc_lo, 0x7fff, v14
	s_delay_alu instid0(VALU_DEP_3) | instskip(SKIP_1) | instid1(VALU_DEP_2)
	v_lshlrev_b32_e32 v6, 4, v5
	v_lshrrev_b32_e32 v5, 2, v5
	v_and_or_b32 v6, 0x70, v6, v0
	s_delay_alu instid0(VALU_DEP_2) | instskip(NEXT) | instid1(VALU_DEP_1)
	v_and_b32_e32 v5, 0x3ffe, v5
	v_lshl_add_u32 v15, v6, 2, v5
	s_wait_alu 0xfffd
	v_cndmask_b32_e32 v5, 0xffff8000, v14, vcc_lo
	ds_load_u16 v16, v15
	v_and_b32_e32 v5, 0xffff, v5
	s_delay_alu instid0(VALU_DEP_1) | instskip(NEXT) | instid1(VALU_DEP_1)
	v_and_b32_e32 v5, s16, v5
	v_lshlrev_b32_e32 v6, 4, v5
	v_lshrrev_b32_e32 v5, 2, v5
	s_delay_alu instid0(VALU_DEP_2) | instskip(NEXT) | instid1(VALU_DEP_2)
	v_and_or_b32 v6, 0x70, v6, v0
	v_and_b32_e32 v5, 0x3ffe, v5
	s_wait_dscnt 0x0
	v_add_nc_u16 v7, v16, 1
	s_delay_alu instid0(VALU_DEP_2)
	v_lshl_add_u32 v29, v6, 2, v5
	ds_store_b16 v15, v7
	ds_load_u16 v31, v29
	s_wait_dscnt 0x0
	v_add_nc_u16 v5, v31, 1
	ds_store_b16 v29, v5
	; wave barrier
	s_wait_loadcnt_dscnt 0x0
	global_inv scope:SCOPE_SE
	ds_load_b128 v[9:12], v25
	ds_load_b128 v[5:8], v25 offset:16
	s_wait_dscnt 0x1
	v_add_nc_u32_e32 v30, v10, v9
	s_delay_alu instid0(VALU_DEP_1) | instskip(SKIP_1) | instid1(VALU_DEP_1)
	v_add3_u32 v30, v30, v11, v12
	s_wait_dscnt 0x0
	v_add3_u32 v30, v30, v5, v6
	s_delay_alu instid0(VALU_DEP_1) | instskip(NEXT) | instid1(VALU_DEP_1)
	v_add3_u32 v8, v30, v7, v8
	v_mov_b32_dpp v30, v8 row_shr:1 row_mask:0xf bank_mask:0xf
	s_delay_alu instid0(VALU_DEP_1) | instskip(NEXT) | instid1(VALU_DEP_1)
	v_cndmask_b32_e64 v30, v30, 0, s5
	v_add_nc_u32_e32 v8, v30, v8
	s_delay_alu instid0(VALU_DEP_1) | instskip(NEXT) | instid1(VALU_DEP_1)
	v_mov_b32_dpp v30, v8 row_shr:2 row_mask:0xf bank_mask:0xf
	v_cndmask_b32_e64 v30, 0, v30, s3
	s_delay_alu instid0(VALU_DEP_1) | instskip(NEXT) | instid1(VALU_DEP_1)
	v_add_nc_u32_e32 v8, v8, v30
	v_mov_b32_dpp v30, v8 row_shr:4 row_mask:0xf bank_mask:0xf
	s_delay_alu instid0(VALU_DEP_1) | instskip(NEXT) | instid1(VALU_DEP_1)
	v_cndmask_b32_e64 v30, 0, v30, s6
	v_add_nc_u32_e32 v8, v8, v30
	s_delay_alu instid0(VALU_DEP_1) | instskip(NEXT) | instid1(VALU_DEP_1)
	v_mov_b32_dpp v30, v8 row_shr:8 row_mask:0xf bank_mask:0xf
	v_cndmask_b32_e64 v30, 0, v30, s4
	s_delay_alu instid0(VALU_DEP_1)
	v_add_nc_u32_e32 v8, v8, v30
	s_and_saveexec_b32 s16, s2
; %bb.23:
	v_mov_b32_e32 v30, 0
	ds_store_b32 v30, v8 offset:512
; %bb.24:
	s_wait_alu 0xfffe
	s_or_b32 exec_lo, exec_lo, s16
	ds_bpermute_b32 v8, v26, v8
	v_mov_b32_e32 v30, 0
	; wave barrier
	s_wait_loadcnt_dscnt 0x0
	global_inv scope:SCOPE_SE
	ds_load_b32 v32, v30 offset:512
	v_cndmask_b32_e64 v8, v8, 0, s11
	s_wait_dscnt 0x0
	s_delay_alu instid0(VALU_DEP_1) | instskip(NEXT) | instid1(VALU_DEP_1)
	v_lshl_add_u32 v8, v32, 16, v8
	v_add_nc_u32_e32 v9, v8, v9
	s_delay_alu instid0(VALU_DEP_1) | instskip(NEXT) | instid1(VALU_DEP_1)
	v_add_nc_u32_e32 v10, v9, v10
	v_add_nc_u32_e32 v11, v10, v11
	s_delay_alu instid0(VALU_DEP_1) | instskip(NEXT) | instid1(VALU_DEP_1)
	v_add_nc_u32_e32 v32, v11, v12
	;; [unrolled: 3-line block ×3, first 2 shown]
	v_add_nc_u32_e32 v35, v34, v7
	v_and_b32_e32 v7, 0xffff, v16
	ds_store_b128 v25, v[8:11]
	ds_store_b128 v25, v[32:35] offset:16
	; wave barrier
	s_wait_loadcnt_dscnt 0x0
	global_inv scope:SCOPE_SE
	ds_load_u16 v5, v15
	ds_load_u16 v6, v29
	v_and_b32_e32 v8, 0xffff, v31
	; wave barrier
	s_wait_loadcnt_dscnt 0x0
	global_inv scope:SCOPE_SE
	v_add_nc_u32_e32 v5, v5, v7
	v_add_nc_u32_e32 v6, v6, v8
	s_delay_alu instid0(VALU_DEP_2) | instskip(NEXT) | instid1(VALU_DEP_2)
	v_lshlrev_b32_e32 v7, 1, v5
	v_lshlrev_b32_e32 v8, 1, v6
	ds_store_b16 v7, v13
	ds_store_b16 v8, v14
	v_mad_u32_u24 v5, v5, 6, v7
	v_mad_u32_u24 v6, v6, 6, v8
	; wave barrier
	s_wait_loadcnt_dscnt 0x0
	global_inv scope:SCOPE_SE
	ds_load_b32 v29, v19
	; wave barrier
	s_wait_loadcnt_dscnt 0x0
	global_inv scope:SCOPE_SE
	ds_store_b64 v5, v[1:2]
	ds_store_b64 v6, v[3:4]
	; wave barrier
	s_wait_loadcnt_dscnt 0x0
	global_inv scope:SCOPE_SE
	ds_load_b128 v[5:8], v18
	; wave barrier
	s_wait_loadcnt_dscnt 0x0
	global_inv scope:SCOPE_SE
	s_and_saveexec_b32 s16, s7
	s_cbranch_execz .LBB249_33
; %bb.25:
	v_cmp_gt_u32_e32 vcc_lo, 0x70, v0
	ds_store_b32 v21, v30
	s_and_b32 exec_lo, exec_lo, vcc_lo
	s_cbranch_execz .LBB249_33
; %bb.26:
	v_mov_b32_e32 v9, 0
	v_cmp_gt_u32_e32 vcc_lo, 0x60, v0
	ds_store_b32 v21, v9 offset:64
	s_and_b32 exec_lo, exec_lo, vcc_lo
	s_cbranch_execz .LBB249_33
; %bb.27:
	v_cmp_gt_u32_e32 vcc_lo, 0x50, v0
	ds_store_b32 v21, v9 offset:128
	s_and_b32 exec_lo, exec_lo, vcc_lo
	s_cbranch_execz .LBB249_33
; %bb.28:
	v_mov_b32_e32 v9, 0
	v_cmp_gt_u32_e32 vcc_lo, 64, v0
	ds_store_b32 v21, v9 offset:192
	s_and_b32 exec_lo, exec_lo, vcc_lo
	s_cbranch_execz .LBB249_33
; %bb.29:
	v_cmp_gt_u32_e32 vcc_lo, 48, v0
	ds_store_b32 v21, v9 offset:256
	;; [unrolled: 11-line block ×3, first 2 shown]
	s_and_b32 exec_lo, exec_lo, vcc_lo
; %bb.32:
	v_mov_b32_e32 v9, 0
	ds_store_b32 v21, v9 offset:448
.LBB249_33:
	s_wait_alu 0xfffe
	s_or_b32 exec_lo, exec_lo, s16
	v_lshrrev_b16 v9, 4, v29
	v_cmp_ne_u16_e32 vcc_lo, 0x7fff, v29
	s_min_u32 s16, s13, 12
	v_lshrrev_b32_e32 v30, 16, v29
	s_wait_alu 0xfffe
	s_lshl_b32 s16, -1, s16
	v_lshrrev_b32_e32 v11, 20, v29
	s_wait_alu 0xfffd
	v_cndmask_b32_e32 v9, 0x800, v9, vcc_lo
	s_wait_alu 0xfffe
	s_not_b32 s16, s16
	v_cmp_ne_u16_e32 vcc_lo, 0x7fff, v30
	s_delay_alu instid0(VALU_DEP_2) | instskip(SKIP_1) | instid1(VALU_DEP_1)
	v_and_b32_e32 v9, 0xffff, v9
	s_wait_alu 0xfffe
	v_and_b32_e32 v9, s16, v9
	s_delay_alu instid0(VALU_DEP_1) | instskip(SKIP_1) | instid1(VALU_DEP_2)
	v_lshlrev_b32_e32 v10, 4, v9
	v_lshrrev_b32_e32 v9, 2, v9
	v_and_or_b32 v10, 0x70, v10, v0
	s_delay_alu instid0(VALU_DEP_2) | instskip(NEXT) | instid1(VALU_DEP_1)
	v_and_b32_e32 v9, 0x3fe, v9
	v_lshl_add_u32 v31, v10, 2, v9
	s_wait_alu 0xfffd
	v_cndmask_b32_e32 v9, 0x800, v11, vcc_lo
	ds_load_u16 v32, v31
	v_and_b32_e32 v9, 0xffff, v9
	s_delay_alu instid0(VALU_DEP_1) | instskip(NEXT) | instid1(VALU_DEP_1)
	v_and_b32_e32 v9, s16, v9
	v_lshlrev_b32_e32 v10, 4, v9
	v_lshrrev_b32_e32 v9, 2, v9
	s_delay_alu instid0(VALU_DEP_2) | instskip(NEXT) | instid1(VALU_DEP_2)
	v_and_or_b32 v10, 0x70, v10, v0
	v_and_b32_e32 v9, 0x3fe, v9
	s_wait_dscnt 0x0
	v_add_nc_u16 v11, v32, 1
	s_delay_alu instid0(VALU_DEP_2)
	v_lshl_add_u32 v33, v10, 2, v9
	ds_store_b16 v31, v11
	ds_load_u16 v34, v33
	s_wait_dscnt 0x0
	v_add_nc_u16 v9, v34, 1
	ds_store_b16 v33, v9
	; wave barrier
	s_wait_loadcnt_dscnt 0x0
	global_inv scope:SCOPE_SE
	ds_load_b128 v[13:16], v25
	ds_load_b128 v[9:12], v25 offset:16
	s_wait_dscnt 0x1
	v_add_nc_u32_e32 v35, v14, v13
	s_delay_alu instid0(VALU_DEP_1) | instskip(SKIP_1) | instid1(VALU_DEP_1)
	v_add3_u32 v35, v35, v15, v16
	s_wait_dscnt 0x0
	v_add3_u32 v35, v35, v9, v10
	s_delay_alu instid0(VALU_DEP_1) | instskip(NEXT) | instid1(VALU_DEP_1)
	v_add3_u32 v12, v35, v11, v12
	v_mov_b32_dpp v35, v12 row_shr:1 row_mask:0xf bank_mask:0xf
	s_delay_alu instid0(VALU_DEP_1) | instskip(NEXT) | instid1(VALU_DEP_1)
	v_cndmask_b32_e64 v35, v35, 0, s5
	v_add_nc_u32_e32 v12, v35, v12
	s_delay_alu instid0(VALU_DEP_1) | instskip(NEXT) | instid1(VALU_DEP_1)
	v_mov_b32_dpp v35, v12 row_shr:2 row_mask:0xf bank_mask:0xf
	v_cndmask_b32_e64 v35, 0, v35, s3
	s_delay_alu instid0(VALU_DEP_1) | instskip(NEXT) | instid1(VALU_DEP_1)
	v_add_nc_u32_e32 v12, v12, v35
	v_mov_b32_dpp v35, v12 row_shr:4 row_mask:0xf bank_mask:0xf
	s_delay_alu instid0(VALU_DEP_1) | instskip(NEXT) | instid1(VALU_DEP_1)
	v_cndmask_b32_e64 v35, 0, v35, s6
	v_add_nc_u32_e32 v12, v12, v35
	s_delay_alu instid0(VALU_DEP_1) | instskip(NEXT) | instid1(VALU_DEP_1)
	v_mov_b32_dpp v35, v12 row_shr:8 row_mask:0xf bank_mask:0xf
	v_cndmask_b32_e64 v35, 0, v35, s4
	s_delay_alu instid0(VALU_DEP_1)
	v_add_nc_u32_e32 v12, v12, v35
	s_and_saveexec_b32 s16, s2
; %bb.34:
	v_mov_b32_e32 v35, 0
	ds_store_b32 v35, v12 offset:512
; %bb.35:
	s_wait_alu 0xfffe
	s_or_b32 exec_lo, exec_lo, s16
	ds_bpermute_b32 v35, v26, v12
	v_mov_b32_e32 v12, 0
	; wave barrier
	s_wait_loadcnt_dscnt 0x0
	global_inv scope:SCOPE_SE
	ds_load_b32 v36, v12 offset:512
	v_cndmask_b32_e64 v35, v35, 0, s11
	s_wait_dscnt 0x0
	s_delay_alu instid0(VALU_DEP_1) | instskip(NEXT) | instid1(VALU_DEP_1)
	v_lshl_add_u32 v35, v36, 16, v35
	v_add_nc_u32_e32 v36, v35, v13
	s_delay_alu instid0(VALU_DEP_1) | instskip(NEXT) | instid1(VALU_DEP_1)
	v_add_nc_u32_e32 v37, v36, v14
	v_add_nc_u32_e32 v38, v37, v15
	s_delay_alu instid0(VALU_DEP_1) | instskip(NEXT) | instid1(VALU_DEP_1)
	v_add_nc_u32_e32 v13, v38, v16
	;; [unrolled: 3-line block ×3, first 2 shown]
	v_add_nc_u32_e32 v16, v15, v11
	v_and_b32_e32 v11, 0xffff, v32
	ds_store_b128 v25, v[35:38]
	ds_store_b128 v25, v[13:16] offset:16
	; wave barrier
	s_wait_loadcnt_dscnt 0x0
	global_inv scope:SCOPE_SE
	ds_load_u16 v9, v31
	ds_load_u16 v10, v33
	v_and_b32_e32 v13, 0xffff, v34
	; wave barrier
	s_wait_loadcnt_dscnt 0x0
	global_inv scope:SCOPE_SE
	v_add_nc_u32_e32 v9, v9, v11
	v_add_nc_u32_e32 v10, v10, v13
	s_delay_alu instid0(VALU_DEP_2) | instskip(NEXT) | instid1(VALU_DEP_2)
	v_lshlrev_b32_e32 v11, 1, v9
	v_lshlrev_b32_e32 v13, 1, v10
	ds_store_b16 v11, v29
	ds_store_b16 v13, v30
	v_mad_u32_u24 v9, v9, 6, v11
	v_mad_u32_u24 v10, v10, 6, v13
	; wave barrier
	s_wait_loadcnt_dscnt 0x0
	global_inv scope:SCOPE_SE
	ds_load_b32 v29, v19
	; wave barrier
	s_wait_loadcnt_dscnt 0x0
	global_inv scope:SCOPE_SE
	ds_store_b64 v9, v[5:6]
	ds_store_b64 v10, v[7:8]
	; wave barrier
	s_wait_loadcnt_dscnt 0x0
	global_inv scope:SCOPE_SE
	ds_load_b128 v[5:8], v18
	; wave barrier
	s_wait_loadcnt_dscnt 0x0
	global_inv scope:SCOPE_SE
	s_and_saveexec_b32 s16, s7
	s_cbranch_execz .LBB249_44
; %bb.36:
	v_cmp_gt_u32_e32 vcc_lo, 0x70, v0
	ds_store_b32 v21, v12
	s_and_b32 exec_lo, exec_lo, vcc_lo
	s_cbranch_execz .LBB249_44
; %bb.37:
	v_mov_b32_e32 v9, 0
	v_cmp_gt_u32_e32 vcc_lo, 0x60, v0
	ds_store_b32 v21, v9 offset:64
	s_and_b32 exec_lo, exec_lo, vcc_lo
	s_cbranch_execz .LBB249_44
; %bb.38:
	v_cmp_gt_u32_e32 vcc_lo, 0x50, v0
	ds_store_b32 v21, v9 offset:128
	s_and_b32 exec_lo, exec_lo, vcc_lo
	s_cbranch_execz .LBB249_44
; %bb.39:
	v_mov_b32_e32 v9, 0
	v_cmp_gt_u32_e32 vcc_lo, 64, v0
	ds_store_b32 v21, v9 offset:192
	s_and_b32 exec_lo, exec_lo, vcc_lo
	s_cbranch_execz .LBB249_44
; %bb.40:
	v_cmp_gt_u32_e32 vcc_lo, 48, v0
	ds_store_b32 v21, v9 offset:256
	;; [unrolled: 11-line block ×3, first 2 shown]
	s_and_b32 exec_lo, exec_lo, vcc_lo
; %bb.43:
	v_mov_b32_e32 v9, 0
	ds_store_b32 v21, v9 offset:448
.LBB249_44:
	s_wait_alu 0xfffe
	s_or_b32 exec_lo, exec_lo, s16
	v_lshrrev_b16 v9, 8, v29
	v_cmp_ne_u16_e32 vcc_lo, 0x7fff, v29
	s_min_u32 s16, s13, 8
	v_lshrrev_b32_e32 v30, 16, v29
	s_wait_alu 0xfffe
	s_lshl_b32 s16, -1, s16
	v_lshrrev_b32_e32 v11, 24, v29
	s_wait_alu 0xfffd
	v_cndmask_b32_e32 v9, 0x80, v9, vcc_lo
	s_wait_alu 0xfffe
	s_not_b32 s16, s16
	v_cmp_ne_u16_e32 vcc_lo, 0x7fff, v30
	s_delay_alu instid0(VALU_DEP_2) | instskip(SKIP_1) | instid1(VALU_DEP_1)
	v_and_b32_e32 v9, 0xffff, v9
	s_wait_alu 0xfffe
	v_and_b32_e32 v9, s16, v9
	s_delay_alu instid0(VALU_DEP_1) | instskip(SKIP_1) | instid1(VALU_DEP_2)
	v_lshlrev_b32_e32 v10, 4, v9
	v_lshrrev_b32_e32 v9, 2, v9
	v_and_or_b32 v10, 0x70, v10, v0
	s_delay_alu instid0(VALU_DEP_2) | instskip(NEXT) | instid1(VALU_DEP_1)
	v_and_b32_e32 v9, 62, v9
	v_lshl_add_u32 v31, v10, 2, v9
	s_wait_alu 0xfffd
	v_cndmask_b32_e32 v9, 0x80, v11, vcc_lo
	ds_load_u16 v32, v31
	v_and_b32_e32 v9, 0xffff, v9
	s_delay_alu instid0(VALU_DEP_1) | instskip(NEXT) | instid1(VALU_DEP_1)
	v_and_b32_e32 v9, s16, v9
	v_lshlrev_b32_e32 v10, 4, v9
	v_lshrrev_b32_e32 v9, 2, v9
	s_delay_alu instid0(VALU_DEP_2) | instskip(NEXT) | instid1(VALU_DEP_2)
	v_and_or_b32 v10, 0x70, v10, v0
	v_and_b32_e32 v9, 62, v9
	s_wait_dscnt 0x0
	v_add_nc_u16 v11, v32, 1
	s_delay_alu instid0(VALU_DEP_2)
	v_lshl_add_u32 v33, v10, 2, v9
	ds_store_b16 v31, v11
	ds_load_u16 v34, v33
	s_wait_dscnt 0x0
	v_add_nc_u16 v9, v34, 1
	ds_store_b16 v33, v9
	; wave barrier
	s_wait_loadcnt_dscnt 0x0
	global_inv scope:SCOPE_SE
	ds_load_b128 v[13:16], v25
	ds_load_b128 v[9:12], v25 offset:16
	s_wait_dscnt 0x1
	v_add_nc_u32_e32 v35, v14, v13
	s_delay_alu instid0(VALU_DEP_1) | instskip(SKIP_1) | instid1(VALU_DEP_1)
	v_add3_u32 v35, v35, v15, v16
	s_wait_dscnt 0x0
	v_add3_u32 v35, v35, v9, v10
	s_delay_alu instid0(VALU_DEP_1) | instskip(NEXT) | instid1(VALU_DEP_1)
	v_add3_u32 v12, v35, v11, v12
	v_mov_b32_dpp v35, v12 row_shr:1 row_mask:0xf bank_mask:0xf
	s_delay_alu instid0(VALU_DEP_1) | instskip(NEXT) | instid1(VALU_DEP_1)
	v_cndmask_b32_e64 v35, v35, 0, s5
	v_add_nc_u32_e32 v12, v35, v12
	s_delay_alu instid0(VALU_DEP_1) | instskip(NEXT) | instid1(VALU_DEP_1)
	v_mov_b32_dpp v35, v12 row_shr:2 row_mask:0xf bank_mask:0xf
	v_cndmask_b32_e64 v35, 0, v35, s3
	s_delay_alu instid0(VALU_DEP_1) | instskip(NEXT) | instid1(VALU_DEP_1)
	v_add_nc_u32_e32 v12, v12, v35
	v_mov_b32_dpp v35, v12 row_shr:4 row_mask:0xf bank_mask:0xf
	s_delay_alu instid0(VALU_DEP_1) | instskip(NEXT) | instid1(VALU_DEP_1)
	v_cndmask_b32_e64 v35, 0, v35, s6
	v_add_nc_u32_e32 v12, v12, v35
	s_delay_alu instid0(VALU_DEP_1) | instskip(NEXT) | instid1(VALU_DEP_1)
	v_mov_b32_dpp v35, v12 row_shr:8 row_mask:0xf bank_mask:0xf
	v_cndmask_b32_e64 v35, 0, v35, s4
	s_delay_alu instid0(VALU_DEP_1)
	v_add_nc_u32_e32 v12, v12, v35
	s_and_saveexec_b32 s16, s2
; %bb.45:
	v_mov_b32_e32 v35, 0
	ds_store_b32 v35, v12 offset:512
; %bb.46:
	s_wait_alu 0xfffe
	s_or_b32 exec_lo, exec_lo, s16
	ds_bpermute_b32 v35, v26, v12
	v_mov_b32_e32 v12, 0
	; wave barrier
	s_wait_loadcnt_dscnt 0x0
	global_inv scope:SCOPE_SE
	ds_load_b32 v36, v12 offset:512
	v_cndmask_b32_e64 v35, v35, 0, s11
	s_wait_dscnt 0x0
	s_delay_alu instid0(VALU_DEP_1) | instskip(NEXT) | instid1(VALU_DEP_1)
	v_lshl_add_u32 v35, v36, 16, v35
	v_add_nc_u32_e32 v36, v35, v13
	s_delay_alu instid0(VALU_DEP_1) | instskip(NEXT) | instid1(VALU_DEP_1)
	v_add_nc_u32_e32 v37, v36, v14
	v_add_nc_u32_e32 v38, v37, v15
	s_delay_alu instid0(VALU_DEP_1) | instskip(NEXT) | instid1(VALU_DEP_1)
	v_add_nc_u32_e32 v13, v38, v16
	;; [unrolled: 3-line block ×3, first 2 shown]
	v_add_nc_u32_e32 v16, v15, v11
	v_and_b32_e32 v11, 0xffff, v32
	ds_store_b128 v25, v[35:38]
	ds_store_b128 v25, v[13:16] offset:16
	; wave barrier
	s_wait_loadcnt_dscnt 0x0
	global_inv scope:SCOPE_SE
	ds_load_u16 v9, v31
	ds_load_u16 v10, v33
	v_and_b32_e32 v13, 0xffff, v34
	; wave barrier
	s_wait_loadcnt_dscnt 0x0
	global_inv scope:SCOPE_SE
	v_add_nc_u32_e32 v9, v9, v11
	v_add_nc_u32_e32 v10, v10, v13
	s_delay_alu instid0(VALU_DEP_2) | instskip(NEXT) | instid1(VALU_DEP_2)
	v_lshlrev_b32_e32 v11, 1, v9
	v_lshlrev_b32_e32 v13, 1, v10
	ds_store_b16 v11, v29
	ds_store_b16 v13, v30
	v_mad_u32_u24 v9, v9, 6, v11
	v_mad_u32_u24 v10, v10, 6, v13
	; wave barrier
	s_wait_loadcnt_dscnt 0x0
	global_inv scope:SCOPE_SE
	ds_load_b32 v29, v19
	; wave barrier
	s_wait_loadcnt_dscnt 0x0
	global_inv scope:SCOPE_SE
	ds_store_b64 v9, v[5:6]
	ds_store_b64 v10, v[7:8]
	; wave barrier
	s_wait_loadcnt_dscnt 0x0
	global_inv scope:SCOPE_SE
	ds_load_b128 v[5:8], v18
	; wave barrier
	s_wait_loadcnt_dscnt 0x0
	global_inv scope:SCOPE_SE
	s_and_saveexec_b32 s16, s7
	s_cbranch_execz .LBB249_55
; %bb.47:
	v_cmp_gt_u32_e32 vcc_lo, 0x70, v0
	ds_store_b32 v21, v12
	s_and_b32 exec_lo, exec_lo, vcc_lo
	s_cbranch_execz .LBB249_55
; %bb.48:
	v_mov_b32_e32 v9, 0
	v_cmp_gt_u32_e32 vcc_lo, 0x60, v0
	ds_store_b32 v21, v9 offset:64
	s_and_b32 exec_lo, exec_lo, vcc_lo
	s_cbranch_execz .LBB249_55
; %bb.49:
	v_cmp_gt_u32_e32 vcc_lo, 0x50, v0
	ds_store_b32 v21, v9 offset:128
	s_and_b32 exec_lo, exec_lo, vcc_lo
	s_cbranch_execz .LBB249_55
; %bb.50:
	v_mov_b32_e32 v9, 0
	v_cmp_gt_u32_e32 vcc_lo, 64, v0
	ds_store_b32 v21, v9 offset:192
	s_and_b32 exec_lo, exec_lo, vcc_lo
	s_cbranch_execz .LBB249_55
; %bb.51:
	v_cmp_gt_u32_e32 vcc_lo, 48, v0
	ds_store_b32 v21, v9 offset:256
	;; [unrolled: 11-line block ×3, first 2 shown]
	s_and_b32 exec_lo, exec_lo, vcc_lo
; %bb.54:
	v_mov_b32_e32 v9, 0
	ds_store_b32 v21, v9 offset:448
.LBB249_55:
	s_wait_alu 0xfffe
	s_or_b32 exec_lo, exec_lo, s16
	v_lshrrev_b16 v9, 12, v29
	v_cmp_ne_u16_e32 vcc_lo, 0x7fff, v29
	s_min_u32 s16, s13, 4
	v_lshrrev_b32_e32 v30, 16, v29
	s_wait_alu 0xfffe
	s_lshl_b32 s16, -1, s16
	v_lshrrev_b32_e32 v11, 28, v29
	s_wait_alu 0xfffd
	v_cndmask_b32_e32 v9, 8, v9, vcc_lo
	s_wait_alu 0xfffe
	s_not_b32 s16, s16
	v_cmp_ne_u16_e32 vcc_lo, 0x7fff, v30
	s_delay_alu instid0(VALU_DEP_2) | instskip(SKIP_1) | instid1(VALU_DEP_1)
	v_and_b32_e32 v9, 0xffff, v9
	s_wait_alu 0xfffe
	v_and_b32_e32 v9, s16, v9
	s_delay_alu instid0(VALU_DEP_1) | instskip(SKIP_1) | instid1(VALU_DEP_2)
	v_lshlrev_b32_e32 v10, 4, v9
	v_lshrrev_b32_e32 v9, 2, v9
	v_and_or_b32 v10, 0x70, v10, v0
	s_delay_alu instid0(VALU_DEP_2) | instskip(NEXT) | instid1(VALU_DEP_1)
	v_and_b32_e32 v9, 2, v9
	v_lshl_or_b32 v31, v10, 2, v9
	s_wait_alu 0xfffd
	v_cndmask_b32_e32 v9, 8, v11, vcc_lo
	ds_load_u16 v32, v31
	v_and_b32_e32 v9, 0xffff, v9
	s_delay_alu instid0(VALU_DEP_1) | instskip(SKIP_1) | instid1(VALU_DEP_1)
	v_and_b32_e32 v9, s16, v9
	s_mov_b32 s16, 0
	v_lshlrev_b32_e32 v10, 4, v9
	v_lshrrev_b32_e32 v9, 2, v9
	s_delay_alu instid0(VALU_DEP_2) | instskip(NEXT) | instid1(VALU_DEP_2)
	v_and_or_b32 v10, 0x70, v10, v0
	v_and_b32_e32 v9, 2, v9
	s_wait_dscnt 0x0
	v_add_nc_u16 v11, v32, 1
	s_delay_alu instid0(VALU_DEP_2)
	v_lshl_or_b32 v33, v10, 2, v9
	ds_store_b16 v31, v11
	ds_load_u16 v34, v33
	s_wait_dscnt 0x0
	v_add_nc_u16 v9, v34, 1
	ds_store_b16 v33, v9
	; wave barrier
	s_wait_loadcnt_dscnt 0x0
	global_inv scope:SCOPE_SE
	ds_load_b128 v[13:16], v25
	ds_load_b128 v[9:12], v25 offset:16
	s_wait_dscnt 0x1
	v_add_nc_u32_e32 v35, v14, v13
	s_delay_alu instid0(VALU_DEP_1) | instskip(SKIP_1) | instid1(VALU_DEP_1)
	v_add3_u32 v35, v35, v15, v16
	s_wait_dscnt 0x0
	v_add3_u32 v35, v35, v9, v10
	s_delay_alu instid0(VALU_DEP_1) | instskip(NEXT) | instid1(VALU_DEP_1)
	v_add3_u32 v12, v35, v11, v12
	v_mov_b32_dpp v35, v12 row_shr:1 row_mask:0xf bank_mask:0xf
	s_delay_alu instid0(VALU_DEP_1) | instskip(NEXT) | instid1(VALU_DEP_1)
	v_cndmask_b32_e64 v35, v35, 0, s5
	v_add_nc_u32_e32 v12, v35, v12
	s_delay_alu instid0(VALU_DEP_1) | instskip(NEXT) | instid1(VALU_DEP_1)
	v_mov_b32_dpp v35, v12 row_shr:2 row_mask:0xf bank_mask:0xf
	v_cndmask_b32_e64 v35, 0, v35, s3
	s_delay_alu instid0(VALU_DEP_1) | instskip(NEXT) | instid1(VALU_DEP_1)
	v_add_nc_u32_e32 v12, v12, v35
	v_mov_b32_dpp v35, v12 row_shr:4 row_mask:0xf bank_mask:0xf
	s_delay_alu instid0(VALU_DEP_1) | instskip(NEXT) | instid1(VALU_DEP_1)
	v_cndmask_b32_e64 v35, 0, v35, s6
	v_add_nc_u32_e32 v12, v12, v35
	s_delay_alu instid0(VALU_DEP_1) | instskip(NEXT) | instid1(VALU_DEP_1)
	v_mov_b32_dpp v35, v12 row_shr:8 row_mask:0xf bank_mask:0xf
	v_cndmask_b32_e64 v35, 0, v35, s4
	s_delay_alu instid0(VALU_DEP_1)
	v_add_nc_u32_e32 v12, v12, v35
	s_and_saveexec_b32 s17, s2
; %bb.56:
	v_mov_b32_e32 v35, 0
	ds_store_b32 v35, v12 offset:512
; %bb.57:
	s_wait_alu 0xfffe
	s_or_b32 exec_lo, exec_lo, s17
	ds_bpermute_b32 v12, v26, v12
	v_mov_b32_e32 v35, 0
	; wave barrier
	s_wait_loadcnt_dscnt 0x0
	global_inv scope:SCOPE_SE
	ds_load_b32 v35, v35 offset:512
	v_cndmask_b32_e64 v12, v12, 0, s11
	s_wait_dscnt 0x0
	s_delay_alu instid0(VALU_DEP_1) | instskip(NEXT) | instid1(VALU_DEP_1)
	v_lshl_add_u32 v12, v35, 16, v12
	v_add_nc_u32_e32 v13, v12, v13
	s_delay_alu instid0(VALU_DEP_1) | instskip(NEXT) | instid1(VALU_DEP_1)
	v_add_nc_u32_e32 v14, v13, v14
	v_add_nc_u32_e32 v15, v14, v15
	s_delay_alu instid0(VALU_DEP_1) | instskip(NEXT) | instid1(VALU_DEP_1)
	v_add_nc_u32_e32 v35, v15, v16
	;; [unrolled: 3-line block ×3, first 2 shown]
	v_add_nc_u32_e32 v38, v37, v11
	v_and_b32_e32 v11, 0xffff, v32
	ds_store_b128 v25, v[12:15]
	ds_store_b128 v25, v[35:38] offset:16
	; wave barrier
	s_wait_loadcnt_dscnt 0x0
	global_inv scope:SCOPE_SE
	ds_load_u16 v9, v31
	ds_load_u16 v10, v33
	v_and_b32_e32 v12, 0xffff, v34
	; wave barrier
	s_wait_loadcnt_dscnt 0x0
	global_inv scope:SCOPE_SE
	v_add_nc_u32_e32 v9, v9, v11
	v_add_nc_u32_e32 v10, v10, v12
	s_delay_alu instid0(VALU_DEP_2) | instskip(NEXT) | instid1(VALU_DEP_2)
	v_lshlrev_b32_e32 v11, 1, v9
	v_lshlrev_b32_e32 v12, 1, v10
	ds_store_b16 v11, v29
	ds_store_b16 v12, v30
	; wave barrier
	s_wait_loadcnt_dscnt 0x0
	global_inv scope:SCOPE_SE
	ds_load_b32 v13, v19
	v_mad_u32_u24 v9, v9, 6, v11
	v_mad_u32_u24 v10, v10, 6, v12
	; wave barrier
	s_wait_loadcnt_dscnt 0x0
	global_inv scope:SCOPE_SE
	ds_store_b64 v9, v[5:6]
	ds_store_b64 v10, v[7:8]
	; wave barrier
	s_wait_loadcnt_dscnt 0x0
	global_inv scope:SCOPE_SE
	ds_load_b128 v[5:8], v18
	v_lshrrev_b32_e32 v9, 16, v13
	v_cmp_lt_i16_e32 vcc_lo, -1, v13
	s_wait_alu 0xfffd
	v_cndmask_b32_e64 v10, 0xffff8000, -1, vcc_lo
	s_delay_alu instid0(VALU_DEP_3) | instskip(SKIP_2) | instid1(VALU_DEP_1)
	v_cmp_lt_i16_e32 vcc_lo, -1, v9
	s_wait_alu 0xfffd
	v_cndmask_b32_e64 v9, 0xffff8000, -1, vcc_lo
	v_perm_b32 v9, v9, v10, 0x5040100
	s_delay_alu instid0(VALU_DEP_1)
	v_xor_b32_e32 v9, v9, v13
	s_and_b32 vcc_lo, exec_lo, s16
	s_wait_alu 0xfffe
	s_cbranch_vccnz .LBB249_59
	s_branch .LBB249_104
.LBB249_58:
                                        ; implicit-def: $vgpr7_vgpr8
                                        ; implicit-def: $vgpr9
	s_and_b32 vcc_lo, exec_lo, s16
	s_wait_alu 0xfffe
	s_cbranch_vccz .LBB249_104
.LBB249_59:
	s_and_saveexec_b32 s16, s7
	s_cbranch_execz .LBB249_68
; %bb.60:
	s_wait_dscnt 0x0
	v_mad_i32_i24 v5, v0, -12, v18
	v_mov_b32_e32 v6, 0
	v_cmp_gt_u32_e32 vcc_lo, 0x70, v0
	ds_store_b32 v5, v6
	s_and_b32 exec_lo, exec_lo, vcc_lo
	s_cbranch_execz .LBB249_68
; %bb.61:
	v_mul_i32_i24_e32 v5, -12, v0
	v_cmp_gt_u32_e32 vcc_lo, 0x60, v0
	s_delay_alu instid0(VALU_DEP_2)
	v_add_nc_u32_e32 v5, v18, v5
	ds_store_b32 v5, v6 offset:64
	s_and_b32 exec_lo, exec_lo, vcc_lo
	s_cbranch_execz .LBB249_68
; %bb.62:
	v_mov_b32_e32 v6, 0
	v_cmp_gt_u32_e32 vcc_lo, 0x50, v0
	ds_store_b32 v5, v6 offset:128
	s_and_b32 exec_lo, exec_lo, vcc_lo
	s_cbranch_execz .LBB249_68
; %bb.63:
	v_cmp_gt_u32_e32 vcc_lo, 64, v0
	ds_store_b32 v5, v6 offset:192
	s_and_b32 exec_lo, exec_lo, vcc_lo
	s_cbranch_execz .LBB249_68
; %bb.64:
	v_mov_b32_e32 v6, 0
	v_cmp_gt_u32_e32 vcc_lo, 48, v0
	ds_store_b32 v5, v6 offset:256
	s_and_b32 exec_lo, exec_lo, vcc_lo
	s_cbranch_execz .LBB249_68
; %bb.65:
	v_cmp_gt_u32_e32 vcc_lo, 32, v0
	ds_store_b32 v5, v6 offset:320
	s_and_b32 exec_lo, exec_lo, vcc_lo
	s_cbranch_execz .LBB249_68
; %bb.66:
	v_mov_b32_e32 v6, 0
	v_cmp_gt_u32_e32 vcc_lo, 16, v0
	ds_store_b32 v5, v6 offset:384
	s_and_b32 exec_lo, exec_lo, vcc_lo
; %bb.67:
	ds_store_b32 v5, v6 offset:448
.LBB249_68:
	s_wait_alu 0xfffe
	s_or_b32 exec_lo, exec_lo, s16
	v_cmp_gt_i16_e32 vcc_lo, 0, v27
	s_wait_kmcnt 0x0
	s_min_u32 s16, s13, 16
	s_wait_alu 0xfffe
	s_lshl_b32 s16, -1, s16
	s_wait_alu 0xfffe
	s_not_b32 s16, s16
	s_wait_dscnt 0x0
	s_wait_alu 0xfffd
	v_cndmask_b32_e64 v5, 0x7fff, 0, vcc_lo
	s_delay_alu instid0(VALU_DEP_1) | instskip(NEXT) | instid1(VALU_DEP_1)
	v_xor_b32_e32 v13, v5, v27
	v_cmp_ne_u16_e32 vcc_lo, 0x8000, v13
	s_wait_alu 0xfffd
	v_cndmask_b32_e32 v5, 0x7fff, v13, vcc_lo
	v_cmp_gt_i16_e32 vcc_lo, 0, v28
	s_delay_alu instid0(VALU_DEP_2) | instskip(SKIP_3) | instid1(VALU_DEP_2)
	v_and_b32_e32 v5, 0xffff, v5
	s_wait_alu 0xfffd
	v_cndmask_b32_e64 v7, 0x7fff, 0, vcc_lo
	s_wait_alu 0xfffe
	v_and_b32_e32 v5, s16, v5
	s_delay_alu instid0(VALU_DEP_2) | instskip(NEXT) | instid1(VALU_DEP_1)
	v_xor_b32_e32 v14, v7, v28
	v_cmp_ne_u16_e32 vcc_lo, 0x8000, v14
	s_delay_alu instid0(VALU_DEP_3) | instskip(SKIP_1) | instid1(VALU_DEP_2)
	v_lshlrev_b32_e32 v6, 4, v5
	v_lshrrev_b32_e32 v5, 2, v5
	v_and_or_b32 v6, 0x70, v6, v0
	s_delay_alu instid0(VALU_DEP_2) | instskip(NEXT) | instid1(VALU_DEP_1)
	v_and_b32_e32 v5, 0x3ffe, v5
	v_lshl_add_u32 v15, v6, 2, v5
	s_wait_alu 0xfffd
	v_cndmask_b32_e32 v5, 0x7fff, v14, vcc_lo
	ds_load_u16 v16, v15
	v_and_b32_e32 v5, 0xffff, v5
	s_delay_alu instid0(VALU_DEP_1) | instskip(NEXT) | instid1(VALU_DEP_1)
	v_and_b32_e32 v5, s16, v5
	v_lshlrev_b32_e32 v6, 4, v5
	v_lshrrev_b32_e32 v5, 2, v5
	s_delay_alu instid0(VALU_DEP_2) | instskip(NEXT) | instid1(VALU_DEP_2)
	v_and_or_b32 v6, 0x70, v6, v0
	v_and_b32_e32 v5, 0x3ffe, v5
	s_wait_dscnt 0x0
	v_add_nc_u16 v7, v16, 1
	s_delay_alu instid0(VALU_DEP_2)
	v_lshl_add_u32 v27, v6, 2, v5
	ds_store_b16 v15, v7
	ds_load_u16 v28, v27
	s_wait_dscnt 0x0
	v_add_nc_u16 v5, v28, 1
	ds_store_b16 v27, v5
	; wave barrier
	s_wait_loadcnt_dscnt 0x0
	global_inv scope:SCOPE_SE
	ds_load_b128 v[9:12], v25
	ds_load_b128 v[5:8], v25 offset:16
	s_wait_dscnt 0x1
	v_add_nc_u32_e32 v29, v10, v9
	s_delay_alu instid0(VALU_DEP_1) | instskip(SKIP_1) | instid1(VALU_DEP_1)
	v_add3_u32 v29, v29, v11, v12
	s_wait_dscnt 0x0
	v_add3_u32 v29, v29, v5, v6
	s_delay_alu instid0(VALU_DEP_1) | instskip(NEXT) | instid1(VALU_DEP_1)
	v_add3_u32 v8, v29, v7, v8
	v_mov_b32_dpp v29, v8 row_shr:1 row_mask:0xf bank_mask:0xf
	s_delay_alu instid0(VALU_DEP_1) | instskip(NEXT) | instid1(VALU_DEP_1)
	v_cndmask_b32_e64 v29, v29, 0, s5
	v_add_nc_u32_e32 v8, v29, v8
	s_delay_alu instid0(VALU_DEP_1) | instskip(NEXT) | instid1(VALU_DEP_1)
	v_mov_b32_dpp v29, v8 row_shr:2 row_mask:0xf bank_mask:0xf
	v_cndmask_b32_e64 v29, 0, v29, s3
	s_delay_alu instid0(VALU_DEP_1) | instskip(NEXT) | instid1(VALU_DEP_1)
	v_add_nc_u32_e32 v8, v8, v29
	v_mov_b32_dpp v29, v8 row_shr:4 row_mask:0xf bank_mask:0xf
	s_delay_alu instid0(VALU_DEP_1) | instskip(NEXT) | instid1(VALU_DEP_1)
	v_cndmask_b32_e64 v29, 0, v29, s6
	v_add_nc_u32_e32 v8, v8, v29
	s_delay_alu instid0(VALU_DEP_1) | instskip(NEXT) | instid1(VALU_DEP_1)
	v_mov_b32_dpp v29, v8 row_shr:8 row_mask:0xf bank_mask:0xf
	v_cndmask_b32_e64 v29, 0, v29, s4
	s_delay_alu instid0(VALU_DEP_1)
	v_add_nc_u32_e32 v8, v8, v29
	s_and_saveexec_b32 s16, s2
; %bb.69:
	v_mov_b32_e32 v29, 0
	ds_store_b32 v29, v8 offset:512
; %bb.70:
	s_wait_alu 0xfffe
	s_or_b32 exec_lo, exec_lo, s16
	ds_bpermute_b32 v29, v26, v8
	v_mov_b32_e32 v8, 0
	; wave barrier
	s_wait_loadcnt_dscnt 0x0
	global_inv scope:SCOPE_SE
	ds_load_b32 v30, v8 offset:512
	v_cndmask_b32_e64 v29, v29, 0, s11
	s_wait_dscnt 0x0
	s_delay_alu instid0(VALU_DEP_1) | instskip(NEXT) | instid1(VALU_DEP_1)
	v_lshl_add_u32 v29, v30, 16, v29
	v_add_nc_u32_e32 v30, v29, v9
	s_delay_alu instid0(VALU_DEP_1) | instskip(NEXT) | instid1(VALU_DEP_1)
	v_add_nc_u32_e32 v31, v30, v10
	v_add_nc_u32_e32 v32, v31, v11
	s_delay_alu instid0(VALU_DEP_1) | instskip(NEXT) | instid1(VALU_DEP_1)
	v_add_nc_u32_e32 v9, v32, v12
	;; [unrolled: 3-line block ×3, first 2 shown]
	v_add_nc_u32_e32 v12, v11, v7
	v_and_b32_e32 v7, 0xffff, v16
	ds_store_b128 v25, v[29:32]
	ds_store_b128 v25, v[9:12] offset:16
	; wave barrier
	s_wait_loadcnt_dscnt 0x0
	global_inv scope:SCOPE_SE
	ds_load_u16 v5, v15
	ds_load_u16 v6, v27
	v_and_b32_e32 v9, 0xffff, v28
	; wave barrier
	s_wait_loadcnt_dscnt 0x0
	global_inv scope:SCOPE_SE
	v_add_nc_u32_e32 v5, v5, v7
	v_add_nc_u32_e32 v6, v6, v9
	s_delay_alu instid0(VALU_DEP_2) | instskip(NEXT) | instid1(VALU_DEP_2)
	v_lshlrev_b32_e32 v7, 1, v5
	v_lshlrev_b32_e32 v9, 1, v6
	ds_store_b16 v7, v13
	ds_store_b16 v9, v14
	v_mad_u32_u24 v5, v5, 6, v7
	v_mad_u32_u24 v6, v6, 6, v9
	; wave barrier
	s_wait_loadcnt_dscnt 0x0
	global_inv scope:SCOPE_SE
	ds_load_b32 v13, v19
	; wave barrier
	s_wait_loadcnt_dscnt 0x0
	global_inv scope:SCOPE_SE
	ds_store_b64 v5, v[1:2]
	ds_store_b64 v6, v[3:4]
	; wave barrier
	s_wait_loadcnt_dscnt 0x0
	global_inv scope:SCOPE_SE
	ds_load_b128 v[1:4], v18
	; wave barrier
	s_wait_loadcnt_dscnt 0x0
	global_inv scope:SCOPE_SE
	s_and_saveexec_b32 s16, s7
	s_cbranch_execz .LBB249_79
; %bb.71:
	v_cmp_gt_u32_e32 vcc_lo, 0x70, v0
	ds_store_b32 v21, v8
	s_and_b32 exec_lo, exec_lo, vcc_lo
	s_cbranch_execz .LBB249_79
; %bb.72:
	v_mov_b32_e32 v5, 0
	v_cmp_gt_u32_e32 vcc_lo, 0x60, v0
	ds_store_b32 v21, v5 offset:64
	s_and_b32 exec_lo, exec_lo, vcc_lo
	s_cbranch_execz .LBB249_79
; %bb.73:
	v_cmp_gt_u32_e32 vcc_lo, 0x50, v0
	ds_store_b32 v21, v5 offset:128
	s_and_b32 exec_lo, exec_lo, vcc_lo
	s_cbranch_execz .LBB249_79
; %bb.74:
	v_mov_b32_e32 v5, 0
	v_cmp_gt_u32_e32 vcc_lo, 64, v0
	ds_store_b32 v21, v5 offset:192
	s_and_b32 exec_lo, exec_lo, vcc_lo
	s_cbranch_execz .LBB249_79
; %bb.75:
	v_cmp_gt_u32_e32 vcc_lo, 48, v0
	ds_store_b32 v21, v5 offset:256
	;; [unrolled: 11-line block ×3, first 2 shown]
	s_and_b32 exec_lo, exec_lo, vcc_lo
; %bb.78:
	v_mov_b32_e32 v5, 0
	ds_store_b32 v21, v5 offset:448
.LBB249_79:
	s_wait_alu 0xfffe
	s_or_b32 exec_lo, exec_lo, s16
	v_lshrrev_b16 v5, 4, v13
	v_cmp_ne_u16_e32 vcc_lo, 0x8000, v13
	s_min_u32 s16, s13, 12
	v_lshrrev_b32_e32 v14, 16, v13
	s_wait_alu 0xfffe
	s_lshl_b32 s16, -1, s16
	v_lshrrev_b32_e32 v7, 20, v13
	s_wait_alu 0xfffd
	v_cndmask_b32_e32 v5, 0x7ff, v5, vcc_lo
	s_wait_alu 0xfffe
	s_not_b32 s16, s16
	v_cmp_ne_u16_e32 vcc_lo, 0x8000, v14
	s_delay_alu instid0(VALU_DEP_2) | instskip(SKIP_1) | instid1(VALU_DEP_1)
	v_and_b32_e32 v5, 0xffff, v5
	s_wait_alu 0xfffe
	v_and_b32_e32 v5, s16, v5
	s_delay_alu instid0(VALU_DEP_1) | instskip(SKIP_1) | instid1(VALU_DEP_2)
	v_lshlrev_b32_e32 v6, 4, v5
	v_lshrrev_b32_e32 v5, 2, v5
	v_and_or_b32 v6, 0x70, v6, v0
	s_delay_alu instid0(VALU_DEP_2) | instskip(NEXT) | instid1(VALU_DEP_1)
	v_and_b32_e32 v5, 0x3fe, v5
	v_lshl_add_u32 v15, v6, 2, v5
	s_wait_alu 0xfffd
	v_cndmask_b32_e32 v5, 0x7ff, v7, vcc_lo
	ds_load_u16 v16, v15
	v_and_b32_e32 v5, 0xffff, v5
	s_delay_alu instid0(VALU_DEP_1) | instskip(NEXT) | instid1(VALU_DEP_1)
	v_and_b32_e32 v5, s16, v5
	v_lshlrev_b32_e32 v6, 4, v5
	v_lshrrev_b32_e32 v5, 2, v5
	s_delay_alu instid0(VALU_DEP_2) | instskip(NEXT) | instid1(VALU_DEP_2)
	v_and_or_b32 v6, 0x70, v6, v0
	v_and_b32_e32 v5, 0x3fe, v5
	s_wait_dscnt 0x0
	v_add_nc_u16 v7, v16, 1
	s_delay_alu instid0(VALU_DEP_2)
	v_lshl_add_u32 v27, v6, 2, v5
	ds_store_b16 v15, v7
	ds_load_u16 v28, v27
	s_wait_dscnt 0x0
	v_add_nc_u16 v5, v28, 1
	ds_store_b16 v27, v5
	; wave barrier
	s_wait_loadcnt_dscnt 0x0
	global_inv scope:SCOPE_SE
	ds_load_b128 v[9:12], v25
	ds_load_b128 v[5:8], v25 offset:16
	s_wait_dscnt 0x1
	v_add_nc_u32_e32 v29, v10, v9
	s_delay_alu instid0(VALU_DEP_1) | instskip(SKIP_1) | instid1(VALU_DEP_1)
	v_add3_u32 v29, v29, v11, v12
	s_wait_dscnt 0x0
	v_add3_u32 v29, v29, v5, v6
	s_delay_alu instid0(VALU_DEP_1) | instskip(NEXT) | instid1(VALU_DEP_1)
	v_add3_u32 v8, v29, v7, v8
	v_mov_b32_dpp v29, v8 row_shr:1 row_mask:0xf bank_mask:0xf
	s_delay_alu instid0(VALU_DEP_1) | instskip(NEXT) | instid1(VALU_DEP_1)
	v_cndmask_b32_e64 v29, v29, 0, s5
	v_add_nc_u32_e32 v8, v29, v8
	s_delay_alu instid0(VALU_DEP_1) | instskip(NEXT) | instid1(VALU_DEP_1)
	v_mov_b32_dpp v29, v8 row_shr:2 row_mask:0xf bank_mask:0xf
	v_cndmask_b32_e64 v29, 0, v29, s3
	s_delay_alu instid0(VALU_DEP_1) | instskip(NEXT) | instid1(VALU_DEP_1)
	v_add_nc_u32_e32 v8, v8, v29
	v_mov_b32_dpp v29, v8 row_shr:4 row_mask:0xf bank_mask:0xf
	s_delay_alu instid0(VALU_DEP_1) | instskip(NEXT) | instid1(VALU_DEP_1)
	v_cndmask_b32_e64 v29, 0, v29, s6
	v_add_nc_u32_e32 v8, v8, v29
	s_delay_alu instid0(VALU_DEP_1) | instskip(NEXT) | instid1(VALU_DEP_1)
	v_mov_b32_dpp v29, v8 row_shr:8 row_mask:0xf bank_mask:0xf
	v_cndmask_b32_e64 v29, 0, v29, s4
	s_delay_alu instid0(VALU_DEP_1)
	v_add_nc_u32_e32 v8, v8, v29
	s_and_saveexec_b32 s16, s2
; %bb.80:
	v_mov_b32_e32 v29, 0
	ds_store_b32 v29, v8 offset:512
; %bb.81:
	s_wait_alu 0xfffe
	s_or_b32 exec_lo, exec_lo, s16
	ds_bpermute_b32 v29, v26, v8
	v_mov_b32_e32 v8, 0
	; wave barrier
	s_wait_loadcnt_dscnt 0x0
	global_inv scope:SCOPE_SE
	ds_load_b32 v30, v8 offset:512
	v_cndmask_b32_e64 v29, v29, 0, s11
	s_wait_dscnt 0x0
	s_delay_alu instid0(VALU_DEP_1) | instskip(NEXT) | instid1(VALU_DEP_1)
	v_lshl_add_u32 v29, v30, 16, v29
	v_add_nc_u32_e32 v30, v29, v9
	s_delay_alu instid0(VALU_DEP_1) | instskip(NEXT) | instid1(VALU_DEP_1)
	v_add_nc_u32_e32 v31, v30, v10
	v_add_nc_u32_e32 v32, v31, v11
	s_delay_alu instid0(VALU_DEP_1) | instskip(NEXT) | instid1(VALU_DEP_1)
	v_add_nc_u32_e32 v9, v32, v12
	;; [unrolled: 3-line block ×3, first 2 shown]
	v_add_nc_u32_e32 v12, v11, v7
	v_and_b32_e32 v7, 0xffff, v16
	ds_store_b128 v25, v[29:32]
	ds_store_b128 v25, v[9:12] offset:16
	; wave barrier
	s_wait_loadcnt_dscnt 0x0
	global_inv scope:SCOPE_SE
	ds_load_u16 v5, v15
	ds_load_u16 v6, v27
	v_and_b32_e32 v9, 0xffff, v28
	; wave barrier
	s_wait_loadcnt_dscnt 0x0
	global_inv scope:SCOPE_SE
	v_add_nc_u32_e32 v5, v5, v7
	v_add_nc_u32_e32 v6, v6, v9
	s_delay_alu instid0(VALU_DEP_2) | instskip(NEXT) | instid1(VALU_DEP_2)
	v_lshlrev_b32_e32 v7, 1, v5
	v_lshlrev_b32_e32 v9, 1, v6
	ds_store_b16 v7, v13
	ds_store_b16 v9, v14
	v_mad_u32_u24 v5, v5, 6, v7
	v_mad_u32_u24 v6, v6, 6, v9
	; wave barrier
	s_wait_loadcnt_dscnt 0x0
	global_inv scope:SCOPE_SE
	ds_load_b32 v13, v19
	; wave barrier
	s_wait_loadcnt_dscnt 0x0
	global_inv scope:SCOPE_SE
	ds_store_b64 v5, v[1:2]
	ds_store_b64 v6, v[3:4]
	; wave barrier
	s_wait_loadcnt_dscnt 0x0
	global_inv scope:SCOPE_SE
	ds_load_b128 v[1:4], v18
	; wave barrier
	s_wait_loadcnt_dscnt 0x0
	global_inv scope:SCOPE_SE
	s_and_saveexec_b32 s16, s7
	s_cbranch_execz .LBB249_90
; %bb.82:
	v_cmp_gt_u32_e32 vcc_lo, 0x70, v0
	ds_store_b32 v21, v8
	s_and_b32 exec_lo, exec_lo, vcc_lo
	s_cbranch_execz .LBB249_90
; %bb.83:
	v_mov_b32_e32 v5, 0
	v_cmp_gt_u32_e32 vcc_lo, 0x60, v0
	ds_store_b32 v21, v5 offset:64
	s_and_b32 exec_lo, exec_lo, vcc_lo
	s_cbranch_execz .LBB249_90
; %bb.84:
	v_cmp_gt_u32_e32 vcc_lo, 0x50, v0
	ds_store_b32 v21, v5 offset:128
	s_and_b32 exec_lo, exec_lo, vcc_lo
	s_cbranch_execz .LBB249_90
; %bb.85:
	v_mov_b32_e32 v5, 0
	v_cmp_gt_u32_e32 vcc_lo, 64, v0
	ds_store_b32 v21, v5 offset:192
	s_and_b32 exec_lo, exec_lo, vcc_lo
	s_cbranch_execz .LBB249_90
; %bb.86:
	v_cmp_gt_u32_e32 vcc_lo, 48, v0
	ds_store_b32 v21, v5 offset:256
	;; [unrolled: 11-line block ×3, first 2 shown]
	s_and_b32 exec_lo, exec_lo, vcc_lo
; %bb.89:
	v_mov_b32_e32 v5, 0
	ds_store_b32 v21, v5 offset:448
.LBB249_90:
	s_wait_alu 0xfffe
	s_or_b32 exec_lo, exec_lo, s16
	v_lshrrev_b16 v5, 8, v13
	v_cmp_ne_u16_e32 vcc_lo, 0x8000, v13
	s_min_u32 s16, s13, 8
	v_lshrrev_b32_e32 v14, 16, v13
	s_wait_alu 0xfffe
	s_lshl_b32 s16, -1, s16
	v_lshrrev_b32_e32 v7, 24, v13
	s_wait_alu 0xfffd
	v_cndmask_b32_e32 v5, 0x7f, v5, vcc_lo
	s_wait_alu 0xfffe
	s_not_b32 s16, s16
	v_cmp_ne_u16_e32 vcc_lo, 0x8000, v14
	s_delay_alu instid0(VALU_DEP_2) | instskip(SKIP_1) | instid1(VALU_DEP_1)
	v_and_b32_e32 v5, 0xffff, v5
	s_wait_alu 0xfffe
	v_and_b32_e32 v5, s16, v5
	s_delay_alu instid0(VALU_DEP_1) | instskip(SKIP_1) | instid1(VALU_DEP_2)
	v_lshlrev_b32_e32 v6, 4, v5
	v_lshrrev_b32_e32 v5, 2, v5
	v_and_or_b32 v6, 0x70, v6, v0
	s_delay_alu instid0(VALU_DEP_2) | instskip(NEXT) | instid1(VALU_DEP_1)
	v_and_b32_e32 v5, 62, v5
	v_lshl_add_u32 v15, v6, 2, v5
	s_wait_alu 0xfffd
	v_cndmask_b32_e32 v5, 0x7f, v7, vcc_lo
	ds_load_u16 v16, v15
	v_and_b32_e32 v5, 0xffff, v5
	s_delay_alu instid0(VALU_DEP_1) | instskip(NEXT) | instid1(VALU_DEP_1)
	v_and_b32_e32 v5, s16, v5
	v_lshlrev_b32_e32 v6, 4, v5
	v_lshrrev_b32_e32 v5, 2, v5
	s_delay_alu instid0(VALU_DEP_2) | instskip(NEXT) | instid1(VALU_DEP_2)
	v_and_or_b32 v6, 0x70, v6, v0
	v_and_b32_e32 v5, 62, v5
	s_wait_dscnt 0x0
	v_add_nc_u16 v7, v16, 1
	s_delay_alu instid0(VALU_DEP_2)
	v_lshl_add_u32 v27, v6, 2, v5
	ds_store_b16 v15, v7
	ds_load_u16 v28, v27
	s_wait_dscnt 0x0
	v_add_nc_u16 v5, v28, 1
	ds_store_b16 v27, v5
	; wave barrier
	s_wait_loadcnt_dscnt 0x0
	global_inv scope:SCOPE_SE
	ds_load_b128 v[9:12], v25
	ds_load_b128 v[5:8], v25 offset:16
	s_wait_dscnt 0x1
	v_add_nc_u32_e32 v29, v10, v9
	s_delay_alu instid0(VALU_DEP_1) | instskip(SKIP_1) | instid1(VALU_DEP_1)
	v_add3_u32 v29, v29, v11, v12
	s_wait_dscnt 0x0
	v_add3_u32 v29, v29, v5, v6
	s_delay_alu instid0(VALU_DEP_1) | instskip(NEXT) | instid1(VALU_DEP_1)
	v_add3_u32 v8, v29, v7, v8
	v_mov_b32_dpp v29, v8 row_shr:1 row_mask:0xf bank_mask:0xf
	s_delay_alu instid0(VALU_DEP_1) | instskip(NEXT) | instid1(VALU_DEP_1)
	v_cndmask_b32_e64 v29, v29, 0, s5
	v_add_nc_u32_e32 v8, v29, v8
	s_delay_alu instid0(VALU_DEP_1) | instskip(NEXT) | instid1(VALU_DEP_1)
	v_mov_b32_dpp v29, v8 row_shr:2 row_mask:0xf bank_mask:0xf
	v_cndmask_b32_e64 v29, 0, v29, s3
	s_delay_alu instid0(VALU_DEP_1) | instskip(NEXT) | instid1(VALU_DEP_1)
	v_add_nc_u32_e32 v8, v8, v29
	v_mov_b32_dpp v29, v8 row_shr:4 row_mask:0xf bank_mask:0xf
	s_delay_alu instid0(VALU_DEP_1) | instskip(NEXT) | instid1(VALU_DEP_1)
	v_cndmask_b32_e64 v29, 0, v29, s6
	v_add_nc_u32_e32 v8, v8, v29
	s_delay_alu instid0(VALU_DEP_1) | instskip(NEXT) | instid1(VALU_DEP_1)
	v_mov_b32_dpp v29, v8 row_shr:8 row_mask:0xf bank_mask:0xf
	v_cndmask_b32_e64 v29, 0, v29, s4
	s_delay_alu instid0(VALU_DEP_1)
	v_add_nc_u32_e32 v8, v8, v29
	s_and_saveexec_b32 s16, s2
; %bb.91:
	v_mov_b32_e32 v29, 0
	ds_store_b32 v29, v8 offset:512
; %bb.92:
	s_wait_alu 0xfffe
	s_or_b32 exec_lo, exec_lo, s16
	ds_bpermute_b32 v29, v26, v8
	v_mov_b32_e32 v8, 0
	; wave barrier
	s_wait_loadcnt_dscnt 0x0
	global_inv scope:SCOPE_SE
	ds_load_b32 v30, v8 offset:512
	v_cndmask_b32_e64 v29, v29, 0, s11
	s_wait_dscnt 0x0
	s_delay_alu instid0(VALU_DEP_1) | instskip(NEXT) | instid1(VALU_DEP_1)
	v_lshl_add_u32 v29, v30, 16, v29
	v_add_nc_u32_e32 v30, v29, v9
	s_delay_alu instid0(VALU_DEP_1) | instskip(NEXT) | instid1(VALU_DEP_1)
	v_add_nc_u32_e32 v31, v30, v10
	v_add_nc_u32_e32 v32, v31, v11
	s_delay_alu instid0(VALU_DEP_1) | instskip(NEXT) | instid1(VALU_DEP_1)
	v_add_nc_u32_e32 v9, v32, v12
	;; [unrolled: 3-line block ×3, first 2 shown]
	v_add_nc_u32_e32 v12, v11, v7
	v_and_b32_e32 v7, 0xffff, v16
	ds_store_b128 v25, v[29:32]
	ds_store_b128 v25, v[9:12] offset:16
	; wave barrier
	s_wait_loadcnt_dscnt 0x0
	global_inv scope:SCOPE_SE
	ds_load_u16 v5, v15
	ds_load_u16 v6, v27
	v_and_b32_e32 v9, 0xffff, v28
	; wave barrier
	s_wait_loadcnt_dscnt 0x0
	global_inv scope:SCOPE_SE
	v_add_nc_u32_e32 v5, v5, v7
	v_add_nc_u32_e32 v6, v6, v9
	s_delay_alu instid0(VALU_DEP_2) | instskip(NEXT) | instid1(VALU_DEP_2)
	v_lshlrev_b32_e32 v7, 1, v5
	v_lshlrev_b32_e32 v9, 1, v6
	ds_store_b16 v7, v13
	ds_store_b16 v9, v14
	v_mad_u32_u24 v5, v5, 6, v7
	v_mad_u32_u24 v6, v6, 6, v9
	; wave barrier
	s_wait_loadcnt_dscnt 0x0
	global_inv scope:SCOPE_SE
	ds_load_b32 v13, v19
	; wave barrier
	s_wait_loadcnt_dscnt 0x0
	global_inv scope:SCOPE_SE
	ds_store_b64 v5, v[1:2]
	ds_store_b64 v6, v[3:4]
	; wave barrier
	s_wait_loadcnt_dscnt 0x0
	global_inv scope:SCOPE_SE
	ds_load_b128 v[1:4], v18
	; wave barrier
	s_wait_loadcnt_dscnt 0x0
	global_inv scope:SCOPE_SE
	s_and_saveexec_b32 s16, s7
	s_cbranch_execz .LBB249_101
; %bb.93:
	v_cmp_gt_u32_e32 vcc_lo, 0x70, v0
	ds_store_b32 v21, v8
	s_and_b32 exec_lo, exec_lo, vcc_lo
	s_cbranch_execz .LBB249_101
; %bb.94:
	v_mov_b32_e32 v5, 0
	v_cmp_gt_u32_e32 vcc_lo, 0x60, v0
	ds_store_b32 v21, v5 offset:64
	s_and_b32 exec_lo, exec_lo, vcc_lo
	s_cbranch_execz .LBB249_101
; %bb.95:
	v_cmp_gt_u32_e32 vcc_lo, 0x50, v0
	ds_store_b32 v21, v5 offset:128
	s_and_b32 exec_lo, exec_lo, vcc_lo
	s_cbranch_execz .LBB249_101
; %bb.96:
	v_mov_b32_e32 v5, 0
	v_cmp_gt_u32_e32 vcc_lo, 64, v0
	ds_store_b32 v21, v5 offset:192
	s_and_b32 exec_lo, exec_lo, vcc_lo
	s_cbranch_execz .LBB249_101
; %bb.97:
	v_cmp_gt_u32_e32 vcc_lo, 48, v0
	ds_store_b32 v21, v5 offset:256
	;; [unrolled: 11-line block ×3, first 2 shown]
	s_and_b32 exec_lo, exec_lo, vcc_lo
; %bb.100:
	v_mov_b32_e32 v5, 0
	ds_store_b32 v21, v5 offset:448
.LBB249_101:
	s_wait_alu 0xfffe
	s_or_b32 exec_lo, exec_lo, s16
	v_lshrrev_b16 v5, 12, v13
	v_cmp_ne_u16_e32 vcc_lo, 0x8000, v13
	s_min_u32 s7, s13, 4
	v_lshrrev_b32_e32 v14, 16, v13
	s_wait_alu 0xfffe
	s_lshl_b32 s7, -1, s7
	v_lshrrev_b32_e32 v7, 28, v13
	s_wait_alu 0xfffd
	v_cndmask_b32_e32 v5, 7, v5, vcc_lo
	s_wait_alu 0xfffe
	s_not_b32 s7, s7
	v_cmp_ne_u16_e32 vcc_lo, 0x8000, v14
	s_delay_alu instid0(VALU_DEP_2) | instskip(SKIP_1) | instid1(VALU_DEP_1)
	v_and_b32_e32 v5, 0xffff, v5
	s_wait_alu 0xfffe
	v_and_b32_e32 v5, s7, v5
	s_delay_alu instid0(VALU_DEP_1) | instskip(SKIP_1) | instid1(VALU_DEP_2)
	v_lshlrev_b32_e32 v6, 4, v5
	v_lshrrev_b32_e32 v5, 2, v5
	v_and_or_b32 v6, 0x70, v6, v0
	s_delay_alu instid0(VALU_DEP_2) | instskip(NEXT) | instid1(VALU_DEP_1)
	v_and_b32_e32 v5, 2, v5
	v_lshl_or_b32 v15, v6, 2, v5
	s_wait_alu 0xfffd
	v_cndmask_b32_e32 v5, 7, v7, vcc_lo
	ds_load_u16 v16, v15
	v_and_b32_e32 v5, 0xffff, v5
	s_delay_alu instid0(VALU_DEP_1) | instskip(NEXT) | instid1(VALU_DEP_1)
	v_and_b32_e32 v5, s7, v5
	v_lshlrev_b32_e32 v6, 4, v5
	v_lshrrev_b32_e32 v5, 2, v5
	s_delay_alu instid0(VALU_DEP_2) | instskip(NEXT) | instid1(VALU_DEP_2)
	v_and_or_b32 v0, 0x70, v6, v0
	v_and_b32_e32 v5, 2, v5
	s_wait_dscnt 0x0
	v_add_nc_u16 v6, v16, 1
	s_delay_alu instid0(VALU_DEP_2)
	v_lshl_or_b32 v0, v0, 2, v5
	ds_store_b16 v15, v6
	ds_load_u16 v27, v0
	s_wait_dscnt 0x0
	v_add_nc_u16 v5, v27, 1
	ds_store_b16 v0, v5
	; wave barrier
	s_wait_loadcnt_dscnt 0x0
	global_inv scope:SCOPE_SE
	ds_load_b128 v[9:12], v25
	ds_load_b128 v[5:8], v25 offset:16
	s_wait_dscnt 0x1
	v_add_nc_u32_e32 v28, v10, v9
	s_delay_alu instid0(VALU_DEP_1) | instskip(SKIP_1) | instid1(VALU_DEP_1)
	v_add3_u32 v28, v28, v11, v12
	s_wait_dscnt 0x0
	v_add3_u32 v28, v28, v5, v6
	s_delay_alu instid0(VALU_DEP_1) | instskip(NEXT) | instid1(VALU_DEP_1)
	v_add3_u32 v8, v28, v7, v8
	v_mov_b32_dpp v28, v8 row_shr:1 row_mask:0xf bank_mask:0xf
	s_delay_alu instid0(VALU_DEP_1) | instskip(NEXT) | instid1(VALU_DEP_1)
	v_cndmask_b32_e64 v28, v28, 0, s5
	v_add_nc_u32_e32 v8, v28, v8
	s_delay_alu instid0(VALU_DEP_1) | instskip(NEXT) | instid1(VALU_DEP_1)
	v_mov_b32_dpp v28, v8 row_shr:2 row_mask:0xf bank_mask:0xf
	v_cndmask_b32_e64 v28, 0, v28, s3
	s_delay_alu instid0(VALU_DEP_1) | instskip(NEXT) | instid1(VALU_DEP_1)
	v_add_nc_u32_e32 v8, v8, v28
	v_mov_b32_dpp v28, v8 row_shr:4 row_mask:0xf bank_mask:0xf
	s_delay_alu instid0(VALU_DEP_1) | instskip(NEXT) | instid1(VALU_DEP_1)
	v_cndmask_b32_e64 v28, 0, v28, s6
	v_add_nc_u32_e32 v8, v8, v28
	s_delay_alu instid0(VALU_DEP_1) | instskip(NEXT) | instid1(VALU_DEP_1)
	v_mov_b32_dpp v28, v8 row_shr:8 row_mask:0xf bank_mask:0xf
	v_cndmask_b32_e64 v28, 0, v28, s4
	s_delay_alu instid0(VALU_DEP_1)
	v_add_nc_u32_e32 v8, v8, v28
	s_and_saveexec_b32 s3, s2
; %bb.102:
	v_mov_b32_e32 v28, 0
	ds_store_b32 v28, v8 offset:512
; %bb.103:
	s_wait_alu 0xfffe
	s_or_b32 exec_lo, exec_lo, s3
	ds_bpermute_b32 v8, v26, v8
	v_mov_b32_e32 v26, 0
	; wave barrier
	s_wait_loadcnt_dscnt 0x0
	global_inv scope:SCOPE_SE
	ds_load_b32 v26, v26 offset:512
	v_cndmask_b32_e64 v8, v8, 0, s11
	s_wait_dscnt 0x0
	s_delay_alu instid0(VALU_DEP_1) | instskip(NEXT) | instid1(VALU_DEP_1)
	v_lshl_add_u32 v8, v26, 16, v8
	v_add_nc_u32_e32 v9, v8, v9
	s_delay_alu instid0(VALU_DEP_1) | instskip(NEXT) | instid1(VALU_DEP_1)
	v_add_nc_u32_e32 v10, v9, v10
	v_add_nc_u32_e32 v11, v10, v11
	s_delay_alu instid0(VALU_DEP_1) | instskip(NEXT) | instid1(VALU_DEP_1)
	v_add_nc_u32_e32 v28, v11, v12
	v_add_nc_u32_e32 v29, v28, v5
	s_delay_alu instid0(VALU_DEP_1) | instskip(SKIP_1) | instid1(VALU_DEP_2)
	v_add_nc_u32_e32 v30, v29, v6
	v_and_b32_e32 v6, 0xffff, v16
	v_add_nc_u32_e32 v31, v30, v7
	v_and_b32_e32 v7, 0xffff, v27
	ds_store_b128 v25, v[8:11]
	ds_store_b128 v25, v[28:31] offset:16
	; wave barrier
	s_wait_loadcnt_dscnt 0x0
	global_inv scope:SCOPE_SE
	ds_load_u16 v5, v15
	ds_load_u16 v0, v0
	; wave barrier
	s_wait_loadcnt_dscnt 0x0
	global_inv scope:SCOPE_SE
	v_add_nc_u32_e32 v5, v5, v6
	v_add_nc_u32_e32 v0, v0, v7
	s_delay_alu instid0(VALU_DEP_2) | instskip(NEXT) | instid1(VALU_DEP_2)
	v_lshlrev_b32_e32 v6, 1, v5
	v_lshlrev_b32_e32 v7, 1, v0
	ds_store_b16 v6, v13
	ds_store_b16 v7, v14
	; wave barrier
	s_wait_loadcnt_dscnt 0x0
	global_inv scope:SCOPE_SE
	ds_load_b32 v9, v19
	v_mad_u32_u24 v5, v5, 6, v6
	v_mad_u32_u24 v0, v0, 6, v7
	; wave barrier
	s_wait_loadcnt_dscnt 0x0
	global_inv scope:SCOPE_SE
	ds_store_b64 v5, v[1:2]
	ds_store_b64 v0, v[3:4]
	; wave barrier
	s_wait_loadcnt_dscnt 0x0
	global_inv scope:SCOPE_SE
	ds_load_b128 v[5:8], v18
	v_lshrrev_b32_e32 v0, 16, v9
	v_cmp_gt_i16_e32 vcc_lo, 0, v9
	s_wait_alu 0xfffd
	v_cndmask_b32_e64 v1, 0x7fff, 0, vcc_lo
	s_delay_alu instid0(VALU_DEP_3) | instskip(SKIP_2) | instid1(VALU_DEP_1)
	v_cmp_gt_i16_e32 vcc_lo, 0, v0
	s_wait_alu 0xfffd
	v_cndmask_b32_e64 v0, 0x7fff, 0, vcc_lo
	v_perm_b32 v0, v0, v1, 0x5040100
	s_delay_alu instid0(VALU_DEP_1)
	v_xor_b32_e32 v9, v0, v9
.LBB249_104:
	; wave barrier
	s_wait_loadcnt_dscnt 0x0
	global_inv scope:SCOPE_SE
	ds_store_b32 v21, v9
	; wave barrier
	s_wait_loadcnt_dscnt 0x0
	global_inv scope:SCOPE_SE
	ds_load_u16 v2, v22 offset:32
	v_mov_b32_e32 v21, 0
	s_delay_alu instid0(VALU_DEP_1) | instskip(NEXT) | instid1(VALU_DEP_1)
	v_lshlrev_b64_e32 v[0:1], 1, v[20:21]
	v_add_co_u32 v0, vcc_lo, s14, v0
	s_wait_alu 0xfffd
	s_delay_alu instid0(VALU_DEP_2)
	v_add_co_ci_u32_e64 v1, null, s15, v1, vcc_lo
	s_and_saveexec_b32 s2, s0
	s_cbranch_execz .LBB249_106
; %bb.105:
	ds_load_u16 v3, v22
	s_wait_dscnt 0x0
	global_store_b16 v[0:1], v3, off
.LBB249_106:
	s_wait_alu 0xfffe
	s_or_b32 exec_lo, exec_lo, s2
	s_and_saveexec_b32 s2, s1
	s_cbranch_execz .LBB249_108
; %bb.107:
	s_lshl_b32 s4, s10, 4
	s_mov_b32 s5, 0
	s_wait_alu 0xfffe
	s_lshl_b64 s[4:5], s[4:5], 1
	s_wait_alu 0xfffe
	v_add_co_u32 v0, vcc_lo, v0, s4
	s_wait_alu 0xfffd
	v_add_co_ci_u32_e64 v1, null, s5, v1, vcc_lo
	s_wait_dscnt 0x0
	global_store_b16 v[0:1], v2, off
.LBB249_108:
	s_wait_alu 0xfffe
	s_or_b32 exec_lo, exec_lo, s2
	s_wait_storecnt 0x0
	; wave barrier
	s_wait_loadcnt_dscnt 0x0
	global_inv scope:SCOPE_SE
	ds_store_2addr_b64 v24, v[5:6], v[7:8] offset1:1
	; wave barrier
	s_wait_loadcnt_dscnt 0x0
	global_inv scope:SCOPE_SE
	ds_load_b64 v[0:1], v23 offset:128
	v_mov_b32_e32 v18, 0
	s_delay_alu instid0(VALU_DEP_1) | instskip(NEXT) | instid1(VALU_DEP_1)
	v_lshlrev_b64_e32 v[2:3], 3, v[17:18]
	v_add_co_u32 v2, vcc_lo, s8, v2
	s_wait_alu 0xfffd
	s_delay_alu instid0(VALU_DEP_2)
	v_add_co_ci_u32_e64 v3, null, s9, v3, vcc_lo
	s_and_saveexec_b32 s2, s0
	s_cbranch_execz .LBB249_110
; %bb.109:
	ds_load_b64 v[4:5], v23
	s_wait_dscnt 0x0
	global_store_b64 v[2:3], v[4:5], off
.LBB249_110:
	s_wait_alu 0xfffe
	s_or_b32 exec_lo, exec_lo, s2
	s_and_saveexec_b32 s0, s1
	s_cbranch_execz .LBB249_112
; %bb.111:
	s_lshl_b32 s0, s12, 4
	s_mov_b32 s1, 0
	s_delay_alu instid0(SALU_CYCLE_1) | instskip(NEXT) | instid1(SALU_CYCLE_1)
	s_lshl_b64 s[0:1], s[0:1], 3
	v_add_co_u32 v2, vcc_lo, v2, s0
	s_wait_alu 0xfffd
	v_add_co_ci_u32_e64 v3, null, s1, v3, vcc_lo
	s_wait_dscnt 0x0
	global_store_b64 v[2:3], v[0:1], off
.LBB249_112:
	s_endpgm
	.section	.rodata,"a",@progbits
	.p2align	6, 0x0
	.amdhsa_kernel _ZN2at6native18radixSortKVInPlaceILi2ELin1ELi16ELi2EN3c108BFloat16EljEEvNS_4cuda6detail10TensorInfoIT3_T5_EES8_S8_S8_NS6_IT4_S8_EES8_b
		.amdhsa_group_segment_fixed_size 528
		.amdhsa_private_segment_fixed_size 0
		.amdhsa_kernarg_size 712
		.amdhsa_user_sgpr_count 2
		.amdhsa_user_sgpr_dispatch_ptr 0
		.amdhsa_user_sgpr_queue_ptr 0
		.amdhsa_user_sgpr_kernarg_segment_ptr 1
		.amdhsa_user_sgpr_dispatch_id 0
		.amdhsa_user_sgpr_private_segment_size 0
		.amdhsa_wavefront_size32 1
		.amdhsa_uses_dynamic_stack 0
		.amdhsa_enable_private_segment 0
		.amdhsa_system_sgpr_workgroup_id_x 1
		.amdhsa_system_sgpr_workgroup_id_y 1
		.amdhsa_system_sgpr_workgroup_id_z 1
		.amdhsa_system_sgpr_workgroup_info 0
		.amdhsa_system_vgpr_workitem_id 0
		.amdhsa_next_free_vgpr 39
		.amdhsa_next_free_sgpr 24
		.amdhsa_reserve_vcc 1
		.amdhsa_float_round_mode_32 0
		.amdhsa_float_round_mode_16_64 0
		.amdhsa_float_denorm_mode_32 3
		.amdhsa_float_denorm_mode_16_64 3
		.amdhsa_fp16_overflow 0
		.amdhsa_workgroup_processor_mode 1
		.amdhsa_memory_ordered 1
		.amdhsa_forward_progress 1
		.amdhsa_inst_pref_size 76
		.amdhsa_round_robin_scheduling 0
		.amdhsa_exception_fp_ieee_invalid_op 0
		.amdhsa_exception_fp_denorm_src 0
		.amdhsa_exception_fp_ieee_div_zero 0
		.amdhsa_exception_fp_ieee_overflow 0
		.amdhsa_exception_fp_ieee_underflow 0
		.amdhsa_exception_fp_ieee_inexact 0
		.amdhsa_exception_int_div_zero 0
	.end_amdhsa_kernel
	.section	.text._ZN2at6native18radixSortKVInPlaceILi2ELin1ELi16ELi2EN3c108BFloat16EljEEvNS_4cuda6detail10TensorInfoIT3_T5_EES8_S8_S8_NS6_IT4_S8_EES8_b,"axG",@progbits,_ZN2at6native18radixSortKVInPlaceILi2ELin1ELi16ELi2EN3c108BFloat16EljEEvNS_4cuda6detail10TensorInfoIT3_T5_EES8_S8_S8_NS6_IT4_S8_EES8_b,comdat
.Lfunc_end249:
	.size	_ZN2at6native18radixSortKVInPlaceILi2ELin1ELi16ELi2EN3c108BFloat16EljEEvNS_4cuda6detail10TensorInfoIT3_T5_EES8_S8_S8_NS6_IT4_S8_EES8_b, .Lfunc_end249-_ZN2at6native18radixSortKVInPlaceILi2ELin1ELi16ELi2EN3c108BFloat16EljEEvNS_4cuda6detail10TensorInfoIT3_T5_EES8_S8_S8_NS6_IT4_S8_EES8_b
                                        ; -- End function
	.set _ZN2at6native18radixSortKVInPlaceILi2ELin1ELi16ELi2EN3c108BFloat16EljEEvNS_4cuda6detail10TensorInfoIT3_T5_EES8_S8_S8_NS6_IT4_S8_EES8_b.num_vgpr, 39
	.set _ZN2at6native18radixSortKVInPlaceILi2ELin1ELi16ELi2EN3c108BFloat16EljEEvNS_4cuda6detail10TensorInfoIT3_T5_EES8_S8_S8_NS6_IT4_S8_EES8_b.num_agpr, 0
	.set _ZN2at6native18radixSortKVInPlaceILi2ELin1ELi16ELi2EN3c108BFloat16EljEEvNS_4cuda6detail10TensorInfoIT3_T5_EES8_S8_S8_NS6_IT4_S8_EES8_b.numbered_sgpr, 24
	.set _ZN2at6native18radixSortKVInPlaceILi2ELin1ELi16ELi2EN3c108BFloat16EljEEvNS_4cuda6detail10TensorInfoIT3_T5_EES8_S8_S8_NS6_IT4_S8_EES8_b.num_named_barrier, 0
	.set _ZN2at6native18radixSortKVInPlaceILi2ELin1ELi16ELi2EN3c108BFloat16EljEEvNS_4cuda6detail10TensorInfoIT3_T5_EES8_S8_S8_NS6_IT4_S8_EES8_b.private_seg_size, 0
	.set _ZN2at6native18radixSortKVInPlaceILi2ELin1ELi16ELi2EN3c108BFloat16EljEEvNS_4cuda6detail10TensorInfoIT3_T5_EES8_S8_S8_NS6_IT4_S8_EES8_b.uses_vcc, 1
	.set _ZN2at6native18radixSortKVInPlaceILi2ELin1ELi16ELi2EN3c108BFloat16EljEEvNS_4cuda6detail10TensorInfoIT3_T5_EES8_S8_S8_NS6_IT4_S8_EES8_b.uses_flat_scratch, 0
	.set _ZN2at6native18radixSortKVInPlaceILi2ELin1ELi16ELi2EN3c108BFloat16EljEEvNS_4cuda6detail10TensorInfoIT3_T5_EES8_S8_S8_NS6_IT4_S8_EES8_b.has_dyn_sized_stack, 0
	.set _ZN2at6native18radixSortKVInPlaceILi2ELin1ELi16ELi2EN3c108BFloat16EljEEvNS_4cuda6detail10TensorInfoIT3_T5_EES8_S8_S8_NS6_IT4_S8_EES8_b.has_recursion, 0
	.set _ZN2at6native18radixSortKVInPlaceILi2ELin1ELi16ELi2EN3c108BFloat16EljEEvNS_4cuda6detail10TensorInfoIT3_T5_EES8_S8_S8_NS6_IT4_S8_EES8_b.has_indirect_call, 0
	.section	.AMDGPU.csdata,"",@progbits
; Kernel info:
; codeLenInByte = 9656
; TotalNumSgprs: 26
; NumVgprs: 39
; ScratchSize: 0
; MemoryBound: 0
; FloatMode: 240
; IeeeMode: 1
; LDSByteSize: 528 bytes/workgroup (compile time only)
; SGPRBlocks: 0
; VGPRBlocks: 4
; NumSGPRsForWavesPerEU: 26
; NumVGPRsForWavesPerEU: 39
; Occupancy: 16
; WaveLimiterHint : 1
; COMPUTE_PGM_RSRC2:SCRATCH_EN: 0
; COMPUTE_PGM_RSRC2:USER_SGPR: 2
; COMPUTE_PGM_RSRC2:TRAP_HANDLER: 0
; COMPUTE_PGM_RSRC2:TGID_X_EN: 1
; COMPUTE_PGM_RSRC2:TGID_Y_EN: 1
; COMPUTE_PGM_RSRC2:TGID_Z_EN: 1
; COMPUTE_PGM_RSRC2:TIDIG_COMP_CNT: 0
	.section	.text._ZN2at6native18radixSortKVInPlaceILin1ELin1ELi512ELi8EN3c108BFloat16EljEEvNS_4cuda6detail10TensorInfoIT3_T5_EES8_S8_S8_NS6_IT4_S8_EES8_b,"axG",@progbits,_ZN2at6native18radixSortKVInPlaceILin1ELin1ELi512ELi8EN3c108BFloat16EljEEvNS_4cuda6detail10TensorInfoIT3_T5_EES8_S8_S8_NS6_IT4_S8_EES8_b,comdat
	.protected	_ZN2at6native18radixSortKVInPlaceILin1ELin1ELi512ELi8EN3c108BFloat16EljEEvNS_4cuda6detail10TensorInfoIT3_T5_EES8_S8_S8_NS6_IT4_S8_EES8_b ; -- Begin function _ZN2at6native18radixSortKVInPlaceILin1ELin1ELi512ELi8EN3c108BFloat16EljEEvNS_4cuda6detail10TensorInfoIT3_T5_EES8_S8_S8_NS6_IT4_S8_EES8_b
	.globl	_ZN2at6native18radixSortKVInPlaceILin1ELin1ELi512ELi8EN3c108BFloat16EljEEvNS_4cuda6detail10TensorInfoIT3_T5_EES8_S8_S8_NS6_IT4_S8_EES8_b
	.p2align	8
	.type	_ZN2at6native18radixSortKVInPlaceILin1ELin1ELi512ELi8EN3c108BFloat16EljEEvNS_4cuda6detail10TensorInfoIT3_T5_EES8_S8_S8_NS6_IT4_S8_EES8_b,@function
_ZN2at6native18radixSortKVInPlaceILin1ELin1ELi512ELi8EN3c108BFloat16EljEEvNS_4cuda6detail10TensorInfoIT3_T5_EES8_S8_S8_NS6_IT4_S8_EES8_b: ; @_ZN2at6native18radixSortKVInPlaceILin1ELin1ELi512ELi8EN3c108BFloat16EljEEvNS_4cuda6detail10TensorInfoIT3_T5_EES8_S8_S8_NS6_IT4_S8_EES8_b
; %bb.0:
	s_clause 0x1
	s_load_b64 s[2:3], s[0:1], 0x1c8
	s_load_b96 s[24:26], s[0:1], 0xd8
	s_lshr_b32 s4, ttmp7, 16
	s_wait_kmcnt 0x0
	s_mul_i32 s3, s3, s4
	s_and_b32 s4, ttmp7, 0xffff
	s_delay_alu instid0(SALU_CYCLE_1) | instskip(NEXT) | instid1(SALU_CYCLE_1)
	s_add_co_i32 s3, s3, s4
	s_mul_i32 s2, s3, s2
	s_delay_alu instid0(SALU_CYCLE_1) | instskip(NEXT) | instid1(SALU_CYCLE_1)
	s_add_co_i32 s13, s2, ttmp9
	s_cmp_ge_u32 s13, s24
	s_cbranch_scc1 .LBB250_149
; %bb.1:
	s_load_b32 s4, s[0:1], 0xd0
	s_mov_b32 s3, 0
	s_mov_b32 s2, s13
	s_wait_kmcnt 0x0
	s_cmp_lt_i32 s4, 2
	s_cbranch_scc1 .LBB250_4
; %bb.2:
	s_add_co_i32 s2, s4, -1
	s_delay_alu instid0(SALU_CYCLE_1)
	s_lshl_b64 s[6:7], s[2:3], 2
	s_mov_b32 s2, s13
	s_add_nc_u64 s[8:9], s[0:1], s[6:7]
	s_add_co_i32 s6, s4, 1
	s_add_nc_u64 s[4:5], s[8:9], 8
.LBB250_3:                              ; =>This Inner Loop Header: Depth=1
	s_clause 0x1
	s_load_b32 s7, s[4:5], 0x0
	s_load_b32 s8, s[4:5], 0x64
	s_mov_b32 s11, s2
	s_add_nc_u64 s[4:5], s[4:5], -4
	s_wait_kmcnt 0x0
	s_cvt_f32_u32 s9, s7
	s_sub_co_i32 s10, 0, s7
	s_wait_alu 0xfffe
	s_delay_alu instid0(SALU_CYCLE_1) | instskip(NEXT) | instid1(TRANS32_DEP_1)
	v_rcp_iflag_f32_e32 v1, s9
	v_readfirstlane_b32 s9, v1
	s_mul_f32 s9, s9, 0x4f7ffffe
	s_wait_alu 0xfffe
	s_delay_alu instid0(SALU_CYCLE_2) | instskip(SKIP_1) | instid1(SALU_CYCLE_2)
	s_cvt_u32_f32 s9, s9
	s_wait_alu 0xfffe
	s_mul_i32 s10, s10, s9
	s_delay_alu instid0(SALU_CYCLE_1) | instskip(NEXT) | instid1(SALU_CYCLE_1)
	s_mul_hi_u32 s10, s9, s10
	s_add_co_i32 s9, s9, s10
	s_wait_alu 0xfffe
	s_mul_hi_u32 s2, s2, s9
	s_delay_alu instid0(SALU_CYCLE_1)
	s_mul_i32 s9, s2, s7
	s_add_co_i32 s10, s2, 1
	s_wait_alu 0xfffe
	s_sub_co_i32 s9, s11, s9
	s_wait_alu 0xfffe
	s_sub_co_i32 s12, s9, s7
	s_cmp_ge_u32 s9, s7
	s_cselect_b32 s2, s10, s2
	s_cselect_b32 s9, s12, s9
	s_add_co_i32 s10, s2, 1
	s_wait_alu 0xfffe
	s_cmp_ge_u32 s9, s7
	s_cselect_b32 s2, s10, s2
	s_add_co_i32 s6, s6, -1
	s_mul_i32 s7, s2, s7
	s_delay_alu instid0(SALU_CYCLE_1) | instskip(NEXT) | instid1(SALU_CYCLE_1)
	s_sub_co_i32 s7, s11, s7
	s_mul_i32 s7, s8, s7
	s_delay_alu instid0(SALU_CYCLE_1)
	s_add_co_i32 s3, s7, s3
	s_cmp_gt_u32 s6, 2
	s_cbranch_scc1 .LBB250_3
.LBB250_4:
	s_load_b32 s4, s[0:1], 0x1b8
	s_add_nc_u64 s[34:35], s[0:1], 0x1c8
	s_mov_b32 s9, 0
	s_wait_kmcnt 0x0
	s_cmp_lt_i32 s4, 2
	s_cbranch_scc1 .LBB250_7
; %bb.5:
	s_add_co_i32 s8, s4, -1
	s_wait_alu 0xfffe
	s_lshl_b64 s[6:7], s[8:9], 2
	s_delay_alu instid0(SALU_CYCLE_1)
	s_add_nc_u64 s[10:11], s[0:1], s[6:7]
	s_add_co_i32 s6, s4, 1
	s_add_nc_u64 s[4:5], s[10:11], 0xf0
.LBB250_6:                              ; =>This Inner Loop Header: Depth=1
	s_clause 0x1
	s_load_b32 s7, s[4:5], 0x0
	s_load_b32 s8, s[4:5], 0x64
	s_mov_b32 s12, s13
	s_add_nc_u64 s[4:5], s[4:5], -4
	s_wait_kmcnt 0x0
	s_cvt_f32_u32 s10, s7
	s_sub_co_i32 s11, 0, s7
	s_wait_alu 0xfffe
	s_delay_alu instid0(SALU_CYCLE_1) | instskip(NEXT) | instid1(TRANS32_DEP_1)
	v_rcp_iflag_f32_e32 v1, s10
	v_readfirstlane_b32 s10, v1
	s_mul_f32 s10, s10, 0x4f7ffffe
	s_wait_alu 0xfffe
	s_delay_alu instid0(SALU_CYCLE_2) | instskip(SKIP_1) | instid1(SALU_CYCLE_2)
	s_cvt_u32_f32 s10, s10
	s_wait_alu 0xfffe
	s_mul_i32 s11, s11, s10
	s_wait_alu 0xfffe
	s_mul_hi_u32 s11, s10, s11
	s_wait_alu 0xfffe
	s_add_co_i32 s10, s10, s11
	s_wait_alu 0xfffe
	s_mul_hi_u32 s10, s13, s10
	s_wait_alu 0xfffe
	s_mul_i32 s11, s10, s7
	s_wait_alu 0xfffe
	s_sub_co_i32 s11, s13, s11
	s_add_co_i32 s13, s10, 1
	s_wait_alu 0xfffe
	s_sub_co_i32 s14, s11, s7
	s_cmp_ge_u32 s11, s7
	s_cselect_b32 s10, s13, s10
	s_cselect_b32 s11, s14, s11
	s_wait_alu 0xfffe
	s_add_co_i32 s13, s10, 1
	s_cmp_ge_u32 s11, s7
	s_cselect_b32 s13, s13, s10
	s_add_co_i32 s6, s6, -1
	s_mul_i32 s7, s13, s7
	s_delay_alu instid0(SALU_CYCLE_1) | instskip(NEXT) | instid1(SALU_CYCLE_1)
	s_sub_co_i32 s7, s12, s7
	s_mul_i32 s7, s8, s7
	s_delay_alu instid0(SALU_CYCLE_1)
	s_add_co_i32 s9, s7, s9
	s_cmp_gt_u32 s6, 2
	s_cbranch_scc1 .LBB250_6
.LBB250_7:
	s_clause 0x2
	s_load_b32 s4, s[0:1], 0x6c
	s_load_b64 s[28:29], s[0:1], 0x1c0
	s_load_b64 s[6:7], s[0:1], 0x0
	s_mov_b32 s5, 0
	s_wait_kmcnt 0x0
	s_mul_i32 s2, s4, s2
	s_delay_alu instid0(SALU_CYCLE_1) | instskip(SKIP_3) | instid1(SALU_CYCLE_1)
	s_add_co_i32 s4, s2, s3
	s_bitcmp1_b32 s29, 0
	s_mov_b32 s2, 0xffff
	s_cselect_b32 s12, -1, 0
	s_and_b32 s3, s12, exec_lo
	s_cselect_b32 s14, s2, 0x7fff
	s_delay_alu instid0(SALU_CYCLE_1) | instskip(SKIP_1) | instid1(SALU_CYCLE_1)
	v_dual_mov_b32 v1, s14 :: v_dual_and_b32 v46, 0x3ff, v0
	s_lshl_b64 s[4:5], s[4:5], 1
	s_add_nc_u64 s[30:31], s[6:7], s[4:5]
	s_delay_alu instid0(VALU_DEP_1)
	v_mul_lo_u32 v44, s26, v46
	v_cmp_gt_u32_e64 s2, s25, v46
	s_and_saveexec_b32 s3, s2
	s_cbranch_execz .LBB250_9
; %bb.8:
	v_mov_b32_e32 v45, 0
	s_delay_alu instid0(VALU_DEP_1) | instskip(NEXT) | instid1(VALU_DEP_1)
	v_lshlrev_b64_e32 v[1:2], 1, v[44:45]
	v_add_co_u32 v1, vcc_lo, s30, v1
	s_delay_alu instid0(VALU_DEP_1)
	v_add_co_ci_u32_e64 v2, null, s31, v2, vcc_lo
	global_load_u16 v1, v[1:2], off
.LBB250_9:
	s_or_b32 exec_lo, exec_lo, s3
	v_dual_mov_b32 v2, s14 :: v_dual_add_nc_u32 v15, 0x200, v46
	s_delay_alu instid0(VALU_DEP_1)
	v_cmp_gt_u32_e64 s3, s25, v15
	s_and_saveexec_b32 s4, s3
	s_cbranch_execz .LBB250_11
; %bb.10:
	v_mul_lo_u32 v2, s26, v15
	v_mov_b32_e32 v3, 0
	s_delay_alu instid0(VALU_DEP_1) | instskip(NEXT) | instid1(VALU_DEP_1)
	v_lshlrev_b64_e32 v[2:3], 1, v[2:3]
	v_add_co_u32 v2, vcc_lo, s30, v2
	s_wait_alu 0xfffd
	s_delay_alu instid0(VALU_DEP_2)
	v_add_co_ci_u32_e64 v3, null, s31, v3, vcc_lo
	global_load_u16 v2, v[2:3], off
.LBB250_11:
	s_or_b32 exec_lo, exec_lo, s4
	v_or_b32_e32 v16, 0x400, v46
	v_mov_b32_e32 v3, s14
	s_delay_alu instid0(VALU_DEP_2)
	v_cmp_gt_u32_e64 s4, s25, v16
	s_and_saveexec_b32 s5, s4
	s_cbranch_execz .LBB250_13
; %bb.12:
	v_mul_lo_u32 v3, s26, v16
	v_mov_b32_e32 v4, 0
	s_delay_alu instid0(VALU_DEP_1) | instskip(NEXT) | instid1(VALU_DEP_1)
	v_lshlrev_b64_e32 v[3:4], 1, v[3:4]
	v_add_co_u32 v3, vcc_lo, s30, v3
	s_wait_alu 0xfffd
	s_delay_alu instid0(VALU_DEP_2)
	v_add_co_ci_u32_e64 v4, null, s31, v4, vcc_lo
	global_load_u16 v3, v[3:4], off
.LBB250_13:
	s_or_b32 exec_lo, exec_lo, s5
	v_dual_mov_b32 v4, s14 :: v_dual_add_nc_u32 v17, 0x600, v46
	s_delay_alu instid0(VALU_DEP_1)
	v_cmp_gt_u32_e64 s5, s25, v17
	s_and_saveexec_b32 s6, s5
	s_cbranch_execz .LBB250_15
; %bb.14:
	v_mul_lo_u32 v4, s26, v17
	v_mov_b32_e32 v5, 0
	s_delay_alu instid0(VALU_DEP_1) | instskip(NEXT) | instid1(VALU_DEP_1)
	v_lshlrev_b64_e32 v[4:5], 1, v[4:5]
	v_add_co_u32 v4, vcc_lo, s30, v4
	s_wait_alu 0xfffd
	s_delay_alu instid0(VALU_DEP_2)
	v_add_co_ci_u32_e64 v5, null, s31, v5, vcc_lo
	global_load_u16 v4, v[4:5], off
.LBB250_15:
	s_or_b32 exec_lo, exec_lo, s6
	v_or_b32_e32 v18, 0x800, v46
	v_mov_b32_e32 v5, s14
	s_delay_alu instid0(VALU_DEP_2)
	v_cmp_gt_u32_e64 s6, s25, v18
	s_and_saveexec_b32 s7, s6
	s_cbranch_execz .LBB250_17
; %bb.16:
	v_mul_lo_u32 v5, s26, v18
	v_mov_b32_e32 v6, 0
	s_delay_alu instid0(VALU_DEP_1) | instskip(NEXT) | instid1(VALU_DEP_1)
	v_lshlrev_b64_e32 v[5:6], 1, v[5:6]
	v_add_co_u32 v5, vcc_lo, s30, v5
	s_wait_alu 0xfffd
	s_delay_alu instid0(VALU_DEP_2)
	v_add_co_ci_u32_e64 v6, null, s31, v6, vcc_lo
	global_load_u16 v5, v[5:6], off
.LBB250_17:
	s_or_b32 exec_lo, exec_lo, s7
	v_dual_mov_b32 v6, s14 :: v_dual_add_nc_u32 v19, 0xa00, v46
	s_delay_alu instid0(VALU_DEP_1)
	v_cmp_gt_u32_e64 s7, s25, v19
	s_and_saveexec_b32 s8, s7
	s_cbranch_execz .LBB250_19
; %bb.18:
	v_mul_lo_u32 v6, s26, v19
	v_mov_b32_e32 v7, 0
	s_delay_alu instid0(VALU_DEP_1) | instskip(NEXT) | instid1(VALU_DEP_1)
	v_lshlrev_b64_e32 v[6:7], 1, v[6:7]
	v_add_co_u32 v6, vcc_lo, s30, v6
	s_wait_alu 0xfffd
	s_delay_alu instid0(VALU_DEP_2)
	v_add_co_ci_u32_e64 v7, null, s31, v7, vcc_lo
	global_load_u16 v6, v[6:7], off
.LBB250_19:
	s_wait_alu 0xfffe
	s_or_b32 exec_lo, exec_lo, s8
	v_or_b32_e32 v20, 0xc00, v46
	v_mov_b32_e32 v7, s14
	s_delay_alu instid0(VALU_DEP_2)
	v_cmp_gt_u32_e64 s8, s25, v20
	s_and_saveexec_b32 s10, s8
	s_cbranch_execz .LBB250_21
; %bb.20:
	v_mul_lo_u32 v7, s26, v20
	v_mov_b32_e32 v8, 0
	s_delay_alu instid0(VALU_DEP_1) | instskip(NEXT) | instid1(VALU_DEP_1)
	v_lshlrev_b64_e32 v[7:8], 1, v[7:8]
	v_add_co_u32 v7, vcc_lo, s30, v7
	s_wait_alu 0xfffd
	s_delay_alu instid0(VALU_DEP_2)
	v_add_co_ci_u32_e64 v8, null, s31, v8, vcc_lo
	global_load_u16 v7, v[7:8], off
.LBB250_21:
	s_wait_alu 0xfffe
	s_or_b32 exec_lo, exec_lo, s10
	s_clause 0x1
	s_load_b32 s15, s[0:1], 0x154
	s_load_b64 s[10:11], s[0:1], 0xe8
	v_dual_mov_b32 v8, s14 :: v_dual_add_nc_u32 v21, 0xe00, v46
	s_delay_alu instid0(VALU_DEP_1)
	v_cmp_gt_u32_e64 s0, s25, v21
	s_and_saveexec_b32 s1, s0
	s_cbranch_execz .LBB250_23
; %bb.22:
	v_mul_lo_u32 v8, s26, v21
	v_mov_b32_e32 v9, 0
	s_delay_alu instid0(VALU_DEP_1) | instskip(NEXT) | instid1(VALU_DEP_1)
	v_lshlrev_b64_e32 v[8:9], 1, v[8:9]
	v_add_co_u32 v8, vcc_lo, s30, v8
	s_wait_alu 0xfffd
	s_delay_alu instid0(VALU_DEP_2)
	v_add_co_ci_u32_e64 v9, null, s31, v9, vcc_lo
	global_load_u16 v8, v[8:9], off
.LBB250_23:
	s_or_b32 exec_lo, exec_lo, s1
	v_lshrrev_b32_e32 v9, 4, v46
	v_lshrrev_b32_e32 v10, 4, v15
	v_lshrrev_b32_e32 v11, 4, v16
	v_lshrrev_b32_e32 v13, 4, v17
	v_lshrrev_b32_e32 v14, 4, v21
	v_dual_mov_b32 v42, 0 :: v_dual_and_b32 v9, 60, v9
	v_lshlrev_b32_e32 v12, 1, v46
	v_and_b32_e32 v10, 0x7c, v10
	v_and_b32_e32 v11, 0x7c, v11
	s_wait_kmcnt 0x0
	s_mul_i32 s1, s15, s13
	v_mov_b32_e32 v43, v42
	v_add_nc_u32_e32 v51, v9, v12
	v_add_nc_u32_e32 v45, v10, v12
	;; [unrolled: 1-line block ×3, first 2 shown]
	v_and_b32_e32 v9, 0xfc, v13
	v_lshrrev_b32_e32 v10, 4, v18
	v_lshrrev_b32_e32 v11, 4, v19
	;; [unrolled: 1-line block ×3, first 2 shown]
	v_mul_lo_u32 v41, s28, v46
	v_add_nc_u32_e32 v53, v9, v12
	v_and_b32_e32 v9, 0xbc, v10
	v_and_b32_e32 v10, 0xfc, v11
	;; [unrolled: 1-line block ×4, first 2 shown]
	v_lshrrev_b32_e32 v14, 1, v46
	v_add_nc_u32_e32 v54, v9, v12
	v_add_nc_u32_e32 v55, v10, v12
	;; [unrolled: 1-line block ×4, first 2 shown]
	v_and_b32_e32 v9, 0x1fc, v14
	v_mov_b32_e32 v13, 0
	v_dual_mov_b32 v11, v42 :: v_dual_mov_b32 v12, v42
	v_mov_b32_e32 v14, 0
	s_delay_alu instid0(VALU_DEP_4)
	v_lshl_add_u32 v58, v46, 4, v9
	s_wait_loadcnt 0x0
	ds_store_b16 v51, v1
	ds_store_b16 v45, v2 offset:1024
	ds_store_b16 v52, v3 offset:2048
	ds_store_b16 v53, v4 offset:3072
	ds_store_b16 v54, v5 offset:4096
	ds_store_b16 v55, v6 offset:5120
	ds_store_b16 v56, v7 offset:6144
	ds_store_b16 v57, v8 offset:7168
	s_wait_dscnt 0x0
	s_barrier_signal -1
	s_barrier_wait -1
	global_inv scope:SCOPE_SE
	ds_load_2addr_b32 v[49:50], v58 offset1:1
	ds_load_2addr_b32 v[47:48], v58 offset0:2 offset1:3
	s_add_co_i32 s14, s1, s9
	s_mov_b32 s15, 0
	v_dual_mov_b32 v9, v42 :: v_dual_mov_b32 v10, v42
	v_dual_mov_b32 v1, v42 :: v_dual_mov_b32 v2, v42
	;; [unrolled: 1-line block ×5, first 2 shown]
	s_wait_alu 0xfffe
	s_lshl_b64 s[14:15], s[14:15], 3
	s_wait_loadcnt_dscnt 0x0
	s_wait_alu 0xfffe
	s_add_nc_u64 s[24:25], s[10:11], s[14:15]
	s_barrier_signal -1
	s_barrier_wait -1
	global_inv scope:SCOPE_SE
	s_and_saveexec_b32 s1, s2
	s_cbranch_execnz .LBB250_79
; %bb.24:
	s_or_b32 exec_lo, exec_lo, s1
	s_and_saveexec_b32 s1, s3
	s_cbranch_execnz .LBB250_80
.LBB250_25:
	s_or_b32 exec_lo, exec_lo, s1
	s_and_saveexec_b32 s1, s4
	s_cbranch_execnz .LBB250_81
.LBB250_26:
	s_or_b32 exec_lo, exec_lo, s1
	s_and_saveexec_b32 s1, s5
	s_cbranch_execnz .LBB250_82
.LBB250_27:
	s_or_b32 exec_lo, exec_lo, s1
	s_and_saveexec_b32 s1, s6
	s_cbranch_execnz .LBB250_83
.LBB250_28:
	s_or_b32 exec_lo, exec_lo, s1
	s_and_saveexec_b32 s1, s7
	s_cbranch_execnz .LBB250_84
.LBB250_29:
	s_or_b32 exec_lo, exec_lo, s1
	s_and_saveexec_b32 s1, s8
	s_cbranch_execz .LBB250_31
.LBB250_30:
	v_mul_lo_u32 v5, s28, v20
	v_mov_b32_e32 v6, 0
	s_delay_alu instid0(VALU_DEP_1) | instskip(SKIP_1) | instid1(VALU_DEP_1)
	v_lshlrev_b64_e32 v[5:6], 3, v[5:6]
	s_wait_alu 0xfffe
	v_add_co_u32 v5, vcc_lo, s24, v5
	s_wait_alu 0xfffd
	s_delay_alu instid0(VALU_DEP_2)
	v_add_co_ci_u32_e64 v6, null, s25, v6, vcc_lo
	global_load_b64 v[5:6], v[5:6], off
.LBB250_31:
	s_or_b32 exec_lo, exec_lo, s1
	v_lshrrev_b32_e32 v68, 5, v46
	v_lshrrev_b32_e32 v25, 5, v15
	;; [unrolled: 1-line block ×8, first 2 shown]
	v_lshlrev_b32_e32 v66, 3, v46
	v_lshrrev_b32_e32 v15, 2, v46
	s_xor_b32 s1, s12, -1
	s_and_saveexec_b32 s9, s0
	s_cbranch_execz .LBB250_33
; %bb.32:
	v_mul_lo_u32 v7, s28, v21
	v_mov_b32_e32 v8, 0
	s_delay_alu instid0(VALU_DEP_1) | instskip(SKIP_1) | instid1(VALU_DEP_1)
	v_lshlrev_b64_e32 v[7:8], 3, v[7:8]
	s_wait_alu 0xfffe
	v_add_co_u32 v7, vcc_lo, s24, v7
	s_wait_alu 0xfffd
	s_delay_alu instid0(VALU_DEP_2)
	v_add_co_ci_u32_e64 v8, null, s25, v8, vcc_lo
	global_load_b64 v[7:8], v[7:8], off
.LBB250_33:
	s_wait_alu 0xfffe
	s_or_b32 exec_lo, exec_lo, s9
	v_lshl_add_u32 v59, v68, 3, v66
	v_lshl_add_u32 v60, v25, 3, v66
	;; [unrolled: 1-line block ×5, first 2 shown]
	s_wait_loadcnt 0x0
	ds_store_b64 v59, v[13:14]
	ds_store_b64 v60, v[42:43] offset:4096
	ds_store_b64 v61, v[9:10] offset:8192
	;; [unrolled: 1-line block ×3, first 2 shown]
	v_lshlrev_b32_e32 v9, 3, v66
	v_lshl_add_u32 v42, v22, 3, v66
	v_lshl_add_u32 v43, v18, 3, v66
	;; [unrolled: 1-line block ×3, first 2 shown]
	ds_store_b64 v42, v[1:2] offset:16384
	ds_store_b64 v43, v[3:4] offset:20480
	;; [unrolled: 1-line block ×4, first 2 shown]
	v_lshl_add_u32 v65, v15, 3, v9
	s_wait_dscnt 0x0
	s_barrier_signal -1
	s_barrier_wait -1
	global_inv scope:SCOPE_SE
	ds_load_2addr_b64 v[13:16], v65 offset1:1
	ds_load_2addr_b64 v[9:12], v65 offset0:2 offset1:3
	ds_load_2addr_b64 v[5:8], v65 offset0:4 offset1:5
	;; [unrolled: 1-line block ×3, first 2 shown]
	v_bfe_u32 v71, v0, 10, 10
	v_bfe_u32 v72, v0, 20, 10
	v_mbcnt_lo_u32_b32 v69, -1, 0
	v_and_b32_e32 v70, 0x3e0, v46
	v_lshlrev_b32_e32 v67, 2, v66
	s_and_b32 vcc_lo, exec_lo, s1
	s_wait_loadcnt_dscnt 0x0
	s_barrier_signal -1
	s_barrier_wait -1
	global_inv scope:SCOPE_SE
	s_wait_alu 0xfffe
	s_cbranch_vccz .LBB250_85
; %bb.34:
	v_pk_ashrrev_i16 v0, 15, v49 op_sel_hi:[0,1]
	v_pk_ashrrev_i16 v17, 15, v50 op_sel_hi:[0,1]
	v_pk_ashrrev_i16 v18, 15, v47 op_sel_hi:[0,1]
	v_pk_ashrrev_i16 v19, 15, v48 op_sel_hi:[0,1]
	v_or_b32_e32 v21, v69, v70
	v_or_b32_e32 v0, 0x80008000, v0
	;; [unrolled: 1-line block ×5, first 2 shown]
	v_and_or_b32 v84, 0x1f00, v66, v69
	s_mov_b32 s12, 0
	v_xor_b32_e32 v17, v0, v49
	v_xor_b32_e32 v18, v20, v50
	;; [unrolled: 1-line block ×4, first 2 shown]
	s_mov_b32 s13, s12
	s_mov_b32 s14, s12
	;; [unrolled: 1-line block ×3, first 2 shown]
	v_lshlrev_b32_e32 v23, 4, v21
	v_lshlrev_b32_e32 v73, 1, v84
	s_getpc_b64 s[10:11]
	s_wait_alu 0xfffe
	s_sext_i32_i16 s11, s11
	s_add_co_u32 s10, s10, _ZN7rocprim17ROCPRIM_400000_NS16block_radix_sortI12hip_bfloat16Lj512ELj8ElLj1ELj1ELj0ELNS0_26block_radix_rank_algorithmE1ELNS0_18block_padding_hintE2ELNS0_4arch9wavefront6targetE0EE19radix_bits_per_passE@rel32@lo+12
	s_wait_alu 0xfffe
	s_add_co_ci_u32 s11, s11, _ZN7rocprim17ROCPRIM_400000_NS16block_radix_sortI12hip_bfloat16Lj512ELj8ElLj1ELj1ELj0ELNS0_26block_radix_rank_algorithmE1ELNS0_18block_padding_hintE2ELNS0_4arch9wavefront6targetE0EE19radix_bits_per_passE@rel32@hi+24
	s_load_b32 s17, s[10:11], 0x0
	ds_store_b128 v23, v[17:20]
	; wave barrier
	ds_load_u16 v74, v73
	v_mad_u32_u24 v0, v21, 48, v23
	ds_load_u16 v75, v73 offset:64
	ds_load_u16 v76, v73 offset:128
	;; [unrolled: 1-line block ×7, first 2 shown]
	s_wait_loadcnt_dscnt 0x0
	s_barrier_signal -1
	s_barrier_wait -1
	global_inv scope:SCOPE_SE
	ds_store_b128 v0, v[13:16]
	ds_store_b128 v0, v[9:12] offset:16
	ds_store_b128 v0, v[5:8] offset:32
	;; [unrolled: 1-line block ×3, first 2 shown]
	v_mad_u32_u24 v29, v84, 6, v73
	; wave barrier
	s_wait_kmcnt 0x0
	s_min_u32 s1, s17, 16
	s_delay_alu instid0(SALU_CYCLE_1) | instskip(SKIP_4) | instid1(VALU_DEP_1)
	s_lshl_b32 s1, -1, s1
	v_cmp_ne_u16_e32 vcc_lo, 0x7fff, v74
	s_not_b32 s9, s1
	s_wait_alu 0xfffd
	v_cndmask_b32_e32 v17, 0xffff8000, v74, vcc_lo
	v_and_b32_e32 v17, 0xffff, v17
	s_wait_alu 0xfffe
	s_delay_alu instid0(VALU_DEP_1)
	v_and_b32_e32 v40, s9, v17
	ds_load_2addr_b64 v[17:20], v29 offset1:32
	ds_load_2addr_b64 v[25:28], v29 offset0:64 offset1:96
	ds_load_2addr_b64 v[21:24], v29 offset0:128 offset1:160
	;; [unrolled: 1-line block ×3, first 2 shown]
	s_wait_loadcnt_dscnt 0x0
	v_and_b32_e32 v0, 1, v40
	v_lshlrev_b32_e32 v33, 30, v40
	v_lshlrev_b32_e32 v36, 28, v40
	s_barrier_signal -1
	s_barrier_wait -1
	v_add_co_u32 v0, s1, v0, -1
	s_delay_alu instid0(VALU_DEP_1)
	v_cndmask_b32_e64 v34, 0, 1, s1
	v_not_b32_e32 v35, v33
	v_cmp_gt_i32_e64 s1, 0, v33
	global_inv scope:SCOPE_SE
	v_cmp_ne_u32_e32 vcc_lo, 0, v34
	v_lshlrev_b32_e32 v34, 29, v40
	v_ashrrev_i32_e32 v33, 31, v35
	s_wait_alu 0xfffd
	v_xor_b32_e32 v0, vcc_lo, v0
	s_delay_alu instid0(VALU_DEP_3)
	v_not_b32_e32 v35, v34
	s_wait_alu 0xf1ff
	v_xor_b32_e32 v33, s1, v33
	v_cmp_gt_i32_e32 vcc_lo, 0, v34
	s_load_b32 s1, s[34:35], 0xc
	v_and_b32_e32 v0, exec_lo, v0
	v_ashrrev_i32_e32 v34, 31, v35
	v_not_b32_e32 v35, v36
	s_delay_alu instid0(VALU_DEP_3) | instskip(SKIP_1) | instid1(VALU_DEP_4)
	v_and_b32_e32 v0, v0, v33
	v_lshlrev_b32_e32 v33, 27, v40
	v_xor_b32_e32 v34, vcc_lo, v34
	v_cmp_gt_i32_e32 vcc_lo, 0, v36
	v_ashrrev_i32_e32 v35, 31, v35
	s_delay_alu instid0(VALU_DEP_4) | instskip(NEXT) | instid1(VALU_DEP_4)
	v_not_b32_e32 v36, v33
	v_and_b32_e32 v0, v0, v34
	v_lshlrev_b32_e32 v34, 26, v40
	s_wait_alu 0xfffd
	v_xor_b32_e32 v35, vcc_lo, v35
	v_cmp_gt_i32_e32 vcc_lo, 0, v33
	v_ashrrev_i32_e32 v33, 31, v36
	v_not_b32_e32 v36, v34
	s_delay_alu instid0(VALU_DEP_4)
	v_and_b32_e32 v0, v0, v35
	v_lshlrev_b32_e32 v35, 25, v40
	s_wait_alu 0xfffd
	v_xor_b32_e32 v33, vcc_lo, v33
	v_cmp_gt_i32_e32 vcc_lo, 0, v34
	v_ashrrev_i32_e32 v34, 31, v36
	s_wait_kmcnt 0x0
	s_lshr_b32 s10, s1, 16
	v_not_b32_e32 v36, v35
	v_and_b32_e32 v0, v0, v33
	v_lshlrev_b32_e32 v33, 24, v40
	s_wait_alu 0xfffd
	v_xor_b32_e32 v34, vcc_lo, v34
	v_cmp_gt_i32_e32 vcc_lo, 0, v35
	v_ashrrev_i32_e32 v35, 31, v36
	s_wait_alu 0xfffe
	v_mad_u32_u24 v37, v72, s10, v71
	v_not_b32_e32 v36, v33
	v_and_b32_e32 v0, v0, v34
	s_and_b32 s1, s1, 0xffff
	s_wait_alu 0xfffd
	v_xor_b32_e32 v34, vcc_lo, v35
	v_cmp_gt_i32_e32 vcc_lo, 0, v33
	v_ashrrev_i32_e32 v33, 31, v36
	s_wait_alu 0xfffe
	v_mad_co_u64_u32 v[38:39], null, v37, s1, v[46:47]
	v_dual_mov_b32 v37, s15 :: v_dual_and_b32 v0, v0, v34
	s_wait_alu 0xfffd
	v_xor_b32_e32 v33, vcc_lo, v33
	v_dual_mov_b32 v36, s14 :: v_dual_mov_b32 v35, s13
	v_mov_b32_e32 v34, s12
	ds_store_b128 v67, v[34:37] offset:64
	ds_store_b128 v67, v[34:37] offset:80
	v_and_b32_e32 v33, v0, v33
	v_lshrrev_b32_e32 v0, 5, v38
	v_lshlrev_b32_e32 v34, 6, v40
	s_wait_loadcnt_dscnt 0x0
	s_barrier_signal -1
	v_mbcnt_lo_u32_b32 v86, v33, 0
	v_lshlrev_b32_e32 v0, 2, v0
	v_cmp_ne_u32_e64 s1, 0, v33
	s_barrier_wait -1
	global_inv scope:SCOPE_SE
	v_cmp_eq_u32_e32 vcc_lo, 0, v86
	v_add_nc_u32_e32 v87, v0, v34
	; wave barrier
	s_and_b32 s10, s1, vcc_lo
	s_wait_alu 0xfffe
	s_and_saveexec_b32 s1, s10
; %bb.35:
	v_bcnt_u32_b32 v33, v33, 0
	ds_store_b32 v87, v33 offset:64
; %bb.36:
	s_wait_alu 0xfffe
	s_or_b32 exec_lo, exec_lo, s1
	v_cmp_ne_u16_e32 vcc_lo, 0x7fff, v75
	; wave barrier
	s_wait_alu 0xfffd
	v_cndmask_b32_e32 v33, 0xffff8000, v75, vcc_lo
	s_delay_alu instid0(VALU_DEP_1) | instskip(NEXT) | instid1(VALU_DEP_1)
	v_and_b32_e32 v33, 0xffff, v33
	v_and_b32_e32 v33, s9, v33
	s_delay_alu instid0(VALU_DEP_1)
	v_and_b32_e32 v34, 1, v33
	v_lshlrev_b32_e32 v35, 30, v33
	v_lshlrev_b32_e32 v36, 29, v33
	;; [unrolled: 1-line block ×4, first 2 shown]
	v_add_co_u32 v34, s1, v34, -1
	s_wait_alu 0xf1ff
	v_cndmask_b32_e64 v38, 0, 1, s1
	v_not_b32_e32 v83, v35
	v_cmp_gt_i32_e64 s1, 0, v35
	v_not_b32_e32 v35, v36
	v_lshlrev_b32_e32 v40, 26, v33
	v_cmp_ne_u32_e32 vcc_lo, 0, v38
	v_ashrrev_i32_e32 v83, 31, v83
	v_lshlrev_b32_e32 v82, 25, v33
	v_ashrrev_i32_e32 v35, 31, v35
	v_lshlrev_b32_e32 v38, 24, v33
	s_wait_alu 0xfffd
	v_xor_b32_e32 v34, vcc_lo, v34
	v_cmp_gt_i32_e32 vcc_lo, 0, v36
	v_not_b32_e32 v36, v37
	s_wait_alu 0xf1ff
	v_xor_b32_e32 v83, s1, v83
	v_cmp_gt_i32_e64 s1, 0, v37
	v_and_b32_e32 v34, exec_lo, v34
	v_not_b32_e32 v37, v39
	v_ashrrev_i32_e32 v36, 31, v36
	s_wait_alu 0xfffd
	v_xor_b32_e32 v35, vcc_lo, v35
	v_cmp_gt_i32_e32 vcc_lo, 0, v39
	v_and_b32_e32 v34, v34, v83
	v_not_b32_e32 v39, v40
	v_ashrrev_i32_e32 v37, 31, v37
	s_wait_alu 0xf1ff
	v_xor_b32_e32 v36, s1, v36
	v_cmp_gt_i32_e64 s1, 0, v40
	v_and_b32_e32 v34, v34, v35
	v_not_b32_e32 v35, v82
	v_ashrrev_i32_e32 v39, 31, v39
	s_wait_alu 0xfffd
	v_xor_b32_e32 v37, vcc_lo, v37
	v_cmp_gt_i32_e32 vcc_lo, 0, v82
	v_and_b32_e32 v34, v34, v36
	v_not_b32_e32 v36, v38
	v_ashrrev_i32_e32 v35, 31, v35
	s_wait_alu 0xf1ff
	v_xor_b32_e32 v39, s1, v39
	v_lshlrev_b32_e32 v33, 6, v33
	v_and_b32_e32 v34, v34, v37
	v_cmp_gt_i32_e64 s1, 0, v38
	v_ashrrev_i32_e32 v36, 31, v36
	s_wait_alu 0xfffd
	v_xor_b32_e32 v35, vcc_lo, v35
	v_add_nc_u32_e32 v90, v0, v33
	v_and_b32_e32 v34, v34, v39
	s_wait_alu 0xf1ff
	v_xor_b32_e32 v33, s1, v36
	ds_load_b32 v88, v90 offset:64
	v_and_b32_e32 v34, v34, v35
	; wave barrier
	s_delay_alu instid0(VALU_DEP_1) | instskip(NEXT) | instid1(VALU_DEP_1)
	v_and_b32_e32 v33, v34, v33
	v_mbcnt_lo_u32_b32 v89, v33, 0
	v_cmp_ne_u32_e64 s1, 0, v33
	s_delay_alu instid0(VALU_DEP_2)
	v_cmp_eq_u32_e32 vcc_lo, 0, v89
	s_and_b32 s10, s1, vcc_lo
	s_wait_alu 0xfffe
	s_and_saveexec_b32 s1, s10
	s_cbranch_execz .LBB250_38
; %bb.37:
	s_wait_dscnt 0x0
	v_bcnt_u32_b32 v33, v33, v88
	ds_store_b32 v90, v33 offset:64
.LBB250_38:
	s_wait_alu 0xfffe
	s_or_b32 exec_lo, exec_lo, s1
	v_cmp_ne_u16_e32 vcc_lo, 0x7fff, v76
	; wave barrier
	s_wait_alu 0xfffd
	v_cndmask_b32_e32 v33, 0xffff8000, v76, vcc_lo
	s_delay_alu instid0(VALU_DEP_1) | instskip(NEXT) | instid1(VALU_DEP_1)
	v_and_b32_e32 v33, 0xffff, v33
	v_and_b32_e32 v33, s9, v33
	s_delay_alu instid0(VALU_DEP_1)
	v_and_b32_e32 v34, 1, v33
	v_lshlrev_b32_e32 v35, 30, v33
	v_lshlrev_b32_e32 v36, 29, v33
	;; [unrolled: 1-line block ×4, first 2 shown]
	v_add_co_u32 v34, s1, v34, -1
	s_wait_alu 0xf1ff
	v_cndmask_b32_e64 v38, 0, 1, s1
	v_not_b32_e32 v83, v35
	v_cmp_gt_i32_e64 s1, 0, v35
	v_not_b32_e32 v35, v36
	v_lshlrev_b32_e32 v40, 26, v33
	v_cmp_ne_u32_e32 vcc_lo, 0, v38
	v_ashrrev_i32_e32 v83, 31, v83
	v_lshlrev_b32_e32 v82, 25, v33
	v_ashrrev_i32_e32 v35, 31, v35
	v_lshlrev_b32_e32 v38, 24, v33
	s_wait_alu 0xfffd
	v_xor_b32_e32 v34, vcc_lo, v34
	v_cmp_gt_i32_e32 vcc_lo, 0, v36
	v_not_b32_e32 v36, v37
	s_wait_alu 0xf1ff
	v_xor_b32_e32 v83, s1, v83
	v_cmp_gt_i32_e64 s1, 0, v37
	v_and_b32_e32 v34, exec_lo, v34
	v_not_b32_e32 v37, v39
	v_ashrrev_i32_e32 v36, 31, v36
	s_wait_alu 0xfffd
	v_xor_b32_e32 v35, vcc_lo, v35
	v_cmp_gt_i32_e32 vcc_lo, 0, v39
	v_and_b32_e32 v34, v34, v83
	v_not_b32_e32 v39, v40
	v_ashrrev_i32_e32 v37, 31, v37
	s_wait_alu 0xf1ff
	v_xor_b32_e32 v36, s1, v36
	v_cmp_gt_i32_e64 s1, 0, v40
	v_and_b32_e32 v34, v34, v35
	v_not_b32_e32 v35, v82
	v_ashrrev_i32_e32 v39, 31, v39
	s_wait_alu 0xfffd
	v_xor_b32_e32 v37, vcc_lo, v37
	v_cmp_gt_i32_e32 vcc_lo, 0, v82
	v_and_b32_e32 v34, v34, v36
	v_not_b32_e32 v36, v38
	v_ashrrev_i32_e32 v35, 31, v35
	s_wait_alu 0xf1ff
	v_xor_b32_e32 v39, s1, v39
	v_lshlrev_b32_e32 v33, 6, v33
	v_and_b32_e32 v34, v34, v37
	v_cmp_gt_i32_e64 s1, 0, v38
	v_ashrrev_i32_e32 v36, 31, v36
	s_wait_alu 0xfffd
	v_xor_b32_e32 v35, vcc_lo, v35
	v_add_nc_u32_e32 v93, v0, v33
	v_and_b32_e32 v34, v34, v39
	s_wait_alu 0xf1ff
	v_xor_b32_e32 v33, s1, v36
	ds_load_b32 v91, v93 offset:64
	v_and_b32_e32 v34, v34, v35
	; wave barrier
	s_delay_alu instid0(VALU_DEP_1) | instskip(NEXT) | instid1(VALU_DEP_1)
	v_and_b32_e32 v33, v34, v33
	v_mbcnt_lo_u32_b32 v92, v33, 0
	v_cmp_ne_u32_e64 s1, 0, v33
	s_delay_alu instid0(VALU_DEP_2)
	v_cmp_eq_u32_e32 vcc_lo, 0, v92
	s_and_b32 s10, s1, vcc_lo
	s_wait_alu 0xfffe
	s_and_saveexec_b32 s1, s10
	s_cbranch_execz .LBB250_40
; %bb.39:
	s_wait_dscnt 0x0
	v_bcnt_u32_b32 v33, v33, v91
	ds_store_b32 v93, v33 offset:64
.LBB250_40:
	s_wait_alu 0xfffe
	s_or_b32 exec_lo, exec_lo, s1
	v_cmp_ne_u16_e32 vcc_lo, 0x7fff, v77
	; wave barrier
	s_wait_alu 0xfffd
	v_cndmask_b32_e32 v33, 0xffff8000, v77, vcc_lo
	s_delay_alu instid0(VALU_DEP_1) | instskip(NEXT) | instid1(VALU_DEP_1)
	v_and_b32_e32 v33, 0xffff, v33
	v_and_b32_e32 v33, s9, v33
	s_delay_alu instid0(VALU_DEP_1)
	v_and_b32_e32 v34, 1, v33
	v_lshlrev_b32_e32 v35, 30, v33
	v_lshlrev_b32_e32 v36, 29, v33
	;; [unrolled: 1-line block ×4, first 2 shown]
	v_add_co_u32 v34, s1, v34, -1
	s_wait_alu 0xf1ff
	v_cndmask_b32_e64 v38, 0, 1, s1
	v_not_b32_e32 v83, v35
	v_cmp_gt_i32_e64 s1, 0, v35
	v_not_b32_e32 v35, v36
	v_lshlrev_b32_e32 v40, 26, v33
	v_cmp_ne_u32_e32 vcc_lo, 0, v38
	v_ashrrev_i32_e32 v83, 31, v83
	v_lshlrev_b32_e32 v82, 25, v33
	v_ashrrev_i32_e32 v35, 31, v35
	v_lshlrev_b32_e32 v38, 24, v33
	s_wait_alu 0xfffd
	v_xor_b32_e32 v34, vcc_lo, v34
	v_cmp_gt_i32_e32 vcc_lo, 0, v36
	v_not_b32_e32 v36, v37
	s_wait_alu 0xf1ff
	v_xor_b32_e32 v83, s1, v83
	v_cmp_gt_i32_e64 s1, 0, v37
	v_and_b32_e32 v34, exec_lo, v34
	v_not_b32_e32 v37, v39
	v_ashrrev_i32_e32 v36, 31, v36
	s_wait_alu 0xfffd
	v_xor_b32_e32 v35, vcc_lo, v35
	v_cmp_gt_i32_e32 vcc_lo, 0, v39
	v_and_b32_e32 v34, v34, v83
	v_not_b32_e32 v39, v40
	v_ashrrev_i32_e32 v37, 31, v37
	s_wait_alu 0xf1ff
	v_xor_b32_e32 v36, s1, v36
	v_cmp_gt_i32_e64 s1, 0, v40
	v_and_b32_e32 v34, v34, v35
	v_not_b32_e32 v35, v82
	v_ashrrev_i32_e32 v39, 31, v39
	s_wait_alu 0xfffd
	v_xor_b32_e32 v37, vcc_lo, v37
	v_cmp_gt_i32_e32 vcc_lo, 0, v82
	v_and_b32_e32 v34, v34, v36
	v_not_b32_e32 v36, v38
	v_ashrrev_i32_e32 v35, 31, v35
	s_wait_alu 0xf1ff
	v_xor_b32_e32 v39, s1, v39
	v_lshlrev_b32_e32 v33, 6, v33
	v_and_b32_e32 v34, v34, v37
	v_cmp_gt_i32_e64 s1, 0, v38
	v_ashrrev_i32_e32 v36, 31, v36
	s_wait_alu 0xfffd
	v_xor_b32_e32 v35, vcc_lo, v35
	v_add_nc_u32_e32 v96, v0, v33
	v_and_b32_e32 v34, v34, v39
	s_wait_alu 0xf1ff
	v_xor_b32_e32 v33, s1, v36
	ds_load_b32 v94, v96 offset:64
	v_and_b32_e32 v34, v34, v35
	; wave barrier
	s_delay_alu instid0(VALU_DEP_1) | instskip(NEXT) | instid1(VALU_DEP_1)
	v_and_b32_e32 v33, v34, v33
	v_mbcnt_lo_u32_b32 v95, v33, 0
	v_cmp_ne_u32_e64 s1, 0, v33
	s_delay_alu instid0(VALU_DEP_2)
	v_cmp_eq_u32_e32 vcc_lo, 0, v95
	s_and_b32 s10, s1, vcc_lo
	s_wait_alu 0xfffe
	s_and_saveexec_b32 s1, s10
	s_cbranch_execz .LBB250_42
; %bb.41:
	s_wait_dscnt 0x0
	v_bcnt_u32_b32 v33, v33, v94
	ds_store_b32 v96, v33 offset:64
.LBB250_42:
	s_wait_alu 0xfffe
	s_or_b32 exec_lo, exec_lo, s1
	v_cmp_ne_u16_e32 vcc_lo, 0x7fff, v78
	; wave barrier
	s_wait_alu 0xfffd
	v_cndmask_b32_e32 v33, 0xffff8000, v78, vcc_lo
	s_delay_alu instid0(VALU_DEP_1) | instskip(NEXT) | instid1(VALU_DEP_1)
	v_and_b32_e32 v33, 0xffff, v33
	v_and_b32_e32 v33, s9, v33
	s_delay_alu instid0(VALU_DEP_1)
	v_and_b32_e32 v34, 1, v33
	v_lshlrev_b32_e32 v35, 30, v33
	v_lshlrev_b32_e32 v36, 29, v33
	;; [unrolled: 1-line block ×4, first 2 shown]
	v_add_co_u32 v34, s1, v34, -1
	s_wait_alu 0xf1ff
	v_cndmask_b32_e64 v38, 0, 1, s1
	v_not_b32_e32 v83, v35
	v_cmp_gt_i32_e64 s1, 0, v35
	v_not_b32_e32 v35, v36
	v_lshlrev_b32_e32 v40, 26, v33
	v_cmp_ne_u32_e32 vcc_lo, 0, v38
	v_ashrrev_i32_e32 v83, 31, v83
	v_lshlrev_b32_e32 v82, 25, v33
	v_ashrrev_i32_e32 v35, 31, v35
	v_lshlrev_b32_e32 v38, 24, v33
	s_wait_alu 0xfffd
	v_xor_b32_e32 v34, vcc_lo, v34
	v_cmp_gt_i32_e32 vcc_lo, 0, v36
	v_not_b32_e32 v36, v37
	s_wait_alu 0xf1ff
	v_xor_b32_e32 v83, s1, v83
	v_cmp_gt_i32_e64 s1, 0, v37
	v_and_b32_e32 v34, exec_lo, v34
	v_not_b32_e32 v37, v39
	v_ashrrev_i32_e32 v36, 31, v36
	s_wait_alu 0xfffd
	v_xor_b32_e32 v35, vcc_lo, v35
	v_cmp_gt_i32_e32 vcc_lo, 0, v39
	v_and_b32_e32 v34, v34, v83
	v_not_b32_e32 v39, v40
	v_ashrrev_i32_e32 v37, 31, v37
	s_wait_alu 0xf1ff
	v_xor_b32_e32 v36, s1, v36
	v_cmp_gt_i32_e64 s1, 0, v40
	v_and_b32_e32 v34, v34, v35
	v_not_b32_e32 v35, v82
	v_ashrrev_i32_e32 v39, 31, v39
	s_wait_alu 0xfffd
	v_xor_b32_e32 v37, vcc_lo, v37
	v_cmp_gt_i32_e32 vcc_lo, 0, v82
	v_and_b32_e32 v34, v34, v36
	v_not_b32_e32 v36, v38
	v_ashrrev_i32_e32 v35, 31, v35
	s_wait_alu 0xf1ff
	v_xor_b32_e32 v39, s1, v39
	v_lshlrev_b32_e32 v33, 6, v33
	v_and_b32_e32 v34, v34, v37
	v_cmp_gt_i32_e64 s1, 0, v38
	v_ashrrev_i32_e32 v36, 31, v36
	s_wait_alu 0xfffd
	v_xor_b32_e32 v35, vcc_lo, v35
	v_add_nc_u32_e32 v99, v0, v33
	v_and_b32_e32 v34, v34, v39
	s_wait_alu 0xf1ff
	v_xor_b32_e32 v33, s1, v36
	ds_load_b32 v97, v99 offset:64
	v_and_b32_e32 v34, v34, v35
	; wave barrier
	s_delay_alu instid0(VALU_DEP_1) | instskip(NEXT) | instid1(VALU_DEP_1)
	v_and_b32_e32 v33, v34, v33
	v_mbcnt_lo_u32_b32 v98, v33, 0
	v_cmp_ne_u32_e64 s1, 0, v33
	s_delay_alu instid0(VALU_DEP_2)
	v_cmp_eq_u32_e32 vcc_lo, 0, v98
	s_and_b32 s10, s1, vcc_lo
	s_wait_alu 0xfffe
	s_and_saveexec_b32 s1, s10
	s_cbranch_execz .LBB250_44
; %bb.43:
	s_wait_dscnt 0x0
	v_bcnt_u32_b32 v33, v33, v97
	ds_store_b32 v99, v33 offset:64
.LBB250_44:
	s_wait_alu 0xfffe
	s_or_b32 exec_lo, exec_lo, s1
	v_cmp_ne_u16_e32 vcc_lo, 0x7fff, v79
	; wave barrier
	s_wait_alu 0xfffd
	v_cndmask_b32_e32 v33, 0xffff8000, v79, vcc_lo
	s_delay_alu instid0(VALU_DEP_1) | instskip(NEXT) | instid1(VALU_DEP_1)
	v_and_b32_e32 v33, 0xffff, v33
	v_and_b32_e32 v33, s9, v33
	s_delay_alu instid0(VALU_DEP_1)
	v_and_b32_e32 v34, 1, v33
	v_lshlrev_b32_e32 v35, 30, v33
	v_lshlrev_b32_e32 v36, 29, v33
	;; [unrolled: 1-line block ×4, first 2 shown]
	v_add_co_u32 v34, s1, v34, -1
	s_wait_alu 0xf1ff
	v_cndmask_b32_e64 v38, 0, 1, s1
	v_not_b32_e32 v83, v35
	v_cmp_gt_i32_e64 s1, 0, v35
	v_not_b32_e32 v35, v36
	v_lshlrev_b32_e32 v40, 26, v33
	v_cmp_ne_u32_e32 vcc_lo, 0, v38
	v_ashrrev_i32_e32 v83, 31, v83
	v_lshlrev_b32_e32 v82, 25, v33
	v_ashrrev_i32_e32 v35, 31, v35
	v_lshlrev_b32_e32 v38, 24, v33
	s_wait_alu 0xfffd
	v_xor_b32_e32 v34, vcc_lo, v34
	v_cmp_gt_i32_e32 vcc_lo, 0, v36
	v_not_b32_e32 v36, v37
	s_wait_alu 0xf1ff
	v_xor_b32_e32 v83, s1, v83
	v_cmp_gt_i32_e64 s1, 0, v37
	v_and_b32_e32 v34, exec_lo, v34
	v_not_b32_e32 v37, v39
	v_ashrrev_i32_e32 v36, 31, v36
	s_wait_alu 0xfffd
	v_xor_b32_e32 v35, vcc_lo, v35
	v_cmp_gt_i32_e32 vcc_lo, 0, v39
	v_and_b32_e32 v34, v34, v83
	v_not_b32_e32 v39, v40
	v_ashrrev_i32_e32 v37, 31, v37
	s_wait_alu 0xf1ff
	v_xor_b32_e32 v36, s1, v36
	v_cmp_gt_i32_e64 s1, 0, v40
	v_and_b32_e32 v34, v34, v35
	v_not_b32_e32 v35, v82
	v_ashrrev_i32_e32 v39, 31, v39
	s_wait_alu 0xfffd
	v_xor_b32_e32 v37, vcc_lo, v37
	v_cmp_gt_i32_e32 vcc_lo, 0, v82
	v_and_b32_e32 v34, v34, v36
	v_not_b32_e32 v36, v38
	v_ashrrev_i32_e32 v35, 31, v35
	s_wait_alu 0xf1ff
	v_xor_b32_e32 v39, s1, v39
	v_lshlrev_b32_e32 v33, 6, v33
	v_and_b32_e32 v34, v34, v37
	v_cmp_gt_i32_e64 s1, 0, v38
	v_ashrrev_i32_e32 v36, 31, v36
	s_wait_alu 0xfffd
	v_xor_b32_e32 v35, vcc_lo, v35
	v_add_nc_u32_e32 v102, v0, v33
	v_and_b32_e32 v34, v34, v39
	s_wait_alu 0xf1ff
	v_xor_b32_e32 v33, s1, v36
	ds_load_b32 v100, v102 offset:64
	v_and_b32_e32 v34, v34, v35
	; wave barrier
	s_delay_alu instid0(VALU_DEP_1) | instskip(NEXT) | instid1(VALU_DEP_1)
	v_and_b32_e32 v33, v34, v33
	v_mbcnt_lo_u32_b32 v101, v33, 0
	v_cmp_ne_u32_e64 s1, 0, v33
	s_delay_alu instid0(VALU_DEP_2)
	v_cmp_eq_u32_e32 vcc_lo, 0, v101
	s_and_b32 s10, s1, vcc_lo
	s_wait_alu 0xfffe
	s_and_saveexec_b32 s1, s10
	s_cbranch_execz .LBB250_46
; %bb.45:
	s_wait_dscnt 0x0
	v_bcnt_u32_b32 v33, v33, v100
	ds_store_b32 v102, v33 offset:64
.LBB250_46:
	s_wait_alu 0xfffe
	s_or_b32 exec_lo, exec_lo, s1
	v_cmp_ne_u16_e32 vcc_lo, 0x7fff, v80
	; wave barrier
	s_wait_alu 0xfffd
	v_cndmask_b32_e32 v33, 0xffff8000, v80, vcc_lo
	s_delay_alu instid0(VALU_DEP_1) | instskip(NEXT) | instid1(VALU_DEP_1)
	v_and_b32_e32 v33, 0xffff, v33
	v_and_b32_e32 v33, s9, v33
	s_delay_alu instid0(VALU_DEP_1)
	v_and_b32_e32 v34, 1, v33
	v_lshlrev_b32_e32 v35, 30, v33
	v_lshlrev_b32_e32 v36, 29, v33
	;; [unrolled: 1-line block ×4, first 2 shown]
	v_add_co_u32 v34, s1, v34, -1
	s_wait_alu 0xf1ff
	v_cndmask_b32_e64 v38, 0, 1, s1
	v_not_b32_e32 v83, v35
	v_cmp_gt_i32_e64 s1, 0, v35
	v_not_b32_e32 v35, v36
	v_lshlrev_b32_e32 v40, 26, v33
	v_cmp_ne_u32_e32 vcc_lo, 0, v38
	v_ashrrev_i32_e32 v83, 31, v83
	v_lshlrev_b32_e32 v82, 25, v33
	v_ashrrev_i32_e32 v35, 31, v35
	v_lshlrev_b32_e32 v38, 24, v33
	s_wait_alu 0xfffd
	v_xor_b32_e32 v34, vcc_lo, v34
	v_cmp_gt_i32_e32 vcc_lo, 0, v36
	v_not_b32_e32 v36, v37
	s_wait_alu 0xf1ff
	v_xor_b32_e32 v83, s1, v83
	v_cmp_gt_i32_e64 s1, 0, v37
	v_and_b32_e32 v34, exec_lo, v34
	v_not_b32_e32 v37, v39
	v_ashrrev_i32_e32 v36, 31, v36
	s_wait_alu 0xfffd
	v_xor_b32_e32 v35, vcc_lo, v35
	v_cmp_gt_i32_e32 vcc_lo, 0, v39
	v_and_b32_e32 v34, v34, v83
	v_not_b32_e32 v39, v40
	v_ashrrev_i32_e32 v37, 31, v37
	s_wait_alu 0xf1ff
	v_xor_b32_e32 v36, s1, v36
	v_cmp_gt_i32_e64 s1, 0, v40
	v_and_b32_e32 v34, v34, v35
	v_not_b32_e32 v35, v82
	v_ashrrev_i32_e32 v39, 31, v39
	s_wait_alu 0xfffd
	v_xor_b32_e32 v37, vcc_lo, v37
	v_cmp_gt_i32_e32 vcc_lo, 0, v82
	v_and_b32_e32 v34, v34, v36
	v_not_b32_e32 v36, v38
	v_ashrrev_i32_e32 v35, 31, v35
	s_wait_alu 0xf1ff
	v_xor_b32_e32 v39, s1, v39
	v_lshlrev_b32_e32 v33, 6, v33
	v_and_b32_e32 v34, v34, v37
	v_cmp_gt_i32_e64 s1, 0, v38
	v_ashrrev_i32_e32 v36, 31, v36
	s_wait_alu 0xfffd
	v_xor_b32_e32 v35, vcc_lo, v35
	v_add_nc_u32_e32 v105, v0, v33
	v_and_b32_e32 v34, v34, v39
	s_wait_alu 0xf1ff
	v_xor_b32_e32 v33, s1, v36
	ds_load_b32 v103, v105 offset:64
	v_and_b32_e32 v34, v34, v35
	; wave barrier
	s_delay_alu instid0(VALU_DEP_1) | instskip(NEXT) | instid1(VALU_DEP_1)
	v_and_b32_e32 v33, v34, v33
	v_mbcnt_lo_u32_b32 v104, v33, 0
	v_cmp_ne_u32_e64 s1, 0, v33
	s_delay_alu instid0(VALU_DEP_2)
	v_cmp_eq_u32_e32 vcc_lo, 0, v104
	s_and_b32 s10, s1, vcc_lo
	s_wait_alu 0xfffe
	s_and_saveexec_b32 s1, s10
	s_cbranch_execz .LBB250_48
; %bb.47:
	s_wait_dscnt 0x0
	v_bcnt_u32_b32 v33, v33, v103
	ds_store_b32 v105, v33 offset:64
.LBB250_48:
	s_wait_alu 0xfffe
	s_or_b32 exec_lo, exec_lo, s1
	v_cmp_ne_u16_e32 vcc_lo, 0x7fff, v81
	; wave barrier
	s_wait_alu 0xfffd
	v_cndmask_b32_e32 v33, 0xffff8000, v81, vcc_lo
	s_delay_alu instid0(VALU_DEP_1) | instskip(NEXT) | instid1(VALU_DEP_1)
	v_and_b32_e32 v33, 0xffff, v33
	v_and_b32_e32 v33, s9, v33
	s_delay_alu instid0(VALU_DEP_1)
	v_and_b32_e32 v34, 1, v33
	v_lshlrev_b32_e32 v35, 30, v33
	v_lshlrev_b32_e32 v36, 29, v33
	;; [unrolled: 1-line block ×4, first 2 shown]
	v_add_co_u32 v34, s1, v34, -1
	s_wait_alu 0xf1ff
	v_cndmask_b32_e64 v38, 0, 1, s1
	v_not_b32_e32 v83, v35
	v_cmp_gt_i32_e64 s1, 0, v35
	v_not_b32_e32 v35, v36
	v_lshlrev_b32_e32 v40, 26, v33
	v_cmp_ne_u32_e32 vcc_lo, 0, v38
	v_ashrrev_i32_e32 v83, 31, v83
	v_lshlrev_b32_e32 v82, 25, v33
	v_ashrrev_i32_e32 v35, 31, v35
	v_lshlrev_b32_e32 v38, 24, v33
	s_wait_alu 0xfffd
	v_xor_b32_e32 v34, vcc_lo, v34
	v_cmp_gt_i32_e32 vcc_lo, 0, v36
	v_not_b32_e32 v36, v37
	s_wait_alu 0xf1ff
	v_xor_b32_e32 v83, s1, v83
	v_cmp_gt_i32_e64 s1, 0, v37
	v_and_b32_e32 v34, exec_lo, v34
	v_not_b32_e32 v37, v39
	v_ashrrev_i32_e32 v36, 31, v36
	s_wait_alu 0xfffd
	v_xor_b32_e32 v35, vcc_lo, v35
	v_cmp_gt_i32_e32 vcc_lo, 0, v39
	v_and_b32_e32 v34, v34, v83
	v_not_b32_e32 v39, v40
	v_ashrrev_i32_e32 v37, 31, v37
	s_wait_alu 0xf1ff
	v_xor_b32_e32 v36, s1, v36
	v_cmp_gt_i32_e64 s1, 0, v40
	v_and_b32_e32 v34, v34, v35
	v_not_b32_e32 v35, v82
	v_ashrrev_i32_e32 v39, 31, v39
	s_wait_alu 0xfffd
	v_xor_b32_e32 v37, vcc_lo, v37
	v_cmp_gt_i32_e32 vcc_lo, 0, v82
	v_and_b32_e32 v34, v34, v36
	v_not_b32_e32 v36, v38
	v_ashrrev_i32_e32 v35, 31, v35
	s_wait_alu 0xf1ff
	v_xor_b32_e32 v39, s1, v39
	v_lshlrev_b32_e32 v33, 6, v33
	v_and_b32_e32 v34, v34, v37
	v_cmp_gt_i32_e64 s1, 0, v38
	v_ashrrev_i32_e32 v36, 31, v36
	s_wait_alu 0xfffd
	v_xor_b32_e32 v35, vcc_lo, v35
	v_add_nc_u32_e32 v108, v0, v33
	v_and_b32_e32 v34, v34, v39
	v_min_u32_e32 v82, 0x1e0, v70
	s_wait_alu 0xf1ff
	v_xor_b32_e32 v33, s1, v36
	ds_load_b32 v106, v108 offset:64
	v_and_b32_e32 v34, v34, v35
	; wave barrier
	s_delay_alu instid0(VALU_DEP_1) | instskip(NEXT) | instid1(VALU_DEP_1)
	v_and_b32_e32 v33, v34, v33
	v_mbcnt_lo_u32_b32 v107, v33, 0
	v_cmp_ne_u32_e64 s1, 0, v33
	s_delay_alu instid0(VALU_DEP_2)
	v_cmp_eq_u32_e32 vcc_lo, 0, v107
	s_and_b32 s9, s1, vcc_lo
	s_wait_alu 0xfffe
	s_and_saveexec_b32 s1, s9
	s_cbranch_execz .LBB250_50
; %bb.49:
	s_wait_dscnt 0x0
	v_bcnt_u32_b32 v33, v33, v106
	ds_store_b32 v108, v33 offset:64
.LBB250_50:
	s_wait_alu 0xfffe
	s_or_b32 exec_lo, exec_lo, s1
	; wave barrier
	s_wait_loadcnt_dscnt 0x0
	s_barrier_signal -1
	s_barrier_wait -1
	global_inv scope:SCOPE_SE
	ds_load_b128 v[37:40], v67 offset:64
	ds_load_b128 v[33:36], v67 offset:80
	v_and_b32_e32 v109, 16, v69
	v_or_b32_e32 v82, 31, v82
	s_delay_alu instid0(VALU_DEP_2) | instskip(NEXT) | instid1(VALU_DEP_2)
	v_cmp_eq_u32_e64 s15, 0, v109
	v_cmp_eq_u32_e64 s13, v46, v82
	s_wait_dscnt 0x1
	v_add_nc_u32_e32 v83, v38, v37
	s_delay_alu instid0(VALU_DEP_1) | instskip(SKIP_1) | instid1(VALU_DEP_1)
	v_add3_u32 v83, v83, v39, v40
	s_wait_dscnt 0x0
	v_add3_u32 v83, v83, v33, v34
	s_delay_alu instid0(VALU_DEP_1) | instskip(SKIP_1) | instid1(VALU_DEP_2)
	v_add3_u32 v36, v83, v35, v36
	v_and_b32_e32 v83, 15, v69
	v_mov_b32_dpp v85, v36 row_shr:1 row_mask:0xf bank_mask:0xf
	s_delay_alu instid0(VALU_DEP_2)
	v_cmp_eq_u32_e32 vcc_lo, 0, v83
	v_cmp_lt_u32_e64 s1, 1, v83
	v_cmp_lt_u32_e64 s9, 3, v83
	v_cmp_lt_u32_e64 s10, 7, v83
	s_wait_alu 0xfffd
	v_cndmask_b32_e64 v85, v85, 0, vcc_lo
	s_delay_alu instid0(VALU_DEP_1) | instskip(NEXT) | instid1(VALU_DEP_1)
	v_add_nc_u32_e32 v36, v85, v36
	v_mov_b32_dpp v85, v36 row_shr:2 row_mask:0xf bank_mask:0xf
	s_wait_alu 0xf1ff
	s_delay_alu instid0(VALU_DEP_1) | instskip(NEXT) | instid1(VALU_DEP_1)
	v_cndmask_b32_e64 v85, 0, v85, s1
	v_add_nc_u32_e32 v36, v36, v85
	s_delay_alu instid0(VALU_DEP_1) | instskip(NEXT) | instid1(VALU_DEP_1)
	v_mov_b32_dpp v85, v36 row_shr:4 row_mask:0xf bank_mask:0xf
	v_cndmask_b32_e64 v85, 0, v85, s9
	s_delay_alu instid0(VALU_DEP_1) | instskip(NEXT) | instid1(VALU_DEP_1)
	v_add_nc_u32_e32 v36, v36, v85
	v_mov_b32_dpp v85, v36 row_shr:8 row_mask:0xf bank_mask:0xf
	s_delay_alu instid0(VALU_DEP_1) | instskip(NEXT) | instid1(VALU_DEP_1)
	v_cndmask_b32_e64 v83, 0, v85, s10
	v_add_nc_u32_e32 v85, v36, v83
	v_bfe_i32 v83, v69, 4, 1
	ds_swizzle_b32 v36, v85 offset:swizzle(BROADCAST,32,15)
	s_wait_dscnt 0x0
	v_and_b32_e32 v110, v83, v36
	v_mul_i32_i24_e32 v36, 0xffffffe4, v46
	v_lshlrev_b32_e32 v83, 2, v68
	s_delay_alu instid0(VALU_DEP_3)
	v_add_nc_u32_e32 v85, v85, v110
	s_and_saveexec_b32 s11, s13
; %bb.51:
	ds_store_b32 v83, v85
; %bb.52:
	s_wait_alu 0xfffe
	s_or_b32 exec_lo, exec_lo, s11
	v_cmp_gt_u32_e64 s12, 16, v46
	v_add_nc_u32_e32 v82, v67, v36
	s_wait_loadcnt_dscnt 0x0
	s_barrier_signal -1
	s_barrier_wait -1
	global_inv scope:SCOPE_SE
	s_and_saveexec_b32 s11, s12
	s_cbranch_execz .LBB250_54
; %bb.53:
	ds_load_b32 v36, v82
	s_wait_dscnt 0x0
	v_mov_b32_dpp v109, v36 row_shr:1 row_mask:0xf bank_mask:0xf
	s_delay_alu instid0(VALU_DEP_1) | instskip(NEXT) | instid1(VALU_DEP_1)
	v_cndmask_b32_e64 v109, v109, 0, vcc_lo
	v_add_nc_u32_e32 v36, v109, v36
	s_delay_alu instid0(VALU_DEP_1) | instskip(NEXT) | instid1(VALU_DEP_1)
	v_mov_b32_dpp v109, v36 row_shr:2 row_mask:0xf bank_mask:0xf
	v_cndmask_b32_e64 v109, 0, v109, s1
	s_delay_alu instid0(VALU_DEP_1) | instskip(NEXT) | instid1(VALU_DEP_1)
	v_add_nc_u32_e32 v36, v36, v109
	v_mov_b32_dpp v109, v36 row_shr:4 row_mask:0xf bank_mask:0xf
	s_delay_alu instid0(VALU_DEP_1) | instskip(NEXT) | instid1(VALU_DEP_1)
	v_cndmask_b32_e64 v109, 0, v109, s9
	v_add_nc_u32_e32 v36, v36, v109
	s_delay_alu instid0(VALU_DEP_1) | instskip(NEXT) | instid1(VALU_DEP_1)
	v_mov_b32_dpp v109, v36 row_shr:8 row_mask:0xf bank_mask:0xf
	v_cndmask_b32_e64 v109, 0, v109, s10
	s_delay_alu instid0(VALU_DEP_1)
	v_add_nc_u32_e32 v36, v36, v109
	ds_store_b32 v82, v36
.LBB250_54:
	s_wait_alu 0xfffe
	s_or_b32 exec_lo, exec_lo, s11
	v_mul_u32_u24_e32 v36, 6, v84
	v_sub_co_u32 v109, s11, v69, 1
	v_cmp_lt_u32_e64 s14, 31, v46
	v_add_nc_u32_e32 v84, -4, v83
	v_mov_b32_e32 v110, 0
	s_wait_loadcnt_dscnt 0x0
	s_barrier_signal -1
	s_barrier_wait -1
	global_inv scope:SCOPE_SE
	s_and_saveexec_b32 s16, s14
; %bb.55:
	ds_load_b32 v110, v84
; %bb.56:
	s_or_b32 exec_lo, exec_lo, s16
	v_cmp_gt_i32_e64 s16, 0, v109
	s_mov_b32 s20, 0
	s_min_u32 s17, s17, 8
	s_mov_b32 s21, s20
	s_mov_b32 s22, s20
	v_cndmask_b32_e64 v109, v109, v69, s16
	s_mov_b32 s23, s20
	s_wait_dscnt 0x0
	v_add_nc_u32_e32 v111, v110, v85
	v_cmp_eq_u32_e64 s16, 0, v46
	s_lshl_b32 s17, -1, s17
	v_lshlrev_b32_e32 v85, 2, v109
	s_wait_alu 0xfffe
	s_not_b32 s19, s17
	ds_bpermute_b32 v109, v85, v111
	s_wait_dscnt 0x0
	v_cndmask_b32_e64 v109, v109, v110, s11
	s_delay_alu instid0(VALU_DEP_1) | instskip(NEXT) | instid1(VALU_DEP_1)
	v_cndmask_b32_e64 v109, v109, 0, s16
	v_add_nc_u32_e32 v110, v109, v37
	s_delay_alu instid0(VALU_DEP_1) | instskip(NEXT) | instid1(VALU_DEP_1)
	v_add_nc_u32_e32 v111, v110, v38
	v_add_nc_u32_e32 v112, v111, v39
	s_delay_alu instid0(VALU_DEP_1) | instskip(NEXT) | instid1(VALU_DEP_1)
	v_add_nc_u32_e32 v37, v112, v40
	;; [unrolled: 3-line block ×3, first 2 shown]
	v_add_nc_u32_e32 v40, v39, v35
	ds_store_b128 v67, v[109:112] offset:64
	ds_store_b128 v67, v[37:40] offset:80
	s_wait_loadcnt_dscnt 0x0
	s_barrier_signal -1
	s_barrier_wait -1
	global_inv scope:SCOPE_SE
	ds_load_b32 v33, v87 offset:64
	ds_load_b32 v34, v90 offset:64
	;; [unrolled: 1-line block ×8, first 2 shown]
	v_add_nc_u32_e32 v90, v73, v36
	s_wait_loadcnt_dscnt 0x0
	s_barrier_signal -1
	s_barrier_wait -1
	global_inv scope:SCOPE_SE
	v_add_nc_u32_e32 v86, v33, v86
	v_add3_u32 v88, v89, v88, v34
	v_add3_u32 v89, v92, v91, v35
	;; [unrolled: 1-line block ×7, first 2 shown]
	v_lshlrev_b32_e32 v33, 1, v86
	v_lshlrev_b32_e32 v34, 1, v88
	;; [unrolled: 1-line block ×8, first 2 shown]
	ds_store_b16 v33, v74
	ds_store_b16 v34, v75
	;; [unrolled: 1-line block ×8, first 2 shown]
	s_wait_loadcnt_dscnt 0x0
	s_barrier_signal -1
	s_barrier_wait -1
	global_inv scope:SCOPE_SE
	ds_load_u16 v74, v73
	ds_load_u16 v75, v73 offset:64
	ds_load_u16 v76, v73 offset:128
	;; [unrolled: 1-line block ×7, first 2 shown]
	v_mad_co_u64_u32 v[86:87], null, v86, 6, v[33:34]
	v_mad_co_u64_u32 v[33:34], null, v88, 6, v[34:35]
	;; [unrolled: 1-line block ×3, first 2 shown]
	s_wait_loadcnt_dscnt 0x0
	s_barrier_signal -1
	s_barrier_wait -1
	global_inv scope:SCOPE_SE
	v_mad_co_u64_u32 v[35:36], null, v91, 6, v[36:37]
	v_lshrrev_b16 v81, 8, v74
	v_cmp_ne_u16_e64 s17, 0x7fff, v74
	ds_store_b64 v86, v[17:18]
	v_mad_co_u64_u32 v[36:37], null, v92, 6, v[37:38]
	v_mad_co_u64_u32 v[37:38], null, v93, 6, v[38:39]
	s_wait_alu 0xf1ff
	v_cndmask_b32_e64 v81, 0x80, v81, s17
	v_mad_co_u64_u32 v[38:39], null, v94, 6, v[39:40]
	v_mad_co_u64_u32 v[39:40], null, v95, 6, v[40:41]
	s_delay_alu instid0(VALU_DEP_3)
	v_and_b32_e32 v17, 0xffff, v81
	ds_store_b64 v33, v[19:20]
	ds_store_b64 v34, v[25:26]
	ds_store_b64 v35, v[27:28]
	ds_store_b64 v36, v[21:22]
	ds_store_b64 v37, v[23:24]
	ds_store_b64 v38, v[29:30]
	ds_store_b64 v39, v[31:32]
	v_and_b32_e32 v40, s19, v17
	s_wait_loadcnt_dscnt 0x0
	s_barrier_signal -1
	s_barrier_wait -1
	global_inv scope:SCOPE_SE
	v_and_b32_e32 v17, 1, v40
	v_lshlrev_b32_e32 v18, 30, v40
	v_lshlrev_b32_e32 v19, 29, v40
	;; [unrolled: 1-line block ×4, first 2 shown]
	v_add_co_u32 v17, s17, v17, -1
	s_wait_alu 0xf1ff
	v_cndmask_b32_e64 v21, 0, 1, s17
	v_not_b32_e32 v25, v18
	v_cmp_gt_i32_e64 s18, 0, v18
	v_not_b32_e32 v18, v19
	v_lshlrev_b32_e32 v23, 26, v40
	v_cmp_ne_u32_e64 s17, 0, v21
	v_ashrrev_i32_e32 v25, 31, v25
	v_lshlrev_b32_e32 v24, 25, v40
	v_ashrrev_i32_e32 v18, 31, v18
	v_lshlrev_b32_e32 v21, 24, v40
	s_wait_alu 0xf1ff
	v_xor_b32_e32 v17, s17, v17
	v_cmp_gt_i32_e64 s17, 0, v19
	v_not_b32_e32 v19, v20
	v_xor_b32_e32 v25, s18, v25
	v_cmp_gt_i32_e64 s18, 0, v20
	v_and_b32_e32 v17, exec_lo, v17
	v_not_b32_e32 v20, v22
	v_ashrrev_i32_e32 v19, 31, v19
	s_wait_alu 0xf1ff
	v_xor_b32_e32 v18, s17, v18
	v_cmp_gt_i32_e64 s17, 0, v22
	v_and_b32_e32 v17, v17, v25
	v_not_b32_e32 v22, v23
	v_ashrrev_i32_e32 v20, 31, v20
	v_xor_b32_e32 v19, s18, v19
	v_cmp_gt_i32_e64 s18, 0, v23
	v_and_b32_e32 v17, v17, v18
	v_not_b32_e32 v18, v24
	v_ashrrev_i32_e32 v22, 31, v22
	s_wait_alu 0xf1ff
	v_xor_b32_e32 v20, s17, v20
	v_cmp_gt_i32_e64 s17, 0, v24
	v_and_b32_e32 v17, v17, v19
	v_not_b32_e32 v19, v21
	v_ashrrev_i32_e32 v18, 31, v18
	v_xor_b32_e32 v22, s18, v22
	v_cmp_gt_i32_e64 s18, 0, v21
	v_and_b32_e32 v17, v17, v20
	v_ashrrev_i32_e32 v19, 31, v19
	s_wait_alu 0xf1ff
	v_xor_b32_e32 v18, s17, v18
	v_dual_mov_b32 v37, s23 :: v_dual_mov_b32 v36, s22
	v_and_b32_e32 v17, v17, v22
	v_xor_b32_e32 v33, s18, v19
	ds_load_2addr_b64 v[21:24], v90 offset1:32
	v_dual_mov_b32 v35, s21 :: v_dual_mov_b32 v34, s20
	v_and_b32_e32 v38, v17, v18
	ds_load_2addr_b64 v[29:32], v90 offset0:64 offset1:96
	ds_load_2addr_b64 v[25:28], v90 offset0:128 offset1:160
	;; [unrolled: 1-line block ×3, first 2 shown]
	v_lshl_add_u32 v86, v40, 6, v0
	s_wait_loadcnt_dscnt 0x0
	s_barrier_signal -1
	v_and_b32_e32 v33, v38, v33
	s_barrier_wait -1
	global_inv scope:SCOPE_SE
	ds_store_b128 v67, v[34:37] offset:64
	ds_store_b128 v67, v[34:37] offset:80
	s_wait_loadcnt_dscnt 0x0
	v_mbcnt_lo_u32_b32 v81, v33, 0
	v_cmp_ne_u32_e64 s18, 0, v33
	s_barrier_signal -1
	s_barrier_wait -1
	global_inv scope:SCOPE_SE
	v_cmp_eq_u32_e64 s17, 0, v81
	; wave barrier
	s_and_b32 s18, s18, s17
	s_wait_alu 0xfffe
	s_and_saveexec_b32 s17, s18
; %bb.57:
	v_bcnt_u32_b32 v33, v33, 0
	ds_store_b32 v86, v33 offset:64
; %bb.58:
	s_wait_alu 0xfffe
	s_or_b32 exec_lo, exec_lo, s17
	v_lshrrev_b16 v33, 8, v75
	v_cmp_ne_u16_e64 s17, 0x7fff, v75
	; wave barrier
	s_wait_alu 0xf1ff
	s_delay_alu instid0(VALU_DEP_1) | instskip(NEXT) | instid1(VALU_DEP_1)
	v_cndmask_b32_e64 v33, 0x80, v33, s17
	v_and_b32_e32 v33, s19, v33
	s_delay_alu instid0(VALU_DEP_1)
	v_and_b32_e32 v34, 1, v33
	v_lshlrev_b32_e32 v35, 30, v33
	v_lshlrev_b32_e32 v36, 29, v33
	;; [unrolled: 1-line block ×4, first 2 shown]
	v_add_co_u32 v34, s17, v34, -1
	s_wait_alu 0xf1ff
	v_cndmask_b32_e64 v38, 0, 1, s17
	v_not_b32_e32 v88, v35
	v_cmp_gt_i32_e64 s18, 0, v35
	v_not_b32_e32 v35, v36
	v_lshlrev_b32_e32 v40, 26, v33
	v_cmp_ne_u32_e64 s17, 0, v38
	v_ashrrev_i32_e32 v88, 31, v88
	v_lshlrev_b32_e32 v87, 25, v33
	v_ashrrev_i32_e32 v35, 31, v35
	v_lshlrev_b32_e32 v38, 24, v33
	s_wait_alu 0xf1ff
	v_xor_b32_e32 v34, s17, v34
	v_cmp_gt_i32_e64 s17, 0, v36
	v_not_b32_e32 v36, v37
	v_xor_b32_e32 v88, s18, v88
	v_cmp_gt_i32_e64 s18, 0, v37
	v_and_b32_e32 v34, exec_lo, v34
	v_not_b32_e32 v37, v39
	v_ashrrev_i32_e32 v36, 31, v36
	s_wait_alu 0xf1ff
	v_xor_b32_e32 v35, s17, v35
	v_cmp_gt_i32_e64 s17, 0, v39
	v_and_b32_e32 v34, v34, v88
	v_not_b32_e32 v39, v40
	v_ashrrev_i32_e32 v37, 31, v37
	v_xor_b32_e32 v36, s18, v36
	v_cmp_gt_i32_e64 s18, 0, v40
	v_and_b32_e32 v34, v34, v35
	v_not_b32_e32 v35, v87
	v_ashrrev_i32_e32 v39, 31, v39
	s_wait_alu 0xf1ff
	v_xor_b32_e32 v37, s17, v37
	v_cmp_gt_i32_e64 s17, 0, v87
	v_and_b32_e32 v34, v34, v36
	v_not_b32_e32 v36, v38
	v_ashrrev_i32_e32 v35, 31, v35
	v_xor_b32_e32 v39, s18, v39
	v_cmp_gt_i32_e64 s18, 0, v38
	v_and_b32_e32 v34, v34, v37
	v_ashrrev_i32_e32 v36, 31, v36
	s_wait_alu 0xf1ff
	v_xor_b32_e32 v35, s17, v35
	v_lshl_add_u32 v89, v33, 6, v0
	v_and_b32_e32 v34, v34, v39
	v_xor_b32_e32 v33, s18, v36
	ds_load_b32 v87, v89 offset:64
	v_and_b32_e32 v34, v34, v35
	; wave barrier
	s_delay_alu instid0(VALU_DEP_1) | instskip(NEXT) | instid1(VALU_DEP_1)
	v_and_b32_e32 v33, v34, v33
	v_mbcnt_lo_u32_b32 v88, v33, 0
	v_cmp_ne_u32_e64 s18, 0, v33
	s_delay_alu instid0(VALU_DEP_2)
	v_cmp_eq_u32_e64 s17, 0, v88
	s_and_b32 s18, s18, s17
	s_wait_alu 0xfffe
	s_and_saveexec_b32 s17, s18
	s_cbranch_execz .LBB250_60
; %bb.59:
	s_wait_dscnt 0x0
	v_bcnt_u32_b32 v33, v33, v87
	ds_store_b32 v89, v33 offset:64
.LBB250_60:
	s_wait_alu 0xfffe
	s_or_b32 exec_lo, exec_lo, s17
	v_lshrrev_b16 v33, 8, v76
	v_cmp_ne_u16_e64 s17, 0x7fff, v76
	; wave barrier
	s_wait_alu 0xf1ff
	s_delay_alu instid0(VALU_DEP_1) | instskip(NEXT) | instid1(VALU_DEP_1)
	v_cndmask_b32_e64 v33, 0x80, v33, s17
	v_and_b32_e32 v33, s19, v33
	s_delay_alu instid0(VALU_DEP_1)
	v_and_b32_e32 v34, 1, v33
	v_lshlrev_b32_e32 v35, 30, v33
	v_lshlrev_b32_e32 v36, 29, v33
	;; [unrolled: 1-line block ×4, first 2 shown]
	v_add_co_u32 v34, s17, v34, -1
	s_wait_alu 0xf1ff
	v_cndmask_b32_e64 v38, 0, 1, s17
	v_not_b32_e32 v91, v35
	v_cmp_gt_i32_e64 s18, 0, v35
	v_not_b32_e32 v35, v36
	v_lshlrev_b32_e32 v40, 26, v33
	v_cmp_ne_u32_e64 s17, 0, v38
	v_ashrrev_i32_e32 v91, 31, v91
	v_lshlrev_b32_e32 v90, 25, v33
	v_ashrrev_i32_e32 v35, 31, v35
	v_lshlrev_b32_e32 v38, 24, v33
	s_wait_alu 0xf1ff
	v_xor_b32_e32 v34, s17, v34
	v_cmp_gt_i32_e64 s17, 0, v36
	v_not_b32_e32 v36, v37
	v_xor_b32_e32 v91, s18, v91
	v_cmp_gt_i32_e64 s18, 0, v37
	v_and_b32_e32 v34, exec_lo, v34
	v_not_b32_e32 v37, v39
	v_ashrrev_i32_e32 v36, 31, v36
	s_wait_alu 0xf1ff
	v_xor_b32_e32 v35, s17, v35
	v_cmp_gt_i32_e64 s17, 0, v39
	v_and_b32_e32 v34, v34, v91
	v_not_b32_e32 v39, v40
	v_ashrrev_i32_e32 v37, 31, v37
	v_xor_b32_e32 v36, s18, v36
	v_cmp_gt_i32_e64 s18, 0, v40
	v_and_b32_e32 v34, v34, v35
	v_not_b32_e32 v35, v90
	v_ashrrev_i32_e32 v39, 31, v39
	s_wait_alu 0xf1ff
	v_xor_b32_e32 v37, s17, v37
	v_cmp_gt_i32_e64 s17, 0, v90
	v_and_b32_e32 v34, v34, v36
	v_not_b32_e32 v36, v38
	v_ashrrev_i32_e32 v35, 31, v35
	v_xor_b32_e32 v39, s18, v39
	v_cmp_gt_i32_e64 s18, 0, v38
	v_and_b32_e32 v34, v34, v37
	v_ashrrev_i32_e32 v36, 31, v36
	s_wait_alu 0xf1ff
	v_xor_b32_e32 v35, s17, v35
	v_lshl_add_u32 v92, v33, 6, v0
	v_and_b32_e32 v34, v34, v39
	v_xor_b32_e32 v33, s18, v36
	ds_load_b32 v90, v92 offset:64
	v_and_b32_e32 v34, v34, v35
	; wave barrier
	s_delay_alu instid0(VALU_DEP_1) | instskip(NEXT) | instid1(VALU_DEP_1)
	v_and_b32_e32 v33, v34, v33
	v_mbcnt_lo_u32_b32 v91, v33, 0
	v_cmp_ne_u32_e64 s18, 0, v33
	s_delay_alu instid0(VALU_DEP_2)
	v_cmp_eq_u32_e64 s17, 0, v91
	s_and_b32 s18, s18, s17
	s_wait_alu 0xfffe
	s_and_saveexec_b32 s17, s18
	s_cbranch_execz .LBB250_62
; %bb.61:
	s_wait_dscnt 0x0
	v_bcnt_u32_b32 v33, v33, v90
	ds_store_b32 v92, v33 offset:64
.LBB250_62:
	s_wait_alu 0xfffe
	s_or_b32 exec_lo, exec_lo, s17
	v_lshrrev_b16 v33, 8, v77
	v_cmp_ne_u16_e64 s17, 0x7fff, v77
	; wave barrier
	s_wait_alu 0xf1ff
	s_delay_alu instid0(VALU_DEP_1) | instskip(NEXT) | instid1(VALU_DEP_1)
	v_cndmask_b32_e64 v33, 0x80, v33, s17
	v_and_b32_e32 v33, s19, v33
	s_delay_alu instid0(VALU_DEP_1)
	v_and_b32_e32 v34, 1, v33
	v_lshlrev_b32_e32 v35, 30, v33
	v_lshlrev_b32_e32 v36, 29, v33
	;; [unrolled: 1-line block ×4, first 2 shown]
	v_add_co_u32 v34, s17, v34, -1
	s_wait_alu 0xf1ff
	v_cndmask_b32_e64 v38, 0, 1, s17
	v_not_b32_e32 v94, v35
	v_cmp_gt_i32_e64 s18, 0, v35
	v_not_b32_e32 v35, v36
	v_lshlrev_b32_e32 v40, 26, v33
	v_cmp_ne_u32_e64 s17, 0, v38
	v_ashrrev_i32_e32 v94, 31, v94
	v_lshlrev_b32_e32 v93, 25, v33
	v_ashrrev_i32_e32 v35, 31, v35
	v_lshlrev_b32_e32 v38, 24, v33
	s_wait_alu 0xf1ff
	v_xor_b32_e32 v34, s17, v34
	v_cmp_gt_i32_e64 s17, 0, v36
	v_not_b32_e32 v36, v37
	v_xor_b32_e32 v94, s18, v94
	v_cmp_gt_i32_e64 s18, 0, v37
	v_and_b32_e32 v34, exec_lo, v34
	v_not_b32_e32 v37, v39
	v_ashrrev_i32_e32 v36, 31, v36
	s_wait_alu 0xf1ff
	v_xor_b32_e32 v35, s17, v35
	v_cmp_gt_i32_e64 s17, 0, v39
	v_and_b32_e32 v34, v34, v94
	v_not_b32_e32 v39, v40
	v_ashrrev_i32_e32 v37, 31, v37
	v_xor_b32_e32 v36, s18, v36
	v_cmp_gt_i32_e64 s18, 0, v40
	v_and_b32_e32 v34, v34, v35
	v_not_b32_e32 v35, v93
	v_ashrrev_i32_e32 v39, 31, v39
	s_wait_alu 0xf1ff
	v_xor_b32_e32 v37, s17, v37
	v_cmp_gt_i32_e64 s17, 0, v93
	v_and_b32_e32 v34, v34, v36
	v_not_b32_e32 v36, v38
	v_ashrrev_i32_e32 v35, 31, v35
	v_xor_b32_e32 v39, s18, v39
	v_cmp_gt_i32_e64 s18, 0, v38
	v_and_b32_e32 v34, v34, v37
	v_ashrrev_i32_e32 v36, 31, v36
	s_wait_alu 0xf1ff
	v_xor_b32_e32 v35, s17, v35
	v_lshl_add_u32 v95, v33, 6, v0
	v_and_b32_e32 v34, v34, v39
	v_xor_b32_e32 v33, s18, v36
	ds_load_b32 v93, v95 offset:64
	v_and_b32_e32 v34, v34, v35
	; wave barrier
	s_delay_alu instid0(VALU_DEP_1) | instskip(NEXT) | instid1(VALU_DEP_1)
	v_and_b32_e32 v33, v34, v33
	v_mbcnt_lo_u32_b32 v94, v33, 0
	v_cmp_ne_u32_e64 s18, 0, v33
	s_delay_alu instid0(VALU_DEP_2)
	v_cmp_eq_u32_e64 s17, 0, v94
	s_and_b32 s18, s18, s17
	s_wait_alu 0xfffe
	s_and_saveexec_b32 s17, s18
	s_cbranch_execz .LBB250_64
; %bb.63:
	s_wait_dscnt 0x0
	v_bcnt_u32_b32 v33, v33, v93
	ds_store_b32 v95, v33 offset:64
.LBB250_64:
	s_wait_alu 0xfffe
	s_or_b32 exec_lo, exec_lo, s17
	v_lshrrev_b16 v33, 8, v78
	v_cmp_ne_u16_e64 s17, 0x7fff, v78
	; wave barrier
	s_wait_alu 0xf1ff
	s_delay_alu instid0(VALU_DEP_1) | instskip(NEXT) | instid1(VALU_DEP_1)
	v_cndmask_b32_e64 v33, 0x80, v33, s17
	v_and_b32_e32 v33, s19, v33
	s_delay_alu instid0(VALU_DEP_1)
	v_and_b32_e32 v34, 1, v33
	v_lshlrev_b32_e32 v35, 30, v33
	v_lshlrev_b32_e32 v36, 29, v33
	v_lshlrev_b32_e32 v37, 28, v33
	v_lshlrev_b32_e32 v39, 27, v33
	v_add_co_u32 v34, s17, v34, -1
	s_wait_alu 0xf1ff
	v_cndmask_b32_e64 v38, 0, 1, s17
	v_not_b32_e32 v97, v35
	v_cmp_gt_i32_e64 s18, 0, v35
	v_not_b32_e32 v35, v36
	v_lshlrev_b32_e32 v40, 26, v33
	v_cmp_ne_u32_e64 s17, 0, v38
	v_ashrrev_i32_e32 v97, 31, v97
	v_lshlrev_b32_e32 v96, 25, v33
	v_ashrrev_i32_e32 v35, 31, v35
	v_lshlrev_b32_e32 v38, 24, v33
	s_wait_alu 0xf1ff
	v_xor_b32_e32 v34, s17, v34
	v_cmp_gt_i32_e64 s17, 0, v36
	v_not_b32_e32 v36, v37
	v_xor_b32_e32 v97, s18, v97
	v_cmp_gt_i32_e64 s18, 0, v37
	v_and_b32_e32 v34, exec_lo, v34
	v_not_b32_e32 v37, v39
	v_ashrrev_i32_e32 v36, 31, v36
	s_wait_alu 0xf1ff
	v_xor_b32_e32 v35, s17, v35
	v_cmp_gt_i32_e64 s17, 0, v39
	v_and_b32_e32 v34, v34, v97
	v_not_b32_e32 v39, v40
	v_ashrrev_i32_e32 v37, 31, v37
	v_xor_b32_e32 v36, s18, v36
	v_cmp_gt_i32_e64 s18, 0, v40
	v_and_b32_e32 v34, v34, v35
	v_not_b32_e32 v35, v96
	v_ashrrev_i32_e32 v39, 31, v39
	s_wait_alu 0xf1ff
	v_xor_b32_e32 v37, s17, v37
	v_cmp_gt_i32_e64 s17, 0, v96
	v_and_b32_e32 v34, v34, v36
	v_not_b32_e32 v36, v38
	v_ashrrev_i32_e32 v35, 31, v35
	v_xor_b32_e32 v39, s18, v39
	v_cmp_gt_i32_e64 s18, 0, v38
	v_and_b32_e32 v34, v34, v37
	v_ashrrev_i32_e32 v36, 31, v36
	s_wait_alu 0xf1ff
	v_xor_b32_e32 v35, s17, v35
	v_lshl_add_u32 v98, v33, 6, v0
	v_and_b32_e32 v34, v34, v39
	v_xor_b32_e32 v33, s18, v36
	ds_load_b32 v96, v98 offset:64
	v_and_b32_e32 v34, v34, v35
	; wave barrier
	s_delay_alu instid0(VALU_DEP_1) | instskip(NEXT) | instid1(VALU_DEP_1)
	v_and_b32_e32 v33, v34, v33
	v_mbcnt_lo_u32_b32 v97, v33, 0
	v_cmp_ne_u32_e64 s18, 0, v33
	s_delay_alu instid0(VALU_DEP_2)
	v_cmp_eq_u32_e64 s17, 0, v97
	s_and_b32 s18, s18, s17
	s_wait_alu 0xfffe
	s_and_saveexec_b32 s17, s18
	s_cbranch_execz .LBB250_66
; %bb.65:
	s_wait_dscnt 0x0
	v_bcnt_u32_b32 v33, v33, v96
	ds_store_b32 v98, v33 offset:64
.LBB250_66:
	s_wait_alu 0xfffe
	s_or_b32 exec_lo, exec_lo, s17
	v_lshrrev_b16 v33, 8, v79
	v_cmp_ne_u16_e64 s17, 0x7fff, v79
	; wave barrier
	s_wait_alu 0xf1ff
	s_delay_alu instid0(VALU_DEP_1) | instskip(NEXT) | instid1(VALU_DEP_1)
	v_cndmask_b32_e64 v33, 0x80, v33, s17
	v_and_b32_e32 v33, s19, v33
	s_delay_alu instid0(VALU_DEP_1)
	v_and_b32_e32 v34, 1, v33
	v_lshlrev_b32_e32 v35, 30, v33
	v_lshlrev_b32_e32 v36, 29, v33
	;; [unrolled: 1-line block ×4, first 2 shown]
	v_add_co_u32 v34, s17, v34, -1
	s_wait_alu 0xf1ff
	v_cndmask_b32_e64 v38, 0, 1, s17
	v_not_b32_e32 v100, v35
	v_cmp_gt_i32_e64 s18, 0, v35
	v_not_b32_e32 v35, v36
	v_lshlrev_b32_e32 v40, 26, v33
	v_cmp_ne_u32_e64 s17, 0, v38
	v_ashrrev_i32_e32 v100, 31, v100
	v_lshlrev_b32_e32 v99, 25, v33
	v_ashrrev_i32_e32 v35, 31, v35
	v_lshlrev_b32_e32 v38, 24, v33
	s_wait_alu 0xf1ff
	v_xor_b32_e32 v34, s17, v34
	v_cmp_gt_i32_e64 s17, 0, v36
	v_not_b32_e32 v36, v37
	v_xor_b32_e32 v100, s18, v100
	v_cmp_gt_i32_e64 s18, 0, v37
	v_and_b32_e32 v34, exec_lo, v34
	v_not_b32_e32 v37, v39
	v_ashrrev_i32_e32 v36, 31, v36
	s_wait_alu 0xf1ff
	v_xor_b32_e32 v35, s17, v35
	v_cmp_gt_i32_e64 s17, 0, v39
	v_and_b32_e32 v34, v34, v100
	v_not_b32_e32 v39, v40
	v_ashrrev_i32_e32 v37, 31, v37
	v_xor_b32_e32 v36, s18, v36
	v_cmp_gt_i32_e64 s18, 0, v40
	v_and_b32_e32 v34, v34, v35
	v_not_b32_e32 v35, v99
	v_ashrrev_i32_e32 v39, 31, v39
	s_wait_alu 0xf1ff
	v_xor_b32_e32 v37, s17, v37
	v_cmp_gt_i32_e64 s17, 0, v99
	v_and_b32_e32 v34, v34, v36
	v_not_b32_e32 v36, v38
	v_ashrrev_i32_e32 v35, 31, v35
	v_xor_b32_e32 v39, s18, v39
	v_cmp_gt_i32_e64 s18, 0, v38
	v_and_b32_e32 v34, v34, v37
	v_ashrrev_i32_e32 v36, 31, v36
	s_wait_alu 0xf1ff
	v_xor_b32_e32 v35, s17, v35
	v_lshl_add_u32 v101, v33, 6, v0
	v_and_b32_e32 v34, v34, v39
	v_xor_b32_e32 v33, s18, v36
	ds_load_b32 v99, v101 offset:64
	v_and_b32_e32 v34, v34, v35
	; wave barrier
	s_delay_alu instid0(VALU_DEP_1) | instskip(NEXT) | instid1(VALU_DEP_1)
	v_and_b32_e32 v33, v34, v33
	v_mbcnt_lo_u32_b32 v100, v33, 0
	v_cmp_ne_u32_e64 s18, 0, v33
	s_delay_alu instid0(VALU_DEP_2)
	v_cmp_eq_u32_e64 s17, 0, v100
	s_and_b32 s18, s18, s17
	s_wait_alu 0xfffe
	s_and_saveexec_b32 s17, s18
	s_cbranch_execz .LBB250_68
; %bb.67:
	s_wait_dscnt 0x0
	v_bcnt_u32_b32 v33, v33, v99
	ds_store_b32 v101, v33 offset:64
.LBB250_68:
	s_wait_alu 0xfffe
	s_or_b32 exec_lo, exec_lo, s17
	v_lshrrev_b16 v33, 8, v80
	v_cmp_ne_u16_e64 s17, 0x7fff, v80
	; wave barrier
	s_wait_alu 0xf1ff
	s_delay_alu instid0(VALU_DEP_1) | instskip(NEXT) | instid1(VALU_DEP_1)
	v_cndmask_b32_e64 v33, 0x80, v33, s17
	v_and_b32_e32 v33, s19, v33
	s_delay_alu instid0(VALU_DEP_1)
	v_and_b32_e32 v34, 1, v33
	v_lshlrev_b32_e32 v35, 30, v33
	v_lshlrev_b32_e32 v36, 29, v33
	;; [unrolled: 1-line block ×4, first 2 shown]
	v_add_co_u32 v34, s17, v34, -1
	s_wait_alu 0xf1ff
	v_cndmask_b32_e64 v38, 0, 1, s17
	v_not_b32_e32 v103, v35
	v_cmp_gt_i32_e64 s18, 0, v35
	v_not_b32_e32 v35, v36
	v_lshlrev_b32_e32 v40, 26, v33
	v_cmp_ne_u32_e64 s17, 0, v38
	v_ashrrev_i32_e32 v103, 31, v103
	v_lshlrev_b32_e32 v102, 25, v33
	v_ashrrev_i32_e32 v35, 31, v35
	v_lshlrev_b32_e32 v38, 24, v33
	s_wait_alu 0xf1ff
	v_xor_b32_e32 v34, s17, v34
	v_cmp_gt_i32_e64 s17, 0, v36
	v_not_b32_e32 v36, v37
	v_xor_b32_e32 v103, s18, v103
	v_cmp_gt_i32_e64 s18, 0, v37
	v_and_b32_e32 v34, exec_lo, v34
	v_not_b32_e32 v37, v39
	v_ashrrev_i32_e32 v36, 31, v36
	s_wait_alu 0xf1ff
	v_xor_b32_e32 v35, s17, v35
	v_cmp_gt_i32_e64 s17, 0, v39
	v_and_b32_e32 v34, v34, v103
	v_not_b32_e32 v39, v40
	v_ashrrev_i32_e32 v37, 31, v37
	v_xor_b32_e32 v36, s18, v36
	v_cmp_gt_i32_e64 s18, 0, v40
	v_and_b32_e32 v34, v34, v35
	v_not_b32_e32 v35, v102
	v_ashrrev_i32_e32 v39, 31, v39
	s_wait_alu 0xf1ff
	v_xor_b32_e32 v37, s17, v37
	v_cmp_gt_i32_e64 s17, 0, v102
	v_and_b32_e32 v34, v34, v36
	v_not_b32_e32 v36, v38
	v_ashrrev_i32_e32 v35, 31, v35
	v_xor_b32_e32 v39, s18, v39
	v_cmp_gt_i32_e64 s18, 0, v38
	v_and_b32_e32 v34, v34, v37
	v_ashrrev_i32_e32 v36, 31, v36
	s_wait_alu 0xf1ff
	v_xor_b32_e32 v35, s17, v35
	v_lshl_add_u32 v104, v33, 6, v0
	v_and_b32_e32 v34, v34, v39
	v_xor_b32_e32 v33, s18, v36
	ds_load_b32 v102, v104 offset:64
	v_and_b32_e32 v34, v34, v35
	; wave barrier
	s_delay_alu instid0(VALU_DEP_1) | instskip(NEXT) | instid1(VALU_DEP_1)
	v_and_b32_e32 v33, v34, v33
	v_mbcnt_lo_u32_b32 v103, v33, 0
	v_cmp_ne_u32_e64 s18, 0, v33
	s_delay_alu instid0(VALU_DEP_2)
	v_cmp_eq_u32_e64 s17, 0, v103
	s_and_b32 s18, s18, s17
	s_wait_alu 0xfffe
	s_and_saveexec_b32 s17, s18
	s_cbranch_execz .LBB250_70
; %bb.69:
	s_wait_dscnt 0x0
	v_bcnt_u32_b32 v33, v33, v102
	ds_store_b32 v104, v33 offset:64
.LBB250_70:
	s_wait_alu 0xfffe
	s_or_b32 exec_lo, exec_lo, s17
	v_lshrrev_b16 v33, 8, v73
	v_cmp_ne_u16_e64 s17, 0x7fff, v73
	; wave barrier
	s_wait_alu 0xf1ff
	s_delay_alu instid0(VALU_DEP_1) | instskip(NEXT) | instid1(VALU_DEP_1)
	v_cndmask_b32_e64 v33, 0x80, v33, s17
	v_and_b32_e32 v33, s19, v33
	s_delay_alu instid0(VALU_DEP_1)
	v_and_b32_e32 v34, 1, v33
	v_lshlrev_b32_e32 v35, 30, v33
	v_lshlrev_b32_e32 v36, 29, v33
	;; [unrolled: 1-line block ×4, first 2 shown]
	v_add_co_u32 v34, s17, v34, -1
	s_wait_alu 0xf1ff
	v_cndmask_b32_e64 v38, 0, 1, s17
	v_not_b32_e32 v106, v35
	v_cmp_gt_i32_e64 s18, 0, v35
	v_not_b32_e32 v35, v36
	v_lshlrev_b32_e32 v40, 26, v33
	v_cmp_ne_u32_e64 s17, 0, v38
	v_ashrrev_i32_e32 v106, 31, v106
	v_lshlrev_b32_e32 v105, 25, v33
	v_ashrrev_i32_e32 v35, 31, v35
	v_lshlrev_b32_e32 v38, 24, v33
	s_wait_alu 0xf1ff
	v_xor_b32_e32 v34, s17, v34
	v_cmp_gt_i32_e64 s17, 0, v36
	v_not_b32_e32 v36, v37
	v_xor_b32_e32 v106, s18, v106
	v_cmp_gt_i32_e64 s18, 0, v37
	v_and_b32_e32 v34, exec_lo, v34
	v_not_b32_e32 v37, v39
	v_ashrrev_i32_e32 v36, 31, v36
	s_wait_alu 0xf1ff
	v_xor_b32_e32 v35, s17, v35
	v_cmp_gt_i32_e64 s17, 0, v39
	v_and_b32_e32 v34, v34, v106
	v_not_b32_e32 v39, v40
	v_ashrrev_i32_e32 v37, 31, v37
	v_xor_b32_e32 v36, s18, v36
	v_cmp_gt_i32_e64 s18, 0, v40
	v_and_b32_e32 v34, v34, v35
	v_not_b32_e32 v35, v105
	v_ashrrev_i32_e32 v39, 31, v39
	s_wait_alu 0xf1ff
	v_xor_b32_e32 v37, s17, v37
	v_cmp_gt_i32_e64 s17, 0, v105
	v_and_b32_e32 v34, v34, v36
	v_not_b32_e32 v36, v38
	v_ashrrev_i32_e32 v35, 31, v35
	v_xor_b32_e32 v39, s18, v39
	v_cmp_gt_i32_e64 s18, 0, v38
	v_and_b32_e32 v34, v34, v37
	v_ashrrev_i32_e32 v36, 31, v36
	s_wait_alu 0xf1ff
	v_xor_b32_e32 v35, s17, v35
	v_lshl_add_u32 v106, v33, 6, v0
	v_and_b32_e32 v34, v34, v39
	v_xor_b32_e32 v33, s18, v36
	ds_load_b32 v0, v106 offset:64
	v_and_b32_e32 v34, v34, v35
	; wave barrier
	s_delay_alu instid0(VALU_DEP_1) | instskip(NEXT) | instid1(VALU_DEP_1)
	v_and_b32_e32 v33, v34, v33
	v_mbcnt_lo_u32_b32 v105, v33, 0
	v_cmp_ne_u32_e64 s18, 0, v33
	s_delay_alu instid0(VALU_DEP_2)
	v_cmp_eq_u32_e64 s17, 0, v105
	s_and_b32 s18, s18, s17
	s_wait_alu 0xfffe
	s_and_saveexec_b32 s17, s18
	s_cbranch_execz .LBB250_72
; %bb.71:
	s_wait_dscnt 0x0
	v_bcnt_u32_b32 v33, v33, v0
	ds_store_b32 v106, v33 offset:64
.LBB250_72:
	s_wait_alu 0xfffe
	s_or_b32 exec_lo, exec_lo, s17
	; wave barrier
	s_wait_loadcnt_dscnt 0x0
	s_barrier_signal -1
	s_barrier_wait -1
	global_inv scope:SCOPE_SE
	ds_load_b128 v[37:40], v67 offset:64
	ds_load_b128 v[33:36], v67 offset:80
	s_wait_dscnt 0x1
	v_add_nc_u32_e32 v107, v38, v37
	s_delay_alu instid0(VALU_DEP_1) | instskip(SKIP_1) | instid1(VALU_DEP_1)
	v_add3_u32 v107, v107, v39, v40
	s_wait_dscnt 0x0
	v_add3_u32 v107, v107, v33, v34
	s_delay_alu instid0(VALU_DEP_1) | instskip(NEXT) | instid1(VALU_DEP_1)
	v_add3_u32 v36, v107, v35, v36
	v_mov_b32_dpp v107, v36 row_shr:1 row_mask:0xf bank_mask:0xf
	s_delay_alu instid0(VALU_DEP_1) | instskip(NEXT) | instid1(VALU_DEP_1)
	v_cndmask_b32_e64 v107, v107, 0, vcc_lo
	v_add_nc_u32_e32 v36, v107, v36
	s_delay_alu instid0(VALU_DEP_1) | instskip(NEXT) | instid1(VALU_DEP_1)
	v_mov_b32_dpp v107, v36 row_shr:2 row_mask:0xf bank_mask:0xf
	v_cndmask_b32_e64 v107, 0, v107, s1
	s_delay_alu instid0(VALU_DEP_1) | instskip(NEXT) | instid1(VALU_DEP_1)
	v_add_nc_u32_e32 v36, v36, v107
	v_mov_b32_dpp v107, v36 row_shr:4 row_mask:0xf bank_mask:0xf
	s_delay_alu instid0(VALU_DEP_1) | instskip(NEXT) | instid1(VALU_DEP_1)
	v_cndmask_b32_e64 v107, 0, v107, s9
	v_add_nc_u32_e32 v36, v36, v107
	s_delay_alu instid0(VALU_DEP_1) | instskip(NEXT) | instid1(VALU_DEP_1)
	v_mov_b32_dpp v107, v36 row_shr:8 row_mask:0xf bank_mask:0xf
	v_cndmask_b32_e64 v107, 0, v107, s10
	s_delay_alu instid0(VALU_DEP_1) | instskip(SKIP_3) | instid1(VALU_DEP_1)
	v_add_nc_u32_e32 v36, v36, v107
	ds_swizzle_b32 v107, v36 offset:swizzle(BROADCAST,32,15)
	s_wait_dscnt 0x0
	v_cndmask_b32_e64 v107, v107, 0, s15
	v_add_nc_u32_e32 v36, v36, v107
	s_and_saveexec_b32 s15, s13
; %bb.73:
	ds_store_b32 v83, v36
; %bb.74:
	s_wait_alu 0xfffe
	s_or_b32 exec_lo, exec_lo, s15
	s_wait_loadcnt_dscnt 0x0
	s_barrier_signal -1
	s_barrier_wait -1
	global_inv scope:SCOPE_SE
	s_and_saveexec_b32 s13, s12
	s_cbranch_execz .LBB250_76
; %bb.75:
	ds_load_b32 v83, v82
	s_wait_dscnt 0x0
	v_mov_b32_dpp v107, v83 row_shr:1 row_mask:0xf bank_mask:0xf
	s_delay_alu instid0(VALU_DEP_1) | instskip(NEXT) | instid1(VALU_DEP_1)
	v_cndmask_b32_e64 v107, v107, 0, vcc_lo
	v_add_nc_u32_e32 v83, v107, v83
	s_delay_alu instid0(VALU_DEP_1) | instskip(NEXT) | instid1(VALU_DEP_1)
	v_mov_b32_dpp v107, v83 row_shr:2 row_mask:0xf bank_mask:0xf
	v_cndmask_b32_e64 v107, 0, v107, s1
	s_delay_alu instid0(VALU_DEP_1) | instskip(NEXT) | instid1(VALU_DEP_1)
	v_add_nc_u32_e32 v83, v83, v107
	v_mov_b32_dpp v107, v83 row_shr:4 row_mask:0xf bank_mask:0xf
	s_delay_alu instid0(VALU_DEP_1) | instskip(NEXT) | instid1(VALU_DEP_1)
	v_cndmask_b32_e64 v107, 0, v107, s9
	v_add_nc_u32_e32 v83, v83, v107
	s_delay_alu instid0(VALU_DEP_1) | instskip(NEXT) | instid1(VALU_DEP_1)
	v_mov_b32_dpp v107, v83 row_shr:8 row_mask:0xf bank_mask:0xf
	v_cndmask_b32_e64 v107, 0, v107, s10
	s_delay_alu instid0(VALU_DEP_1)
	v_add_nc_u32_e32 v83, v83, v107
	ds_store_b32 v82, v83
.LBB250_76:
	s_wait_alu 0xfffe
	s_or_b32 exec_lo, exec_lo, s13
	v_mov_b32_e32 v82, 0
	s_wait_loadcnt_dscnt 0x0
	s_barrier_signal -1
	s_barrier_wait -1
	global_inv scope:SCOPE_SE
	s_and_saveexec_b32 s1, s14
; %bb.77:
	ds_load_b32 v82, v84
; %bb.78:
	s_wait_alu 0xfffe
	s_or_b32 exec_lo, exec_lo, s1
	s_wait_dscnt 0x0
	v_add_nc_u32_e32 v36, v82, v36
	ds_bpermute_b32 v36, v85, v36
	s_wait_dscnt 0x0
	v_cndmask_b32_e64 v36, v36, v82, s11
	s_delay_alu instid0(VALU_DEP_1) | instskip(NEXT) | instid1(VALU_DEP_1)
	v_cndmask_b32_e64 v36, v36, 0, s16
	v_add_nc_u32_e32 v37, v36, v37
	s_delay_alu instid0(VALU_DEP_1) | instskip(NEXT) | instid1(VALU_DEP_1)
	v_add_nc_u32_e32 v38, v37, v38
	v_add_nc_u32_e32 v39, v38, v39
	s_delay_alu instid0(VALU_DEP_1) | instskip(NEXT) | instid1(VALU_DEP_1)
	v_add_nc_u32_e32 v82, v39, v40
	;; [unrolled: 3-line block ×3, first 2 shown]
	v_add_nc_u32_e32 v85, v84, v35
	ds_store_b128 v67, v[36:39] offset:64
	ds_store_b128 v67, v[82:85] offset:80
	s_wait_loadcnt_dscnt 0x0
	s_barrier_signal -1
	s_barrier_wait -1
	global_inv scope:SCOPE_SE
	ds_load_b32 v33, v106 offset:64
	ds_load_b32 v34, v104 offset:64
	;; [unrolled: 1-line block ×8, first 2 shown]
	v_lshlrev_b32_e32 v82, 1, v66
	s_wait_loadcnt_dscnt 0x0
	s_barrier_signal -1
	s_barrier_wait -1
	global_inv scope:SCOPE_SE
	v_mad_u32_u24 v83, v46, 48, v82
	v_add3_u32 v84, v105, v0, v33
	v_add3_u32 v85, v103, v102, v34
	;; [unrolled: 1-line block ×3, first 2 shown]
	v_add_nc_u32_e32 v81, v36, v81
	v_add3_u32 v87, v88, v87, v37
	v_add3_u32 v88, v91, v90, v38
	;; [unrolled: 1-line block ×4, first 2 shown]
	v_lshlrev_b32_e32 v0, 1, v81
	v_lshlrev_b32_e32 v33, 1, v87
	;; [unrolled: 1-line block ×8, first 2 shown]
	ds_store_b16 v0, v74
	ds_store_b16 v33, v75
	;; [unrolled: 1-line block ×8, first 2 shown]
	v_mad_co_u64_u32 v[73:74], null, v81, 6, v[0:1]
	v_mad_co_u64_u32 v[74:75], null, v87, 6, v[33:34]
	;; [unrolled: 1-line block ×4, first 2 shown]
	s_wait_loadcnt_dscnt 0x0
	s_barrier_signal -1
	s_barrier_wait -1
	global_inv scope:SCOPE_SE
	v_mad_co_u64_u32 v[77:78], null, v40, 6, v[36:37]
	ds_load_b128 v[33:36], v82
	v_mad_co_u64_u32 v[78:79], null, v86, 6, v[37:38]
	v_mad_co_u64_u32 v[37:38], null, v85, 6, v[38:39]
	;; [unrolled: 1-line block ×3, first 2 shown]
	s_wait_loadcnt_dscnt 0x0
	s_barrier_signal -1
	s_barrier_wait -1
	global_inv scope:SCOPE_SE
	ds_store_b64 v73, v[21:22]
	ds_store_b64 v74, v[23:24]
	;; [unrolled: 1-line block ×8, first 2 shown]
	s_wait_loadcnt_dscnt 0x0
	s_barrier_signal -1
	s_barrier_wait -1
	global_inv scope:SCOPE_SE
	ds_load_b128 v[29:32], v83
	ds_load_b128 v[25:28], v83 offset:16
	ds_load_b128 v[21:24], v83 offset:32
	;; [unrolled: 1-line block ×3, first 2 shown]
	v_cmp_lt_i16_e32 vcc_lo, -1, v33
	v_lshrrev_b32_e32 v0, 16, v33
	v_lshrrev_b32_e32 v38, 16, v34
	;; [unrolled: 1-line block ×4, first 2 shown]
	s_wait_alu 0xfffd
	v_cndmask_b32_e64 v37, 0xffff8000, -1, vcc_lo
	v_cmp_lt_i16_e32 vcc_lo, -1, v34
	s_wait_alu 0xfffd
	v_cndmask_b32_e64 v39, 0xffff8000, -1, vcc_lo
	v_cmp_lt_i16_e32 vcc_lo, -1, v35
	;; [unrolled: 3-line block ×5, first 2 shown]
	s_delay_alu instid0(VALU_DEP_2) | instskip(SKIP_3) | instid1(VALU_DEP_3)
	v_perm_b32 v0, v0, v37, 0x5040100
	s_wait_alu 0xfffd
	v_cndmask_b32_e64 v38, 0xffff8000, -1, vcc_lo
	v_cmp_lt_i16_e32 vcc_lo, -1, v40
	v_xor_b32_e32 v0, v0, v33
	s_delay_alu instid0(VALU_DEP_3) | instskip(SKIP_3) | instid1(VALU_DEP_3)
	v_perm_b32 v37, v38, v39, 0x5040100
	s_wait_alu 0xfffd
	v_cndmask_b32_e64 v40, 0xffff8000, -1, vcc_lo
	v_cmp_lt_i16_e32 vcc_lo, -1, v74
	v_xor_b32_e32 v34, v37, v34
	s_delay_alu instid0(VALU_DEP_3) | instskip(SKIP_2) | instid1(VALU_DEP_2)
	v_perm_b32 v38, v40, v73, 0x5040100
	s_wait_alu 0xfffd
	v_cndmask_b32_e64 v74, 0xffff8000, -1, vcc_lo
	v_xor_b32_e32 v33, v38, v35
	s_delay_alu instid0(VALU_DEP_2) | instskip(NEXT) | instid1(VALU_DEP_1)
	v_perm_b32 v39, v74, v75, 0x5040100
	v_xor_b32_e32 v35, v39, v36
	s_branch .LBB250_131
.LBB250_79:
	v_lshlrev_b64_e32 v[1:2], 3, v[41:42]
	v_dual_mov_b32 v43, v42 :: v_dual_mov_b32 v10, v42
	v_dual_mov_b32 v9, v42 :: v_dual_mov_b32 v12, v42
	v_mov_b32_e32 v11, v42
	s_wait_alu 0xfffe
	s_delay_alu instid0(VALU_DEP_4)
	v_add_co_u32 v1, vcc_lo, s24, v1
	s_wait_alu 0xfffd
	v_add_co_ci_u32_e64 v2, null, s25, v2, vcc_lo
	v_dual_mov_b32 v3, v42 :: v_dual_mov_b32 v6, v42
	v_dual_mov_b32 v5, v42 :: v_dual_mov_b32 v8, v42
	global_load_b64 v[13:14], v[1:2], off
	v_dual_mov_b32 v1, v42 :: v_dual_mov_b32 v4, v42
	v_dual_mov_b32 v2, v42 :: v_dual_mov_b32 v7, v42
	s_or_b32 exec_lo, exec_lo, s1
	s_and_saveexec_b32 s1, s3
	s_cbranch_execz .LBB250_25
.LBB250_80:
	v_mul_lo_u32 v22, s28, v15
	v_mov_b32_e32 v23, 0
	s_delay_alu instid0(VALU_DEP_1) | instskip(SKIP_1) | instid1(VALU_DEP_1)
	v_lshlrev_b64_e32 v[22:23], 3, v[22:23]
	s_wait_alu 0xfffe
	v_add_co_u32 v22, vcc_lo, s24, v22
	s_wait_alu 0xfffd
	s_delay_alu instid0(VALU_DEP_2)
	v_add_co_ci_u32_e64 v23, null, s25, v23, vcc_lo
	global_load_b64 v[42:43], v[22:23], off
	s_or_b32 exec_lo, exec_lo, s1
	s_and_saveexec_b32 s1, s4
	s_cbranch_execz .LBB250_26
.LBB250_81:
	v_mul_lo_u32 v9, s28, v16
	v_mov_b32_e32 v10, 0
	s_delay_alu instid0(VALU_DEP_1) | instskip(SKIP_1) | instid1(VALU_DEP_1)
	v_lshlrev_b64_e32 v[9:10], 3, v[9:10]
	s_wait_alu 0xfffe
	v_add_co_u32 v9, vcc_lo, s24, v9
	s_wait_alu 0xfffd
	s_delay_alu instid0(VALU_DEP_2)
	v_add_co_ci_u32_e64 v10, null, s25, v10, vcc_lo
	global_load_b64 v[9:10], v[9:10], off
	s_or_b32 exec_lo, exec_lo, s1
	s_and_saveexec_b32 s1, s5
	s_cbranch_execz .LBB250_27
.LBB250_82:
	v_mul_lo_u32 v11, s28, v17
	v_mov_b32_e32 v12, 0
	s_delay_alu instid0(VALU_DEP_1) | instskip(SKIP_1) | instid1(VALU_DEP_1)
	v_lshlrev_b64_e32 v[11:12], 3, v[11:12]
	s_wait_alu 0xfffe
	v_add_co_u32 v11, vcc_lo, s24, v11
	s_wait_alu 0xfffd
	s_delay_alu instid0(VALU_DEP_2)
	v_add_co_ci_u32_e64 v12, null, s25, v12, vcc_lo
	global_load_b64 v[11:12], v[11:12], off
	s_or_b32 exec_lo, exec_lo, s1
	s_and_saveexec_b32 s1, s6
	s_cbranch_execz .LBB250_28
.LBB250_83:
	v_mul_lo_u32 v1, s28, v18
	v_mov_b32_e32 v2, 0
	s_delay_alu instid0(VALU_DEP_1) | instskip(SKIP_1) | instid1(VALU_DEP_1)
	v_lshlrev_b64_e32 v[1:2], 3, v[1:2]
	s_wait_alu 0xfffe
	v_add_co_u32 v1, vcc_lo, s24, v1
	s_wait_alu 0xfffd
	s_delay_alu instid0(VALU_DEP_2)
	v_add_co_ci_u32_e64 v2, null, s25, v2, vcc_lo
	global_load_b64 v[1:2], v[1:2], off
	s_or_b32 exec_lo, exec_lo, s1
	s_and_saveexec_b32 s1, s7
	s_cbranch_execz .LBB250_29
.LBB250_84:
	v_mul_lo_u32 v3, s28, v19
	v_mov_b32_e32 v4, 0
	s_delay_alu instid0(VALU_DEP_1) | instskip(SKIP_1) | instid1(VALU_DEP_1)
	v_lshlrev_b64_e32 v[3:4], 3, v[3:4]
	s_wait_alu 0xfffe
	v_add_co_u32 v3, vcc_lo, s24, v3
	s_wait_alu 0xfffd
	s_delay_alu instid0(VALU_DEP_2)
	v_add_co_ci_u32_e64 v4, null, s25, v4, vcc_lo
	global_load_b64 v[3:4], v[3:4], off
	s_or_b32 exec_lo, exec_lo, s1
	s_and_saveexec_b32 s1, s8
	s_cbranch_execnz .LBB250_30
	s_branch .LBB250_31
.LBB250_85:
                                        ; implicit-def: $vgpr19_vgpr20
                                        ; implicit-def: $vgpr23_vgpr24
                                        ; implicit-def: $vgpr27_vgpr28
                                        ; implicit-def: $vgpr31_vgpr32
                                        ; implicit-def: $vgpr35
                                        ; implicit-def: $vgpr33
                                        ; implicit-def: $vgpr34
                                        ; implicit-def: $vgpr0
	s_cbranch_execz .LBB250_131
; %bb.86:
	v_lshrrev_b32_e32 v0, 16, v49
	v_cmp_gt_i16_e32 vcc_lo, 0, v49
	s_wait_dscnt 0x0
	v_lshrrev_b32_e32 v17, 16, v50
	v_lshrrev_b32_e32 v18, 16, v47
	;; [unrolled: 1-line block ×3, first 2 shown]
	v_or_b32_e32 v21, v69, v70
	s_wait_alu 0xfffd
	v_cndmask_b32_e64 v20, 0x7fff, 0, vcc_lo
	v_cmp_gt_i16_e32 vcc_lo, 0, v0
	v_and_or_b32 v36, 0x1f00, v66, v69
	s_mov_b32 s12, 0
	s_getpc_b64 s[10:11]
	s_wait_alu 0xfffe
	s_sext_i32_i16 s11, s11
	s_add_co_u32 s10, s10, _ZN7rocprim17ROCPRIM_400000_NS16block_radix_sortI12hip_bfloat16Lj512ELj8ElLj1ELj1ELj0ELNS0_26block_radix_rank_algorithmE1ELNS0_18block_padding_hintE2ELNS0_4arch9wavefront6targetE0EE19radix_bits_per_passE@rel32@lo+12
	s_wait_alu 0xfffe
	s_add_co_ci_u32 s11, s11, _ZN7rocprim17ROCPRIM_400000_NS16block_radix_sortI12hip_bfloat16Lj512ELj8ElLj1ELj1ELj0ELNS0_26block_radix_rank_algorithmE1ELNS0_18block_padding_hintE2ELNS0_4arch9wavefront6targetE0EE19radix_bits_per_passE@rel32@hi+24
	s_mov_b32 s13, s12
	s_wait_alu 0xfffd
	v_cndmask_b32_e64 v0, 0x7fff, 0, vcc_lo
	v_cmp_gt_i16_e32 vcc_lo, 0, v50
	s_mov_b32 s14, s12
	s_mov_b32 s15, s12
	v_lshlrev_b32_e32 v25, 1, v36
	v_perm_b32 v0, v0, v20, 0x5040100
	s_wait_alu 0xfffd
	v_cndmask_b32_e64 v22, 0x7fff, 0, vcc_lo
	v_cmp_gt_i16_e32 vcc_lo, 0, v17
	s_load_b32 s17, s[10:11], 0x0
	v_cndmask_b32_e64 v17, 0x7fff, 0, vcc_lo
	v_cmp_gt_i16_e32 vcc_lo, 0, v47
	s_delay_alu instid0(VALU_DEP_2)
	v_perm_b32 v20, v17, v22, 0x5040100
	s_wait_alu 0xfffd
	v_cndmask_b32_e64 v23, 0x7fff, 0, vcc_lo
	v_cmp_gt_i16_e32 vcc_lo, 0, v18
	v_xor_b32_e32 v17, v0, v49
	s_wait_alu 0xfffd
	v_cndmask_b32_e64 v18, 0x7fff, 0, vcc_lo
	v_cmp_gt_i16_e32 vcc_lo, 0, v48
	s_wait_kmcnt 0x0
	s_min_u32 s1, s17, 16
	s_delay_alu instid0(VALU_DEP_2)
	v_perm_b32 v22, v18, v23, 0x5040100
	s_wait_alu 0xfffd
	v_cndmask_b32_e64 v24, 0x7fff, 0, vcc_lo
	v_cmp_gt_i16_e32 vcc_lo, 0, v19
	v_lshlrev_b32_e32 v23, 4, v21
	v_xor_b32_e32 v18, v20, v50
	s_lshl_b32 s1, -1, s1
	s_wait_alu 0xfffd
	v_cndmask_b32_e64 v19, 0x7fff, 0, vcc_lo
	s_not_b32 s9, s1
	s_delay_alu instid0(VALU_DEP_1) | instskip(SKIP_1) | instid1(VALU_DEP_2)
	v_perm_b32 v24, v19, v24, 0x5040100
	v_xor_b32_e32 v19, v22, v47
	v_xor_b32_e32 v20, v24, v48
	ds_store_b128 v23, v[17:20]
	; wave barrier
	ds_load_u16 v26, v25
	ds_load_u16 v27, v25 offset:64
	ds_load_u16 v28, v25 offset:128
	;; [unrolled: 1-line block ×7, first 2 shown]
	s_wait_loadcnt_dscnt 0x0
	s_barrier_signal -1
	s_barrier_wait -1
	global_inv scope:SCOPE_SE
	v_cmp_ne_u16_e32 vcc_lo, 0x8000, v26
	s_wait_alu 0xfffd
	v_cndmask_b32_e32 v0, 0x7fff, v26, vcc_lo
	v_mad_u32_u24 v17, v21, 48, v23
	ds_store_b128 v17, v[13:16]
	ds_store_b128 v17, v[9:12] offset:16
	v_and_b32_e32 v0, 0xffff, v0
	ds_store_b128 v17, v[5:8] offset:32
	ds_store_b128 v17, v[1:4] offset:48
	v_mad_u32_u24 v12, v36, 6, v25
	; wave barrier
	s_wait_alu 0xfffe
	v_and_b32_e32 v23, s9, v0
	ds_load_2addr_b64 v[8:11], v12 offset1:32
	ds_load_2addr_b64 v[0:3], v12 offset0:64 offset1:96
	v_and_b32_e32 v4, 1, v23
	v_lshlrev_b32_e32 v18, 30, v23
	v_lshlrev_b32_e32 v19, 29, v23
	;; [unrolled: 1-line block ×3, first 2 shown]
	s_delay_alu instid0(VALU_DEP_4) | instskip(NEXT) | instid1(VALU_DEP_1)
	v_add_co_u32 v16, s1, v4, -1
	v_cndmask_b32_e64 v17, 0, 1, s1
	ds_load_2addr_b64 v[4:7], v12 offset0:128 offset1:160
	ds_load_2addr_b64 v[12:15], v12 offset0:192 offset1:224
	s_wait_loadcnt_dscnt 0x0
	s_barrier_signal -1
	v_cmp_ne_u32_e32 vcc_lo, 0, v17
	v_not_b32_e32 v17, v18
	s_barrier_wait -1
	global_inv scope:SCOPE_SE
	s_load_b32 s1, s[34:35], 0xc
	v_xor_b32_e32 v16, vcc_lo, v16
	v_cmp_gt_i32_e32 vcc_lo, 0, v18
	v_ashrrev_i32_e32 v17, 31, v17
	v_not_b32_e32 v18, v19
	s_delay_alu instid0(VALU_DEP_4) | instskip(SKIP_1) | instid1(VALU_DEP_3)
	v_and_b32_e32 v16, exec_lo, v16
	s_wait_alu 0xfffd
	v_xor_b32_e32 v17, vcc_lo, v17
	v_cmp_gt_i32_e32 vcc_lo, 0, v19
	v_ashrrev_i32_e32 v18, 31, v18
	v_not_b32_e32 v19, v20
	s_delay_alu instid0(VALU_DEP_4)
	v_and_b32_e32 v16, v16, v17
	v_lshlrev_b32_e32 v17, 27, v23
	s_wait_alu 0xfffd
	v_xor_b32_e32 v18, vcc_lo, v18
	v_cmp_gt_i32_e32 vcc_lo, 0, v20
	v_ashrrev_i32_e32 v19, 31, v19
	v_not_b32_e32 v20, v17
	s_delay_alu instid0(VALU_DEP_4)
	v_and_b32_e32 v16, v16, v18
	v_lshlrev_b32_e32 v18, 26, v23
	s_wait_alu 0xfffd
	v_xor_b32_e32 v19, vcc_lo, v19
	v_cmp_gt_i32_e32 vcc_lo, 0, v17
	v_ashrrev_i32_e32 v17, 31, v20
	s_wait_kmcnt 0x0
	s_lshr_b32 s10, s1, 16
	v_not_b32_e32 v20, v18
	v_and_b32_e32 v16, v16, v19
	v_lshlrev_b32_e32 v19, 25, v23
	s_wait_alu 0xfffd
	v_xor_b32_e32 v17, vcc_lo, v17
	v_cmp_gt_i32_e32 vcc_lo, 0, v18
	v_ashrrev_i32_e32 v18, 31, v20
	s_wait_alu 0xfffe
	v_mad_u32_u24 v21, v72, s10, v71
	v_not_b32_e32 v20, v19
	v_and_b32_e32 v16, v16, v17
	v_lshlrev_b32_e32 v17, 24, v23
	s_wait_alu 0xfffd
	v_xor_b32_e32 v18, vcc_lo, v18
	v_cmp_gt_i32_e32 vcc_lo, 0, v19
	v_ashrrev_i32_e32 v19, 31, v20
	s_and_b32 s1, s1, 0xffff
	v_not_b32_e32 v20, v17
	v_and_b32_e32 v16, v16, v18
	s_wait_alu 0xfffe
	v_mad_co_u64_u32 v[21:22], null, v21, s1, v[46:47]
	s_wait_alu 0xfffd
	v_xor_b32_e32 v18, vcc_lo, v19
	v_cmp_gt_i32_e32 vcc_lo, 0, v17
	v_ashrrev_i32_e32 v17, 31, v20
	s_delay_alu instid0(VALU_DEP_3) | instskip(SKIP_2) | instid1(VALU_DEP_3)
	v_and_b32_e32 v16, v16, v18
	v_lshrrev_b32_e32 v21, 5, v21
	s_wait_alu 0xfffd
	v_xor_b32_e32 v22, vcc_lo, v17
	v_dual_mov_b32 v20, s15 :: v_dual_mov_b32 v19, s14
	v_dual_mov_b32 v18, s13 :: v_dual_mov_b32 v17, s12
	s_delay_alu instid0(VALU_DEP_3)
	v_and_b32_e32 v16, v16, v22
	ds_store_b128 v67, v[17:20] offset:64
	ds_store_b128 v67, v[17:20] offset:80
	v_mbcnt_lo_u32_b32 v38, v16, 0
	v_lshlrev_b32_e32 v24, 2, v21
	v_lshlrev_b32_e32 v17, 6, v23
	v_cmp_ne_u32_e64 s1, 0, v16
	s_wait_loadcnt_dscnt 0x0
	v_cmp_eq_u32_e32 vcc_lo, 0, v38
	s_barrier_signal -1
	v_add_nc_u32_e32 v39, v24, v17
	s_barrier_wait -1
	global_inv scope:SCOPE_SE
	s_and_b32 s10, s1, vcc_lo
	; wave barrier
	s_wait_alu 0xfffe
	s_and_saveexec_b32 s1, s10
; %bb.87:
	v_bcnt_u32_b32 v16, v16, 0
	ds_store_b32 v39, v16 offset:64
; %bb.88:
	s_wait_alu 0xfffe
	s_or_b32 exec_lo, exec_lo, s1
	v_cmp_ne_u16_e32 vcc_lo, 0x8000, v27
	; wave barrier
	s_wait_alu 0xfffd
	v_cndmask_b32_e32 v16, 0x7fff, v27, vcc_lo
	s_delay_alu instid0(VALU_DEP_1) | instskip(NEXT) | instid1(VALU_DEP_1)
	v_and_b32_e32 v16, 0xffff, v16
	v_and_b32_e32 v16, s9, v16
	s_delay_alu instid0(VALU_DEP_1)
	v_and_b32_e32 v17, 1, v16
	v_lshlrev_b32_e32 v18, 30, v16
	v_lshlrev_b32_e32 v19, 29, v16
	v_lshlrev_b32_e32 v20, 28, v16
	v_lshlrev_b32_e32 v22, 27, v16
	v_add_co_u32 v17, s1, v17, -1
	s_wait_alu 0xf1ff
	v_cndmask_b32_e64 v21, 0, 1, s1
	v_not_b32_e32 v35, v18
	v_cmp_gt_i32_e64 s1, 0, v18
	v_not_b32_e32 v18, v19
	v_lshlrev_b32_e32 v23, 26, v16
	v_cmp_ne_u32_e32 vcc_lo, 0, v21
	v_ashrrev_i32_e32 v35, 31, v35
	v_lshlrev_b32_e32 v34, 25, v16
	v_ashrrev_i32_e32 v18, 31, v18
	v_lshlrev_b32_e32 v21, 24, v16
	s_wait_alu 0xfffd
	v_xor_b32_e32 v17, vcc_lo, v17
	v_cmp_gt_i32_e32 vcc_lo, 0, v19
	v_not_b32_e32 v19, v20
	s_wait_alu 0xf1ff
	v_xor_b32_e32 v35, s1, v35
	v_cmp_gt_i32_e64 s1, 0, v20
	v_and_b32_e32 v17, exec_lo, v17
	v_not_b32_e32 v20, v22
	v_ashrrev_i32_e32 v19, 31, v19
	s_wait_alu 0xfffd
	v_xor_b32_e32 v18, vcc_lo, v18
	v_cmp_gt_i32_e32 vcc_lo, 0, v22
	v_and_b32_e32 v17, v17, v35
	v_not_b32_e32 v22, v23
	v_ashrrev_i32_e32 v20, 31, v20
	s_wait_alu 0xf1ff
	v_xor_b32_e32 v19, s1, v19
	v_cmp_gt_i32_e64 s1, 0, v23
	v_and_b32_e32 v17, v17, v18
	v_not_b32_e32 v18, v34
	v_ashrrev_i32_e32 v22, 31, v22
	s_wait_alu 0xfffd
	v_xor_b32_e32 v20, vcc_lo, v20
	v_cmp_gt_i32_e32 vcc_lo, 0, v34
	v_and_b32_e32 v17, v17, v19
	v_not_b32_e32 v19, v21
	v_ashrrev_i32_e32 v18, 31, v18
	s_wait_alu 0xf1ff
	v_xor_b32_e32 v22, s1, v22
	v_lshlrev_b32_e32 v16, 6, v16
	v_and_b32_e32 v17, v17, v20
	v_cmp_gt_i32_e64 s1, 0, v21
	v_ashrrev_i32_e32 v19, 31, v19
	s_wait_alu 0xfffd
	v_xor_b32_e32 v18, vcc_lo, v18
	v_add_nc_u32_e32 v48, v24, v16
	v_and_b32_e32 v17, v17, v22
	s_wait_alu 0xf1ff
	v_xor_b32_e32 v16, s1, v19
	ds_load_b32 v40, v48 offset:64
	v_and_b32_e32 v17, v17, v18
	; wave barrier
	s_delay_alu instid0(VALU_DEP_1) | instskip(NEXT) | instid1(VALU_DEP_1)
	v_and_b32_e32 v16, v17, v16
	v_mbcnt_lo_u32_b32 v47, v16, 0
	v_cmp_ne_u32_e64 s1, 0, v16
	s_delay_alu instid0(VALU_DEP_2)
	v_cmp_eq_u32_e32 vcc_lo, 0, v47
	s_and_b32 s10, s1, vcc_lo
	s_wait_alu 0xfffe
	s_and_saveexec_b32 s1, s10
	s_cbranch_execz .LBB250_90
; %bb.89:
	s_wait_dscnt 0x0
	v_bcnt_u32_b32 v16, v16, v40
	ds_store_b32 v48, v16 offset:64
.LBB250_90:
	s_wait_alu 0xfffe
	s_or_b32 exec_lo, exec_lo, s1
	v_cmp_ne_u16_e32 vcc_lo, 0x8000, v28
	; wave barrier
	s_wait_alu 0xfffd
	v_cndmask_b32_e32 v16, 0x7fff, v28, vcc_lo
	s_delay_alu instid0(VALU_DEP_1) | instskip(NEXT) | instid1(VALU_DEP_1)
	v_and_b32_e32 v16, 0xffff, v16
	v_and_b32_e32 v16, s9, v16
	s_delay_alu instid0(VALU_DEP_1)
	v_and_b32_e32 v17, 1, v16
	v_lshlrev_b32_e32 v18, 30, v16
	v_lshlrev_b32_e32 v19, 29, v16
	;; [unrolled: 1-line block ×4, first 2 shown]
	v_add_co_u32 v17, s1, v17, -1
	s_wait_alu 0xf1ff
	v_cndmask_b32_e64 v21, 0, 1, s1
	v_not_b32_e32 v35, v18
	v_cmp_gt_i32_e64 s1, 0, v18
	v_not_b32_e32 v18, v19
	v_lshlrev_b32_e32 v23, 26, v16
	v_cmp_ne_u32_e32 vcc_lo, 0, v21
	v_ashrrev_i32_e32 v35, 31, v35
	v_lshlrev_b32_e32 v34, 25, v16
	v_ashrrev_i32_e32 v18, 31, v18
	v_lshlrev_b32_e32 v21, 24, v16
	s_wait_alu 0xfffd
	v_xor_b32_e32 v17, vcc_lo, v17
	v_cmp_gt_i32_e32 vcc_lo, 0, v19
	v_not_b32_e32 v19, v20
	s_wait_alu 0xf1ff
	v_xor_b32_e32 v35, s1, v35
	v_cmp_gt_i32_e64 s1, 0, v20
	v_and_b32_e32 v17, exec_lo, v17
	v_not_b32_e32 v20, v22
	v_ashrrev_i32_e32 v19, 31, v19
	s_wait_alu 0xfffd
	v_xor_b32_e32 v18, vcc_lo, v18
	v_cmp_gt_i32_e32 vcc_lo, 0, v22
	v_and_b32_e32 v17, v17, v35
	v_not_b32_e32 v22, v23
	v_ashrrev_i32_e32 v20, 31, v20
	s_wait_alu 0xf1ff
	v_xor_b32_e32 v19, s1, v19
	v_cmp_gt_i32_e64 s1, 0, v23
	v_and_b32_e32 v17, v17, v18
	v_not_b32_e32 v18, v34
	v_ashrrev_i32_e32 v22, 31, v22
	s_wait_alu 0xfffd
	v_xor_b32_e32 v20, vcc_lo, v20
	v_cmp_gt_i32_e32 vcc_lo, 0, v34
	v_and_b32_e32 v17, v17, v19
	v_not_b32_e32 v19, v21
	v_ashrrev_i32_e32 v18, 31, v18
	s_wait_alu 0xf1ff
	v_xor_b32_e32 v22, s1, v22
	v_lshlrev_b32_e32 v16, 6, v16
	v_and_b32_e32 v17, v17, v20
	v_cmp_gt_i32_e64 s1, 0, v21
	v_ashrrev_i32_e32 v19, 31, v19
	s_wait_alu 0xfffd
	v_xor_b32_e32 v18, vcc_lo, v18
	v_add_nc_u32_e32 v71, v24, v16
	v_and_b32_e32 v17, v17, v22
	s_wait_alu 0xf1ff
	v_xor_b32_e32 v16, s1, v19
	ds_load_b32 v49, v71 offset:64
	v_and_b32_e32 v17, v17, v18
	; wave barrier
	s_delay_alu instid0(VALU_DEP_1) | instskip(NEXT) | instid1(VALU_DEP_1)
	v_and_b32_e32 v16, v17, v16
	v_mbcnt_lo_u32_b32 v50, v16, 0
	v_cmp_ne_u32_e64 s1, 0, v16
	s_delay_alu instid0(VALU_DEP_2)
	v_cmp_eq_u32_e32 vcc_lo, 0, v50
	s_and_b32 s10, s1, vcc_lo
	s_wait_alu 0xfffe
	s_and_saveexec_b32 s1, s10
	s_cbranch_execz .LBB250_92
; %bb.91:
	s_wait_dscnt 0x0
	v_bcnt_u32_b32 v16, v16, v49
	ds_store_b32 v71, v16 offset:64
.LBB250_92:
	s_wait_alu 0xfffe
	s_or_b32 exec_lo, exec_lo, s1
	v_cmp_ne_u16_e32 vcc_lo, 0x8000, v29
	; wave barrier
	s_wait_alu 0xfffd
	v_cndmask_b32_e32 v16, 0x7fff, v29, vcc_lo
	s_delay_alu instid0(VALU_DEP_1) | instskip(NEXT) | instid1(VALU_DEP_1)
	v_and_b32_e32 v16, 0xffff, v16
	v_and_b32_e32 v16, s9, v16
	s_delay_alu instid0(VALU_DEP_1)
	v_and_b32_e32 v17, 1, v16
	v_lshlrev_b32_e32 v18, 30, v16
	v_lshlrev_b32_e32 v19, 29, v16
	;; [unrolled: 1-line block ×4, first 2 shown]
	v_add_co_u32 v17, s1, v17, -1
	s_wait_alu 0xf1ff
	v_cndmask_b32_e64 v21, 0, 1, s1
	v_not_b32_e32 v35, v18
	v_cmp_gt_i32_e64 s1, 0, v18
	v_not_b32_e32 v18, v19
	v_lshlrev_b32_e32 v23, 26, v16
	v_cmp_ne_u32_e32 vcc_lo, 0, v21
	v_ashrrev_i32_e32 v35, 31, v35
	v_lshlrev_b32_e32 v34, 25, v16
	v_ashrrev_i32_e32 v18, 31, v18
	v_lshlrev_b32_e32 v21, 24, v16
	s_wait_alu 0xfffd
	v_xor_b32_e32 v17, vcc_lo, v17
	v_cmp_gt_i32_e32 vcc_lo, 0, v19
	v_not_b32_e32 v19, v20
	s_wait_alu 0xf1ff
	v_xor_b32_e32 v35, s1, v35
	v_cmp_gt_i32_e64 s1, 0, v20
	v_and_b32_e32 v17, exec_lo, v17
	v_not_b32_e32 v20, v22
	v_ashrrev_i32_e32 v19, 31, v19
	s_wait_alu 0xfffd
	v_xor_b32_e32 v18, vcc_lo, v18
	v_cmp_gt_i32_e32 vcc_lo, 0, v22
	v_and_b32_e32 v17, v17, v35
	v_not_b32_e32 v22, v23
	v_ashrrev_i32_e32 v20, 31, v20
	s_wait_alu 0xf1ff
	v_xor_b32_e32 v19, s1, v19
	v_cmp_gt_i32_e64 s1, 0, v23
	v_and_b32_e32 v17, v17, v18
	v_not_b32_e32 v18, v34
	v_ashrrev_i32_e32 v22, 31, v22
	s_wait_alu 0xfffd
	v_xor_b32_e32 v20, vcc_lo, v20
	v_cmp_gt_i32_e32 vcc_lo, 0, v34
	v_and_b32_e32 v17, v17, v19
	v_not_b32_e32 v19, v21
	v_ashrrev_i32_e32 v18, 31, v18
	s_wait_alu 0xf1ff
	v_xor_b32_e32 v22, s1, v22
	v_lshlrev_b32_e32 v16, 6, v16
	v_and_b32_e32 v17, v17, v20
	v_cmp_gt_i32_e64 s1, 0, v21
	v_ashrrev_i32_e32 v19, 31, v19
	s_wait_alu 0xfffd
	v_xor_b32_e32 v18, vcc_lo, v18
	v_add_nc_u32_e32 v74, v24, v16
	v_and_b32_e32 v17, v17, v22
	s_wait_alu 0xf1ff
	v_xor_b32_e32 v16, s1, v19
	ds_load_b32 v72, v74 offset:64
	v_and_b32_e32 v17, v17, v18
	; wave barrier
	s_delay_alu instid0(VALU_DEP_1) | instskip(NEXT) | instid1(VALU_DEP_1)
	v_and_b32_e32 v16, v17, v16
	v_mbcnt_lo_u32_b32 v73, v16, 0
	v_cmp_ne_u32_e64 s1, 0, v16
	s_delay_alu instid0(VALU_DEP_2)
	v_cmp_eq_u32_e32 vcc_lo, 0, v73
	s_and_b32 s10, s1, vcc_lo
	s_wait_alu 0xfffe
	s_and_saveexec_b32 s1, s10
	s_cbranch_execz .LBB250_94
; %bb.93:
	s_wait_dscnt 0x0
	v_bcnt_u32_b32 v16, v16, v72
	ds_store_b32 v74, v16 offset:64
.LBB250_94:
	s_wait_alu 0xfffe
	s_or_b32 exec_lo, exec_lo, s1
	v_cmp_ne_u16_e32 vcc_lo, 0x8000, v30
	; wave barrier
	s_wait_alu 0xfffd
	v_cndmask_b32_e32 v16, 0x7fff, v30, vcc_lo
	s_delay_alu instid0(VALU_DEP_1) | instskip(NEXT) | instid1(VALU_DEP_1)
	v_and_b32_e32 v16, 0xffff, v16
	v_and_b32_e32 v16, s9, v16
	s_delay_alu instid0(VALU_DEP_1)
	v_and_b32_e32 v17, 1, v16
	v_lshlrev_b32_e32 v18, 30, v16
	v_lshlrev_b32_e32 v19, 29, v16
	;; [unrolled: 1-line block ×4, first 2 shown]
	v_add_co_u32 v17, s1, v17, -1
	s_wait_alu 0xf1ff
	v_cndmask_b32_e64 v21, 0, 1, s1
	v_not_b32_e32 v35, v18
	v_cmp_gt_i32_e64 s1, 0, v18
	v_not_b32_e32 v18, v19
	v_lshlrev_b32_e32 v23, 26, v16
	v_cmp_ne_u32_e32 vcc_lo, 0, v21
	v_ashrrev_i32_e32 v35, 31, v35
	v_lshlrev_b32_e32 v34, 25, v16
	v_ashrrev_i32_e32 v18, 31, v18
	v_lshlrev_b32_e32 v21, 24, v16
	s_wait_alu 0xfffd
	v_xor_b32_e32 v17, vcc_lo, v17
	v_cmp_gt_i32_e32 vcc_lo, 0, v19
	v_not_b32_e32 v19, v20
	s_wait_alu 0xf1ff
	v_xor_b32_e32 v35, s1, v35
	v_cmp_gt_i32_e64 s1, 0, v20
	v_and_b32_e32 v17, exec_lo, v17
	v_not_b32_e32 v20, v22
	v_ashrrev_i32_e32 v19, 31, v19
	s_wait_alu 0xfffd
	v_xor_b32_e32 v18, vcc_lo, v18
	v_cmp_gt_i32_e32 vcc_lo, 0, v22
	v_and_b32_e32 v17, v17, v35
	v_not_b32_e32 v22, v23
	v_ashrrev_i32_e32 v20, 31, v20
	s_wait_alu 0xf1ff
	v_xor_b32_e32 v19, s1, v19
	v_cmp_gt_i32_e64 s1, 0, v23
	v_and_b32_e32 v17, v17, v18
	v_not_b32_e32 v18, v34
	v_ashrrev_i32_e32 v22, 31, v22
	s_wait_alu 0xfffd
	v_xor_b32_e32 v20, vcc_lo, v20
	v_cmp_gt_i32_e32 vcc_lo, 0, v34
	v_and_b32_e32 v17, v17, v19
	v_not_b32_e32 v19, v21
	v_ashrrev_i32_e32 v18, 31, v18
	s_wait_alu 0xf1ff
	v_xor_b32_e32 v22, s1, v22
	v_lshlrev_b32_e32 v16, 6, v16
	v_and_b32_e32 v17, v17, v20
	v_cmp_gt_i32_e64 s1, 0, v21
	v_ashrrev_i32_e32 v19, 31, v19
	s_wait_alu 0xfffd
	v_xor_b32_e32 v18, vcc_lo, v18
	v_add_nc_u32_e32 v77, v24, v16
	v_and_b32_e32 v17, v17, v22
	s_wait_alu 0xf1ff
	v_xor_b32_e32 v16, s1, v19
	ds_load_b32 v75, v77 offset:64
	v_and_b32_e32 v17, v17, v18
	; wave barrier
	s_delay_alu instid0(VALU_DEP_1) | instskip(NEXT) | instid1(VALU_DEP_1)
	v_and_b32_e32 v16, v17, v16
	v_mbcnt_lo_u32_b32 v76, v16, 0
	v_cmp_ne_u32_e64 s1, 0, v16
	s_delay_alu instid0(VALU_DEP_2)
	v_cmp_eq_u32_e32 vcc_lo, 0, v76
	s_and_b32 s10, s1, vcc_lo
	s_wait_alu 0xfffe
	s_and_saveexec_b32 s1, s10
	s_cbranch_execz .LBB250_96
; %bb.95:
	s_wait_dscnt 0x0
	v_bcnt_u32_b32 v16, v16, v75
	ds_store_b32 v77, v16 offset:64
.LBB250_96:
	s_wait_alu 0xfffe
	s_or_b32 exec_lo, exec_lo, s1
	v_cmp_ne_u16_e32 vcc_lo, 0x8000, v31
	; wave barrier
	s_wait_alu 0xfffd
	v_cndmask_b32_e32 v16, 0x7fff, v31, vcc_lo
	s_delay_alu instid0(VALU_DEP_1) | instskip(NEXT) | instid1(VALU_DEP_1)
	v_and_b32_e32 v16, 0xffff, v16
	v_and_b32_e32 v16, s9, v16
	s_delay_alu instid0(VALU_DEP_1)
	v_and_b32_e32 v17, 1, v16
	v_lshlrev_b32_e32 v18, 30, v16
	v_lshlrev_b32_e32 v19, 29, v16
	;; [unrolled: 1-line block ×4, first 2 shown]
	v_add_co_u32 v17, s1, v17, -1
	s_wait_alu 0xf1ff
	v_cndmask_b32_e64 v21, 0, 1, s1
	v_not_b32_e32 v35, v18
	v_cmp_gt_i32_e64 s1, 0, v18
	v_not_b32_e32 v18, v19
	v_lshlrev_b32_e32 v23, 26, v16
	v_cmp_ne_u32_e32 vcc_lo, 0, v21
	v_ashrrev_i32_e32 v35, 31, v35
	v_lshlrev_b32_e32 v34, 25, v16
	v_ashrrev_i32_e32 v18, 31, v18
	v_lshlrev_b32_e32 v21, 24, v16
	s_wait_alu 0xfffd
	v_xor_b32_e32 v17, vcc_lo, v17
	v_cmp_gt_i32_e32 vcc_lo, 0, v19
	v_not_b32_e32 v19, v20
	s_wait_alu 0xf1ff
	v_xor_b32_e32 v35, s1, v35
	v_cmp_gt_i32_e64 s1, 0, v20
	v_and_b32_e32 v17, exec_lo, v17
	v_not_b32_e32 v20, v22
	v_ashrrev_i32_e32 v19, 31, v19
	s_wait_alu 0xfffd
	v_xor_b32_e32 v18, vcc_lo, v18
	v_cmp_gt_i32_e32 vcc_lo, 0, v22
	v_and_b32_e32 v17, v17, v35
	v_not_b32_e32 v22, v23
	v_ashrrev_i32_e32 v20, 31, v20
	s_wait_alu 0xf1ff
	v_xor_b32_e32 v19, s1, v19
	v_cmp_gt_i32_e64 s1, 0, v23
	v_and_b32_e32 v17, v17, v18
	v_not_b32_e32 v18, v34
	v_ashrrev_i32_e32 v22, 31, v22
	s_wait_alu 0xfffd
	v_xor_b32_e32 v20, vcc_lo, v20
	v_cmp_gt_i32_e32 vcc_lo, 0, v34
	v_and_b32_e32 v17, v17, v19
	v_not_b32_e32 v19, v21
	v_ashrrev_i32_e32 v18, 31, v18
	s_wait_alu 0xf1ff
	v_xor_b32_e32 v22, s1, v22
	v_lshlrev_b32_e32 v16, 6, v16
	v_and_b32_e32 v17, v17, v20
	v_cmp_gt_i32_e64 s1, 0, v21
	v_ashrrev_i32_e32 v19, 31, v19
	s_wait_alu 0xfffd
	v_xor_b32_e32 v18, vcc_lo, v18
	v_add_nc_u32_e32 v80, v24, v16
	v_and_b32_e32 v17, v17, v22
	s_wait_alu 0xf1ff
	v_xor_b32_e32 v16, s1, v19
	ds_load_b32 v78, v80 offset:64
	v_and_b32_e32 v17, v17, v18
	; wave barrier
	s_delay_alu instid0(VALU_DEP_1) | instskip(NEXT) | instid1(VALU_DEP_1)
	v_and_b32_e32 v16, v17, v16
	v_mbcnt_lo_u32_b32 v79, v16, 0
	v_cmp_ne_u32_e64 s1, 0, v16
	s_delay_alu instid0(VALU_DEP_2)
	v_cmp_eq_u32_e32 vcc_lo, 0, v79
	s_and_b32 s10, s1, vcc_lo
	s_wait_alu 0xfffe
	s_and_saveexec_b32 s1, s10
	s_cbranch_execz .LBB250_98
; %bb.97:
	s_wait_dscnt 0x0
	v_bcnt_u32_b32 v16, v16, v78
	ds_store_b32 v80, v16 offset:64
.LBB250_98:
	s_wait_alu 0xfffe
	s_or_b32 exec_lo, exec_lo, s1
	v_cmp_ne_u16_e32 vcc_lo, 0x8000, v32
	; wave barrier
	s_wait_alu 0xfffd
	v_cndmask_b32_e32 v16, 0x7fff, v32, vcc_lo
	s_delay_alu instid0(VALU_DEP_1) | instskip(NEXT) | instid1(VALU_DEP_1)
	v_and_b32_e32 v16, 0xffff, v16
	v_and_b32_e32 v16, s9, v16
	s_delay_alu instid0(VALU_DEP_1)
	v_and_b32_e32 v17, 1, v16
	v_lshlrev_b32_e32 v18, 30, v16
	v_lshlrev_b32_e32 v19, 29, v16
	;; [unrolled: 1-line block ×4, first 2 shown]
	v_add_co_u32 v17, s1, v17, -1
	s_wait_alu 0xf1ff
	v_cndmask_b32_e64 v21, 0, 1, s1
	v_not_b32_e32 v35, v18
	v_cmp_gt_i32_e64 s1, 0, v18
	v_not_b32_e32 v18, v19
	v_lshlrev_b32_e32 v23, 26, v16
	v_cmp_ne_u32_e32 vcc_lo, 0, v21
	v_ashrrev_i32_e32 v35, 31, v35
	v_lshlrev_b32_e32 v34, 25, v16
	v_ashrrev_i32_e32 v18, 31, v18
	v_lshlrev_b32_e32 v21, 24, v16
	s_wait_alu 0xfffd
	v_xor_b32_e32 v17, vcc_lo, v17
	v_cmp_gt_i32_e32 vcc_lo, 0, v19
	v_not_b32_e32 v19, v20
	s_wait_alu 0xf1ff
	v_xor_b32_e32 v35, s1, v35
	v_cmp_gt_i32_e64 s1, 0, v20
	v_and_b32_e32 v17, exec_lo, v17
	v_not_b32_e32 v20, v22
	v_ashrrev_i32_e32 v19, 31, v19
	s_wait_alu 0xfffd
	v_xor_b32_e32 v18, vcc_lo, v18
	v_cmp_gt_i32_e32 vcc_lo, 0, v22
	v_and_b32_e32 v17, v17, v35
	v_not_b32_e32 v22, v23
	v_ashrrev_i32_e32 v20, 31, v20
	s_wait_alu 0xf1ff
	v_xor_b32_e32 v19, s1, v19
	v_cmp_gt_i32_e64 s1, 0, v23
	v_and_b32_e32 v17, v17, v18
	v_not_b32_e32 v18, v34
	v_ashrrev_i32_e32 v22, 31, v22
	s_wait_alu 0xfffd
	v_xor_b32_e32 v20, vcc_lo, v20
	v_cmp_gt_i32_e32 vcc_lo, 0, v34
	v_and_b32_e32 v17, v17, v19
	v_not_b32_e32 v19, v21
	v_ashrrev_i32_e32 v18, 31, v18
	s_wait_alu 0xf1ff
	v_xor_b32_e32 v22, s1, v22
	v_lshlrev_b32_e32 v16, 6, v16
	v_and_b32_e32 v17, v17, v20
	v_cmp_gt_i32_e64 s1, 0, v21
	v_ashrrev_i32_e32 v19, 31, v19
	s_wait_alu 0xfffd
	v_xor_b32_e32 v18, vcc_lo, v18
	v_add_nc_u32_e32 v83, v24, v16
	v_and_b32_e32 v17, v17, v22
	s_wait_alu 0xf1ff
	v_xor_b32_e32 v16, s1, v19
	ds_load_b32 v81, v83 offset:64
	v_and_b32_e32 v17, v17, v18
	; wave barrier
	s_delay_alu instid0(VALU_DEP_1) | instskip(NEXT) | instid1(VALU_DEP_1)
	v_and_b32_e32 v16, v17, v16
	v_mbcnt_lo_u32_b32 v82, v16, 0
	v_cmp_ne_u32_e64 s1, 0, v16
	s_delay_alu instid0(VALU_DEP_2)
	v_cmp_eq_u32_e32 vcc_lo, 0, v82
	s_and_b32 s10, s1, vcc_lo
	s_wait_alu 0xfffe
	s_and_saveexec_b32 s1, s10
	s_cbranch_execz .LBB250_100
; %bb.99:
	s_wait_dscnt 0x0
	v_bcnt_u32_b32 v16, v16, v81
	ds_store_b32 v83, v16 offset:64
.LBB250_100:
	s_wait_alu 0xfffe
	s_or_b32 exec_lo, exec_lo, s1
	v_cmp_ne_u16_e32 vcc_lo, 0x8000, v33
	; wave barrier
	s_wait_alu 0xfffd
	v_cndmask_b32_e32 v16, 0x7fff, v33, vcc_lo
	s_delay_alu instid0(VALU_DEP_1) | instskip(NEXT) | instid1(VALU_DEP_1)
	v_and_b32_e32 v16, 0xffff, v16
	v_and_b32_e32 v16, s9, v16
	s_delay_alu instid0(VALU_DEP_1)
	v_and_b32_e32 v17, 1, v16
	v_lshlrev_b32_e32 v18, 30, v16
	v_lshlrev_b32_e32 v19, 29, v16
	;; [unrolled: 1-line block ×4, first 2 shown]
	v_add_co_u32 v17, s1, v17, -1
	s_wait_alu 0xf1ff
	v_cndmask_b32_e64 v21, 0, 1, s1
	v_not_b32_e32 v35, v18
	v_cmp_gt_i32_e64 s1, 0, v18
	v_not_b32_e32 v18, v19
	v_lshlrev_b32_e32 v23, 26, v16
	v_cmp_ne_u32_e32 vcc_lo, 0, v21
	v_ashrrev_i32_e32 v35, 31, v35
	v_lshlrev_b32_e32 v34, 25, v16
	v_ashrrev_i32_e32 v18, 31, v18
	v_lshlrev_b32_e32 v21, 24, v16
	s_wait_alu 0xfffd
	v_xor_b32_e32 v17, vcc_lo, v17
	v_cmp_gt_i32_e32 vcc_lo, 0, v19
	v_not_b32_e32 v19, v20
	s_wait_alu 0xf1ff
	v_xor_b32_e32 v35, s1, v35
	v_cmp_gt_i32_e64 s1, 0, v20
	v_and_b32_e32 v17, exec_lo, v17
	v_not_b32_e32 v20, v22
	v_ashrrev_i32_e32 v19, 31, v19
	s_wait_alu 0xfffd
	v_xor_b32_e32 v18, vcc_lo, v18
	v_cmp_gt_i32_e32 vcc_lo, 0, v22
	v_and_b32_e32 v17, v17, v35
	v_not_b32_e32 v22, v23
	v_ashrrev_i32_e32 v20, 31, v20
	s_wait_alu 0xf1ff
	v_xor_b32_e32 v19, s1, v19
	v_cmp_gt_i32_e64 s1, 0, v23
	v_and_b32_e32 v17, v17, v18
	v_not_b32_e32 v18, v34
	v_ashrrev_i32_e32 v22, 31, v22
	s_wait_alu 0xfffd
	v_xor_b32_e32 v20, vcc_lo, v20
	v_cmp_gt_i32_e32 vcc_lo, 0, v34
	v_and_b32_e32 v17, v17, v19
	v_not_b32_e32 v19, v21
	v_ashrrev_i32_e32 v18, 31, v18
	s_wait_alu 0xf1ff
	v_xor_b32_e32 v22, s1, v22
	v_lshlrev_b32_e32 v16, 6, v16
	v_and_b32_e32 v17, v17, v20
	v_cmp_gt_i32_e64 s1, 0, v21
	v_ashrrev_i32_e32 v19, 31, v19
	s_wait_alu 0xfffd
	v_xor_b32_e32 v18, vcc_lo, v18
	v_add_nc_u32_e32 v86, v24, v16
	v_and_b32_e32 v17, v17, v22
	v_min_u32_e32 v34, 0x1e0, v70
	s_wait_alu 0xf1ff
	v_xor_b32_e32 v16, s1, v19
	ds_load_b32 v84, v86 offset:64
	v_and_b32_e32 v17, v17, v18
	; wave barrier
	s_delay_alu instid0(VALU_DEP_1) | instskip(NEXT) | instid1(VALU_DEP_1)
	v_and_b32_e32 v16, v17, v16
	v_mbcnt_lo_u32_b32 v85, v16, 0
	v_cmp_ne_u32_e64 s1, 0, v16
	s_delay_alu instid0(VALU_DEP_2)
	v_cmp_eq_u32_e32 vcc_lo, 0, v85
	s_and_b32 s9, s1, vcc_lo
	s_wait_alu 0xfffe
	s_and_saveexec_b32 s1, s9
	s_cbranch_execz .LBB250_102
; %bb.101:
	s_wait_dscnt 0x0
	v_bcnt_u32_b32 v16, v16, v84
	ds_store_b32 v86, v16 offset:64
.LBB250_102:
	s_wait_alu 0xfffe
	s_or_b32 exec_lo, exec_lo, s1
	; wave barrier
	s_wait_loadcnt_dscnt 0x0
	s_barrier_signal -1
	s_barrier_wait -1
	global_inv scope:SCOPE_SE
	ds_load_b128 v[20:23], v67 offset:64
	ds_load_b128 v[16:19], v67 offset:80
	v_and_b32_e32 v70, 16, v69
	v_or_b32_e32 v34, 31, v34
	s_delay_alu instid0(VALU_DEP_2) | instskip(NEXT) | instid1(VALU_DEP_2)
	v_cmp_eq_u32_e64 s15, 0, v70
	v_cmp_eq_u32_e64 s13, v46, v34
	s_wait_dscnt 0x1
	v_add_nc_u32_e32 v35, v21, v20
	s_delay_alu instid0(VALU_DEP_1) | instskip(SKIP_1) | instid1(VALU_DEP_1)
	v_add3_u32 v35, v35, v22, v23
	s_wait_dscnt 0x0
	v_add3_u32 v35, v35, v16, v17
	s_delay_alu instid0(VALU_DEP_1) | instskip(SKIP_1) | instid1(VALU_DEP_2)
	v_add3_u32 v19, v35, v18, v19
	v_and_b32_e32 v35, 15, v69
	v_mov_b32_dpp v37, v19 row_shr:1 row_mask:0xf bank_mask:0xf
	s_delay_alu instid0(VALU_DEP_2)
	v_cmp_eq_u32_e32 vcc_lo, 0, v35
	v_cmp_lt_u32_e64 s1, 1, v35
	v_cmp_lt_u32_e64 s9, 3, v35
	;; [unrolled: 1-line block ×3, first 2 shown]
	s_wait_alu 0xfffd
	v_cndmask_b32_e64 v37, v37, 0, vcc_lo
	s_delay_alu instid0(VALU_DEP_1) | instskip(NEXT) | instid1(VALU_DEP_1)
	v_add_nc_u32_e32 v19, v37, v19
	v_mov_b32_dpp v37, v19 row_shr:2 row_mask:0xf bank_mask:0xf
	s_wait_alu 0xf1ff
	s_delay_alu instid0(VALU_DEP_1) | instskip(NEXT) | instid1(VALU_DEP_1)
	v_cndmask_b32_e64 v37, 0, v37, s1
	v_add_nc_u32_e32 v19, v19, v37
	s_delay_alu instid0(VALU_DEP_1) | instskip(NEXT) | instid1(VALU_DEP_1)
	v_mov_b32_dpp v37, v19 row_shr:4 row_mask:0xf bank_mask:0xf
	v_cndmask_b32_e64 v37, 0, v37, s9
	s_delay_alu instid0(VALU_DEP_1) | instskip(NEXT) | instid1(VALU_DEP_1)
	v_add_nc_u32_e32 v19, v19, v37
	v_mov_b32_dpp v37, v19 row_shr:8 row_mask:0xf bank_mask:0xf
	s_delay_alu instid0(VALU_DEP_1) | instskip(NEXT) | instid1(VALU_DEP_1)
	v_cndmask_b32_e64 v35, 0, v37, s10
	v_add_nc_u32_e32 v37, v19, v35
	v_bfe_i32 v35, v69, 4, 1
	ds_swizzle_b32 v19, v37 offset:swizzle(BROADCAST,32,15)
	s_wait_dscnt 0x0
	v_and_b32_e32 v87, v35, v19
	v_mul_i32_i24_e32 v19, 0xffffffe4, v46
	v_lshlrev_b32_e32 v35, 2, v68
	s_delay_alu instid0(VALU_DEP_3)
	v_add_nc_u32_e32 v37, v37, v87
	s_and_saveexec_b32 s11, s13
; %bb.103:
	ds_store_b32 v35, v37
; %bb.104:
	s_wait_alu 0xfffe
	s_or_b32 exec_lo, exec_lo, s11
	v_cmp_gt_u32_e64 s12, 16, v46
	v_add_nc_u32_e32 v34, v67, v19
	s_wait_loadcnt_dscnt 0x0
	s_barrier_signal -1
	s_barrier_wait -1
	global_inv scope:SCOPE_SE
	s_and_saveexec_b32 s11, s12
	s_cbranch_execz .LBB250_106
; %bb.105:
	ds_load_b32 v19, v34
	s_wait_dscnt 0x0
	v_mov_b32_dpp v68, v19 row_shr:1 row_mask:0xf bank_mask:0xf
	s_delay_alu instid0(VALU_DEP_1) | instskip(NEXT) | instid1(VALU_DEP_1)
	v_cndmask_b32_e64 v68, v68, 0, vcc_lo
	v_add_nc_u32_e32 v19, v68, v19
	s_delay_alu instid0(VALU_DEP_1) | instskip(NEXT) | instid1(VALU_DEP_1)
	v_mov_b32_dpp v68, v19 row_shr:2 row_mask:0xf bank_mask:0xf
	v_cndmask_b32_e64 v68, 0, v68, s1
	s_delay_alu instid0(VALU_DEP_1) | instskip(NEXT) | instid1(VALU_DEP_1)
	v_add_nc_u32_e32 v19, v19, v68
	v_mov_b32_dpp v68, v19 row_shr:4 row_mask:0xf bank_mask:0xf
	s_delay_alu instid0(VALU_DEP_1) | instskip(NEXT) | instid1(VALU_DEP_1)
	v_cndmask_b32_e64 v68, 0, v68, s9
	v_add_nc_u32_e32 v19, v19, v68
	s_delay_alu instid0(VALU_DEP_1) | instskip(NEXT) | instid1(VALU_DEP_1)
	v_mov_b32_dpp v68, v19 row_shr:8 row_mask:0xf bank_mask:0xf
	v_cndmask_b32_e64 v68, 0, v68, s10
	s_delay_alu instid0(VALU_DEP_1)
	v_add_nc_u32_e32 v19, v19, v68
	ds_store_b32 v34, v19
.LBB250_106:
	s_wait_alu 0xfffe
	s_or_b32 exec_lo, exec_lo, s11
	v_mul_u32_u24_e32 v19, 6, v36
	v_sub_co_u32 v68, s11, v69, 1
	v_cmp_lt_u32_e64 s14, 31, v46
	v_add_nc_u32_e32 v36, -4, v35
	v_mov_b32_e32 v70, 0
	s_wait_loadcnt_dscnt 0x0
	s_barrier_signal -1
	s_barrier_wait -1
	global_inv scope:SCOPE_SE
	s_and_saveexec_b32 s16, s14
; %bb.107:
	ds_load_b32 v70, v36
; %bb.108:
	s_or_b32 exec_lo, exec_lo, s16
	v_cmp_gt_i32_e64 s16, 0, v68
	s_mov_b32 s20, 0
	s_min_u32 s17, s17, 8
	s_mov_b32 s21, s20
	s_mov_b32 s22, s20
	v_cndmask_b32_e64 v68, v68, v69, s16
	s_mov_b32 s23, s20
	s_wait_dscnt 0x0
	v_add_nc_u32_e32 v69, v70, v37
	v_cmp_eq_u32_e64 s16, 0, v46
	s_lshl_b32 s17, -1, s17
	v_lshlrev_b32_e32 v37, 2, v68
	s_wait_alu 0xfffe
	s_not_b32 s19, s17
	ds_bpermute_b32 v68, v37, v69
	s_wait_dscnt 0x0
	v_cndmask_b32_e64 v68, v68, v70, s11
	s_delay_alu instid0(VALU_DEP_1) | instskip(NEXT) | instid1(VALU_DEP_1)
	v_cndmask_b32_e64 v87, v68, 0, s16
	v_add_nc_u32_e32 v88, v87, v20
	s_delay_alu instid0(VALU_DEP_1) | instskip(NEXT) | instid1(VALU_DEP_1)
	v_add_nc_u32_e32 v89, v88, v21
	v_add_nc_u32_e32 v90, v89, v22
	s_delay_alu instid0(VALU_DEP_1) | instskip(NEXT) | instid1(VALU_DEP_1)
	v_add_nc_u32_e32 v20, v90, v23
	;; [unrolled: 3-line block ×3, first 2 shown]
	v_add_nc_u32_e32 v23, v22, v18
	ds_store_b128 v67, v[87:90] offset:64
	ds_store_b128 v67, v[20:23] offset:80
	s_wait_loadcnt_dscnt 0x0
	s_barrier_signal -1
	s_barrier_wait -1
	global_inv scope:SCOPE_SE
	ds_load_b32 v16, v39 offset:64
	ds_load_b32 v17, v48 offset:64
	;; [unrolled: 1-line block ×8, first 2 shown]
	v_add_nc_u32_e32 v48, v25, v19
	s_wait_loadcnt_dscnt 0x0
	s_barrier_signal -1
	s_barrier_wait -1
	global_inv scope:SCOPE_SE
	v_add_nc_u32_e32 v38, v16, v38
	v_add3_u32 v40, v47, v40, v17
	v_add3_u32 v47, v50, v49, v18
	;; [unrolled: 1-line block ×7, first 2 shown]
	v_lshlrev_b32_e32 v16, 1, v38
	v_lshlrev_b32_e32 v17, 1, v40
	;; [unrolled: 1-line block ×8, first 2 shown]
	ds_store_b16 v16, v26
	ds_store_b16 v17, v27
	;; [unrolled: 1-line block ×8, first 2 shown]
	s_wait_loadcnt_dscnt 0x0
	s_barrier_signal -1
	s_barrier_wait -1
	global_inv scope:SCOPE_SE
	ds_load_u16 v26, v25
	ds_load_u16 v27, v25 offset:64
	ds_load_u16 v28, v25 offset:128
	;; [unrolled: 1-line block ×7, first 2 shown]
	v_mad_co_u64_u32 v[38:39], null, v38, 6, v[16:17]
	v_mad_co_u64_u32 v[16:17], null, v40, 6, v[17:18]
	;; [unrolled: 1-line block ×3, first 2 shown]
	s_wait_loadcnt_dscnt 0x0
	s_barrier_signal -1
	s_barrier_wait -1
	global_inv scope:SCOPE_SE
	v_mad_co_u64_u32 v[18:19], null, v49, 6, v[19:20]
	v_lshrrev_b16 v33, 8, v26
	v_cmp_ne_u16_e64 s17, 0x8000, v26
	ds_store_b64 v38, v[8:9]
	v_mad_co_u64_u32 v[19:20], null, v50, 6, v[20:21]
	v_mad_co_u64_u32 v[20:21], null, v68, 6, v[21:22]
	s_wait_alu 0xf1ff
	v_cndmask_b32_e64 v33, 0x7f, v33, s17
	v_mad_co_u64_u32 v[21:22], null, v69, 6, v[22:23]
	v_mad_co_u64_u32 v[22:23], null, v70, 6, v[23:24]
	s_delay_alu instid0(VALU_DEP_3)
	v_and_b32_e32 v8, 0xffff, v33
	ds_store_b64 v16, v[10:11]
	ds_store_b64 v17, v[0:1]
	;; [unrolled: 1-line block ×7, first 2 shown]
	v_and_b32_e32 v23, s19, v8
	s_wait_loadcnt_dscnt 0x0
	s_barrier_signal -1
	s_barrier_wait -1
	global_inv scope:SCOPE_SE
	v_and_b32_e32 v0, 1, v23
	v_lshlrev_b32_e32 v1, 30, v23
	v_lshlrev_b32_e32 v2, 29, v23
	;; [unrolled: 1-line block ×4, first 2 shown]
	v_add_co_u32 v0, s17, v0, -1
	s_wait_alu 0xf1ff
	v_cndmask_b32_e64 v4, 0, 1, s17
	v_not_b32_e32 v8, v1
	v_cmp_gt_i32_e64 s18, 0, v1
	v_not_b32_e32 v1, v2
	v_lshlrev_b32_e32 v6, 26, v23
	v_cmp_ne_u32_e64 s17, 0, v4
	v_ashrrev_i32_e32 v8, 31, v8
	v_lshlrev_b32_e32 v7, 25, v23
	v_ashrrev_i32_e32 v1, 31, v1
	v_lshlrev_b32_e32 v4, 24, v23
	s_wait_alu 0xf1ff
	v_xor_b32_e32 v0, s17, v0
	v_cmp_gt_i32_e64 s17, 0, v2
	v_not_b32_e32 v2, v3
	v_xor_b32_e32 v8, s18, v8
	v_cmp_gt_i32_e64 s18, 0, v3
	v_and_b32_e32 v0, exec_lo, v0
	v_not_b32_e32 v3, v5
	v_ashrrev_i32_e32 v2, 31, v2
	s_wait_alu 0xf1ff
	v_xor_b32_e32 v1, s17, v1
	v_cmp_gt_i32_e64 s17, 0, v5
	v_and_b32_e32 v0, v0, v8
	v_not_b32_e32 v5, v6
	v_ashrrev_i32_e32 v3, 31, v3
	v_xor_b32_e32 v2, s18, v2
	v_cmp_gt_i32_e64 s18, 0, v6
	v_and_b32_e32 v0, v0, v1
	v_not_b32_e32 v1, v7
	v_ashrrev_i32_e32 v5, 31, v5
	s_wait_alu 0xf1ff
	v_xor_b32_e32 v3, s17, v3
	v_cmp_gt_i32_e64 s17, 0, v7
	v_and_b32_e32 v0, v0, v2
	v_not_b32_e32 v2, v4
	v_ashrrev_i32_e32 v1, 31, v1
	v_xor_b32_e32 v5, s18, v5
	v_cmp_gt_i32_e64 s18, 0, v4
	v_and_b32_e32 v0, v0, v3
	v_ashrrev_i32_e32 v2, 31, v2
	s_wait_alu 0xf1ff
	v_xor_b32_e32 v1, s17, v1
	v_dual_mov_b32 v17, s20 :: v_dual_mov_b32 v18, s21
	v_and_b32_e32 v0, v0, v5
	v_xor_b32_e32 v16, s18, v2
	ds_load_2addr_b64 v[4:7], v48 offset1:32
	v_dual_mov_b32 v19, s22 :: v_dual_mov_b32 v20, s23
	v_and_b32_e32 v21, v0, v1
	ds_load_2addr_b64 v[12:15], v48 offset0:64 offset1:96
	ds_load_2addr_b64 v[8:11], v48 offset0:128 offset1:160
	;; [unrolled: 1-line block ×3, first 2 shown]
	v_lshl_add_u32 v38, v23, 6, v24
	s_wait_loadcnt_dscnt 0x0
	s_barrier_signal -1
	v_and_b32_e32 v16, v21, v16
	s_barrier_wait -1
	global_inv scope:SCOPE_SE
	ds_store_b128 v67, v[17:20] offset:64
	ds_store_b128 v67, v[17:20] offset:80
	s_wait_loadcnt_dscnt 0x0
	v_mbcnt_lo_u32_b32 v33, v16, 0
	v_cmp_ne_u32_e64 s18, 0, v16
	s_barrier_signal -1
	s_barrier_wait -1
	global_inv scope:SCOPE_SE
	v_cmp_eq_u32_e64 s17, 0, v33
	; wave barrier
	s_and_b32 s18, s18, s17
	s_wait_alu 0xfffe
	s_and_saveexec_b32 s17, s18
; %bb.109:
	v_bcnt_u32_b32 v16, v16, 0
	ds_store_b32 v38, v16 offset:64
; %bb.110:
	s_wait_alu 0xfffe
	s_or_b32 exec_lo, exec_lo, s17
	v_lshrrev_b16 v16, 8, v27
	v_cmp_ne_u16_e64 s17, 0x8000, v27
	; wave barrier
	s_wait_alu 0xf1ff
	s_delay_alu instid0(VALU_DEP_1) | instskip(NEXT) | instid1(VALU_DEP_1)
	v_cndmask_b32_e64 v16, 0x7f, v16, s17
	v_and_b32_e32 v16, s19, v16
	s_delay_alu instid0(VALU_DEP_1)
	v_and_b32_e32 v17, 1, v16
	v_lshlrev_b32_e32 v18, 30, v16
	v_lshlrev_b32_e32 v19, 29, v16
	;; [unrolled: 1-line block ×4, first 2 shown]
	v_add_co_u32 v17, s17, v17, -1
	s_wait_alu 0xf1ff
	v_cndmask_b32_e64 v21, 0, 1, s17
	v_not_b32_e32 v40, v18
	v_cmp_gt_i32_e64 s18, 0, v18
	v_not_b32_e32 v18, v19
	v_lshlrev_b32_e32 v23, 26, v16
	v_cmp_ne_u32_e64 s17, 0, v21
	v_ashrrev_i32_e32 v40, 31, v40
	v_lshlrev_b32_e32 v39, 25, v16
	v_ashrrev_i32_e32 v18, 31, v18
	v_lshlrev_b32_e32 v21, 24, v16
	s_wait_alu 0xf1ff
	v_xor_b32_e32 v17, s17, v17
	v_cmp_gt_i32_e64 s17, 0, v19
	v_not_b32_e32 v19, v20
	v_xor_b32_e32 v40, s18, v40
	v_cmp_gt_i32_e64 s18, 0, v20
	v_and_b32_e32 v17, exec_lo, v17
	v_not_b32_e32 v20, v22
	v_ashrrev_i32_e32 v19, 31, v19
	s_wait_alu 0xf1ff
	v_xor_b32_e32 v18, s17, v18
	v_cmp_gt_i32_e64 s17, 0, v22
	v_and_b32_e32 v17, v17, v40
	v_not_b32_e32 v22, v23
	v_ashrrev_i32_e32 v20, 31, v20
	v_xor_b32_e32 v19, s18, v19
	v_cmp_gt_i32_e64 s18, 0, v23
	v_and_b32_e32 v17, v17, v18
	v_not_b32_e32 v18, v39
	v_ashrrev_i32_e32 v22, 31, v22
	s_wait_alu 0xf1ff
	v_xor_b32_e32 v20, s17, v20
	v_cmp_gt_i32_e64 s17, 0, v39
	v_and_b32_e32 v17, v17, v19
	v_not_b32_e32 v19, v21
	v_ashrrev_i32_e32 v18, 31, v18
	v_xor_b32_e32 v22, s18, v22
	v_cmp_gt_i32_e64 s18, 0, v21
	v_and_b32_e32 v17, v17, v20
	v_ashrrev_i32_e32 v19, 31, v19
	s_wait_alu 0xf1ff
	v_xor_b32_e32 v18, s17, v18
	v_lshl_add_u32 v47, v16, 6, v24
	v_and_b32_e32 v17, v17, v22
	v_xor_b32_e32 v16, s18, v19
	ds_load_b32 v39, v47 offset:64
	v_and_b32_e32 v17, v17, v18
	; wave barrier
	s_delay_alu instid0(VALU_DEP_1) | instskip(NEXT) | instid1(VALU_DEP_1)
	v_and_b32_e32 v16, v17, v16
	v_mbcnt_lo_u32_b32 v40, v16, 0
	v_cmp_ne_u32_e64 s18, 0, v16
	s_delay_alu instid0(VALU_DEP_2)
	v_cmp_eq_u32_e64 s17, 0, v40
	s_and_b32 s18, s18, s17
	s_wait_alu 0xfffe
	s_and_saveexec_b32 s17, s18
	s_cbranch_execz .LBB250_112
; %bb.111:
	s_wait_dscnt 0x0
	v_bcnt_u32_b32 v16, v16, v39
	ds_store_b32 v47, v16 offset:64
.LBB250_112:
	s_wait_alu 0xfffe
	s_or_b32 exec_lo, exec_lo, s17
	v_lshrrev_b16 v16, 8, v28
	v_cmp_ne_u16_e64 s17, 0x8000, v28
	; wave barrier
	s_wait_alu 0xf1ff
	s_delay_alu instid0(VALU_DEP_1) | instskip(NEXT) | instid1(VALU_DEP_1)
	v_cndmask_b32_e64 v16, 0x7f, v16, s17
	v_and_b32_e32 v16, s19, v16
	s_delay_alu instid0(VALU_DEP_1)
	v_and_b32_e32 v17, 1, v16
	v_lshlrev_b32_e32 v18, 30, v16
	v_lshlrev_b32_e32 v19, 29, v16
	;; [unrolled: 1-line block ×4, first 2 shown]
	v_add_co_u32 v17, s17, v17, -1
	s_wait_alu 0xf1ff
	v_cndmask_b32_e64 v21, 0, 1, s17
	v_not_b32_e32 v49, v18
	v_cmp_gt_i32_e64 s18, 0, v18
	v_not_b32_e32 v18, v19
	v_lshlrev_b32_e32 v23, 26, v16
	v_cmp_ne_u32_e64 s17, 0, v21
	v_ashrrev_i32_e32 v49, 31, v49
	v_lshlrev_b32_e32 v48, 25, v16
	v_ashrrev_i32_e32 v18, 31, v18
	v_lshlrev_b32_e32 v21, 24, v16
	s_wait_alu 0xf1ff
	v_xor_b32_e32 v17, s17, v17
	v_cmp_gt_i32_e64 s17, 0, v19
	v_not_b32_e32 v19, v20
	v_xor_b32_e32 v49, s18, v49
	v_cmp_gt_i32_e64 s18, 0, v20
	v_and_b32_e32 v17, exec_lo, v17
	v_not_b32_e32 v20, v22
	v_ashrrev_i32_e32 v19, 31, v19
	s_wait_alu 0xf1ff
	v_xor_b32_e32 v18, s17, v18
	v_cmp_gt_i32_e64 s17, 0, v22
	v_and_b32_e32 v17, v17, v49
	v_not_b32_e32 v22, v23
	v_ashrrev_i32_e32 v20, 31, v20
	v_xor_b32_e32 v19, s18, v19
	v_cmp_gt_i32_e64 s18, 0, v23
	v_and_b32_e32 v17, v17, v18
	v_not_b32_e32 v18, v48
	v_ashrrev_i32_e32 v22, 31, v22
	s_wait_alu 0xf1ff
	v_xor_b32_e32 v20, s17, v20
	v_cmp_gt_i32_e64 s17, 0, v48
	v_and_b32_e32 v17, v17, v19
	v_not_b32_e32 v19, v21
	v_ashrrev_i32_e32 v18, 31, v18
	v_xor_b32_e32 v22, s18, v22
	v_cmp_gt_i32_e64 s18, 0, v21
	v_and_b32_e32 v17, v17, v20
	v_ashrrev_i32_e32 v19, 31, v19
	s_wait_alu 0xf1ff
	v_xor_b32_e32 v18, s17, v18
	v_lshl_add_u32 v50, v16, 6, v24
	v_and_b32_e32 v17, v17, v22
	v_xor_b32_e32 v16, s18, v19
	ds_load_b32 v48, v50 offset:64
	v_and_b32_e32 v17, v17, v18
	; wave barrier
	s_delay_alu instid0(VALU_DEP_1) | instskip(NEXT) | instid1(VALU_DEP_1)
	v_and_b32_e32 v16, v17, v16
	v_mbcnt_lo_u32_b32 v49, v16, 0
	v_cmp_ne_u32_e64 s18, 0, v16
	s_delay_alu instid0(VALU_DEP_2)
	v_cmp_eq_u32_e64 s17, 0, v49
	s_and_b32 s18, s18, s17
	s_wait_alu 0xfffe
	s_and_saveexec_b32 s17, s18
	s_cbranch_execz .LBB250_114
; %bb.113:
	s_wait_dscnt 0x0
	v_bcnt_u32_b32 v16, v16, v48
	ds_store_b32 v50, v16 offset:64
.LBB250_114:
	s_wait_alu 0xfffe
	s_or_b32 exec_lo, exec_lo, s17
	v_lshrrev_b16 v16, 8, v29
	v_cmp_ne_u16_e64 s17, 0x8000, v29
	; wave barrier
	s_wait_alu 0xf1ff
	s_delay_alu instid0(VALU_DEP_1) | instskip(NEXT) | instid1(VALU_DEP_1)
	v_cndmask_b32_e64 v16, 0x7f, v16, s17
	v_and_b32_e32 v16, s19, v16
	s_delay_alu instid0(VALU_DEP_1)
	v_and_b32_e32 v17, 1, v16
	v_lshlrev_b32_e32 v18, 30, v16
	v_lshlrev_b32_e32 v19, 29, v16
	;; [unrolled: 1-line block ×4, first 2 shown]
	v_add_co_u32 v17, s17, v17, -1
	s_wait_alu 0xf1ff
	v_cndmask_b32_e64 v21, 0, 1, s17
	v_not_b32_e32 v69, v18
	v_cmp_gt_i32_e64 s18, 0, v18
	v_not_b32_e32 v18, v19
	v_lshlrev_b32_e32 v23, 26, v16
	v_cmp_ne_u32_e64 s17, 0, v21
	v_ashrrev_i32_e32 v69, 31, v69
	v_lshlrev_b32_e32 v68, 25, v16
	v_ashrrev_i32_e32 v18, 31, v18
	v_lshlrev_b32_e32 v21, 24, v16
	s_wait_alu 0xf1ff
	v_xor_b32_e32 v17, s17, v17
	v_cmp_gt_i32_e64 s17, 0, v19
	v_not_b32_e32 v19, v20
	v_xor_b32_e32 v69, s18, v69
	v_cmp_gt_i32_e64 s18, 0, v20
	v_and_b32_e32 v17, exec_lo, v17
	v_not_b32_e32 v20, v22
	v_ashrrev_i32_e32 v19, 31, v19
	s_wait_alu 0xf1ff
	v_xor_b32_e32 v18, s17, v18
	v_cmp_gt_i32_e64 s17, 0, v22
	v_and_b32_e32 v17, v17, v69
	v_not_b32_e32 v22, v23
	v_ashrrev_i32_e32 v20, 31, v20
	v_xor_b32_e32 v19, s18, v19
	v_cmp_gt_i32_e64 s18, 0, v23
	v_and_b32_e32 v17, v17, v18
	v_not_b32_e32 v18, v68
	v_ashrrev_i32_e32 v22, 31, v22
	s_wait_alu 0xf1ff
	v_xor_b32_e32 v20, s17, v20
	v_cmp_gt_i32_e64 s17, 0, v68
	v_and_b32_e32 v17, v17, v19
	v_not_b32_e32 v19, v21
	v_ashrrev_i32_e32 v18, 31, v18
	v_xor_b32_e32 v22, s18, v22
	v_cmp_gt_i32_e64 s18, 0, v21
	v_and_b32_e32 v17, v17, v20
	v_ashrrev_i32_e32 v19, 31, v19
	s_wait_alu 0xf1ff
	v_xor_b32_e32 v18, s17, v18
	v_lshl_add_u32 v70, v16, 6, v24
	v_and_b32_e32 v17, v17, v22
	v_xor_b32_e32 v16, s18, v19
	ds_load_b32 v68, v70 offset:64
	v_and_b32_e32 v17, v17, v18
	; wave barrier
	s_delay_alu instid0(VALU_DEP_1) | instskip(NEXT) | instid1(VALU_DEP_1)
	v_and_b32_e32 v16, v17, v16
	v_mbcnt_lo_u32_b32 v69, v16, 0
	v_cmp_ne_u32_e64 s18, 0, v16
	s_delay_alu instid0(VALU_DEP_2)
	v_cmp_eq_u32_e64 s17, 0, v69
	s_and_b32 s18, s18, s17
	s_wait_alu 0xfffe
	s_and_saveexec_b32 s17, s18
	s_cbranch_execz .LBB250_116
; %bb.115:
	s_wait_dscnt 0x0
	v_bcnt_u32_b32 v16, v16, v68
	ds_store_b32 v70, v16 offset:64
.LBB250_116:
	s_wait_alu 0xfffe
	s_or_b32 exec_lo, exec_lo, s17
	v_lshrrev_b16 v16, 8, v30
	v_cmp_ne_u16_e64 s17, 0x8000, v30
	; wave barrier
	s_wait_alu 0xf1ff
	s_delay_alu instid0(VALU_DEP_1) | instskip(NEXT) | instid1(VALU_DEP_1)
	v_cndmask_b32_e64 v16, 0x7f, v16, s17
	v_and_b32_e32 v16, s19, v16
	s_delay_alu instid0(VALU_DEP_1)
	v_and_b32_e32 v17, 1, v16
	v_lshlrev_b32_e32 v18, 30, v16
	v_lshlrev_b32_e32 v19, 29, v16
	;; [unrolled: 1-line block ×4, first 2 shown]
	v_add_co_u32 v17, s17, v17, -1
	s_wait_alu 0xf1ff
	v_cndmask_b32_e64 v21, 0, 1, s17
	v_not_b32_e32 v72, v18
	v_cmp_gt_i32_e64 s18, 0, v18
	v_not_b32_e32 v18, v19
	v_lshlrev_b32_e32 v23, 26, v16
	v_cmp_ne_u32_e64 s17, 0, v21
	v_ashrrev_i32_e32 v72, 31, v72
	v_lshlrev_b32_e32 v71, 25, v16
	v_ashrrev_i32_e32 v18, 31, v18
	v_lshlrev_b32_e32 v21, 24, v16
	s_wait_alu 0xf1ff
	v_xor_b32_e32 v17, s17, v17
	v_cmp_gt_i32_e64 s17, 0, v19
	v_not_b32_e32 v19, v20
	v_xor_b32_e32 v72, s18, v72
	v_cmp_gt_i32_e64 s18, 0, v20
	v_and_b32_e32 v17, exec_lo, v17
	v_not_b32_e32 v20, v22
	v_ashrrev_i32_e32 v19, 31, v19
	s_wait_alu 0xf1ff
	v_xor_b32_e32 v18, s17, v18
	v_cmp_gt_i32_e64 s17, 0, v22
	v_and_b32_e32 v17, v17, v72
	v_not_b32_e32 v22, v23
	v_ashrrev_i32_e32 v20, 31, v20
	v_xor_b32_e32 v19, s18, v19
	v_cmp_gt_i32_e64 s18, 0, v23
	v_and_b32_e32 v17, v17, v18
	v_not_b32_e32 v18, v71
	v_ashrrev_i32_e32 v22, 31, v22
	s_wait_alu 0xf1ff
	v_xor_b32_e32 v20, s17, v20
	v_cmp_gt_i32_e64 s17, 0, v71
	v_and_b32_e32 v17, v17, v19
	v_not_b32_e32 v19, v21
	v_ashrrev_i32_e32 v18, 31, v18
	v_xor_b32_e32 v22, s18, v22
	v_cmp_gt_i32_e64 s18, 0, v21
	v_and_b32_e32 v17, v17, v20
	v_ashrrev_i32_e32 v19, 31, v19
	s_wait_alu 0xf1ff
	v_xor_b32_e32 v18, s17, v18
	v_lshl_add_u32 v73, v16, 6, v24
	v_and_b32_e32 v17, v17, v22
	v_xor_b32_e32 v16, s18, v19
	ds_load_b32 v71, v73 offset:64
	v_and_b32_e32 v17, v17, v18
	; wave barrier
	s_delay_alu instid0(VALU_DEP_1) | instskip(NEXT) | instid1(VALU_DEP_1)
	v_and_b32_e32 v16, v17, v16
	v_mbcnt_lo_u32_b32 v72, v16, 0
	v_cmp_ne_u32_e64 s18, 0, v16
	s_delay_alu instid0(VALU_DEP_2)
	v_cmp_eq_u32_e64 s17, 0, v72
	s_and_b32 s18, s18, s17
	s_wait_alu 0xfffe
	s_and_saveexec_b32 s17, s18
	s_cbranch_execz .LBB250_118
; %bb.117:
	s_wait_dscnt 0x0
	v_bcnt_u32_b32 v16, v16, v71
	ds_store_b32 v73, v16 offset:64
.LBB250_118:
	s_wait_alu 0xfffe
	s_or_b32 exec_lo, exec_lo, s17
	v_lshrrev_b16 v16, 8, v31
	v_cmp_ne_u16_e64 s17, 0x8000, v31
	; wave barrier
	s_wait_alu 0xf1ff
	s_delay_alu instid0(VALU_DEP_1) | instskip(NEXT) | instid1(VALU_DEP_1)
	v_cndmask_b32_e64 v16, 0x7f, v16, s17
	v_and_b32_e32 v16, s19, v16
	s_delay_alu instid0(VALU_DEP_1)
	v_and_b32_e32 v17, 1, v16
	v_lshlrev_b32_e32 v18, 30, v16
	v_lshlrev_b32_e32 v19, 29, v16
	;; [unrolled: 1-line block ×4, first 2 shown]
	v_add_co_u32 v17, s17, v17, -1
	s_wait_alu 0xf1ff
	v_cndmask_b32_e64 v21, 0, 1, s17
	v_not_b32_e32 v75, v18
	v_cmp_gt_i32_e64 s18, 0, v18
	v_not_b32_e32 v18, v19
	v_lshlrev_b32_e32 v23, 26, v16
	v_cmp_ne_u32_e64 s17, 0, v21
	v_ashrrev_i32_e32 v75, 31, v75
	v_lshlrev_b32_e32 v74, 25, v16
	v_ashrrev_i32_e32 v18, 31, v18
	v_lshlrev_b32_e32 v21, 24, v16
	s_wait_alu 0xf1ff
	v_xor_b32_e32 v17, s17, v17
	v_cmp_gt_i32_e64 s17, 0, v19
	v_not_b32_e32 v19, v20
	v_xor_b32_e32 v75, s18, v75
	v_cmp_gt_i32_e64 s18, 0, v20
	v_and_b32_e32 v17, exec_lo, v17
	v_not_b32_e32 v20, v22
	v_ashrrev_i32_e32 v19, 31, v19
	s_wait_alu 0xf1ff
	v_xor_b32_e32 v18, s17, v18
	v_cmp_gt_i32_e64 s17, 0, v22
	v_and_b32_e32 v17, v17, v75
	v_not_b32_e32 v22, v23
	v_ashrrev_i32_e32 v20, 31, v20
	v_xor_b32_e32 v19, s18, v19
	v_cmp_gt_i32_e64 s18, 0, v23
	v_and_b32_e32 v17, v17, v18
	v_not_b32_e32 v18, v74
	v_ashrrev_i32_e32 v22, 31, v22
	s_wait_alu 0xf1ff
	v_xor_b32_e32 v20, s17, v20
	v_cmp_gt_i32_e64 s17, 0, v74
	v_and_b32_e32 v17, v17, v19
	v_not_b32_e32 v19, v21
	v_ashrrev_i32_e32 v18, 31, v18
	v_xor_b32_e32 v22, s18, v22
	v_cmp_gt_i32_e64 s18, 0, v21
	v_and_b32_e32 v17, v17, v20
	v_ashrrev_i32_e32 v19, 31, v19
	s_wait_alu 0xf1ff
	v_xor_b32_e32 v18, s17, v18
	v_lshl_add_u32 v76, v16, 6, v24
	v_and_b32_e32 v17, v17, v22
	v_xor_b32_e32 v16, s18, v19
	ds_load_b32 v74, v76 offset:64
	v_and_b32_e32 v17, v17, v18
	; wave barrier
	s_delay_alu instid0(VALU_DEP_1) | instskip(NEXT) | instid1(VALU_DEP_1)
	v_and_b32_e32 v16, v17, v16
	v_mbcnt_lo_u32_b32 v75, v16, 0
	v_cmp_ne_u32_e64 s18, 0, v16
	s_delay_alu instid0(VALU_DEP_2)
	v_cmp_eq_u32_e64 s17, 0, v75
	s_and_b32 s18, s18, s17
	s_wait_alu 0xfffe
	s_and_saveexec_b32 s17, s18
	s_cbranch_execz .LBB250_120
; %bb.119:
	s_wait_dscnt 0x0
	v_bcnt_u32_b32 v16, v16, v74
	ds_store_b32 v76, v16 offset:64
.LBB250_120:
	s_wait_alu 0xfffe
	s_or_b32 exec_lo, exec_lo, s17
	v_lshrrev_b16 v16, 8, v32
	v_cmp_ne_u16_e64 s17, 0x8000, v32
	; wave barrier
	s_wait_alu 0xf1ff
	s_delay_alu instid0(VALU_DEP_1) | instskip(NEXT) | instid1(VALU_DEP_1)
	v_cndmask_b32_e64 v16, 0x7f, v16, s17
	v_and_b32_e32 v16, s19, v16
	s_delay_alu instid0(VALU_DEP_1)
	v_and_b32_e32 v17, 1, v16
	v_lshlrev_b32_e32 v18, 30, v16
	v_lshlrev_b32_e32 v19, 29, v16
	v_lshlrev_b32_e32 v20, 28, v16
	v_lshlrev_b32_e32 v22, 27, v16
	v_add_co_u32 v17, s17, v17, -1
	s_wait_alu 0xf1ff
	v_cndmask_b32_e64 v21, 0, 1, s17
	v_not_b32_e32 v78, v18
	v_cmp_gt_i32_e64 s18, 0, v18
	v_not_b32_e32 v18, v19
	v_lshlrev_b32_e32 v23, 26, v16
	v_cmp_ne_u32_e64 s17, 0, v21
	v_ashrrev_i32_e32 v78, 31, v78
	v_lshlrev_b32_e32 v77, 25, v16
	v_ashrrev_i32_e32 v18, 31, v18
	v_lshlrev_b32_e32 v21, 24, v16
	s_wait_alu 0xf1ff
	v_xor_b32_e32 v17, s17, v17
	v_cmp_gt_i32_e64 s17, 0, v19
	v_not_b32_e32 v19, v20
	v_xor_b32_e32 v78, s18, v78
	v_cmp_gt_i32_e64 s18, 0, v20
	v_and_b32_e32 v17, exec_lo, v17
	v_not_b32_e32 v20, v22
	v_ashrrev_i32_e32 v19, 31, v19
	s_wait_alu 0xf1ff
	v_xor_b32_e32 v18, s17, v18
	v_cmp_gt_i32_e64 s17, 0, v22
	v_and_b32_e32 v17, v17, v78
	v_not_b32_e32 v22, v23
	v_ashrrev_i32_e32 v20, 31, v20
	v_xor_b32_e32 v19, s18, v19
	v_cmp_gt_i32_e64 s18, 0, v23
	v_and_b32_e32 v17, v17, v18
	v_not_b32_e32 v18, v77
	v_ashrrev_i32_e32 v22, 31, v22
	s_wait_alu 0xf1ff
	v_xor_b32_e32 v20, s17, v20
	v_cmp_gt_i32_e64 s17, 0, v77
	v_and_b32_e32 v17, v17, v19
	v_not_b32_e32 v19, v21
	v_ashrrev_i32_e32 v18, 31, v18
	v_xor_b32_e32 v22, s18, v22
	v_cmp_gt_i32_e64 s18, 0, v21
	v_and_b32_e32 v17, v17, v20
	v_ashrrev_i32_e32 v19, 31, v19
	s_wait_alu 0xf1ff
	v_xor_b32_e32 v18, s17, v18
	v_lshl_add_u32 v79, v16, 6, v24
	v_and_b32_e32 v17, v17, v22
	v_xor_b32_e32 v16, s18, v19
	ds_load_b32 v77, v79 offset:64
	v_and_b32_e32 v17, v17, v18
	; wave barrier
	s_delay_alu instid0(VALU_DEP_1) | instskip(NEXT) | instid1(VALU_DEP_1)
	v_and_b32_e32 v16, v17, v16
	v_mbcnt_lo_u32_b32 v78, v16, 0
	v_cmp_ne_u32_e64 s18, 0, v16
	s_delay_alu instid0(VALU_DEP_2)
	v_cmp_eq_u32_e64 s17, 0, v78
	s_and_b32 s18, s18, s17
	s_wait_alu 0xfffe
	s_and_saveexec_b32 s17, s18
	s_cbranch_execz .LBB250_122
; %bb.121:
	s_wait_dscnt 0x0
	v_bcnt_u32_b32 v16, v16, v77
	ds_store_b32 v79, v16 offset:64
.LBB250_122:
	s_wait_alu 0xfffe
	s_or_b32 exec_lo, exec_lo, s17
	v_lshrrev_b16 v16, 8, v25
	v_cmp_ne_u16_e64 s17, 0x8000, v25
	; wave barrier
	s_wait_alu 0xf1ff
	s_delay_alu instid0(VALU_DEP_1) | instskip(NEXT) | instid1(VALU_DEP_1)
	v_cndmask_b32_e64 v16, 0x7f, v16, s17
	v_and_b32_e32 v16, s19, v16
	s_delay_alu instid0(VALU_DEP_1)
	v_and_b32_e32 v17, 1, v16
	v_lshlrev_b32_e32 v18, 30, v16
	v_lshlrev_b32_e32 v19, 29, v16
	;; [unrolled: 1-line block ×4, first 2 shown]
	v_add_co_u32 v17, s17, v17, -1
	s_wait_alu 0xf1ff
	v_cndmask_b32_e64 v21, 0, 1, s17
	v_not_b32_e32 v81, v18
	v_cmp_gt_i32_e64 s18, 0, v18
	v_not_b32_e32 v18, v19
	v_lshlrev_b32_e32 v23, 26, v16
	v_cmp_ne_u32_e64 s17, 0, v21
	v_ashrrev_i32_e32 v81, 31, v81
	v_lshlrev_b32_e32 v80, 25, v16
	v_ashrrev_i32_e32 v18, 31, v18
	v_lshlrev_b32_e32 v21, 24, v16
	s_wait_alu 0xf1ff
	v_xor_b32_e32 v17, s17, v17
	v_cmp_gt_i32_e64 s17, 0, v19
	v_not_b32_e32 v19, v20
	v_xor_b32_e32 v81, s18, v81
	v_cmp_gt_i32_e64 s18, 0, v20
	v_and_b32_e32 v17, exec_lo, v17
	v_not_b32_e32 v20, v22
	v_ashrrev_i32_e32 v19, 31, v19
	s_wait_alu 0xf1ff
	v_xor_b32_e32 v18, s17, v18
	v_cmp_gt_i32_e64 s17, 0, v22
	v_and_b32_e32 v17, v17, v81
	v_not_b32_e32 v22, v23
	v_ashrrev_i32_e32 v20, 31, v20
	v_xor_b32_e32 v19, s18, v19
	v_cmp_gt_i32_e64 s18, 0, v23
	v_and_b32_e32 v17, v17, v18
	v_not_b32_e32 v18, v80
	v_ashrrev_i32_e32 v22, 31, v22
	s_wait_alu 0xf1ff
	v_xor_b32_e32 v20, s17, v20
	v_cmp_gt_i32_e64 s17, 0, v80
	v_and_b32_e32 v17, v17, v19
	v_not_b32_e32 v19, v21
	v_ashrrev_i32_e32 v18, 31, v18
	v_xor_b32_e32 v22, s18, v22
	v_cmp_gt_i32_e64 s18, 0, v21
	v_and_b32_e32 v17, v17, v20
	v_ashrrev_i32_e32 v19, 31, v19
	s_wait_alu 0xf1ff
	v_xor_b32_e32 v18, s17, v18
	v_lshl_add_u32 v81, v16, 6, v24
	v_and_b32_e32 v17, v17, v22
	v_xor_b32_e32 v16, s18, v19
	ds_load_b32 v24, v81 offset:64
	v_and_b32_e32 v17, v17, v18
	; wave barrier
	s_delay_alu instid0(VALU_DEP_1) | instskip(NEXT) | instid1(VALU_DEP_1)
	v_and_b32_e32 v16, v17, v16
	v_mbcnt_lo_u32_b32 v80, v16, 0
	v_cmp_ne_u32_e64 s18, 0, v16
	s_delay_alu instid0(VALU_DEP_2)
	v_cmp_eq_u32_e64 s17, 0, v80
	s_and_b32 s18, s18, s17
	s_wait_alu 0xfffe
	s_and_saveexec_b32 s17, s18
	s_cbranch_execz .LBB250_124
; %bb.123:
	s_wait_dscnt 0x0
	v_bcnt_u32_b32 v16, v16, v24
	ds_store_b32 v81, v16 offset:64
.LBB250_124:
	s_wait_alu 0xfffe
	s_or_b32 exec_lo, exec_lo, s17
	; wave barrier
	s_wait_loadcnt_dscnt 0x0
	s_barrier_signal -1
	s_barrier_wait -1
	global_inv scope:SCOPE_SE
	ds_load_b128 v[20:23], v67 offset:64
	ds_load_b128 v[16:19], v67 offset:80
	s_wait_dscnt 0x1
	v_add_nc_u32_e32 v82, v21, v20
	s_delay_alu instid0(VALU_DEP_1) | instskip(SKIP_1) | instid1(VALU_DEP_1)
	v_add3_u32 v82, v82, v22, v23
	s_wait_dscnt 0x0
	v_add3_u32 v82, v82, v16, v17
	s_delay_alu instid0(VALU_DEP_1) | instskip(NEXT) | instid1(VALU_DEP_1)
	v_add3_u32 v19, v82, v18, v19
	v_mov_b32_dpp v82, v19 row_shr:1 row_mask:0xf bank_mask:0xf
	s_delay_alu instid0(VALU_DEP_1) | instskip(NEXT) | instid1(VALU_DEP_1)
	v_cndmask_b32_e64 v82, v82, 0, vcc_lo
	v_add_nc_u32_e32 v19, v82, v19
	s_delay_alu instid0(VALU_DEP_1) | instskip(NEXT) | instid1(VALU_DEP_1)
	v_mov_b32_dpp v82, v19 row_shr:2 row_mask:0xf bank_mask:0xf
	v_cndmask_b32_e64 v82, 0, v82, s1
	s_delay_alu instid0(VALU_DEP_1) | instskip(NEXT) | instid1(VALU_DEP_1)
	v_add_nc_u32_e32 v19, v19, v82
	v_mov_b32_dpp v82, v19 row_shr:4 row_mask:0xf bank_mask:0xf
	s_delay_alu instid0(VALU_DEP_1) | instskip(NEXT) | instid1(VALU_DEP_1)
	v_cndmask_b32_e64 v82, 0, v82, s9
	v_add_nc_u32_e32 v19, v19, v82
	s_delay_alu instid0(VALU_DEP_1) | instskip(NEXT) | instid1(VALU_DEP_1)
	v_mov_b32_dpp v82, v19 row_shr:8 row_mask:0xf bank_mask:0xf
	v_cndmask_b32_e64 v82, 0, v82, s10
	s_delay_alu instid0(VALU_DEP_1) | instskip(SKIP_3) | instid1(VALU_DEP_1)
	v_add_nc_u32_e32 v19, v19, v82
	ds_swizzle_b32 v82, v19 offset:swizzle(BROADCAST,32,15)
	s_wait_dscnt 0x0
	v_cndmask_b32_e64 v82, v82, 0, s15
	v_add_nc_u32_e32 v19, v19, v82
	s_and_saveexec_b32 s15, s13
; %bb.125:
	ds_store_b32 v35, v19
; %bb.126:
	s_wait_alu 0xfffe
	s_or_b32 exec_lo, exec_lo, s15
	s_wait_loadcnt_dscnt 0x0
	s_barrier_signal -1
	s_barrier_wait -1
	global_inv scope:SCOPE_SE
	s_and_saveexec_b32 s13, s12
	s_cbranch_execz .LBB250_128
; %bb.127:
	ds_load_b32 v35, v34
	s_wait_dscnt 0x0
	v_mov_b32_dpp v82, v35 row_shr:1 row_mask:0xf bank_mask:0xf
	s_delay_alu instid0(VALU_DEP_1) | instskip(NEXT) | instid1(VALU_DEP_1)
	v_cndmask_b32_e64 v82, v82, 0, vcc_lo
	v_add_nc_u32_e32 v35, v82, v35
	s_delay_alu instid0(VALU_DEP_1) | instskip(NEXT) | instid1(VALU_DEP_1)
	v_mov_b32_dpp v82, v35 row_shr:2 row_mask:0xf bank_mask:0xf
	v_cndmask_b32_e64 v82, 0, v82, s1
	s_delay_alu instid0(VALU_DEP_1) | instskip(NEXT) | instid1(VALU_DEP_1)
	v_add_nc_u32_e32 v35, v35, v82
	v_mov_b32_dpp v82, v35 row_shr:4 row_mask:0xf bank_mask:0xf
	s_delay_alu instid0(VALU_DEP_1) | instskip(NEXT) | instid1(VALU_DEP_1)
	v_cndmask_b32_e64 v82, 0, v82, s9
	v_add_nc_u32_e32 v35, v35, v82
	s_delay_alu instid0(VALU_DEP_1) | instskip(NEXT) | instid1(VALU_DEP_1)
	v_mov_b32_dpp v82, v35 row_shr:8 row_mask:0xf bank_mask:0xf
	v_cndmask_b32_e64 v82, 0, v82, s10
	s_delay_alu instid0(VALU_DEP_1)
	v_add_nc_u32_e32 v35, v35, v82
	ds_store_b32 v34, v35
.LBB250_128:
	s_wait_alu 0xfffe
	s_or_b32 exec_lo, exec_lo, s13
	v_mov_b32_e32 v34, 0
	s_wait_loadcnt_dscnt 0x0
	s_barrier_signal -1
	s_barrier_wait -1
	global_inv scope:SCOPE_SE
	s_and_saveexec_b32 s1, s14
; %bb.129:
	ds_load_b32 v34, v36
; %bb.130:
	s_wait_alu 0xfffe
	s_or_b32 exec_lo, exec_lo, s1
	s_wait_dscnt 0x0
	v_add_nc_u32_e32 v19, v34, v19
	ds_bpermute_b32 v19, v37, v19
	s_wait_dscnt 0x0
	v_cndmask_b32_e64 v19, v19, v34, s11
	s_delay_alu instid0(VALU_DEP_1) | instskip(NEXT) | instid1(VALU_DEP_1)
	v_cndmask_b32_e64 v19, v19, 0, s16
	v_add_nc_u32_e32 v20, v19, v20
	s_delay_alu instid0(VALU_DEP_1) | instskip(NEXT) | instid1(VALU_DEP_1)
	v_add_nc_u32_e32 v21, v20, v21
	v_add_nc_u32_e32 v22, v21, v22
	s_delay_alu instid0(VALU_DEP_1) | instskip(NEXT) | instid1(VALU_DEP_1)
	v_add_nc_u32_e32 v34, v22, v23
	v_add_nc_u32_e32 v35, v34, v16
	s_delay_alu instid0(VALU_DEP_1) | instskip(NEXT) | instid1(VALU_DEP_1)
	v_add_nc_u32_e32 v36, v35, v17
	v_add_nc_u32_e32 v37, v36, v18
	ds_store_b128 v67, v[19:22] offset:64
	ds_store_b128 v67, v[34:37] offset:80
	s_wait_loadcnt_dscnt 0x0
	s_barrier_signal -1
	s_barrier_wait -1
	global_inv scope:SCOPE_SE
	ds_load_b32 v16, v81 offset:64
	ds_load_b32 v17, v79 offset:64
	;; [unrolled: 1-line block ×8, first 2 shown]
	v_lshlrev_b32_e32 v34, 1, v66
	s_wait_loadcnt_dscnt 0x0
	s_barrier_signal -1
	s_barrier_wait -1
	global_inv scope:SCOPE_SE
	v_mad_u32_u24 v37, v46, 48, v34
	v_add3_u32 v35, v80, v24, v16
	v_add3_u32 v36, v78, v77, v17
	;; [unrolled: 1-line block ×3, first 2 shown]
	v_add_nc_u32_e32 v24, v19, v33
	v_add3_u32 v33, v40, v39, v20
	v_add3_u32 v39, v49, v48, v21
	;; [unrolled: 1-line block ×4, first 2 shown]
	v_lshlrev_b32_e32 v16, 1, v24
	v_lshlrev_b32_e32 v17, 1, v33
	;; [unrolled: 1-line block ×8, first 2 shown]
	ds_store_b16 v16, v26
	ds_store_b16 v17, v27
	;; [unrolled: 1-line block ×8, first 2 shown]
	v_mad_co_u64_u32 v[24:25], null, v24, 6, v[16:17]
	v_mad_co_u64_u32 v[16:17], null, v33, 6, v[17:18]
	;; [unrolled: 1-line block ×7, first 2 shown]
	s_wait_loadcnt_dscnt 0x0
	s_barrier_signal -1
	s_barrier_wait -1
	global_inv scope:SCOPE_SE
	v_mad_co_u64_u32 v[22:23], null, v35, 6, v[23:24]
	ds_load_b128 v[33:36], v34
	s_wait_loadcnt_dscnt 0x0
	s_barrier_signal -1
	s_barrier_wait -1
	global_inv scope:SCOPE_SE
	ds_store_b64 v24, v[4:5]
	ds_store_b64 v16, v[6:7]
	ds_store_b64 v17, v[12:13]
	ds_store_b64 v18, v[14:15]
	ds_store_b64 v19, v[8:9]
	ds_store_b64 v20, v[10:11]
	ds_store_b64 v21, v[0:1]
	ds_store_b64 v22, v[2:3]
	s_wait_loadcnt_dscnt 0x0
	s_barrier_signal -1
	s_barrier_wait -1
	global_inv scope:SCOPE_SE
	ds_load_b128 v[29:32], v37
	ds_load_b128 v[25:28], v37 offset:16
	ds_load_b128 v[21:24], v37 offset:32
	;; [unrolled: 1-line block ×3, first 2 shown]
	v_cmp_gt_i16_e32 vcc_lo, 0, v33
	v_lshrrev_b32_e32 v0, 16, v33
	v_lshrrev_b32_e32 v2, 16, v34
	;; [unrolled: 1-line block ×4, first 2 shown]
	s_wait_alu 0xfffd
	v_cndmask_b32_e64 v1, 0x7fff, 0, vcc_lo
	v_cmp_gt_i16_e32 vcc_lo, 0, v34
	s_wait_alu 0xfffd
	v_cndmask_b32_e64 v3, 0x7fff, 0, vcc_lo
	v_cmp_gt_i16_e32 vcc_lo, 0, v35
	;; [unrolled: 3-line block ×5, first 2 shown]
	s_delay_alu instid0(VALU_DEP_2) | instskip(SKIP_3) | instid1(VALU_DEP_3)
	v_perm_b32 v0, v0, v1, 0x5040100
	s_wait_alu 0xfffd
	v_cndmask_b32_e64 v2, 0x7fff, 0, vcc_lo
	v_cmp_gt_i16_e32 vcc_lo, 0, v4
	v_xor_b32_e32 v0, v0, v33
	s_delay_alu instid0(VALU_DEP_3) | instskip(SKIP_3) | instid1(VALU_DEP_3)
	v_perm_b32 v1, v2, v3, 0x5040100
	s_wait_alu 0xfffd
	v_cndmask_b32_e64 v4, 0x7fff, 0, vcc_lo
	v_cmp_gt_i16_e32 vcc_lo, 0, v6
	v_xor_b32_e32 v34, v1, v34
	s_delay_alu instid0(VALU_DEP_3) | instskip(SKIP_2) | instid1(VALU_DEP_2)
	v_perm_b32 v2, v4, v5, 0x5040100
	s_wait_alu 0xfffd
	v_cndmask_b32_e64 v6, 0x7fff, 0, vcc_lo
	v_xor_b32_e32 v33, v2, v35
	s_delay_alu instid0(VALU_DEP_2) | instskip(NEXT) | instid1(VALU_DEP_1)
	v_perm_b32 v3, v6, v7, 0x5040100
	v_xor_b32_e32 v35, v3, v36
.LBB250_131:
	s_wait_loadcnt_dscnt 0x0
	s_barrier_signal -1
	s_barrier_wait -1
	global_inv scope:SCOPE_SE
	ds_store_2addr_b32 v58, v0, v34 offset1:1
	ds_store_2addr_b32 v58, v33, v35 offset0:2 offset1:3
	s_wait_loadcnt_dscnt 0x0
	s_barrier_signal -1
	s_barrier_wait -1
	global_inv scope:SCOPE_SE
	ds_load_u16 v8, v45 offset:1024
	ds_load_u16 v7, v52 offset:2048
	;; [unrolled: 1-line block ×7, first 2 shown]
	v_mov_b32_e32 v45, 0
	s_delay_alu instid0(VALU_DEP_1) | instskip(NEXT) | instid1(VALU_DEP_1)
	v_lshlrev_b64_e32 v[0:1], 1, v[44:45]
	v_add_co_u32 v0, vcc_lo, s30, v0
	s_wait_alu 0xfffd
	s_delay_alu instid0(VALU_DEP_2)
	v_add_co_ci_u32_e64 v1, null, s31, v1, vcc_lo
	s_and_saveexec_b32 s1, s2
	s_cbranch_execnz .LBB250_150
; %bb.132:
	s_wait_alu 0xfffe
	s_or_b32 exec_lo, exec_lo, s1
	s_and_saveexec_b32 s1, s3
	s_cbranch_execnz .LBB250_151
.LBB250_133:
	s_wait_alu 0xfffe
	s_or_b32 exec_lo, exec_lo, s1
	s_and_saveexec_b32 s1, s4
	s_cbranch_execnz .LBB250_152
.LBB250_134:
	s_wait_alu 0xfffe
	s_or_b32 exec_lo, exec_lo, s1
	s_and_saveexec_b32 s1, s5
	s_cbranch_execnz .LBB250_153
.LBB250_135:
	s_wait_alu 0xfffe
	s_or_b32 exec_lo, exec_lo, s1
	s_and_saveexec_b32 s1, s6
	s_cbranch_execnz .LBB250_154
.LBB250_136:
	s_wait_alu 0xfffe
	s_or_b32 exec_lo, exec_lo, s1
	s_and_saveexec_b32 s1, s7
	s_cbranch_execnz .LBB250_155
.LBB250_137:
	s_wait_alu 0xfffe
	s_or_b32 exec_lo, exec_lo, s1
	s_and_saveexec_b32 s1, s8
	s_cbranch_execnz .LBB250_156
.LBB250_138:
	s_wait_alu 0xfffe
	s_or_b32 exec_lo, exec_lo, s1
	s_and_saveexec_b32 s1, s0
	s_cbranch_execz .LBB250_140
.LBB250_139:
	s_mul_i32 s10, s26, 0xe00
	s_mov_b32 s11, 0
	s_wait_alu 0xfffe
	s_lshl_b64 s[10:11], s[10:11], 1
	s_wait_alu 0xfffe
	v_add_co_u32 v0, vcc_lo, v0, s10
	s_wait_alu 0xfffd
	v_add_co_ci_u32_e64 v1, null, s11, v1, vcc_lo
	s_wait_dscnt 0x0
	global_store_b16 v[0:1], v2, off
.LBB250_140:
	s_wait_alu 0xfffe
	s_or_b32 exec_lo, exec_lo, s1
	s_wait_storecnt 0x0
	s_wait_loadcnt_dscnt 0x0
	s_barrier_signal -1
	s_barrier_wait -1
	global_inv scope:SCOPE_SE
	ds_store_2addr_b64 v65, v[29:30], v[31:32] offset1:1
	ds_store_2addr_b64 v65, v[25:26], v[27:28] offset0:2 offset1:3
	ds_store_2addr_b64 v65, v[21:22], v[23:24] offset0:4 offset1:5
	;; [unrolled: 1-line block ×3, first 2 shown]
	s_wait_loadcnt_dscnt 0x0
	s_barrier_signal -1
	s_barrier_wait -1
	global_inv scope:SCOPE_SE
	ds_load_b64 v[14:15], v60 offset:4096
	ds_load_b64 v[12:13], v61 offset:8192
	;; [unrolled: 1-line block ×7, first 2 shown]
	v_mov_b32_e32 v42, 0
	s_delay_alu instid0(VALU_DEP_1) | instskip(NEXT) | instid1(VALU_DEP_1)
	v_lshlrev_b64_e32 v[2:3], 3, v[41:42]
	v_add_co_u32 v2, vcc_lo, s24, v2
	s_wait_alu 0xfffd
	s_delay_alu instid0(VALU_DEP_2)
	v_add_co_ci_u32_e64 v3, null, s25, v3, vcc_lo
	s_and_saveexec_b32 s1, s2
	s_cbranch_execnz .LBB250_157
; %bb.141:
	s_wait_alu 0xfffe
	s_or_b32 exec_lo, exec_lo, s1
	s_and_saveexec_b32 s1, s3
	s_cbranch_execnz .LBB250_158
.LBB250_142:
	s_wait_alu 0xfffe
	s_or_b32 exec_lo, exec_lo, s1
	s_and_saveexec_b32 s1, s4
	s_cbranch_execnz .LBB250_159
.LBB250_143:
	s_wait_alu 0xfffe
	s_or_b32 exec_lo, exec_lo, s1
	s_and_saveexec_b32 s1, s5
	s_cbranch_execnz .LBB250_160
.LBB250_144:
	s_wait_alu 0xfffe
	s_or_b32 exec_lo, exec_lo, s1
	s_and_saveexec_b32 s1, s6
	s_cbranch_execnz .LBB250_161
.LBB250_145:
	s_wait_alu 0xfffe
	s_or_b32 exec_lo, exec_lo, s1
	s_and_saveexec_b32 s1, s7
	s_cbranch_execnz .LBB250_162
.LBB250_146:
	s_wait_alu 0xfffe
	s_or_b32 exec_lo, exec_lo, s1
	s_and_saveexec_b32 s1, s8
	s_cbranch_execnz .LBB250_163
.LBB250_147:
	s_wait_alu 0xfffe
	s_or_b32 exec_lo, exec_lo, s1
	s_and_saveexec_b32 s1, s0
	s_cbranch_execz .LBB250_149
.LBB250_148:
	s_mul_i32 s0, s28, 0xe00
	s_mov_b32 s1, 0
	s_wait_alu 0xfffe
	s_lshl_b64 s[0:1], s[0:1], 3
	s_wait_alu 0xfffe
	v_add_co_u32 v2, vcc_lo, v2, s0
	s_wait_alu 0xfffd
	v_add_co_ci_u32_e64 v3, null, s1, v3, vcc_lo
	s_wait_dscnt 0x0
	global_store_b64 v[2:3], v[0:1], off
.LBB250_149:
	s_nop 0
	s_sendmsg sendmsg(MSG_DEALLOC_VGPRS)
	s_endpgm
.LBB250_150:
	ds_load_u16 v9, v51
	s_wait_dscnt 0x0
	global_store_b16 v[0:1], v9, off
	s_wait_alu 0xfffe
	s_or_b32 exec_lo, exec_lo, s1
	s_and_saveexec_b32 s1, s3
	s_cbranch_execz .LBB250_133
.LBB250_151:
	s_lshl_b32 s10, s26, 9
	s_mov_b32 s11, 0
	s_wait_alu 0xfffe
	s_lshl_b64 s[10:11], s[10:11], 1
	s_wait_alu 0xfffe
	v_add_co_u32 v9, vcc_lo, v0, s10
	s_wait_alu 0xfffd
	v_add_co_ci_u32_e64 v10, null, s11, v1, vcc_lo
	s_wait_dscnt 0x6
	global_store_b16 v[9:10], v8, off
	s_or_b32 exec_lo, exec_lo, s1
	s_and_saveexec_b32 s1, s4
	s_cbranch_execz .LBB250_134
.LBB250_152:
	s_lshl_b32 s10, s26, 10
	s_mov_b32 s11, 0
	s_wait_alu 0xfffe
	s_lshl_b64 s[10:11], s[10:11], 1
	s_wait_dscnt 0x6
	s_wait_alu 0xfffe
	v_add_co_u32 v8, vcc_lo, v0, s10
	s_wait_alu 0xfffd
	v_add_co_ci_u32_e64 v9, null, s11, v1, vcc_lo
	s_wait_dscnt 0x5
	global_store_b16 v[8:9], v7, off
	s_or_b32 exec_lo, exec_lo, s1
	s_and_saveexec_b32 s1, s5
	s_cbranch_execz .LBB250_135
.LBB250_153:
	s_mul_i32 s10, s26, 0x600
	s_mov_b32 s11, 0
	s_wait_alu 0xfffe
	s_lshl_b64 s[10:11], s[10:11], 1
	s_wait_dscnt 0x5
	s_wait_alu 0xfffe
	v_add_co_u32 v7, vcc_lo, v0, s10
	s_wait_alu 0xfffd
	v_add_co_ci_u32_e64 v8, null, s11, v1, vcc_lo
	s_wait_dscnt 0x4
	global_store_b16 v[7:8], v6, off
	s_or_b32 exec_lo, exec_lo, s1
	s_and_saveexec_b32 s1, s6
	s_cbranch_execz .LBB250_136
.LBB250_154:
	s_lshl_b32 s10, s26, 11
	s_mov_b32 s11, 0
	s_wait_alu 0xfffe
	s_lshl_b64 s[10:11], s[10:11], 1
	s_wait_dscnt 0x4
	s_wait_alu 0xfffe
	v_add_co_u32 v6, vcc_lo, v0, s10
	s_wait_alu 0xfffd
	v_add_co_ci_u32_e64 v7, null, s11, v1, vcc_lo
	s_wait_dscnt 0x3
	global_store_b16 v[6:7], v5, off
	s_or_b32 exec_lo, exec_lo, s1
	s_and_saveexec_b32 s1, s7
	s_cbranch_execz .LBB250_137
.LBB250_155:
	s_mul_i32 s10, s26, 0xa00
	s_mov_b32 s11, 0
	s_wait_alu 0xfffe
	s_lshl_b64 s[10:11], s[10:11], 1
	s_wait_dscnt 0x3
	s_wait_alu 0xfffe
	v_add_co_u32 v5, vcc_lo, v0, s10
	s_wait_alu 0xfffd
	v_add_co_ci_u32_e64 v6, null, s11, v1, vcc_lo
	s_wait_dscnt 0x2
	global_store_b16 v[5:6], v4, off
	s_or_b32 exec_lo, exec_lo, s1
	s_and_saveexec_b32 s1, s8
	s_cbranch_execz .LBB250_138
.LBB250_156:
	s_mul_i32 s10, s26, 0xc00
	s_mov_b32 s11, 0
	s_wait_alu 0xfffe
	s_lshl_b64 s[10:11], s[10:11], 1
	s_wait_dscnt 0x2
	s_wait_alu 0xfffe
	v_add_co_u32 v4, vcc_lo, v0, s10
	s_wait_alu 0xfffd
	v_add_co_ci_u32_e64 v5, null, s11, v1, vcc_lo
	s_wait_dscnt 0x1
	global_store_b16 v[4:5], v3, off
	s_or_b32 exec_lo, exec_lo, s1
	s_and_saveexec_b32 s1, s0
	s_cbranch_execnz .LBB250_139
	s_branch .LBB250_140
.LBB250_157:
	ds_load_b64 v[16:17], v59
	s_wait_dscnt 0x0
	global_store_b64 v[2:3], v[16:17], off
	s_wait_alu 0xfffe
	s_or_b32 exec_lo, exec_lo, s1
	s_and_saveexec_b32 s1, s3
	s_cbranch_execz .LBB250_142
.LBB250_158:
	s_lshl_b32 s2, s28, 9
	s_mov_b32 s3, 0
	s_delay_alu instid0(SALU_CYCLE_1) | instskip(NEXT) | instid1(SALU_CYCLE_1)
	s_lshl_b64 s[2:3], s[2:3], 3
	v_add_co_u32 v16, vcc_lo, v2, s2
	s_wait_alu 0xfffd
	v_add_co_ci_u32_e64 v17, null, s3, v3, vcc_lo
	s_wait_dscnt 0x6
	global_store_b64 v[16:17], v[14:15], off
	s_wait_alu 0xfffe
	s_or_b32 exec_lo, exec_lo, s1
	s_and_saveexec_b32 s1, s4
	s_cbranch_execz .LBB250_143
.LBB250_159:
	s_lshl_b32 s2, s28, 10
	s_mov_b32 s3, 0
	s_wait_alu 0xfffe
	s_lshl_b64 s[2:3], s[2:3], 3
	s_wait_dscnt 0x6
	s_wait_alu 0xfffe
	v_add_co_u32 v14, vcc_lo, v2, s2
	s_wait_alu 0xfffd
	v_add_co_ci_u32_e64 v15, null, s3, v3, vcc_lo
	s_wait_dscnt 0x5
	global_store_b64 v[14:15], v[12:13], off
	s_or_b32 exec_lo, exec_lo, s1
	s_and_saveexec_b32 s1, s5
	s_cbranch_execz .LBB250_144
.LBB250_160:
	s_mul_i32 s2, s28, 0x600
	s_mov_b32 s3, 0
	s_wait_alu 0xfffe
	s_lshl_b64 s[2:3], s[2:3], 3
	s_wait_dscnt 0x5
	s_wait_alu 0xfffe
	v_add_co_u32 v12, vcc_lo, v2, s2
	s_wait_alu 0xfffd
	v_add_co_ci_u32_e64 v13, null, s3, v3, vcc_lo
	s_wait_dscnt 0x4
	global_store_b64 v[12:13], v[10:11], off
	s_or_b32 exec_lo, exec_lo, s1
	s_and_saveexec_b32 s1, s6
	s_cbranch_execz .LBB250_145
.LBB250_161:
	s_lshl_b32 s2, s28, 11
	s_mov_b32 s3, 0
	s_wait_alu 0xfffe
	s_lshl_b64 s[2:3], s[2:3], 3
	s_wait_dscnt 0x4
	s_wait_alu 0xfffe
	v_add_co_u32 v10, vcc_lo, v2, s2
	s_wait_alu 0xfffd
	v_add_co_ci_u32_e64 v11, null, s3, v3, vcc_lo
	s_wait_dscnt 0x3
	global_store_b64 v[10:11], v[8:9], off
	s_or_b32 exec_lo, exec_lo, s1
	s_and_saveexec_b32 s1, s7
	s_cbranch_execz .LBB250_146
.LBB250_162:
	s_mul_i32 s2, s28, 0xa00
	s_mov_b32 s3, 0
	s_wait_alu 0xfffe
	s_lshl_b64 s[2:3], s[2:3], 3
	s_wait_dscnt 0x3
	s_wait_alu 0xfffe
	v_add_co_u32 v8, vcc_lo, v2, s2
	s_wait_alu 0xfffd
	v_add_co_ci_u32_e64 v9, null, s3, v3, vcc_lo
	s_wait_dscnt 0x2
	global_store_b64 v[8:9], v[6:7], off
	s_or_b32 exec_lo, exec_lo, s1
	s_and_saveexec_b32 s1, s8
	s_cbranch_execz .LBB250_147
.LBB250_163:
	s_mul_i32 s2, s28, 0xc00
	s_mov_b32 s3, 0
	s_wait_alu 0xfffe
	s_lshl_b64 s[2:3], s[2:3], 3
	s_wait_dscnt 0x2
	s_wait_alu 0xfffe
	v_add_co_u32 v6, vcc_lo, v2, s2
	s_wait_alu 0xfffd
	v_add_co_ci_u32_e64 v7, null, s3, v3, vcc_lo
	s_wait_dscnt 0x1
	global_store_b64 v[6:7], v[4:5], off
	s_or_b32 exec_lo, exec_lo, s1
	s_and_saveexec_b32 s1, s0
	s_cbranch_execnz .LBB250_148
	s_branch .LBB250_149
	.section	.rodata,"a",@progbits
	.p2align	6, 0x0
	.amdhsa_kernel _ZN2at6native18radixSortKVInPlaceILin1ELin1ELi512ELi8EN3c108BFloat16EljEEvNS_4cuda6detail10TensorInfoIT3_T5_EES8_S8_S8_NS6_IT4_S8_EES8_b
		.amdhsa_group_segment_fixed_size 33792
		.amdhsa_private_segment_fixed_size 0
		.amdhsa_kernarg_size 712
		.amdhsa_user_sgpr_count 2
		.amdhsa_user_sgpr_dispatch_ptr 0
		.amdhsa_user_sgpr_queue_ptr 0
		.amdhsa_user_sgpr_kernarg_segment_ptr 1
		.amdhsa_user_sgpr_dispatch_id 0
		.amdhsa_user_sgpr_private_segment_size 0
		.amdhsa_wavefront_size32 1
		.amdhsa_uses_dynamic_stack 0
		.amdhsa_enable_private_segment 0
		.amdhsa_system_sgpr_workgroup_id_x 1
		.amdhsa_system_sgpr_workgroup_id_y 1
		.amdhsa_system_sgpr_workgroup_id_z 1
		.amdhsa_system_sgpr_workgroup_info 0
		.amdhsa_system_vgpr_workitem_id 2
		.amdhsa_next_free_vgpr 113
		.amdhsa_next_free_sgpr 36
		.amdhsa_reserve_vcc 1
		.amdhsa_float_round_mode_32 0
		.amdhsa_float_round_mode_16_64 0
		.amdhsa_float_denorm_mode_32 3
		.amdhsa_float_denorm_mode_16_64 3
		.amdhsa_fp16_overflow 0
		.amdhsa_workgroup_processor_mode 1
		.amdhsa_memory_ordered 1
		.amdhsa_forward_progress 1
		.amdhsa_inst_pref_size 183
		.amdhsa_round_robin_scheduling 0
		.amdhsa_exception_fp_ieee_invalid_op 0
		.amdhsa_exception_fp_denorm_src 0
		.amdhsa_exception_fp_ieee_div_zero 0
		.amdhsa_exception_fp_ieee_overflow 0
		.amdhsa_exception_fp_ieee_underflow 0
		.amdhsa_exception_fp_ieee_inexact 0
		.amdhsa_exception_int_div_zero 0
	.end_amdhsa_kernel
	.section	.text._ZN2at6native18radixSortKVInPlaceILin1ELin1ELi512ELi8EN3c108BFloat16EljEEvNS_4cuda6detail10TensorInfoIT3_T5_EES8_S8_S8_NS6_IT4_S8_EES8_b,"axG",@progbits,_ZN2at6native18radixSortKVInPlaceILin1ELin1ELi512ELi8EN3c108BFloat16EljEEvNS_4cuda6detail10TensorInfoIT3_T5_EES8_S8_S8_NS6_IT4_S8_EES8_b,comdat
.Lfunc_end250:
	.size	_ZN2at6native18radixSortKVInPlaceILin1ELin1ELi512ELi8EN3c108BFloat16EljEEvNS_4cuda6detail10TensorInfoIT3_T5_EES8_S8_S8_NS6_IT4_S8_EES8_b, .Lfunc_end250-_ZN2at6native18radixSortKVInPlaceILin1ELin1ELi512ELi8EN3c108BFloat16EljEEvNS_4cuda6detail10TensorInfoIT3_T5_EES8_S8_S8_NS6_IT4_S8_EES8_b
                                        ; -- End function
	.set _ZN2at6native18radixSortKVInPlaceILin1ELin1ELi512ELi8EN3c108BFloat16EljEEvNS_4cuda6detail10TensorInfoIT3_T5_EES8_S8_S8_NS6_IT4_S8_EES8_b.num_vgpr, 113
	.set _ZN2at6native18radixSortKVInPlaceILin1ELin1ELi512ELi8EN3c108BFloat16EljEEvNS_4cuda6detail10TensorInfoIT3_T5_EES8_S8_S8_NS6_IT4_S8_EES8_b.num_agpr, 0
	.set _ZN2at6native18radixSortKVInPlaceILin1ELin1ELi512ELi8EN3c108BFloat16EljEEvNS_4cuda6detail10TensorInfoIT3_T5_EES8_S8_S8_NS6_IT4_S8_EES8_b.numbered_sgpr, 36
	.set _ZN2at6native18radixSortKVInPlaceILin1ELin1ELi512ELi8EN3c108BFloat16EljEEvNS_4cuda6detail10TensorInfoIT3_T5_EES8_S8_S8_NS6_IT4_S8_EES8_b.num_named_barrier, 0
	.set _ZN2at6native18radixSortKVInPlaceILin1ELin1ELi512ELi8EN3c108BFloat16EljEEvNS_4cuda6detail10TensorInfoIT3_T5_EES8_S8_S8_NS6_IT4_S8_EES8_b.private_seg_size, 0
	.set _ZN2at6native18radixSortKVInPlaceILin1ELin1ELi512ELi8EN3c108BFloat16EljEEvNS_4cuda6detail10TensorInfoIT3_T5_EES8_S8_S8_NS6_IT4_S8_EES8_b.uses_vcc, 1
	.set _ZN2at6native18radixSortKVInPlaceILin1ELin1ELi512ELi8EN3c108BFloat16EljEEvNS_4cuda6detail10TensorInfoIT3_T5_EES8_S8_S8_NS6_IT4_S8_EES8_b.uses_flat_scratch, 0
	.set _ZN2at6native18radixSortKVInPlaceILin1ELin1ELi512ELi8EN3c108BFloat16EljEEvNS_4cuda6detail10TensorInfoIT3_T5_EES8_S8_S8_NS6_IT4_S8_EES8_b.has_dyn_sized_stack, 0
	.set _ZN2at6native18radixSortKVInPlaceILin1ELin1ELi512ELi8EN3c108BFloat16EljEEvNS_4cuda6detail10TensorInfoIT3_T5_EES8_S8_S8_NS6_IT4_S8_EES8_b.has_recursion, 0
	.set _ZN2at6native18radixSortKVInPlaceILin1ELin1ELi512ELi8EN3c108BFloat16EljEEvNS_4cuda6detail10TensorInfoIT3_T5_EES8_S8_S8_NS6_IT4_S8_EES8_b.has_indirect_call, 0
	.section	.AMDGPU.csdata,"",@progbits
; Kernel info:
; codeLenInByte = 23312
; TotalNumSgprs: 38
; NumVgprs: 113
; ScratchSize: 0
; MemoryBound: 0
; FloatMode: 240
; IeeeMode: 1
; LDSByteSize: 33792 bytes/workgroup (compile time only)
; SGPRBlocks: 0
; VGPRBlocks: 14
; NumSGPRsForWavesPerEU: 38
; NumVGPRsForWavesPerEU: 113
; Occupancy: 12
; WaveLimiterHint : 1
; COMPUTE_PGM_RSRC2:SCRATCH_EN: 0
; COMPUTE_PGM_RSRC2:USER_SGPR: 2
; COMPUTE_PGM_RSRC2:TRAP_HANDLER: 0
; COMPUTE_PGM_RSRC2:TGID_X_EN: 1
; COMPUTE_PGM_RSRC2:TGID_Y_EN: 1
; COMPUTE_PGM_RSRC2:TGID_Z_EN: 1
; COMPUTE_PGM_RSRC2:TIDIG_COMP_CNT: 2
	.section	.text._ZN2at6native18radixSortKVInPlaceILin1ELin1ELi256ELi8EN3c108BFloat16EljEEvNS_4cuda6detail10TensorInfoIT3_T5_EES8_S8_S8_NS6_IT4_S8_EES8_b,"axG",@progbits,_ZN2at6native18radixSortKVInPlaceILin1ELin1ELi256ELi8EN3c108BFloat16EljEEvNS_4cuda6detail10TensorInfoIT3_T5_EES8_S8_S8_NS6_IT4_S8_EES8_b,comdat
	.protected	_ZN2at6native18radixSortKVInPlaceILin1ELin1ELi256ELi8EN3c108BFloat16EljEEvNS_4cuda6detail10TensorInfoIT3_T5_EES8_S8_S8_NS6_IT4_S8_EES8_b ; -- Begin function _ZN2at6native18radixSortKVInPlaceILin1ELin1ELi256ELi8EN3c108BFloat16EljEEvNS_4cuda6detail10TensorInfoIT3_T5_EES8_S8_S8_NS6_IT4_S8_EES8_b
	.globl	_ZN2at6native18radixSortKVInPlaceILin1ELin1ELi256ELi8EN3c108BFloat16EljEEvNS_4cuda6detail10TensorInfoIT3_T5_EES8_S8_S8_NS6_IT4_S8_EES8_b
	.p2align	8
	.type	_ZN2at6native18radixSortKVInPlaceILin1ELin1ELi256ELi8EN3c108BFloat16EljEEvNS_4cuda6detail10TensorInfoIT3_T5_EES8_S8_S8_NS6_IT4_S8_EES8_b,@function
_ZN2at6native18radixSortKVInPlaceILin1ELin1ELi256ELi8EN3c108BFloat16EljEEvNS_4cuda6detail10TensorInfoIT3_T5_EES8_S8_S8_NS6_IT4_S8_EES8_b: ; @_ZN2at6native18radixSortKVInPlaceILin1ELin1ELi256ELi8EN3c108BFloat16EljEEvNS_4cuda6detail10TensorInfoIT3_T5_EES8_S8_S8_NS6_IT4_S8_EES8_b
; %bb.0:
	s_clause 0x1
	s_load_b64 s[2:3], s[0:1], 0x1c8
	s_load_b96 s[20:22], s[0:1], 0xd8
	s_lshr_b32 s4, ttmp7, 16
	s_wait_kmcnt 0x0
	s_mul_i32 s3, s3, s4
	s_and_b32 s4, ttmp7, 0xffff
	s_delay_alu instid0(SALU_CYCLE_1) | instskip(NEXT) | instid1(SALU_CYCLE_1)
	s_add_co_i32 s3, s3, s4
	s_mul_i32 s2, s3, s2
	s_delay_alu instid0(SALU_CYCLE_1) | instskip(NEXT) | instid1(SALU_CYCLE_1)
	s_add_co_i32 s13, s2, ttmp9
	s_cmp_ge_u32 s13, s20
	s_cbranch_scc1 .LBB251_149
; %bb.1:
	s_load_b32 s4, s[0:1], 0xd0
	s_mov_b32 s3, 0
	s_mov_b32 s2, s13
	s_wait_kmcnt 0x0
	s_cmp_lt_i32 s4, 2
	s_cbranch_scc1 .LBB251_4
; %bb.2:
	s_add_co_i32 s2, s4, -1
	s_delay_alu instid0(SALU_CYCLE_1)
	s_lshl_b64 s[6:7], s[2:3], 2
	s_mov_b32 s2, s13
	s_add_nc_u64 s[8:9], s[0:1], s[6:7]
	s_add_co_i32 s6, s4, 1
	s_add_nc_u64 s[4:5], s[8:9], 8
.LBB251_3:                              ; =>This Inner Loop Header: Depth=1
	s_clause 0x1
	s_load_b32 s7, s[4:5], 0x0
	s_load_b32 s8, s[4:5], 0x64
	s_mov_b32 s11, s2
	s_add_nc_u64 s[4:5], s[4:5], -4
	s_wait_kmcnt 0x0
	s_cvt_f32_u32 s9, s7
	s_sub_co_i32 s10, 0, s7
	s_wait_alu 0xfffe
	s_delay_alu instid0(SALU_CYCLE_1) | instskip(NEXT) | instid1(TRANS32_DEP_1)
	v_rcp_iflag_f32_e32 v1, s9
	v_readfirstlane_b32 s9, v1
	s_mul_f32 s9, s9, 0x4f7ffffe
	s_wait_alu 0xfffe
	s_delay_alu instid0(SALU_CYCLE_2) | instskip(SKIP_1) | instid1(SALU_CYCLE_2)
	s_cvt_u32_f32 s9, s9
	s_wait_alu 0xfffe
	s_mul_i32 s10, s10, s9
	s_delay_alu instid0(SALU_CYCLE_1) | instskip(NEXT) | instid1(SALU_CYCLE_1)
	s_mul_hi_u32 s10, s9, s10
	s_add_co_i32 s9, s9, s10
	s_wait_alu 0xfffe
	s_mul_hi_u32 s2, s2, s9
	s_delay_alu instid0(SALU_CYCLE_1)
	s_mul_i32 s9, s2, s7
	s_add_co_i32 s10, s2, 1
	s_wait_alu 0xfffe
	s_sub_co_i32 s9, s11, s9
	s_wait_alu 0xfffe
	s_sub_co_i32 s12, s9, s7
	s_cmp_ge_u32 s9, s7
	s_cselect_b32 s2, s10, s2
	s_cselect_b32 s9, s12, s9
	s_add_co_i32 s10, s2, 1
	s_wait_alu 0xfffe
	s_cmp_ge_u32 s9, s7
	s_cselect_b32 s2, s10, s2
	s_add_co_i32 s6, s6, -1
	s_mul_i32 s7, s2, s7
	s_delay_alu instid0(SALU_CYCLE_1) | instskip(NEXT) | instid1(SALU_CYCLE_1)
	s_sub_co_i32 s7, s11, s7
	s_mul_i32 s7, s8, s7
	s_delay_alu instid0(SALU_CYCLE_1)
	s_add_co_i32 s3, s7, s3
	s_cmp_gt_u32 s6, 2
	s_cbranch_scc1 .LBB251_3
.LBB251_4:
	s_load_b32 s4, s[0:1], 0x1b8
	s_add_nc_u64 s[36:37], s[0:1], 0x1c8
	s_mov_b32 s9, 0
	s_wait_kmcnt 0x0
	s_cmp_lt_i32 s4, 2
	s_cbranch_scc1 .LBB251_7
; %bb.5:
	s_add_co_i32 s8, s4, -1
	s_wait_alu 0xfffe
	s_lshl_b64 s[6:7], s[8:9], 2
	s_delay_alu instid0(SALU_CYCLE_1)
	s_add_nc_u64 s[10:11], s[0:1], s[6:7]
	s_add_co_i32 s6, s4, 1
	s_add_nc_u64 s[4:5], s[10:11], 0xf0
.LBB251_6:                              ; =>This Inner Loop Header: Depth=1
	s_clause 0x1
	s_load_b32 s7, s[4:5], 0x0
	s_load_b32 s8, s[4:5], 0x64
	s_mov_b32 s12, s13
	s_add_nc_u64 s[4:5], s[4:5], -4
	s_wait_kmcnt 0x0
	s_cvt_f32_u32 s10, s7
	s_sub_co_i32 s11, 0, s7
	s_wait_alu 0xfffe
	s_delay_alu instid0(SALU_CYCLE_1) | instskip(NEXT) | instid1(TRANS32_DEP_1)
	v_rcp_iflag_f32_e32 v1, s10
	v_readfirstlane_b32 s10, v1
	s_mul_f32 s10, s10, 0x4f7ffffe
	s_wait_alu 0xfffe
	s_delay_alu instid0(SALU_CYCLE_2) | instskip(SKIP_1) | instid1(SALU_CYCLE_2)
	s_cvt_u32_f32 s10, s10
	s_wait_alu 0xfffe
	s_mul_i32 s11, s11, s10
	s_wait_alu 0xfffe
	s_mul_hi_u32 s11, s10, s11
	s_wait_alu 0xfffe
	s_add_co_i32 s10, s10, s11
	s_wait_alu 0xfffe
	s_mul_hi_u32 s10, s13, s10
	s_wait_alu 0xfffe
	s_mul_i32 s11, s10, s7
	s_wait_alu 0xfffe
	s_sub_co_i32 s11, s13, s11
	s_add_co_i32 s13, s10, 1
	s_wait_alu 0xfffe
	s_sub_co_i32 s14, s11, s7
	s_cmp_ge_u32 s11, s7
	s_cselect_b32 s10, s13, s10
	s_cselect_b32 s11, s14, s11
	s_wait_alu 0xfffe
	s_add_co_i32 s13, s10, 1
	s_cmp_ge_u32 s11, s7
	s_cselect_b32 s13, s13, s10
	s_add_co_i32 s6, s6, -1
	s_mul_i32 s7, s13, s7
	s_delay_alu instid0(SALU_CYCLE_1) | instskip(NEXT) | instid1(SALU_CYCLE_1)
	s_sub_co_i32 s7, s12, s7
	s_mul_i32 s7, s8, s7
	s_delay_alu instid0(SALU_CYCLE_1)
	s_add_co_i32 s9, s7, s9
	s_cmp_gt_u32 s6, 2
	s_cbranch_scc1 .LBB251_6
.LBB251_7:
	s_clause 0x2
	s_load_b32 s4, s[0:1], 0x6c
	s_load_b64 s[28:29], s[0:1], 0x1c0
	s_load_b64 s[6:7], s[0:1], 0x0
	s_mov_b32 s5, 0
	s_wait_kmcnt 0x0
	s_mul_i32 s2, s4, s2
	s_delay_alu instid0(SALU_CYCLE_1) | instskip(SKIP_3) | instid1(SALU_CYCLE_1)
	s_add_co_i32 s4, s2, s3
	s_bitcmp1_b32 s29, 0
	s_mov_b32 s2, 0xffff
	s_cselect_b32 s12, -1, 0
	s_and_b32 s3, s12, exec_lo
	s_cselect_b32 s14, s2, 0x7fff
	s_delay_alu instid0(SALU_CYCLE_1) | instskip(SKIP_1) | instid1(SALU_CYCLE_1)
	v_dual_mov_b32 v1, s14 :: v_dual_and_b32 v46, 0x3ff, v0
	s_lshl_b64 s[4:5], s[4:5], 1
	s_add_nc_u64 s[30:31], s[6:7], s[4:5]
	s_delay_alu instid0(VALU_DEP_1)
	v_mul_lo_u32 v44, s22, v46
	v_cmp_gt_u32_e64 s2, s21, v46
	s_and_saveexec_b32 s3, s2
	s_cbranch_execz .LBB251_9
; %bb.8:
	v_mov_b32_e32 v45, 0
	s_delay_alu instid0(VALU_DEP_1) | instskip(NEXT) | instid1(VALU_DEP_1)
	v_lshlrev_b64_e32 v[1:2], 1, v[44:45]
	v_add_co_u32 v1, vcc_lo, s30, v1
	s_delay_alu instid0(VALU_DEP_1)
	v_add_co_ci_u32_e64 v2, null, s31, v2, vcc_lo
	global_load_u16 v1, v[1:2], off
.LBB251_9:
	s_or_b32 exec_lo, exec_lo, s3
	v_dual_mov_b32 v2, s14 :: v_dual_add_nc_u32 v15, 0x100, v46
	s_delay_alu instid0(VALU_DEP_1)
	v_cmp_gt_u32_e64 s3, s21, v15
	s_and_saveexec_b32 s4, s3
	s_cbranch_execz .LBB251_11
; %bb.10:
	v_mul_lo_u32 v2, s22, v15
	v_mov_b32_e32 v3, 0
	s_delay_alu instid0(VALU_DEP_1) | instskip(NEXT) | instid1(VALU_DEP_1)
	v_lshlrev_b64_e32 v[2:3], 1, v[2:3]
	v_add_co_u32 v2, vcc_lo, s30, v2
	s_wait_alu 0xfffd
	s_delay_alu instid0(VALU_DEP_2)
	v_add_co_ci_u32_e64 v3, null, s31, v3, vcc_lo
	global_load_u16 v2, v[2:3], off
.LBB251_11:
	s_or_b32 exec_lo, exec_lo, s4
	v_dual_mov_b32 v3, s14 :: v_dual_add_nc_u32 v16, 0x200, v46
	s_delay_alu instid0(VALU_DEP_1)
	v_cmp_gt_u32_e64 s4, s21, v16
	s_and_saveexec_b32 s5, s4
	s_cbranch_execz .LBB251_13
; %bb.12:
	v_mul_lo_u32 v3, s22, v16
	v_mov_b32_e32 v4, 0
	s_delay_alu instid0(VALU_DEP_1) | instskip(NEXT) | instid1(VALU_DEP_1)
	v_lshlrev_b64_e32 v[3:4], 1, v[3:4]
	v_add_co_u32 v3, vcc_lo, s30, v3
	s_wait_alu 0xfffd
	s_delay_alu instid0(VALU_DEP_2)
	v_add_co_ci_u32_e64 v4, null, s31, v4, vcc_lo
	global_load_u16 v3, v[3:4], off
.LBB251_13:
	;; [unrolled: 17-line block ×3, first 2 shown]
	s_or_b32 exec_lo, exec_lo, s6
	v_or_b32_e32 v18, 0x400, v46
	v_mov_b32_e32 v5, s14
	s_delay_alu instid0(VALU_DEP_2)
	v_cmp_gt_u32_e64 s6, s21, v18
	s_and_saveexec_b32 s7, s6
	s_cbranch_execz .LBB251_17
; %bb.16:
	v_mul_lo_u32 v5, s22, v18
	v_mov_b32_e32 v6, 0
	s_delay_alu instid0(VALU_DEP_1) | instskip(NEXT) | instid1(VALU_DEP_1)
	v_lshlrev_b64_e32 v[5:6], 1, v[5:6]
	v_add_co_u32 v5, vcc_lo, s30, v5
	s_wait_alu 0xfffd
	s_delay_alu instid0(VALU_DEP_2)
	v_add_co_ci_u32_e64 v6, null, s31, v6, vcc_lo
	global_load_u16 v5, v[5:6], off
.LBB251_17:
	s_or_b32 exec_lo, exec_lo, s7
	v_dual_mov_b32 v6, s14 :: v_dual_add_nc_u32 v19, 0x500, v46
	s_delay_alu instid0(VALU_DEP_1)
	v_cmp_gt_u32_e64 s7, s21, v19
	s_and_saveexec_b32 s8, s7
	s_cbranch_execz .LBB251_19
; %bb.18:
	v_mul_lo_u32 v6, s22, v19
	v_mov_b32_e32 v7, 0
	s_delay_alu instid0(VALU_DEP_1) | instskip(NEXT) | instid1(VALU_DEP_1)
	v_lshlrev_b64_e32 v[6:7], 1, v[6:7]
	v_add_co_u32 v6, vcc_lo, s30, v6
	s_wait_alu 0xfffd
	s_delay_alu instid0(VALU_DEP_2)
	v_add_co_ci_u32_e64 v7, null, s31, v7, vcc_lo
	global_load_u16 v6, v[6:7], off
.LBB251_19:
	s_wait_alu 0xfffe
	s_or_b32 exec_lo, exec_lo, s8
	v_dual_mov_b32 v7, s14 :: v_dual_add_nc_u32 v20, 0x600, v46
	s_delay_alu instid0(VALU_DEP_1)
	v_cmp_gt_u32_e64 s8, s21, v20
	s_and_saveexec_b32 s10, s8
	s_cbranch_execz .LBB251_21
; %bb.20:
	v_mul_lo_u32 v7, s22, v20
	v_mov_b32_e32 v8, 0
	s_delay_alu instid0(VALU_DEP_1) | instskip(NEXT) | instid1(VALU_DEP_1)
	v_lshlrev_b64_e32 v[7:8], 1, v[7:8]
	v_add_co_u32 v7, vcc_lo, s30, v7
	s_wait_alu 0xfffd
	s_delay_alu instid0(VALU_DEP_2)
	v_add_co_ci_u32_e64 v8, null, s31, v8, vcc_lo
	global_load_u16 v7, v[7:8], off
.LBB251_21:
	s_wait_alu 0xfffe
	s_or_b32 exec_lo, exec_lo, s10
	s_clause 0x1
	s_load_b32 s15, s[0:1], 0x154
	s_load_b64 s[10:11], s[0:1], 0xe8
	v_dual_mov_b32 v8, s14 :: v_dual_add_nc_u32 v21, 0x700, v46
	s_delay_alu instid0(VALU_DEP_1)
	v_cmp_gt_u32_e64 s0, s21, v21
	s_and_saveexec_b32 s1, s0
	s_cbranch_execz .LBB251_23
; %bb.22:
	v_mul_lo_u32 v8, s22, v21
	v_mov_b32_e32 v9, 0
	s_delay_alu instid0(VALU_DEP_1) | instskip(NEXT) | instid1(VALU_DEP_1)
	v_lshlrev_b64_e32 v[8:9], 1, v[8:9]
	v_add_co_u32 v8, vcc_lo, s30, v8
	s_wait_alu 0xfffd
	s_delay_alu instid0(VALU_DEP_2)
	v_add_co_ci_u32_e64 v9, null, s31, v9, vcc_lo
	global_load_u16 v8, v[8:9], off
.LBB251_23:
	s_or_b32 exec_lo, exec_lo, s1
	v_lshrrev_b32_e32 v9, 4, v46
	v_lshrrev_b32_e32 v10, 4, v15
	;; [unrolled: 1-line block ×5, first 2 shown]
	v_dual_mov_b32 v42, 0 :: v_dual_and_b32 v9, 60, v9
	v_lshlrev_b32_e32 v12, 1, v46
	v_and_b32_e32 v10, 0x7c, v10
	v_and_b32_e32 v11, 0x7c, v11
	s_wait_kmcnt 0x0
	s_mul_i32 s1, s15, s13
	v_mov_b32_e32 v43, v42
	v_add_nc_u32_e32 v51, v9, v12
	v_add_nc_u32_e32 v45, v10, v12
	;; [unrolled: 1-line block ×3, first 2 shown]
	v_and_b32_e32 v9, 0x7c, v13
	v_lshrrev_b32_e32 v10, 4, v18
	v_lshrrev_b32_e32 v11, 4, v19
	;; [unrolled: 1-line block ×3, first 2 shown]
	v_mul_lo_u32 v41, s28, v46
	v_add_nc_u32_e32 v53, v9, v12
	v_and_b32_e32 v9, 0x7c, v10
	v_and_b32_e32 v10, 0xfc, v11
	;; [unrolled: 1-line block ×4, first 2 shown]
	v_lshrrev_b32_e32 v14, 1, v46
	v_add_nc_u32_e32 v54, v9, v12
	v_add_nc_u32_e32 v55, v10, v12
	;; [unrolled: 1-line block ×4, first 2 shown]
	v_and_b32_e32 v9, 0x1fc, v14
	v_mov_b32_e32 v13, 0
	v_dual_mov_b32 v11, v42 :: v_dual_mov_b32 v12, v42
	v_mov_b32_e32 v14, 0
	s_delay_alu instid0(VALU_DEP_4)
	v_lshl_add_u32 v58, v46, 4, v9
	s_wait_loadcnt 0x0
	ds_store_b16 v51, v1
	ds_store_b16 v45, v2 offset:512
	ds_store_b16 v52, v3 offset:1024
	;; [unrolled: 1-line block ×7, first 2 shown]
	s_wait_dscnt 0x0
	s_barrier_signal -1
	s_barrier_wait -1
	global_inv scope:SCOPE_SE
	ds_load_2addr_b32 v[49:50], v58 offset1:1
	ds_load_2addr_b32 v[47:48], v58 offset0:2 offset1:3
	s_add_co_i32 s14, s1, s9
	s_mov_b32 s15, 0
	v_dual_mov_b32 v9, v42 :: v_dual_mov_b32 v10, v42
	v_dual_mov_b32 v1, v42 :: v_dual_mov_b32 v2, v42
	;; [unrolled: 1-line block ×5, first 2 shown]
	s_wait_alu 0xfffe
	s_lshl_b64 s[14:15], s[14:15], 3
	s_wait_loadcnt_dscnt 0x0
	s_wait_alu 0xfffe
	s_add_nc_u64 s[34:35], s[10:11], s[14:15]
	s_barrier_signal -1
	s_barrier_wait -1
	global_inv scope:SCOPE_SE
	s_and_saveexec_b32 s1, s2
	s_cbranch_execnz .LBB251_79
; %bb.24:
	s_or_b32 exec_lo, exec_lo, s1
	s_and_saveexec_b32 s1, s3
	s_cbranch_execnz .LBB251_80
.LBB251_25:
	s_or_b32 exec_lo, exec_lo, s1
	s_and_saveexec_b32 s1, s4
	s_cbranch_execnz .LBB251_81
.LBB251_26:
	s_or_b32 exec_lo, exec_lo, s1
	s_and_saveexec_b32 s1, s5
	s_cbranch_execnz .LBB251_82
.LBB251_27:
	s_or_b32 exec_lo, exec_lo, s1
	s_and_saveexec_b32 s1, s6
	s_cbranch_execnz .LBB251_83
.LBB251_28:
	s_or_b32 exec_lo, exec_lo, s1
	s_and_saveexec_b32 s1, s7
	s_cbranch_execnz .LBB251_84
.LBB251_29:
	s_or_b32 exec_lo, exec_lo, s1
	s_and_saveexec_b32 s1, s8
	s_cbranch_execz .LBB251_31
.LBB251_30:
	v_mul_lo_u32 v5, s28, v20
	v_mov_b32_e32 v6, 0
	s_delay_alu instid0(VALU_DEP_1) | instskip(NEXT) | instid1(VALU_DEP_1)
	v_lshlrev_b64_e32 v[5:6], 3, v[5:6]
	v_add_co_u32 v5, vcc_lo, s34, v5
	s_wait_alu 0xfffd
	s_delay_alu instid0(VALU_DEP_2)
	v_add_co_ci_u32_e64 v6, null, s35, v6, vcc_lo
	global_load_b64 v[5:6], v[5:6], off
.LBB251_31:
	s_or_b32 exec_lo, exec_lo, s1
	v_lshrrev_b32_e32 v68, 5, v46
	v_lshrrev_b32_e32 v25, 5, v15
	;; [unrolled: 1-line block ×8, first 2 shown]
	v_lshlrev_b32_e32 v66, 3, v46
	v_lshrrev_b32_e32 v15, 2, v46
	s_xor_b32 s1, s12, -1
	s_and_saveexec_b32 s9, s0
	s_cbranch_execz .LBB251_33
; %bb.32:
	v_mul_lo_u32 v7, s28, v21
	v_mov_b32_e32 v8, 0
	s_delay_alu instid0(VALU_DEP_1) | instskip(NEXT) | instid1(VALU_DEP_1)
	v_lshlrev_b64_e32 v[7:8], 3, v[7:8]
	v_add_co_u32 v7, vcc_lo, s34, v7
	s_wait_alu 0xfffd
	s_delay_alu instid0(VALU_DEP_2)
	v_add_co_ci_u32_e64 v8, null, s35, v8, vcc_lo
	global_load_b64 v[7:8], v[7:8], off
.LBB251_33:
	s_wait_alu 0xfffe
	s_or_b32 exec_lo, exec_lo, s9
	v_lshl_add_u32 v59, v68, 3, v66
	v_lshl_add_u32 v60, v25, 3, v66
	;; [unrolled: 1-line block ×5, first 2 shown]
	s_wait_loadcnt 0x0
	ds_store_b64 v59, v[13:14]
	ds_store_b64 v60, v[42:43] offset:2048
	ds_store_b64 v61, v[9:10] offset:4096
	;; [unrolled: 1-line block ×3, first 2 shown]
	v_lshlrev_b32_e32 v9, 3, v66
	v_lshl_add_u32 v42, v22, 3, v66
	v_lshl_add_u32 v43, v18, 3, v66
	v_lshl_add_u32 v64, v16, 3, v66
	ds_store_b64 v42, v[1:2] offset:8192
	ds_store_b64 v43, v[3:4] offset:10240
	;; [unrolled: 1-line block ×4, first 2 shown]
	v_lshl_add_u32 v65, v15, 3, v9
	s_wait_dscnt 0x0
	s_barrier_signal -1
	s_barrier_wait -1
	global_inv scope:SCOPE_SE
	ds_load_2addr_b64 v[13:16], v65 offset1:1
	ds_load_2addr_b64 v[9:12], v65 offset0:2 offset1:3
	ds_load_2addr_b64 v[5:8], v65 offset0:4 offset1:5
	;; [unrolled: 1-line block ×3, first 2 shown]
	v_bfe_u32 v71, v0, 10, 10
	v_bfe_u32 v72, v0, 20, 10
	v_mbcnt_lo_u32_b32 v69, -1, 0
	v_and_b32_e32 v70, 0x3e0, v46
	v_lshlrev_b32_e32 v67, 2, v66
	s_and_b32 vcc_lo, exec_lo, s1
	s_wait_loadcnt_dscnt 0x0
	s_barrier_signal -1
	s_barrier_wait -1
	global_inv scope:SCOPE_SE
	s_wait_alu 0xfffe
	s_cbranch_vccz .LBB251_85
; %bb.34:
	v_pk_ashrrev_i16 v0, 15, v49 op_sel_hi:[0,1]
	v_pk_ashrrev_i16 v17, 15, v50 op_sel_hi:[0,1]
	;; [unrolled: 1-line block ×4, first 2 shown]
	v_or_b32_e32 v21, v69, v70
	v_or_b32_e32 v0, 0x80008000, v0
	;; [unrolled: 1-line block ×5, first 2 shown]
	v_and_or_b32 v84, 0x1f00, v66, v69
	s_mov_b32 s12, 0
	v_xor_b32_e32 v17, v0, v49
	v_xor_b32_e32 v18, v20, v50
	;; [unrolled: 1-line block ×4, first 2 shown]
	s_mov_b32 s13, s12
	s_mov_b32 s14, s12
	;; [unrolled: 1-line block ×3, first 2 shown]
	v_lshlrev_b32_e32 v23, 4, v21
	v_lshlrev_b32_e32 v73, 1, v84
	s_getpc_b64 s[10:11]
	s_wait_alu 0xfffe
	s_sext_i32_i16 s11, s11
	s_add_co_u32 s10, s10, _ZN7rocprim17ROCPRIM_400000_NS16block_radix_sortI12hip_bfloat16Lj256ELj8ElLj1ELj1ELj0ELNS0_26block_radix_rank_algorithmE1ELNS0_18block_padding_hintE2ELNS0_4arch9wavefront6targetE0EE19radix_bits_per_passE@rel32@lo+12
	s_wait_alu 0xfffe
	s_add_co_ci_u32 s11, s11, _ZN7rocprim17ROCPRIM_400000_NS16block_radix_sortI12hip_bfloat16Lj256ELj8ElLj1ELj1ELj0ELNS0_26block_radix_rank_algorithmE1ELNS0_18block_padding_hintE2ELNS0_4arch9wavefront6targetE0EE19radix_bits_per_passE@rel32@hi+24
	s_load_b32 s20, s[10:11], 0x0
	ds_store_b128 v23, v[17:20]
	; wave barrier
	ds_load_u16 v74, v73
	v_mad_u32_u24 v0, v21, 48, v23
	ds_load_u16 v75, v73 offset:64
	ds_load_u16 v76, v73 offset:128
	;; [unrolled: 1-line block ×7, first 2 shown]
	s_wait_loadcnt_dscnt 0x0
	s_barrier_signal -1
	s_barrier_wait -1
	global_inv scope:SCOPE_SE
	ds_store_b128 v0, v[13:16]
	ds_store_b128 v0, v[9:12] offset:16
	ds_store_b128 v0, v[5:8] offset:32
	;; [unrolled: 1-line block ×3, first 2 shown]
	v_mad_u32_u24 v29, v84, 6, v73
	; wave barrier
	s_wait_kmcnt 0x0
	s_min_u32 s1, s20, 16
	s_delay_alu instid0(SALU_CYCLE_1) | instskip(SKIP_4) | instid1(VALU_DEP_1)
	s_lshl_b32 s1, -1, s1
	v_cmp_ne_u16_e32 vcc_lo, 0x7fff, v74
	s_not_b32 s9, s1
	s_wait_alu 0xfffd
	v_cndmask_b32_e32 v17, 0xffff8000, v74, vcc_lo
	v_and_b32_e32 v17, 0xffff, v17
	s_wait_alu 0xfffe
	s_delay_alu instid0(VALU_DEP_1)
	v_and_b32_e32 v40, s9, v17
	ds_load_2addr_b64 v[17:20], v29 offset1:32
	ds_load_2addr_b64 v[25:28], v29 offset0:64 offset1:96
	ds_load_2addr_b64 v[21:24], v29 offset0:128 offset1:160
	;; [unrolled: 1-line block ×3, first 2 shown]
	s_wait_loadcnt_dscnt 0x0
	v_and_b32_e32 v0, 1, v40
	v_lshlrev_b32_e32 v33, 30, v40
	v_lshlrev_b32_e32 v36, 28, v40
	s_barrier_signal -1
	s_barrier_wait -1
	v_add_co_u32 v0, s1, v0, -1
	s_delay_alu instid0(VALU_DEP_1)
	v_cndmask_b32_e64 v34, 0, 1, s1
	v_not_b32_e32 v35, v33
	v_cmp_gt_i32_e64 s1, 0, v33
	global_inv scope:SCOPE_SE
	v_cmp_ne_u32_e32 vcc_lo, 0, v34
	v_lshlrev_b32_e32 v34, 29, v40
	v_ashrrev_i32_e32 v33, 31, v35
	s_wait_alu 0xfffd
	v_xor_b32_e32 v0, vcc_lo, v0
	s_delay_alu instid0(VALU_DEP_3)
	v_not_b32_e32 v35, v34
	s_wait_alu 0xf1ff
	v_xor_b32_e32 v33, s1, v33
	v_cmp_gt_i32_e32 vcc_lo, 0, v34
	s_load_b32 s1, s[36:37], 0xc
	v_and_b32_e32 v0, exec_lo, v0
	v_ashrrev_i32_e32 v34, 31, v35
	v_not_b32_e32 v35, v36
	s_delay_alu instid0(VALU_DEP_3) | instskip(SKIP_1) | instid1(VALU_DEP_4)
	v_and_b32_e32 v0, v0, v33
	v_lshlrev_b32_e32 v33, 27, v40
	v_xor_b32_e32 v34, vcc_lo, v34
	v_cmp_gt_i32_e32 vcc_lo, 0, v36
	v_ashrrev_i32_e32 v35, 31, v35
	s_delay_alu instid0(VALU_DEP_4) | instskip(NEXT) | instid1(VALU_DEP_4)
	v_not_b32_e32 v36, v33
	v_and_b32_e32 v0, v0, v34
	v_lshlrev_b32_e32 v34, 26, v40
	s_wait_alu 0xfffd
	v_xor_b32_e32 v35, vcc_lo, v35
	v_cmp_gt_i32_e32 vcc_lo, 0, v33
	v_ashrrev_i32_e32 v33, 31, v36
	v_not_b32_e32 v36, v34
	s_delay_alu instid0(VALU_DEP_4)
	v_and_b32_e32 v0, v0, v35
	v_lshlrev_b32_e32 v35, 25, v40
	s_wait_alu 0xfffd
	v_xor_b32_e32 v33, vcc_lo, v33
	v_cmp_gt_i32_e32 vcc_lo, 0, v34
	v_ashrrev_i32_e32 v34, 31, v36
	s_wait_kmcnt 0x0
	s_lshr_b32 s10, s1, 16
	v_not_b32_e32 v36, v35
	v_and_b32_e32 v0, v0, v33
	v_lshlrev_b32_e32 v33, 24, v40
	s_wait_alu 0xfffd
	v_xor_b32_e32 v34, vcc_lo, v34
	v_cmp_gt_i32_e32 vcc_lo, 0, v35
	v_ashrrev_i32_e32 v35, 31, v36
	s_wait_alu 0xfffe
	v_mad_u32_u24 v37, v72, s10, v71
	v_not_b32_e32 v36, v33
	v_and_b32_e32 v0, v0, v34
	s_and_b32 s1, s1, 0xffff
	s_wait_alu 0xfffd
	v_xor_b32_e32 v34, vcc_lo, v35
	v_cmp_gt_i32_e32 vcc_lo, 0, v33
	v_ashrrev_i32_e32 v33, 31, v36
	s_wait_alu 0xfffe
	v_mad_co_u64_u32 v[38:39], null, v37, s1, v[46:47]
	v_dual_mov_b32 v37, s15 :: v_dual_and_b32 v0, v0, v34
	s_wait_alu 0xfffd
	v_xor_b32_e32 v33, vcc_lo, v33
	v_dual_mov_b32 v36, s14 :: v_dual_mov_b32 v35, s13
	v_mov_b32_e32 v34, s12
	ds_store_b128 v67, v[34:37] offset:32
	ds_store_b128 v67, v[34:37] offset:48
	v_and_b32_e32 v33, v0, v33
	v_lshrrev_b32_e32 v0, 5, v38
	v_lshlrev_b32_e32 v34, 5, v40
	s_wait_loadcnt_dscnt 0x0
	s_barrier_signal -1
	v_mbcnt_lo_u32_b32 v86, v33, 0
	v_lshlrev_b32_e32 v0, 2, v0
	v_cmp_ne_u32_e64 s1, 0, v33
	s_barrier_wait -1
	global_inv scope:SCOPE_SE
	v_cmp_eq_u32_e32 vcc_lo, 0, v86
	v_add_nc_u32_e32 v87, v0, v34
	; wave barrier
	s_and_b32 s10, s1, vcc_lo
	s_wait_alu 0xfffe
	s_and_saveexec_b32 s1, s10
; %bb.35:
	v_bcnt_u32_b32 v33, v33, 0
	ds_store_b32 v87, v33 offset:32
; %bb.36:
	s_wait_alu 0xfffe
	s_or_b32 exec_lo, exec_lo, s1
	v_cmp_ne_u16_e32 vcc_lo, 0x7fff, v75
	; wave barrier
	s_wait_alu 0xfffd
	v_cndmask_b32_e32 v33, 0xffff8000, v75, vcc_lo
	s_delay_alu instid0(VALU_DEP_1) | instskip(NEXT) | instid1(VALU_DEP_1)
	v_and_b32_e32 v33, 0xffff, v33
	v_and_b32_e32 v33, s9, v33
	s_delay_alu instid0(VALU_DEP_1)
	v_and_b32_e32 v34, 1, v33
	v_lshlrev_b32_e32 v35, 30, v33
	v_lshlrev_b32_e32 v36, 29, v33
	;; [unrolled: 1-line block ×4, first 2 shown]
	v_add_co_u32 v34, s1, v34, -1
	s_wait_alu 0xf1ff
	v_cndmask_b32_e64 v38, 0, 1, s1
	v_not_b32_e32 v83, v35
	v_cmp_gt_i32_e64 s1, 0, v35
	v_not_b32_e32 v35, v36
	v_lshlrev_b32_e32 v40, 26, v33
	v_cmp_ne_u32_e32 vcc_lo, 0, v38
	v_ashrrev_i32_e32 v83, 31, v83
	v_lshlrev_b32_e32 v82, 25, v33
	v_ashrrev_i32_e32 v35, 31, v35
	v_lshlrev_b32_e32 v38, 24, v33
	s_wait_alu 0xfffd
	v_xor_b32_e32 v34, vcc_lo, v34
	v_cmp_gt_i32_e32 vcc_lo, 0, v36
	v_not_b32_e32 v36, v37
	s_wait_alu 0xf1ff
	v_xor_b32_e32 v83, s1, v83
	v_cmp_gt_i32_e64 s1, 0, v37
	v_and_b32_e32 v34, exec_lo, v34
	v_not_b32_e32 v37, v39
	v_ashrrev_i32_e32 v36, 31, v36
	s_wait_alu 0xfffd
	v_xor_b32_e32 v35, vcc_lo, v35
	v_cmp_gt_i32_e32 vcc_lo, 0, v39
	v_and_b32_e32 v34, v34, v83
	v_not_b32_e32 v39, v40
	v_ashrrev_i32_e32 v37, 31, v37
	s_wait_alu 0xf1ff
	v_xor_b32_e32 v36, s1, v36
	v_cmp_gt_i32_e64 s1, 0, v40
	v_and_b32_e32 v34, v34, v35
	v_not_b32_e32 v35, v82
	v_ashrrev_i32_e32 v39, 31, v39
	s_wait_alu 0xfffd
	v_xor_b32_e32 v37, vcc_lo, v37
	v_cmp_gt_i32_e32 vcc_lo, 0, v82
	v_and_b32_e32 v34, v34, v36
	v_not_b32_e32 v36, v38
	v_ashrrev_i32_e32 v35, 31, v35
	s_wait_alu 0xf1ff
	v_xor_b32_e32 v39, s1, v39
	v_lshlrev_b32_e32 v33, 5, v33
	v_and_b32_e32 v34, v34, v37
	v_cmp_gt_i32_e64 s1, 0, v38
	v_ashrrev_i32_e32 v36, 31, v36
	s_wait_alu 0xfffd
	v_xor_b32_e32 v35, vcc_lo, v35
	v_add_nc_u32_e32 v90, v0, v33
	v_and_b32_e32 v34, v34, v39
	s_wait_alu 0xf1ff
	v_xor_b32_e32 v33, s1, v36
	ds_load_b32 v88, v90 offset:32
	v_and_b32_e32 v34, v34, v35
	; wave barrier
	s_delay_alu instid0(VALU_DEP_1) | instskip(NEXT) | instid1(VALU_DEP_1)
	v_and_b32_e32 v33, v34, v33
	v_mbcnt_lo_u32_b32 v89, v33, 0
	v_cmp_ne_u32_e64 s1, 0, v33
	s_delay_alu instid0(VALU_DEP_2)
	v_cmp_eq_u32_e32 vcc_lo, 0, v89
	s_and_b32 s10, s1, vcc_lo
	s_wait_alu 0xfffe
	s_and_saveexec_b32 s1, s10
	s_cbranch_execz .LBB251_38
; %bb.37:
	s_wait_dscnt 0x0
	v_bcnt_u32_b32 v33, v33, v88
	ds_store_b32 v90, v33 offset:32
.LBB251_38:
	s_wait_alu 0xfffe
	s_or_b32 exec_lo, exec_lo, s1
	v_cmp_ne_u16_e32 vcc_lo, 0x7fff, v76
	; wave barrier
	s_wait_alu 0xfffd
	v_cndmask_b32_e32 v33, 0xffff8000, v76, vcc_lo
	s_delay_alu instid0(VALU_DEP_1) | instskip(NEXT) | instid1(VALU_DEP_1)
	v_and_b32_e32 v33, 0xffff, v33
	v_and_b32_e32 v33, s9, v33
	s_delay_alu instid0(VALU_DEP_1)
	v_and_b32_e32 v34, 1, v33
	v_lshlrev_b32_e32 v35, 30, v33
	v_lshlrev_b32_e32 v36, 29, v33
	;; [unrolled: 1-line block ×4, first 2 shown]
	v_add_co_u32 v34, s1, v34, -1
	s_wait_alu 0xf1ff
	v_cndmask_b32_e64 v38, 0, 1, s1
	v_not_b32_e32 v83, v35
	v_cmp_gt_i32_e64 s1, 0, v35
	v_not_b32_e32 v35, v36
	v_lshlrev_b32_e32 v40, 26, v33
	v_cmp_ne_u32_e32 vcc_lo, 0, v38
	v_ashrrev_i32_e32 v83, 31, v83
	v_lshlrev_b32_e32 v82, 25, v33
	v_ashrrev_i32_e32 v35, 31, v35
	v_lshlrev_b32_e32 v38, 24, v33
	s_wait_alu 0xfffd
	v_xor_b32_e32 v34, vcc_lo, v34
	v_cmp_gt_i32_e32 vcc_lo, 0, v36
	v_not_b32_e32 v36, v37
	s_wait_alu 0xf1ff
	v_xor_b32_e32 v83, s1, v83
	v_cmp_gt_i32_e64 s1, 0, v37
	v_and_b32_e32 v34, exec_lo, v34
	v_not_b32_e32 v37, v39
	v_ashrrev_i32_e32 v36, 31, v36
	s_wait_alu 0xfffd
	v_xor_b32_e32 v35, vcc_lo, v35
	v_cmp_gt_i32_e32 vcc_lo, 0, v39
	v_and_b32_e32 v34, v34, v83
	v_not_b32_e32 v39, v40
	v_ashrrev_i32_e32 v37, 31, v37
	s_wait_alu 0xf1ff
	v_xor_b32_e32 v36, s1, v36
	v_cmp_gt_i32_e64 s1, 0, v40
	v_and_b32_e32 v34, v34, v35
	v_not_b32_e32 v35, v82
	v_ashrrev_i32_e32 v39, 31, v39
	s_wait_alu 0xfffd
	v_xor_b32_e32 v37, vcc_lo, v37
	v_cmp_gt_i32_e32 vcc_lo, 0, v82
	v_and_b32_e32 v34, v34, v36
	v_not_b32_e32 v36, v38
	v_ashrrev_i32_e32 v35, 31, v35
	s_wait_alu 0xf1ff
	v_xor_b32_e32 v39, s1, v39
	v_lshlrev_b32_e32 v33, 5, v33
	v_and_b32_e32 v34, v34, v37
	v_cmp_gt_i32_e64 s1, 0, v38
	v_ashrrev_i32_e32 v36, 31, v36
	s_wait_alu 0xfffd
	v_xor_b32_e32 v35, vcc_lo, v35
	v_add_nc_u32_e32 v93, v0, v33
	v_and_b32_e32 v34, v34, v39
	s_wait_alu 0xf1ff
	v_xor_b32_e32 v33, s1, v36
	ds_load_b32 v91, v93 offset:32
	v_and_b32_e32 v34, v34, v35
	; wave barrier
	s_delay_alu instid0(VALU_DEP_1) | instskip(NEXT) | instid1(VALU_DEP_1)
	v_and_b32_e32 v33, v34, v33
	v_mbcnt_lo_u32_b32 v92, v33, 0
	v_cmp_ne_u32_e64 s1, 0, v33
	s_delay_alu instid0(VALU_DEP_2)
	v_cmp_eq_u32_e32 vcc_lo, 0, v92
	s_and_b32 s10, s1, vcc_lo
	s_wait_alu 0xfffe
	s_and_saveexec_b32 s1, s10
	s_cbranch_execz .LBB251_40
; %bb.39:
	s_wait_dscnt 0x0
	v_bcnt_u32_b32 v33, v33, v91
	ds_store_b32 v93, v33 offset:32
.LBB251_40:
	s_wait_alu 0xfffe
	s_or_b32 exec_lo, exec_lo, s1
	v_cmp_ne_u16_e32 vcc_lo, 0x7fff, v77
	; wave barrier
	s_wait_alu 0xfffd
	v_cndmask_b32_e32 v33, 0xffff8000, v77, vcc_lo
	s_delay_alu instid0(VALU_DEP_1) | instskip(NEXT) | instid1(VALU_DEP_1)
	v_and_b32_e32 v33, 0xffff, v33
	v_and_b32_e32 v33, s9, v33
	s_delay_alu instid0(VALU_DEP_1)
	v_and_b32_e32 v34, 1, v33
	v_lshlrev_b32_e32 v35, 30, v33
	v_lshlrev_b32_e32 v36, 29, v33
	v_lshlrev_b32_e32 v37, 28, v33
	v_lshlrev_b32_e32 v39, 27, v33
	v_add_co_u32 v34, s1, v34, -1
	s_wait_alu 0xf1ff
	v_cndmask_b32_e64 v38, 0, 1, s1
	v_not_b32_e32 v83, v35
	v_cmp_gt_i32_e64 s1, 0, v35
	v_not_b32_e32 v35, v36
	v_lshlrev_b32_e32 v40, 26, v33
	v_cmp_ne_u32_e32 vcc_lo, 0, v38
	v_ashrrev_i32_e32 v83, 31, v83
	v_lshlrev_b32_e32 v82, 25, v33
	v_ashrrev_i32_e32 v35, 31, v35
	v_lshlrev_b32_e32 v38, 24, v33
	s_wait_alu 0xfffd
	v_xor_b32_e32 v34, vcc_lo, v34
	v_cmp_gt_i32_e32 vcc_lo, 0, v36
	v_not_b32_e32 v36, v37
	s_wait_alu 0xf1ff
	v_xor_b32_e32 v83, s1, v83
	v_cmp_gt_i32_e64 s1, 0, v37
	v_and_b32_e32 v34, exec_lo, v34
	v_not_b32_e32 v37, v39
	v_ashrrev_i32_e32 v36, 31, v36
	s_wait_alu 0xfffd
	v_xor_b32_e32 v35, vcc_lo, v35
	v_cmp_gt_i32_e32 vcc_lo, 0, v39
	v_and_b32_e32 v34, v34, v83
	v_not_b32_e32 v39, v40
	v_ashrrev_i32_e32 v37, 31, v37
	s_wait_alu 0xf1ff
	v_xor_b32_e32 v36, s1, v36
	v_cmp_gt_i32_e64 s1, 0, v40
	v_and_b32_e32 v34, v34, v35
	v_not_b32_e32 v35, v82
	v_ashrrev_i32_e32 v39, 31, v39
	s_wait_alu 0xfffd
	v_xor_b32_e32 v37, vcc_lo, v37
	v_cmp_gt_i32_e32 vcc_lo, 0, v82
	v_and_b32_e32 v34, v34, v36
	v_not_b32_e32 v36, v38
	v_ashrrev_i32_e32 v35, 31, v35
	s_wait_alu 0xf1ff
	v_xor_b32_e32 v39, s1, v39
	v_lshlrev_b32_e32 v33, 5, v33
	v_and_b32_e32 v34, v34, v37
	v_cmp_gt_i32_e64 s1, 0, v38
	v_ashrrev_i32_e32 v36, 31, v36
	s_wait_alu 0xfffd
	v_xor_b32_e32 v35, vcc_lo, v35
	v_add_nc_u32_e32 v96, v0, v33
	v_and_b32_e32 v34, v34, v39
	s_wait_alu 0xf1ff
	v_xor_b32_e32 v33, s1, v36
	ds_load_b32 v94, v96 offset:32
	v_and_b32_e32 v34, v34, v35
	; wave barrier
	s_delay_alu instid0(VALU_DEP_1) | instskip(NEXT) | instid1(VALU_DEP_1)
	v_and_b32_e32 v33, v34, v33
	v_mbcnt_lo_u32_b32 v95, v33, 0
	v_cmp_ne_u32_e64 s1, 0, v33
	s_delay_alu instid0(VALU_DEP_2)
	v_cmp_eq_u32_e32 vcc_lo, 0, v95
	s_and_b32 s10, s1, vcc_lo
	s_wait_alu 0xfffe
	s_and_saveexec_b32 s1, s10
	s_cbranch_execz .LBB251_42
; %bb.41:
	s_wait_dscnt 0x0
	v_bcnt_u32_b32 v33, v33, v94
	ds_store_b32 v96, v33 offset:32
.LBB251_42:
	s_wait_alu 0xfffe
	s_or_b32 exec_lo, exec_lo, s1
	v_cmp_ne_u16_e32 vcc_lo, 0x7fff, v78
	; wave barrier
	s_wait_alu 0xfffd
	v_cndmask_b32_e32 v33, 0xffff8000, v78, vcc_lo
	s_delay_alu instid0(VALU_DEP_1) | instskip(NEXT) | instid1(VALU_DEP_1)
	v_and_b32_e32 v33, 0xffff, v33
	v_and_b32_e32 v33, s9, v33
	s_delay_alu instid0(VALU_DEP_1)
	v_and_b32_e32 v34, 1, v33
	v_lshlrev_b32_e32 v35, 30, v33
	v_lshlrev_b32_e32 v36, 29, v33
	;; [unrolled: 1-line block ×4, first 2 shown]
	v_add_co_u32 v34, s1, v34, -1
	s_wait_alu 0xf1ff
	v_cndmask_b32_e64 v38, 0, 1, s1
	v_not_b32_e32 v83, v35
	v_cmp_gt_i32_e64 s1, 0, v35
	v_not_b32_e32 v35, v36
	v_lshlrev_b32_e32 v40, 26, v33
	v_cmp_ne_u32_e32 vcc_lo, 0, v38
	v_ashrrev_i32_e32 v83, 31, v83
	v_lshlrev_b32_e32 v82, 25, v33
	v_ashrrev_i32_e32 v35, 31, v35
	v_lshlrev_b32_e32 v38, 24, v33
	s_wait_alu 0xfffd
	v_xor_b32_e32 v34, vcc_lo, v34
	v_cmp_gt_i32_e32 vcc_lo, 0, v36
	v_not_b32_e32 v36, v37
	s_wait_alu 0xf1ff
	v_xor_b32_e32 v83, s1, v83
	v_cmp_gt_i32_e64 s1, 0, v37
	v_and_b32_e32 v34, exec_lo, v34
	v_not_b32_e32 v37, v39
	v_ashrrev_i32_e32 v36, 31, v36
	s_wait_alu 0xfffd
	v_xor_b32_e32 v35, vcc_lo, v35
	v_cmp_gt_i32_e32 vcc_lo, 0, v39
	v_and_b32_e32 v34, v34, v83
	v_not_b32_e32 v39, v40
	v_ashrrev_i32_e32 v37, 31, v37
	s_wait_alu 0xf1ff
	v_xor_b32_e32 v36, s1, v36
	v_cmp_gt_i32_e64 s1, 0, v40
	v_and_b32_e32 v34, v34, v35
	v_not_b32_e32 v35, v82
	v_ashrrev_i32_e32 v39, 31, v39
	s_wait_alu 0xfffd
	v_xor_b32_e32 v37, vcc_lo, v37
	v_cmp_gt_i32_e32 vcc_lo, 0, v82
	v_and_b32_e32 v34, v34, v36
	v_not_b32_e32 v36, v38
	v_ashrrev_i32_e32 v35, 31, v35
	s_wait_alu 0xf1ff
	v_xor_b32_e32 v39, s1, v39
	v_lshlrev_b32_e32 v33, 5, v33
	v_and_b32_e32 v34, v34, v37
	v_cmp_gt_i32_e64 s1, 0, v38
	v_ashrrev_i32_e32 v36, 31, v36
	s_wait_alu 0xfffd
	v_xor_b32_e32 v35, vcc_lo, v35
	v_add_nc_u32_e32 v99, v0, v33
	v_and_b32_e32 v34, v34, v39
	s_wait_alu 0xf1ff
	v_xor_b32_e32 v33, s1, v36
	ds_load_b32 v97, v99 offset:32
	v_and_b32_e32 v34, v34, v35
	; wave barrier
	s_delay_alu instid0(VALU_DEP_1) | instskip(NEXT) | instid1(VALU_DEP_1)
	v_and_b32_e32 v33, v34, v33
	v_mbcnt_lo_u32_b32 v98, v33, 0
	v_cmp_ne_u32_e64 s1, 0, v33
	s_delay_alu instid0(VALU_DEP_2)
	v_cmp_eq_u32_e32 vcc_lo, 0, v98
	s_and_b32 s10, s1, vcc_lo
	s_wait_alu 0xfffe
	s_and_saveexec_b32 s1, s10
	s_cbranch_execz .LBB251_44
; %bb.43:
	s_wait_dscnt 0x0
	v_bcnt_u32_b32 v33, v33, v97
	ds_store_b32 v99, v33 offset:32
.LBB251_44:
	s_wait_alu 0xfffe
	s_or_b32 exec_lo, exec_lo, s1
	v_cmp_ne_u16_e32 vcc_lo, 0x7fff, v79
	; wave barrier
	s_wait_alu 0xfffd
	v_cndmask_b32_e32 v33, 0xffff8000, v79, vcc_lo
	s_delay_alu instid0(VALU_DEP_1) | instskip(NEXT) | instid1(VALU_DEP_1)
	v_and_b32_e32 v33, 0xffff, v33
	v_and_b32_e32 v33, s9, v33
	s_delay_alu instid0(VALU_DEP_1)
	v_and_b32_e32 v34, 1, v33
	v_lshlrev_b32_e32 v35, 30, v33
	v_lshlrev_b32_e32 v36, 29, v33
	;; [unrolled: 1-line block ×4, first 2 shown]
	v_add_co_u32 v34, s1, v34, -1
	s_wait_alu 0xf1ff
	v_cndmask_b32_e64 v38, 0, 1, s1
	v_not_b32_e32 v83, v35
	v_cmp_gt_i32_e64 s1, 0, v35
	v_not_b32_e32 v35, v36
	v_lshlrev_b32_e32 v40, 26, v33
	v_cmp_ne_u32_e32 vcc_lo, 0, v38
	v_ashrrev_i32_e32 v83, 31, v83
	v_lshlrev_b32_e32 v82, 25, v33
	v_ashrrev_i32_e32 v35, 31, v35
	v_lshlrev_b32_e32 v38, 24, v33
	s_wait_alu 0xfffd
	v_xor_b32_e32 v34, vcc_lo, v34
	v_cmp_gt_i32_e32 vcc_lo, 0, v36
	v_not_b32_e32 v36, v37
	s_wait_alu 0xf1ff
	v_xor_b32_e32 v83, s1, v83
	v_cmp_gt_i32_e64 s1, 0, v37
	v_and_b32_e32 v34, exec_lo, v34
	v_not_b32_e32 v37, v39
	v_ashrrev_i32_e32 v36, 31, v36
	s_wait_alu 0xfffd
	v_xor_b32_e32 v35, vcc_lo, v35
	v_cmp_gt_i32_e32 vcc_lo, 0, v39
	v_and_b32_e32 v34, v34, v83
	v_not_b32_e32 v39, v40
	v_ashrrev_i32_e32 v37, 31, v37
	s_wait_alu 0xf1ff
	v_xor_b32_e32 v36, s1, v36
	v_cmp_gt_i32_e64 s1, 0, v40
	v_and_b32_e32 v34, v34, v35
	v_not_b32_e32 v35, v82
	v_ashrrev_i32_e32 v39, 31, v39
	s_wait_alu 0xfffd
	v_xor_b32_e32 v37, vcc_lo, v37
	v_cmp_gt_i32_e32 vcc_lo, 0, v82
	v_and_b32_e32 v34, v34, v36
	v_not_b32_e32 v36, v38
	v_ashrrev_i32_e32 v35, 31, v35
	s_wait_alu 0xf1ff
	v_xor_b32_e32 v39, s1, v39
	v_lshlrev_b32_e32 v33, 5, v33
	v_and_b32_e32 v34, v34, v37
	v_cmp_gt_i32_e64 s1, 0, v38
	v_ashrrev_i32_e32 v36, 31, v36
	s_wait_alu 0xfffd
	v_xor_b32_e32 v35, vcc_lo, v35
	v_add_nc_u32_e32 v102, v0, v33
	v_and_b32_e32 v34, v34, v39
	s_wait_alu 0xf1ff
	v_xor_b32_e32 v33, s1, v36
	ds_load_b32 v100, v102 offset:32
	v_and_b32_e32 v34, v34, v35
	; wave barrier
	s_delay_alu instid0(VALU_DEP_1) | instskip(NEXT) | instid1(VALU_DEP_1)
	v_and_b32_e32 v33, v34, v33
	v_mbcnt_lo_u32_b32 v101, v33, 0
	v_cmp_ne_u32_e64 s1, 0, v33
	s_delay_alu instid0(VALU_DEP_2)
	v_cmp_eq_u32_e32 vcc_lo, 0, v101
	s_and_b32 s10, s1, vcc_lo
	s_wait_alu 0xfffe
	s_and_saveexec_b32 s1, s10
	s_cbranch_execz .LBB251_46
; %bb.45:
	s_wait_dscnt 0x0
	v_bcnt_u32_b32 v33, v33, v100
	ds_store_b32 v102, v33 offset:32
.LBB251_46:
	s_wait_alu 0xfffe
	s_or_b32 exec_lo, exec_lo, s1
	v_cmp_ne_u16_e32 vcc_lo, 0x7fff, v80
	; wave barrier
	s_wait_alu 0xfffd
	v_cndmask_b32_e32 v33, 0xffff8000, v80, vcc_lo
	s_delay_alu instid0(VALU_DEP_1) | instskip(NEXT) | instid1(VALU_DEP_1)
	v_and_b32_e32 v33, 0xffff, v33
	v_and_b32_e32 v33, s9, v33
	s_delay_alu instid0(VALU_DEP_1)
	v_and_b32_e32 v34, 1, v33
	v_lshlrev_b32_e32 v35, 30, v33
	v_lshlrev_b32_e32 v36, 29, v33
	;; [unrolled: 1-line block ×4, first 2 shown]
	v_add_co_u32 v34, s1, v34, -1
	s_wait_alu 0xf1ff
	v_cndmask_b32_e64 v38, 0, 1, s1
	v_not_b32_e32 v83, v35
	v_cmp_gt_i32_e64 s1, 0, v35
	v_not_b32_e32 v35, v36
	v_lshlrev_b32_e32 v40, 26, v33
	v_cmp_ne_u32_e32 vcc_lo, 0, v38
	v_ashrrev_i32_e32 v83, 31, v83
	v_lshlrev_b32_e32 v82, 25, v33
	v_ashrrev_i32_e32 v35, 31, v35
	v_lshlrev_b32_e32 v38, 24, v33
	s_wait_alu 0xfffd
	v_xor_b32_e32 v34, vcc_lo, v34
	v_cmp_gt_i32_e32 vcc_lo, 0, v36
	v_not_b32_e32 v36, v37
	s_wait_alu 0xf1ff
	v_xor_b32_e32 v83, s1, v83
	v_cmp_gt_i32_e64 s1, 0, v37
	v_and_b32_e32 v34, exec_lo, v34
	v_not_b32_e32 v37, v39
	v_ashrrev_i32_e32 v36, 31, v36
	s_wait_alu 0xfffd
	v_xor_b32_e32 v35, vcc_lo, v35
	v_cmp_gt_i32_e32 vcc_lo, 0, v39
	v_and_b32_e32 v34, v34, v83
	v_not_b32_e32 v39, v40
	v_ashrrev_i32_e32 v37, 31, v37
	s_wait_alu 0xf1ff
	v_xor_b32_e32 v36, s1, v36
	v_cmp_gt_i32_e64 s1, 0, v40
	v_and_b32_e32 v34, v34, v35
	v_not_b32_e32 v35, v82
	v_ashrrev_i32_e32 v39, 31, v39
	s_wait_alu 0xfffd
	v_xor_b32_e32 v37, vcc_lo, v37
	v_cmp_gt_i32_e32 vcc_lo, 0, v82
	v_and_b32_e32 v34, v34, v36
	v_not_b32_e32 v36, v38
	v_ashrrev_i32_e32 v35, 31, v35
	s_wait_alu 0xf1ff
	v_xor_b32_e32 v39, s1, v39
	v_lshlrev_b32_e32 v33, 5, v33
	v_and_b32_e32 v34, v34, v37
	v_cmp_gt_i32_e64 s1, 0, v38
	v_ashrrev_i32_e32 v36, 31, v36
	s_wait_alu 0xfffd
	v_xor_b32_e32 v35, vcc_lo, v35
	v_add_nc_u32_e32 v105, v0, v33
	v_and_b32_e32 v34, v34, v39
	s_wait_alu 0xf1ff
	v_xor_b32_e32 v33, s1, v36
	ds_load_b32 v103, v105 offset:32
	v_and_b32_e32 v34, v34, v35
	; wave barrier
	s_delay_alu instid0(VALU_DEP_1) | instskip(NEXT) | instid1(VALU_DEP_1)
	v_and_b32_e32 v33, v34, v33
	v_mbcnt_lo_u32_b32 v104, v33, 0
	v_cmp_ne_u32_e64 s1, 0, v33
	s_delay_alu instid0(VALU_DEP_2)
	v_cmp_eq_u32_e32 vcc_lo, 0, v104
	s_and_b32 s10, s1, vcc_lo
	s_wait_alu 0xfffe
	s_and_saveexec_b32 s1, s10
	s_cbranch_execz .LBB251_48
; %bb.47:
	s_wait_dscnt 0x0
	v_bcnt_u32_b32 v33, v33, v103
	ds_store_b32 v105, v33 offset:32
.LBB251_48:
	s_wait_alu 0xfffe
	s_or_b32 exec_lo, exec_lo, s1
	v_cmp_ne_u16_e32 vcc_lo, 0x7fff, v81
	; wave barrier
	s_wait_alu 0xfffd
	v_cndmask_b32_e32 v33, 0xffff8000, v81, vcc_lo
	s_delay_alu instid0(VALU_DEP_1) | instskip(NEXT) | instid1(VALU_DEP_1)
	v_and_b32_e32 v33, 0xffff, v33
	v_and_b32_e32 v33, s9, v33
	s_delay_alu instid0(VALU_DEP_1)
	v_and_b32_e32 v34, 1, v33
	v_lshlrev_b32_e32 v35, 30, v33
	v_lshlrev_b32_e32 v36, 29, v33
	;; [unrolled: 1-line block ×4, first 2 shown]
	v_add_co_u32 v34, s1, v34, -1
	s_wait_alu 0xf1ff
	v_cndmask_b32_e64 v38, 0, 1, s1
	v_not_b32_e32 v83, v35
	v_cmp_gt_i32_e64 s1, 0, v35
	v_not_b32_e32 v35, v36
	v_lshlrev_b32_e32 v40, 26, v33
	v_cmp_ne_u32_e32 vcc_lo, 0, v38
	v_ashrrev_i32_e32 v83, 31, v83
	v_lshlrev_b32_e32 v82, 25, v33
	v_ashrrev_i32_e32 v35, 31, v35
	v_lshlrev_b32_e32 v38, 24, v33
	s_wait_alu 0xfffd
	v_xor_b32_e32 v34, vcc_lo, v34
	v_cmp_gt_i32_e32 vcc_lo, 0, v36
	v_not_b32_e32 v36, v37
	s_wait_alu 0xf1ff
	v_xor_b32_e32 v83, s1, v83
	v_cmp_gt_i32_e64 s1, 0, v37
	v_and_b32_e32 v34, exec_lo, v34
	v_not_b32_e32 v37, v39
	v_ashrrev_i32_e32 v36, 31, v36
	s_wait_alu 0xfffd
	v_xor_b32_e32 v35, vcc_lo, v35
	v_cmp_gt_i32_e32 vcc_lo, 0, v39
	v_and_b32_e32 v34, v34, v83
	v_not_b32_e32 v39, v40
	v_ashrrev_i32_e32 v37, 31, v37
	s_wait_alu 0xf1ff
	v_xor_b32_e32 v36, s1, v36
	v_cmp_gt_i32_e64 s1, 0, v40
	v_and_b32_e32 v34, v34, v35
	v_not_b32_e32 v35, v82
	v_ashrrev_i32_e32 v39, 31, v39
	s_wait_alu 0xfffd
	v_xor_b32_e32 v37, vcc_lo, v37
	v_cmp_gt_i32_e32 vcc_lo, 0, v82
	v_and_b32_e32 v34, v34, v36
	v_not_b32_e32 v36, v38
	v_ashrrev_i32_e32 v35, 31, v35
	s_wait_alu 0xf1ff
	v_xor_b32_e32 v39, s1, v39
	v_lshlrev_b32_e32 v33, 5, v33
	v_and_b32_e32 v34, v34, v37
	v_cmp_gt_i32_e64 s1, 0, v38
	v_ashrrev_i32_e32 v36, 31, v36
	s_wait_alu 0xfffd
	v_xor_b32_e32 v35, vcc_lo, v35
	v_add_nc_u32_e32 v108, v0, v33
	v_and_b32_e32 v34, v34, v39
	v_min_u32_e32 v82, 0xe0, v70
	s_wait_alu 0xf1ff
	v_xor_b32_e32 v33, s1, v36
	ds_load_b32 v106, v108 offset:32
	v_and_b32_e32 v34, v34, v35
	; wave barrier
	s_delay_alu instid0(VALU_DEP_1) | instskip(NEXT) | instid1(VALU_DEP_1)
	v_and_b32_e32 v33, v34, v33
	v_mbcnt_lo_u32_b32 v107, v33, 0
	v_cmp_ne_u32_e64 s1, 0, v33
	s_delay_alu instid0(VALU_DEP_2)
	v_cmp_eq_u32_e32 vcc_lo, 0, v107
	s_and_b32 s9, s1, vcc_lo
	s_wait_alu 0xfffe
	s_and_saveexec_b32 s1, s9
	s_cbranch_execz .LBB251_50
; %bb.49:
	s_wait_dscnt 0x0
	v_bcnt_u32_b32 v33, v33, v106
	ds_store_b32 v108, v33 offset:32
.LBB251_50:
	s_wait_alu 0xfffe
	s_or_b32 exec_lo, exec_lo, s1
	; wave barrier
	s_wait_loadcnt_dscnt 0x0
	s_barrier_signal -1
	s_barrier_wait -1
	global_inv scope:SCOPE_SE
	ds_load_b128 v[37:40], v67 offset:32
	ds_load_b128 v[33:36], v67 offset:48
	v_and_b32_e32 v109, 16, v69
	v_or_b32_e32 v82, 31, v82
	s_delay_alu instid0(VALU_DEP_2) | instskip(NEXT) | instid1(VALU_DEP_2)
	v_cmp_eq_u32_e64 s17, 0, v109
	v_cmp_eq_u32_e64 s15, v46, v82
	s_wait_dscnt 0x1
	v_add_nc_u32_e32 v83, v38, v37
	s_delay_alu instid0(VALU_DEP_1) | instskip(SKIP_1) | instid1(VALU_DEP_1)
	v_add3_u32 v83, v83, v39, v40
	s_wait_dscnt 0x0
	v_add3_u32 v83, v83, v33, v34
	s_delay_alu instid0(VALU_DEP_1) | instskip(SKIP_1) | instid1(VALU_DEP_2)
	v_add3_u32 v36, v83, v35, v36
	v_and_b32_e32 v83, 15, v69
	v_mov_b32_dpp v85, v36 row_shr:1 row_mask:0xf bank_mask:0xf
	s_delay_alu instid0(VALU_DEP_2)
	v_cmp_eq_u32_e64 s9, 0, v83
	v_cmp_lt_u32_e64 s11, 1, v83
	v_cmp_lt_u32_e64 s12, 3, v83
	;; [unrolled: 1-line block ×3, first 2 shown]
	s_wait_alu 0xf1ff
	v_cndmask_b32_e64 v85, v85, 0, s9
	s_delay_alu instid0(VALU_DEP_1) | instskip(NEXT) | instid1(VALU_DEP_1)
	v_add_nc_u32_e32 v36, v85, v36
	v_mov_b32_dpp v85, v36 row_shr:2 row_mask:0xf bank_mask:0xf
	s_delay_alu instid0(VALU_DEP_1) | instskip(NEXT) | instid1(VALU_DEP_1)
	v_cndmask_b32_e64 v85, 0, v85, s11
	v_add_nc_u32_e32 v36, v36, v85
	s_delay_alu instid0(VALU_DEP_1) | instskip(NEXT) | instid1(VALU_DEP_1)
	v_mov_b32_dpp v85, v36 row_shr:4 row_mask:0xf bank_mask:0xf
	v_cndmask_b32_e64 v85, 0, v85, s12
	s_delay_alu instid0(VALU_DEP_1) | instskip(NEXT) | instid1(VALU_DEP_1)
	v_add_nc_u32_e32 v36, v36, v85
	v_mov_b32_dpp v85, v36 row_shr:8 row_mask:0xf bank_mask:0xf
	s_delay_alu instid0(VALU_DEP_1) | instskip(NEXT) | instid1(VALU_DEP_1)
	v_cndmask_b32_e64 v83, 0, v85, s14
	v_add_nc_u32_e32 v85, v36, v83
	v_bfe_i32 v83, v69, 4, 1
	ds_swizzle_b32 v36, v85 offset:swizzle(BROADCAST,32,15)
	s_wait_dscnt 0x0
	v_and_b32_e32 v110, v83, v36
	v_mul_i32_i24_e32 v36, 0xffffffe4, v46
	v_lshlrev_b32_e32 v83, 2, v68
	s_delay_alu instid0(VALU_DEP_3)
	v_add_nc_u32_e32 v85, v85, v110
	s_and_saveexec_b32 s1, s15
; %bb.51:
	ds_store_b32 v83, v85
; %bb.52:
	s_wait_alu 0xfffe
	s_or_b32 exec_lo, exec_lo, s1
	v_and_b32_e32 v82, 7, v69
	v_cmp_gt_u32_e64 s16, 8, v46
	s_wait_loadcnt_dscnt 0x0
	s_barrier_signal -1
	s_barrier_wait -1
	v_cmp_eq_u32_e64 s13, 0, v82
	v_cmp_lt_u32_e64 s10, 1, v82
	v_cmp_lt_u32_e32 vcc_lo, 3, v82
	v_add_nc_u32_e32 v82, v67, v36
	global_inv scope:SCOPE_SE
	s_and_saveexec_b32 s1, s16
	s_cbranch_execz .LBB251_54
; %bb.53:
	ds_load_b32 v36, v82
	s_wait_dscnt 0x0
	v_mov_b32_dpp v109, v36 row_shr:1 row_mask:0xf bank_mask:0xf
	s_wait_alu 0xf1ff
	s_delay_alu instid0(VALU_DEP_1) | instskip(NEXT) | instid1(VALU_DEP_1)
	v_cndmask_b32_e64 v109, v109, 0, s13
	v_add_nc_u32_e32 v36, v109, v36
	s_delay_alu instid0(VALU_DEP_1) | instskip(NEXT) | instid1(VALU_DEP_1)
	v_mov_b32_dpp v109, v36 row_shr:2 row_mask:0xf bank_mask:0xf
	v_cndmask_b32_e64 v109, 0, v109, s10
	s_delay_alu instid0(VALU_DEP_1) | instskip(NEXT) | instid1(VALU_DEP_1)
	v_add_nc_u32_e32 v36, v36, v109
	v_mov_b32_dpp v109, v36 row_shr:4 row_mask:0xf bank_mask:0xf
	s_wait_alu 0xfffd
	s_delay_alu instid0(VALU_DEP_1) | instskip(NEXT) | instid1(VALU_DEP_1)
	v_cndmask_b32_e32 v109, 0, v109, vcc_lo
	v_add_nc_u32_e32 v36, v36, v109
	ds_store_b32 v82, v36
.LBB251_54:
	s_wait_alu 0xfffe
	s_or_b32 exec_lo, exec_lo, s1
	v_mul_u32_u24_e32 v36, 6, v84
	v_sub_co_u32 v109, s1, v69, 1
	v_cmp_lt_u32_e64 s18, 31, v46
	v_add_nc_u32_e32 v84, -4, v83
	v_mov_b32_e32 v110, 0
	s_wait_loadcnt_dscnt 0x0
	s_barrier_signal -1
	s_barrier_wait -1
	global_inv scope:SCOPE_SE
	s_and_saveexec_b32 s19, s18
; %bb.55:
	ds_load_b32 v110, v84
; %bb.56:
	s_or_b32 exec_lo, exec_lo, s19
	v_cmp_gt_i32_e64 s19, 0, v109
	s_mov_b32 s24, 0
	s_min_u32 s20, s20, 8
	s_mov_b32 s25, s24
	s_mov_b32 s26, s24
	v_cndmask_b32_e64 v109, v109, v69, s19
	s_mov_b32 s27, s24
	s_wait_dscnt 0x0
	v_add_nc_u32_e32 v111, v110, v85
	v_cmp_eq_u32_e64 s19, 0, v46
	s_wait_alu 0xfffe
	s_lshl_b32 s20, -1, s20
	v_lshlrev_b32_e32 v85, 2, v109
	s_wait_alu 0xfffe
	s_not_b32 s23, s20
	ds_bpermute_b32 v109, v85, v111
	s_wait_dscnt 0x0
	v_cndmask_b32_e64 v109, v109, v110, s1
	s_delay_alu instid0(VALU_DEP_1) | instskip(NEXT) | instid1(VALU_DEP_1)
	v_cndmask_b32_e64 v109, v109, 0, s19
	v_add_nc_u32_e32 v110, v109, v37
	s_delay_alu instid0(VALU_DEP_1) | instskip(NEXT) | instid1(VALU_DEP_1)
	v_add_nc_u32_e32 v111, v110, v38
	v_add_nc_u32_e32 v112, v111, v39
	s_delay_alu instid0(VALU_DEP_1) | instskip(NEXT) | instid1(VALU_DEP_1)
	v_add_nc_u32_e32 v37, v112, v40
	;; [unrolled: 3-line block ×3, first 2 shown]
	v_add_nc_u32_e32 v40, v39, v35
	ds_store_b128 v67, v[109:112] offset:32
	ds_store_b128 v67, v[37:40] offset:48
	s_wait_loadcnt_dscnt 0x0
	s_barrier_signal -1
	s_barrier_wait -1
	global_inv scope:SCOPE_SE
	ds_load_b32 v33, v87 offset:32
	ds_load_b32 v34, v90 offset:32
	;; [unrolled: 1-line block ×8, first 2 shown]
	v_add_nc_u32_e32 v90, v73, v36
	s_wait_loadcnt_dscnt 0x0
	s_barrier_signal -1
	s_barrier_wait -1
	global_inv scope:SCOPE_SE
	v_add_nc_u32_e32 v86, v33, v86
	v_add3_u32 v88, v89, v88, v34
	v_add3_u32 v89, v92, v91, v35
	;; [unrolled: 1-line block ×7, first 2 shown]
	v_lshlrev_b32_e32 v33, 1, v86
	v_lshlrev_b32_e32 v34, 1, v88
	;; [unrolled: 1-line block ×8, first 2 shown]
	ds_store_b16 v33, v74
	ds_store_b16 v34, v75
	ds_store_b16 v35, v76
	ds_store_b16 v36, v77
	ds_store_b16 v37, v78
	ds_store_b16 v38, v79
	ds_store_b16 v39, v80
	ds_store_b16 v40, v81
	s_wait_loadcnt_dscnt 0x0
	s_barrier_signal -1
	s_barrier_wait -1
	global_inv scope:SCOPE_SE
	ds_load_u16 v74, v73
	ds_load_u16 v75, v73 offset:64
	ds_load_u16 v76, v73 offset:128
	;; [unrolled: 1-line block ×7, first 2 shown]
	v_mad_co_u64_u32 v[86:87], null, v86, 6, v[33:34]
	v_mad_co_u64_u32 v[33:34], null, v88, 6, v[34:35]
	;; [unrolled: 1-line block ×3, first 2 shown]
	s_wait_loadcnt_dscnt 0x0
	s_barrier_signal -1
	s_barrier_wait -1
	global_inv scope:SCOPE_SE
	v_mad_co_u64_u32 v[35:36], null, v91, 6, v[36:37]
	v_lshrrev_b16 v81, 8, v74
	v_cmp_ne_u16_e64 s20, 0x7fff, v74
	ds_store_b64 v86, v[17:18]
	v_mad_co_u64_u32 v[36:37], null, v92, 6, v[37:38]
	v_mad_co_u64_u32 v[37:38], null, v93, 6, v[38:39]
	s_wait_alu 0xf1ff
	v_cndmask_b32_e64 v81, 0x80, v81, s20
	v_mad_co_u64_u32 v[38:39], null, v94, 6, v[39:40]
	v_mad_co_u64_u32 v[39:40], null, v95, 6, v[40:41]
	s_delay_alu instid0(VALU_DEP_3)
	v_and_b32_e32 v17, 0xffff, v81
	ds_store_b64 v33, v[19:20]
	ds_store_b64 v34, v[25:26]
	;; [unrolled: 1-line block ×7, first 2 shown]
	s_wait_alu 0xfffe
	v_and_b32_e32 v40, s23, v17
	s_wait_loadcnt_dscnt 0x0
	s_barrier_signal -1
	s_barrier_wait -1
	global_inv scope:SCOPE_SE
	v_and_b32_e32 v17, 1, v40
	v_lshlrev_b32_e32 v18, 30, v40
	v_lshlrev_b32_e32 v19, 29, v40
	;; [unrolled: 1-line block ×4, first 2 shown]
	v_add_co_u32 v17, s20, v17, -1
	s_wait_alu 0xf1ff
	v_cndmask_b32_e64 v21, 0, 1, s20
	v_not_b32_e32 v25, v18
	v_cmp_gt_i32_e64 s21, 0, v18
	v_not_b32_e32 v18, v19
	v_lshlrev_b32_e32 v23, 26, v40
	v_cmp_ne_u32_e64 s20, 0, v21
	v_ashrrev_i32_e32 v25, 31, v25
	v_lshlrev_b32_e32 v24, 25, v40
	v_ashrrev_i32_e32 v18, 31, v18
	v_lshlrev_b32_e32 v21, 24, v40
	s_wait_alu 0xf1ff
	v_xor_b32_e32 v17, s20, v17
	v_cmp_gt_i32_e64 s20, 0, v19
	v_not_b32_e32 v19, v20
	v_xor_b32_e32 v25, s21, v25
	v_cmp_gt_i32_e64 s21, 0, v20
	v_and_b32_e32 v17, exec_lo, v17
	v_not_b32_e32 v20, v22
	v_ashrrev_i32_e32 v19, 31, v19
	s_wait_alu 0xf1ff
	v_xor_b32_e32 v18, s20, v18
	v_cmp_gt_i32_e64 s20, 0, v22
	v_and_b32_e32 v17, v17, v25
	v_not_b32_e32 v22, v23
	v_ashrrev_i32_e32 v20, 31, v20
	v_xor_b32_e32 v19, s21, v19
	v_cmp_gt_i32_e64 s21, 0, v23
	v_and_b32_e32 v17, v17, v18
	v_not_b32_e32 v18, v24
	v_ashrrev_i32_e32 v22, 31, v22
	s_wait_alu 0xf1ff
	v_xor_b32_e32 v20, s20, v20
	v_cmp_gt_i32_e64 s20, 0, v24
	v_and_b32_e32 v17, v17, v19
	v_not_b32_e32 v19, v21
	v_ashrrev_i32_e32 v18, 31, v18
	v_xor_b32_e32 v22, s21, v22
	v_cmp_gt_i32_e64 s21, 0, v21
	v_and_b32_e32 v17, v17, v20
	v_ashrrev_i32_e32 v19, 31, v19
	s_wait_alu 0xf1ff
	v_xor_b32_e32 v18, s20, v18
	v_dual_mov_b32 v37, s27 :: v_dual_mov_b32 v36, s26
	v_and_b32_e32 v17, v17, v22
	v_xor_b32_e32 v33, s21, v19
	ds_load_2addr_b64 v[21:24], v90 offset1:32
	v_dual_mov_b32 v35, s25 :: v_dual_mov_b32 v34, s24
	v_and_b32_e32 v38, v17, v18
	ds_load_2addr_b64 v[29:32], v90 offset0:64 offset1:96
	ds_load_2addr_b64 v[25:28], v90 offset0:128 offset1:160
	;; [unrolled: 1-line block ×3, first 2 shown]
	v_lshl_add_u32 v86, v40, 5, v0
	s_wait_loadcnt_dscnt 0x0
	s_barrier_signal -1
	v_and_b32_e32 v33, v38, v33
	s_barrier_wait -1
	global_inv scope:SCOPE_SE
	ds_store_b128 v67, v[34:37] offset:32
	ds_store_b128 v67, v[34:37] offset:48
	s_wait_loadcnt_dscnt 0x0
	v_mbcnt_lo_u32_b32 v81, v33, 0
	v_cmp_ne_u32_e64 s21, 0, v33
	s_barrier_signal -1
	s_barrier_wait -1
	global_inv scope:SCOPE_SE
	v_cmp_eq_u32_e64 s20, 0, v81
	; wave barrier
	s_and_b32 s21, s21, s20
	s_wait_alu 0xfffe
	s_and_saveexec_b32 s20, s21
; %bb.57:
	v_bcnt_u32_b32 v33, v33, 0
	ds_store_b32 v86, v33 offset:32
; %bb.58:
	s_wait_alu 0xfffe
	s_or_b32 exec_lo, exec_lo, s20
	v_lshrrev_b16 v33, 8, v75
	v_cmp_ne_u16_e64 s20, 0x7fff, v75
	; wave barrier
	s_wait_alu 0xf1ff
	s_delay_alu instid0(VALU_DEP_1) | instskip(NEXT) | instid1(VALU_DEP_1)
	v_cndmask_b32_e64 v33, 0x80, v33, s20
	v_and_b32_e32 v33, s23, v33
	s_delay_alu instid0(VALU_DEP_1)
	v_and_b32_e32 v34, 1, v33
	v_lshlrev_b32_e32 v35, 30, v33
	v_lshlrev_b32_e32 v36, 29, v33
	;; [unrolled: 1-line block ×4, first 2 shown]
	v_add_co_u32 v34, s20, v34, -1
	s_wait_alu 0xf1ff
	v_cndmask_b32_e64 v38, 0, 1, s20
	v_not_b32_e32 v88, v35
	v_cmp_gt_i32_e64 s21, 0, v35
	v_not_b32_e32 v35, v36
	v_lshlrev_b32_e32 v40, 26, v33
	v_cmp_ne_u32_e64 s20, 0, v38
	v_ashrrev_i32_e32 v88, 31, v88
	v_lshlrev_b32_e32 v87, 25, v33
	v_ashrrev_i32_e32 v35, 31, v35
	v_lshlrev_b32_e32 v38, 24, v33
	s_wait_alu 0xf1ff
	v_xor_b32_e32 v34, s20, v34
	v_cmp_gt_i32_e64 s20, 0, v36
	v_not_b32_e32 v36, v37
	v_xor_b32_e32 v88, s21, v88
	v_cmp_gt_i32_e64 s21, 0, v37
	v_and_b32_e32 v34, exec_lo, v34
	v_not_b32_e32 v37, v39
	v_ashrrev_i32_e32 v36, 31, v36
	s_wait_alu 0xf1ff
	v_xor_b32_e32 v35, s20, v35
	v_cmp_gt_i32_e64 s20, 0, v39
	v_and_b32_e32 v34, v34, v88
	v_not_b32_e32 v39, v40
	v_ashrrev_i32_e32 v37, 31, v37
	v_xor_b32_e32 v36, s21, v36
	v_cmp_gt_i32_e64 s21, 0, v40
	v_and_b32_e32 v34, v34, v35
	v_not_b32_e32 v35, v87
	v_ashrrev_i32_e32 v39, 31, v39
	s_wait_alu 0xf1ff
	v_xor_b32_e32 v37, s20, v37
	v_cmp_gt_i32_e64 s20, 0, v87
	v_and_b32_e32 v34, v34, v36
	v_not_b32_e32 v36, v38
	v_ashrrev_i32_e32 v35, 31, v35
	v_xor_b32_e32 v39, s21, v39
	v_cmp_gt_i32_e64 s21, 0, v38
	v_and_b32_e32 v34, v34, v37
	v_ashrrev_i32_e32 v36, 31, v36
	s_wait_alu 0xf1ff
	v_xor_b32_e32 v35, s20, v35
	v_lshl_add_u32 v89, v33, 5, v0
	v_and_b32_e32 v34, v34, v39
	v_xor_b32_e32 v33, s21, v36
	ds_load_b32 v87, v89 offset:32
	v_and_b32_e32 v34, v34, v35
	; wave barrier
	s_delay_alu instid0(VALU_DEP_1) | instskip(NEXT) | instid1(VALU_DEP_1)
	v_and_b32_e32 v33, v34, v33
	v_mbcnt_lo_u32_b32 v88, v33, 0
	v_cmp_ne_u32_e64 s21, 0, v33
	s_delay_alu instid0(VALU_DEP_2)
	v_cmp_eq_u32_e64 s20, 0, v88
	s_and_b32 s21, s21, s20
	s_wait_alu 0xfffe
	s_and_saveexec_b32 s20, s21
	s_cbranch_execz .LBB251_60
; %bb.59:
	s_wait_dscnt 0x0
	v_bcnt_u32_b32 v33, v33, v87
	ds_store_b32 v89, v33 offset:32
.LBB251_60:
	s_wait_alu 0xfffe
	s_or_b32 exec_lo, exec_lo, s20
	v_lshrrev_b16 v33, 8, v76
	v_cmp_ne_u16_e64 s20, 0x7fff, v76
	; wave barrier
	s_wait_alu 0xf1ff
	s_delay_alu instid0(VALU_DEP_1) | instskip(NEXT) | instid1(VALU_DEP_1)
	v_cndmask_b32_e64 v33, 0x80, v33, s20
	v_and_b32_e32 v33, s23, v33
	s_delay_alu instid0(VALU_DEP_1)
	v_and_b32_e32 v34, 1, v33
	v_lshlrev_b32_e32 v35, 30, v33
	v_lshlrev_b32_e32 v36, 29, v33
	;; [unrolled: 1-line block ×4, first 2 shown]
	v_add_co_u32 v34, s20, v34, -1
	s_wait_alu 0xf1ff
	v_cndmask_b32_e64 v38, 0, 1, s20
	v_not_b32_e32 v91, v35
	v_cmp_gt_i32_e64 s21, 0, v35
	v_not_b32_e32 v35, v36
	v_lshlrev_b32_e32 v40, 26, v33
	v_cmp_ne_u32_e64 s20, 0, v38
	v_ashrrev_i32_e32 v91, 31, v91
	v_lshlrev_b32_e32 v90, 25, v33
	v_ashrrev_i32_e32 v35, 31, v35
	v_lshlrev_b32_e32 v38, 24, v33
	s_wait_alu 0xf1ff
	v_xor_b32_e32 v34, s20, v34
	v_cmp_gt_i32_e64 s20, 0, v36
	v_not_b32_e32 v36, v37
	v_xor_b32_e32 v91, s21, v91
	v_cmp_gt_i32_e64 s21, 0, v37
	v_and_b32_e32 v34, exec_lo, v34
	v_not_b32_e32 v37, v39
	v_ashrrev_i32_e32 v36, 31, v36
	s_wait_alu 0xf1ff
	v_xor_b32_e32 v35, s20, v35
	v_cmp_gt_i32_e64 s20, 0, v39
	v_and_b32_e32 v34, v34, v91
	v_not_b32_e32 v39, v40
	v_ashrrev_i32_e32 v37, 31, v37
	v_xor_b32_e32 v36, s21, v36
	v_cmp_gt_i32_e64 s21, 0, v40
	v_and_b32_e32 v34, v34, v35
	v_not_b32_e32 v35, v90
	v_ashrrev_i32_e32 v39, 31, v39
	s_wait_alu 0xf1ff
	v_xor_b32_e32 v37, s20, v37
	v_cmp_gt_i32_e64 s20, 0, v90
	v_and_b32_e32 v34, v34, v36
	v_not_b32_e32 v36, v38
	v_ashrrev_i32_e32 v35, 31, v35
	v_xor_b32_e32 v39, s21, v39
	v_cmp_gt_i32_e64 s21, 0, v38
	v_and_b32_e32 v34, v34, v37
	v_ashrrev_i32_e32 v36, 31, v36
	s_wait_alu 0xf1ff
	v_xor_b32_e32 v35, s20, v35
	v_lshl_add_u32 v92, v33, 5, v0
	v_and_b32_e32 v34, v34, v39
	v_xor_b32_e32 v33, s21, v36
	ds_load_b32 v90, v92 offset:32
	v_and_b32_e32 v34, v34, v35
	; wave barrier
	s_delay_alu instid0(VALU_DEP_1) | instskip(NEXT) | instid1(VALU_DEP_1)
	v_and_b32_e32 v33, v34, v33
	v_mbcnt_lo_u32_b32 v91, v33, 0
	v_cmp_ne_u32_e64 s21, 0, v33
	s_delay_alu instid0(VALU_DEP_2)
	v_cmp_eq_u32_e64 s20, 0, v91
	s_and_b32 s21, s21, s20
	s_wait_alu 0xfffe
	s_and_saveexec_b32 s20, s21
	s_cbranch_execz .LBB251_62
; %bb.61:
	s_wait_dscnt 0x0
	v_bcnt_u32_b32 v33, v33, v90
	ds_store_b32 v92, v33 offset:32
.LBB251_62:
	s_wait_alu 0xfffe
	s_or_b32 exec_lo, exec_lo, s20
	v_lshrrev_b16 v33, 8, v77
	v_cmp_ne_u16_e64 s20, 0x7fff, v77
	; wave barrier
	s_wait_alu 0xf1ff
	s_delay_alu instid0(VALU_DEP_1) | instskip(NEXT) | instid1(VALU_DEP_1)
	v_cndmask_b32_e64 v33, 0x80, v33, s20
	v_and_b32_e32 v33, s23, v33
	s_delay_alu instid0(VALU_DEP_1)
	v_and_b32_e32 v34, 1, v33
	v_lshlrev_b32_e32 v35, 30, v33
	v_lshlrev_b32_e32 v36, 29, v33
	;; [unrolled: 1-line block ×4, first 2 shown]
	v_add_co_u32 v34, s20, v34, -1
	s_wait_alu 0xf1ff
	v_cndmask_b32_e64 v38, 0, 1, s20
	v_not_b32_e32 v94, v35
	v_cmp_gt_i32_e64 s21, 0, v35
	v_not_b32_e32 v35, v36
	v_lshlrev_b32_e32 v40, 26, v33
	v_cmp_ne_u32_e64 s20, 0, v38
	v_ashrrev_i32_e32 v94, 31, v94
	v_lshlrev_b32_e32 v93, 25, v33
	v_ashrrev_i32_e32 v35, 31, v35
	v_lshlrev_b32_e32 v38, 24, v33
	s_wait_alu 0xf1ff
	v_xor_b32_e32 v34, s20, v34
	v_cmp_gt_i32_e64 s20, 0, v36
	v_not_b32_e32 v36, v37
	v_xor_b32_e32 v94, s21, v94
	v_cmp_gt_i32_e64 s21, 0, v37
	v_and_b32_e32 v34, exec_lo, v34
	v_not_b32_e32 v37, v39
	v_ashrrev_i32_e32 v36, 31, v36
	s_wait_alu 0xf1ff
	v_xor_b32_e32 v35, s20, v35
	v_cmp_gt_i32_e64 s20, 0, v39
	v_and_b32_e32 v34, v34, v94
	v_not_b32_e32 v39, v40
	v_ashrrev_i32_e32 v37, 31, v37
	v_xor_b32_e32 v36, s21, v36
	v_cmp_gt_i32_e64 s21, 0, v40
	v_and_b32_e32 v34, v34, v35
	v_not_b32_e32 v35, v93
	v_ashrrev_i32_e32 v39, 31, v39
	s_wait_alu 0xf1ff
	v_xor_b32_e32 v37, s20, v37
	v_cmp_gt_i32_e64 s20, 0, v93
	v_and_b32_e32 v34, v34, v36
	v_not_b32_e32 v36, v38
	v_ashrrev_i32_e32 v35, 31, v35
	v_xor_b32_e32 v39, s21, v39
	v_cmp_gt_i32_e64 s21, 0, v38
	v_and_b32_e32 v34, v34, v37
	v_ashrrev_i32_e32 v36, 31, v36
	s_wait_alu 0xf1ff
	v_xor_b32_e32 v35, s20, v35
	v_lshl_add_u32 v95, v33, 5, v0
	v_and_b32_e32 v34, v34, v39
	v_xor_b32_e32 v33, s21, v36
	ds_load_b32 v93, v95 offset:32
	v_and_b32_e32 v34, v34, v35
	; wave barrier
	s_delay_alu instid0(VALU_DEP_1) | instskip(NEXT) | instid1(VALU_DEP_1)
	v_and_b32_e32 v33, v34, v33
	v_mbcnt_lo_u32_b32 v94, v33, 0
	v_cmp_ne_u32_e64 s21, 0, v33
	s_delay_alu instid0(VALU_DEP_2)
	v_cmp_eq_u32_e64 s20, 0, v94
	s_and_b32 s21, s21, s20
	s_wait_alu 0xfffe
	s_and_saveexec_b32 s20, s21
	s_cbranch_execz .LBB251_64
; %bb.63:
	s_wait_dscnt 0x0
	v_bcnt_u32_b32 v33, v33, v93
	ds_store_b32 v95, v33 offset:32
.LBB251_64:
	s_wait_alu 0xfffe
	s_or_b32 exec_lo, exec_lo, s20
	v_lshrrev_b16 v33, 8, v78
	v_cmp_ne_u16_e64 s20, 0x7fff, v78
	; wave barrier
	s_wait_alu 0xf1ff
	s_delay_alu instid0(VALU_DEP_1) | instskip(NEXT) | instid1(VALU_DEP_1)
	v_cndmask_b32_e64 v33, 0x80, v33, s20
	v_and_b32_e32 v33, s23, v33
	s_delay_alu instid0(VALU_DEP_1)
	v_and_b32_e32 v34, 1, v33
	v_lshlrev_b32_e32 v35, 30, v33
	v_lshlrev_b32_e32 v36, 29, v33
	v_lshlrev_b32_e32 v37, 28, v33
	v_lshlrev_b32_e32 v39, 27, v33
	v_add_co_u32 v34, s20, v34, -1
	s_wait_alu 0xf1ff
	v_cndmask_b32_e64 v38, 0, 1, s20
	v_not_b32_e32 v97, v35
	v_cmp_gt_i32_e64 s21, 0, v35
	v_not_b32_e32 v35, v36
	v_lshlrev_b32_e32 v40, 26, v33
	v_cmp_ne_u32_e64 s20, 0, v38
	v_ashrrev_i32_e32 v97, 31, v97
	v_lshlrev_b32_e32 v96, 25, v33
	v_ashrrev_i32_e32 v35, 31, v35
	v_lshlrev_b32_e32 v38, 24, v33
	s_wait_alu 0xf1ff
	v_xor_b32_e32 v34, s20, v34
	v_cmp_gt_i32_e64 s20, 0, v36
	v_not_b32_e32 v36, v37
	v_xor_b32_e32 v97, s21, v97
	v_cmp_gt_i32_e64 s21, 0, v37
	v_and_b32_e32 v34, exec_lo, v34
	v_not_b32_e32 v37, v39
	v_ashrrev_i32_e32 v36, 31, v36
	s_wait_alu 0xf1ff
	v_xor_b32_e32 v35, s20, v35
	v_cmp_gt_i32_e64 s20, 0, v39
	v_and_b32_e32 v34, v34, v97
	v_not_b32_e32 v39, v40
	v_ashrrev_i32_e32 v37, 31, v37
	v_xor_b32_e32 v36, s21, v36
	v_cmp_gt_i32_e64 s21, 0, v40
	v_and_b32_e32 v34, v34, v35
	v_not_b32_e32 v35, v96
	v_ashrrev_i32_e32 v39, 31, v39
	s_wait_alu 0xf1ff
	v_xor_b32_e32 v37, s20, v37
	v_cmp_gt_i32_e64 s20, 0, v96
	v_and_b32_e32 v34, v34, v36
	v_not_b32_e32 v36, v38
	v_ashrrev_i32_e32 v35, 31, v35
	v_xor_b32_e32 v39, s21, v39
	v_cmp_gt_i32_e64 s21, 0, v38
	v_and_b32_e32 v34, v34, v37
	v_ashrrev_i32_e32 v36, 31, v36
	s_wait_alu 0xf1ff
	v_xor_b32_e32 v35, s20, v35
	v_lshl_add_u32 v98, v33, 5, v0
	v_and_b32_e32 v34, v34, v39
	v_xor_b32_e32 v33, s21, v36
	ds_load_b32 v96, v98 offset:32
	v_and_b32_e32 v34, v34, v35
	; wave barrier
	s_delay_alu instid0(VALU_DEP_1) | instskip(NEXT) | instid1(VALU_DEP_1)
	v_and_b32_e32 v33, v34, v33
	v_mbcnt_lo_u32_b32 v97, v33, 0
	v_cmp_ne_u32_e64 s21, 0, v33
	s_delay_alu instid0(VALU_DEP_2)
	v_cmp_eq_u32_e64 s20, 0, v97
	s_and_b32 s21, s21, s20
	s_wait_alu 0xfffe
	s_and_saveexec_b32 s20, s21
	s_cbranch_execz .LBB251_66
; %bb.65:
	s_wait_dscnt 0x0
	v_bcnt_u32_b32 v33, v33, v96
	ds_store_b32 v98, v33 offset:32
.LBB251_66:
	s_wait_alu 0xfffe
	s_or_b32 exec_lo, exec_lo, s20
	v_lshrrev_b16 v33, 8, v79
	v_cmp_ne_u16_e64 s20, 0x7fff, v79
	; wave barrier
	s_wait_alu 0xf1ff
	s_delay_alu instid0(VALU_DEP_1) | instskip(NEXT) | instid1(VALU_DEP_1)
	v_cndmask_b32_e64 v33, 0x80, v33, s20
	v_and_b32_e32 v33, s23, v33
	s_delay_alu instid0(VALU_DEP_1)
	v_and_b32_e32 v34, 1, v33
	v_lshlrev_b32_e32 v35, 30, v33
	v_lshlrev_b32_e32 v36, 29, v33
	;; [unrolled: 1-line block ×4, first 2 shown]
	v_add_co_u32 v34, s20, v34, -1
	s_wait_alu 0xf1ff
	v_cndmask_b32_e64 v38, 0, 1, s20
	v_not_b32_e32 v100, v35
	v_cmp_gt_i32_e64 s21, 0, v35
	v_not_b32_e32 v35, v36
	v_lshlrev_b32_e32 v40, 26, v33
	v_cmp_ne_u32_e64 s20, 0, v38
	v_ashrrev_i32_e32 v100, 31, v100
	v_lshlrev_b32_e32 v99, 25, v33
	v_ashrrev_i32_e32 v35, 31, v35
	v_lshlrev_b32_e32 v38, 24, v33
	s_wait_alu 0xf1ff
	v_xor_b32_e32 v34, s20, v34
	v_cmp_gt_i32_e64 s20, 0, v36
	v_not_b32_e32 v36, v37
	v_xor_b32_e32 v100, s21, v100
	v_cmp_gt_i32_e64 s21, 0, v37
	v_and_b32_e32 v34, exec_lo, v34
	v_not_b32_e32 v37, v39
	v_ashrrev_i32_e32 v36, 31, v36
	s_wait_alu 0xf1ff
	v_xor_b32_e32 v35, s20, v35
	v_cmp_gt_i32_e64 s20, 0, v39
	v_and_b32_e32 v34, v34, v100
	v_not_b32_e32 v39, v40
	v_ashrrev_i32_e32 v37, 31, v37
	v_xor_b32_e32 v36, s21, v36
	v_cmp_gt_i32_e64 s21, 0, v40
	v_and_b32_e32 v34, v34, v35
	v_not_b32_e32 v35, v99
	v_ashrrev_i32_e32 v39, 31, v39
	s_wait_alu 0xf1ff
	v_xor_b32_e32 v37, s20, v37
	v_cmp_gt_i32_e64 s20, 0, v99
	v_and_b32_e32 v34, v34, v36
	v_not_b32_e32 v36, v38
	v_ashrrev_i32_e32 v35, 31, v35
	v_xor_b32_e32 v39, s21, v39
	v_cmp_gt_i32_e64 s21, 0, v38
	v_and_b32_e32 v34, v34, v37
	v_ashrrev_i32_e32 v36, 31, v36
	s_wait_alu 0xf1ff
	v_xor_b32_e32 v35, s20, v35
	v_lshl_add_u32 v101, v33, 5, v0
	v_and_b32_e32 v34, v34, v39
	v_xor_b32_e32 v33, s21, v36
	ds_load_b32 v99, v101 offset:32
	v_and_b32_e32 v34, v34, v35
	; wave barrier
	s_delay_alu instid0(VALU_DEP_1) | instskip(NEXT) | instid1(VALU_DEP_1)
	v_and_b32_e32 v33, v34, v33
	v_mbcnt_lo_u32_b32 v100, v33, 0
	v_cmp_ne_u32_e64 s21, 0, v33
	s_delay_alu instid0(VALU_DEP_2)
	v_cmp_eq_u32_e64 s20, 0, v100
	s_and_b32 s21, s21, s20
	s_wait_alu 0xfffe
	s_and_saveexec_b32 s20, s21
	s_cbranch_execz .LBB251_68
; %bb.67:
	s_wait_dscnt 0x0
	v_bcnt_u32_b32 v33, v33, v99
	ds_store_b32 v101, v33 offset:32
.LBB251_68:
	s_wait_alu 0xfffe
	s_or_b32 exec_lo, exec_lo, s20
	v_lshrrev_b16 v33, 8, v80
	v_cmp_ne_u16_e64 s20, 0x7fff, v80
	; wave barrier
	s_wait_alu 0xf1ff
	s_delay_alu instid0(VALU_DEP_1) | instskip(NEXT) | instid1(VALU_DEP_1)
	v_cndmask_b32_e64 v33, 0x80, v33, s20
	v_and_b32_e32 v33, s23, v33
	s_delay_alu instid0(VALU_DEP_1)
	v_and_b32_e32 v34, 1, v33
	v_lshlrev_b32_e32 v35, 30, v33
	v_lshlrev_b32_e32 v36, 29, v33
	;; [unrolled: 1-line block ×4, first 2 shown]
	v_add_co_u32 v34, s20, v34, -1
	s_wait_alu 0xf1ff
	v_cndmask_b32_e64 v38, 0, 1, s20
	v_not_b32_e32 v103, v35
	v_cmp_gt_i32_e64 s21, 0, v35
	v_not_b32_e32 v35, v36
	v_lshlrev_b32_e32 v40, 26, v33
	v_cmp_ne_u32_e64 s20, 0, v38
	v_ashrrev_i32_e32 v103, 31, v103
	v_lshlrev_b32_e32 v102, 25, v33
	v_ashrrev_i32_e32 v35, 31, v35
	v_lshlrev_b32_e32 v38, 24, v33
	s_wait_alu 0xf1ff
	v_xor_b32_e32 v34, s20, v34
	v_cmp_gt_i32_e64 s20, 0, v36
	v_not_b32_e32 v36, v37
	v_xor_b32_e32 v103, s21, v103
	v_cmp_gt_i32_e64 s21, 0, v37
	v_and_b32_e32 v34, exec_lo, v34
	v_not_b32_e32 v37, v39
	v_ashrrev_i32_e32 v36, 31, v36
	s_wait_alu 0xf1ff
	v_xor_b32_e32 v35, s20, v35
	v_cmp_gt_i32_e64 s20, 0, v39
	v_and_b32_e32 v34, v34, v103
	v_not_b32_e32 v39, v40
	v_ashrrev_i32_e32 v37, 31, v37
	v_xor_b32_e32 v36, s21, v36
	v_cmp_gt_i32_e64 s21, 0, v40
	v_and_b32_e32 v34, v34, v35
	v_not_b32_e32 v35, v102
	v_ashrrev_i32_e32 v39, 31, v39
	s_wait_alu 0xf1ff
	v_xor_b32_e32 v37, s20, v37
	v_cmp_gt_i32_e64 s20, 0, v102
	v_and_b32_e32 v34, v34, v36
	v_not_b32_e32 v36, v38
	v_ashrrev_i32_e32 v35, 31, v35
	v_xor_b32_e32 v39, s21, v39
	v_cmp_gt_i32_e64 s21, 0, v38
	v_and_b32_e32 v34, v34, v37
	v_ashrrev_i32_e32 v36, 31, v36
	s_wait_alu 0xf1ff
	v_xor_b32_e32 v35, s20, v35
	v_lshl_add_u32 v104, v33, 5, v0
	v_and_b32_e32 v34, v34, v39
	v_xor_b32_e32 v33, s21, v36
	ds_load_b32 v102, v104 offset:32
	v_and_b32_e32 v34, v34, v35
	; wave barrier
	s_delay_alu instid0(VALU_DEP_1) | instskip(NEXT) | instid1(VALU_DEP_1)
	v_and_b32_e32 v33, v34, v33
	v_mbcnt_lo_u32_b32 v103, v33, 0
	v_cmp_ne_u32_e64 s21, 0, v33
	s_delay_alu instid0(VALU_DEP_2)
	v_cmp_eq_u32_e64 s20, 0, v103
	s_and_b32 s21, s21, s20
	s_wait_alu 0xfffe
	s_and_saveexec_b32 s20, s21
	s_cbranch_execz .LBB251_70
; %bb.69:
	s_wait_dscnt 0x0
	v_bcnt_u32_b32 v33, v33, v102
	ds_store_b32 v104, v33 offset:32
.LBB251_70:
	s_wait_alu 0xfffe
	s_or_b32 exec_lo, exec_lo, s20
	v_lshrrev_b16 v33, 8, v73
	v_cmp_ne_u16_e64 s20, 0x7fff, v73
	; wave barrier
	s_wait_alu 0xf1ff
	s_delay_alu instid0(VALU_DEP_1) | instskip(NEXT) | instid1(VALU_DEP_1)
	v_cndmask_b32_e64 v33, 0x80, v33, s20
	v_and_b32_e32 v33, s23, v33
	s_delay_alu instid0(VALU_DEP_1)
	v_and_b32_e32 v34, 1, v33
	v_lshlrev_b32_e32 v35, 30, v33
	v_lshlrev_b32_e32 v36, 29, v33
	;; [unrolled: 1-line block ×4, first 2 shown]
	v_add_co_u32 v34, s20, v34, -1
	s_wait_alu 0xf1ff
	v_cndmask_b32_e64 v38, 0, 1, s20
	v_not_b32_e32 v106, v35
	v_cmp_gt_i32_e64 s21, 0, v35
	v_not_b32_e32 v35, v36
	v_lshlrev_b32_e32 v40, 26, v33
	v_cmp_ne_u32_e64 s20, 0, v38
	v_ashrrev_i32_e32 v106, 31, v106
	v_lshlrev_b32_e32 v105, 25, v33
	v_ashrrev_i32_e32 v35, 31, v35
	v_lshlrev_b32_e32 v38, 24, v33
	s_wait_alu 0xf1ff
	v_xor_b32_e32 v34, s20, v34
	v_cmp_gt_i32_e64 s20, 0, v36
	v_not_b32_e32 v36, v37
	v_xor_b32_e32 v106, s21, v106
	v_cmp_gt_i32_e64 s21, 0, v37
	v_and_b32_e32 v34, exec_lo, v34
	v_not_b32_e32 v37, v39
	v_ashrrev_i32_e32 v36, 31, v36
	s_wait_alu 0xf1ff
	v_xor_b32_e32 v35, s20, v35
	v_cmp_gt_i32_e64 s20, 0, v39
	v_and_b32_e32 v34, v34, v106
	v_not_b32_e32 v39, v40
	v_ashrrev_i32_e32 v37, 31, v37
	v_xor_b32_e32 v36, s21, v36
	v_cmp_gt_i32_e64 s21, 0, v40
	v_and_b32_e32 v34, v34, v35
	v_not_b32_e32 v35, v105
	v_ashrrev_i32_e32 v39, 31, v39
	s_wait_alu 0xf1ff
	v_xor_b32_e32 v37, s20, v37
	v_cmp_gt_i32_e64 s20, 0, v105
	v_and_b32_e32 v34, v34, v36
	v_not_b32_e32 v36, v38
	v_ashrrev_i32_e32 v35, 31, v35
	v_xor_b32_e32 v39, s21, v39
	v_cmp_gt_i32_e64 s21, 0, v38
	v_and_b32_e32 v34, v34, v37
	v_ashrrev_i32_e32 v36, 31, v36
	s_wait_alu 0xf1ff
	v_xor_b32_e32 v35, s20, v35
	v_lshl_add_u32 v106, v33, 5, v0
	v_and_b32_e32 v34, v34, v39
	v_xor_b32_e32 v33, s21, v36
	ds_load_b32 v0, v106 offset:32
	v_and_b32_e32 v34, v34, v35
	; wave barrier
	s_delay_alu instid0(VALU_DEP_1) | instskip(NEXT) | instid1(VALU_DEP_1)
	v_and_b32_e32 v33, v34, v33
	v_mbcnt_lo_u32_b32 v105, v33, 0
	v_cmp_ne_u32_e64 s21, 0, v33
	s_delay_alu instid0(VALU_DEP_2)
	v_cmp_eq_u32_e64 s20, 0, v105
	s_and_b32 s21, s21, s20
	s_wait_alu 0xfffe
	s_and_saveexec_b32 s20, s21
	s_cbranch_execz .LBB251_72
; %bb.71:
	s_wait_dscnt 0x0
	v_bcnt_u32_b32 v33, v33, v0
	ds_store_b32 v106, v33 offset:32
.LBB251_72:
	s_wait_alu 0xfffe
	s_or_b32 exec_lo, exec_lo, s20
	; wave barrier
	s_wait_loadcnt_dscnt 0x0
	s_barrier_signal -1
	s_barrier_wait -1
	global_inv scope:SCOPE_SE
	ds_load_b128 v[37:40], v67 offset:32
	ds_load_b128 v[33:36], v67 offset:48
	s_wait_dscnt 0x1
	v_add_nc_u32_e32 v107, v38, v37
	s_delay_alu instid0(VALU_DEP_1) | instskip(SKIP_1) | instid1(VALU_DEP_1)
	v_add3_u32 v107, v107, v39, v40
	s_wait_dscnt 0x0
	v_add3_u32 v107, v107, v33, v34
	s_delay_alu instid0(VALU_DEP_1) | instskip(NEXT) | instid1(VALU_DEP_1)
	v_add3_u32 v36, v107, v35, v36
	v_mov_b32_dpp v107, v36 row_shr:1 row_mask:0xf bank_mask:0xf
	s_delay_alu instid0(VALU_DEP_1) | instskip(NEXT) | instid1(VALU_DEP_1)
	v_cndmask_b32_e64 v107, v107, 0, s9
	v_add_nc_u32_e32 v36, v107, v36
	s_delay_alu instid0(VALU_DEP_1) | instskip(NEXT) | instid1(VALU_DEP_1)
	v_mov_b32_dpp v107, v36 row_shr:2 row_mask:0xf bank_mask:0xf
	v_cndmask_b32_e64 v107, 0, v107, s11
	s_delay_alu instid0(VALU_DEP_1) | instskip(NEXT) | instid1(VALU_DEP_1)
	v_add_nc_u32_e32 v36, v36, v107
	v_mov_b32_dpp v107, v36 row_shr:4 row_mask:0xf bank_mask:0xf
	s_delay_alu instid0(VALU_DEP_1) | instskip(NEXT) | instid1(VALU_DEP_1)
	v_cndmask_b32_e64 v107, 0, v107, s12
	v_add_nc_u32_e32 v36, v36, v107
	s_delay_alu instid0(VALU_DEP_1) | instskip(NEXT) | instid1(VALU_DEP_1)
	v_mov_b32_dpp v107, v36 row_shr:8 row_mask:0xf bank_mask:0xf
	v_cndmask_b32_e64 v107, 0, v107, s14
	s_delay_alu instid0(VALU_DEP_1) | instskip(SKIP_3) | instid1(VALU_DEP_1)
	v_add_nc_u32_e32 v36, v36, v107
	ds_swizzle_b32 v107, v36 offset:swizzle(BROADCAST,32,15)
	s_wait_dscnt 0x0
	v_cndmask_b32_e64 v107, v107, 0, s17
	v_add_nc_u32_e32 v36, v36, v107
	s_and_saveexec_b32 s9, s15
; %bb.73:
	ds_store_b32 v83, v36
; %bb.74:
	s_wait_alu 0xfffe
	s_or_b32 exec_lo, exec_lo, s9
	s_wait_loadcnt_dscnt 0x0
	s_barrier_signal -1
	s_barrier_wait -1
	global_inv scope:SCOPE_SE
	s_and_saveexec_b32 s9, s16
	s_cbranch_execz .LBB251_76
; %bb.75:
	ds_load_b32 v83, v82
	s_wait_dscnt 0x0
	v_mov_b32_dpp v107, v83 row_shr:1 row_mask:0xf bank_mask:0xf
	s_delay_alu instid0(VALU_DEP_1) | instskip(NEXT) | instid1(VALU_DEP_1)
	v_cndmask_b32_e64 v107, v107, 0, s13
	v_add_nc_u32_e32 v83, v107, v83
	s_delay_alu instid0(VALU_DEP_1) | instskip(NEXT) | instid1(VALU_DEP_1)
	v_mov_b32_dpp v107, v83 row_shr:2 row_mask:0xf bank_mask:0xf
	v_cndmask_b32_e64 v107, 0, v107, s10
	s_delay_alu instid0(VALU_DEP_1) | instskip(NEXT) | instid1(VALU_DEP_1)
	v_add_nc_u32_e32 v83, v83, v107
	v_mov_b32_dpp v107, v83 row_shr:4 row_mask:0xf bank_mask:0xf
	s_wait_alu 0xfffd
	s_delay_alu instid0(VALU_DEP_1) | instskip(NEXT) | instid1(VALU_DEP_1)
	v_cndmask_b32_e32 v107, 0, v107, vcc_lo
	v_add_nc_u32_e32 v83, v83, v107
	ds_store_b32 v82, v83
.LBB251_76:
	s_wait_alu 0xfffe
	s_or_b32 exec_lo, exec_lo, s9
	v_mov_b32_e32 v82, 0
	s_wait_loadcnt_dscnt 0x0
	s_barrier_signal -1
	s_barrier_wait -1
	global_inv scope:SCOPE_SE
	s_and_saveexec_b32 s9, s18
; %bb.77:
	ds_load_b32 v82, v84
; %bb.78:
	s_wait_alu 0xfffe
	s_or_b32 exec_lo, exec_lo, s9
	s_wait_dscnt 0x0
	v_add_nc_u32_e32 v36, v82, v36
	ds_bpermute_b32 v36, v85, v36
	s_wait_dscnt 0x0
	v_cndmask_b32_e64 v36, v36, v82, s1
	s_delay_alu instid0(VALU_DEP_1) | instskip(NEXT) | instid1(VALU_DEP_1)
	v_cndmask_b32_e64 v36, v36, 0, s19
	v_add_nc_u32_e32 v37, v36, v37
	s_delay_alu instid0(VALU_DEP_1) | instskip(NEXT) | instid1(VALU_DEP_1)
	v_add_nc_u32_e32 v38, v37, v38
	v_add_nc_u32_e32 v39, v38, v39
	s_delay_alu instid0(VALU_DEP_1) | instskip(NEXT) | instid1(VALU_DEP_1)
	v_add_nc_u32_e32 v82, v39, v40
	;; [unrolled: 3-line block ×3, first 2 shown]
	v_add_nc_u32_e32 v85, v84, v35
	ds_store_b128 v67, v[36:39] offset:32
	ds_store_b128 v67, v[82:85] offset:48
	s_wait_loadcnt_dscnt 0x0
	s_barrier_signal -1
	s_barrier_wait -1
	global_inv scope:SCOPE_SE
	ds_load_b32 v33, v106 offset:32
	ds_load_b32 v34, v104 offset:32
	;; [unrolled: 1-line block ×8, first 2 shown]
	v_lshlrev_b32_e32 v82, 1, v66
	s_wait_loadcnt_dscnt 0x0
	s_barrier_signal -1
	s_barrier_wait -1
	global_inv scope:SCOPE_SE
	v_mad_u32_u24 v83, v46, 48, v82
	v_add3_u32 v84, v105, v0, v33
	v_add3_u32 v85, v103, v102, v34
	;; [unrolled: 1-line block ×3, first 2 shown]
	v_add_nc_u32_e32 v81, v36, v81
	v_add3_u32 v87, v88, v87, v37
	v_add3_u32 v88, v91, v90, v38
	;; [unrolled: 1-line block ×4, first 2 shown]
	v_lshlrev_b32_e32 v0, 1, v81
	v_lshlrev_b32_e32 v33, 1, v87
	;; [unrolled: 1-line block ×8, first 2 shown]
	ds_store_b16 v0, v74
	ds_store_b16 v33, v75
	;; [unrolled: 1-line block ×8, first 2 shown]
	v_mad_co_u64_u32 v[73:74], null, v81, 6, v[0:1]
	v_mad_co_u64_u32 v[74:75], null, v87, 6, v[33:34]
	;; [unrolled: 1-line block ×4, first 2 shown]
	s_wait_loadcnt_dscnt 0x0
	s_barrier_signal -1
	s_barrier_wait -1
	global_inv scope:SCOPE_SE
	v_mad_co_u64_u32 v[77:78], null, v40, 6, v[36:37]
	ds_load_b128 v[33:36], v82
	v_mad_co_u64_u32 v[78:79], null, v86, 6, v[37:38]
	v_mad_co_u64_u32 v[37:38], null, v85, 6, v[38:39]
	;; [unrolled: 1-line block ×3, first 2 shown]
	s_wait_loadcnt_dscnt 0x0
	s_barrier_signal -1
	s_barrier_wait -1
	global_inv scope:SCOPE_SE
	ds_store_b64 v73, v[21:22]
	ds_store_b64 v74, v[23:24]
	;; [unrolled: 1-line block ×8, first 2 shown]
	s_wait_loadcnt_dscnt 0x0
	s_barrier_signal -1
	s_barrier_wait -1
	global_inv scope:SCOPE_SE
	ds_load_b128 v[29:32], v83
	ds_load_b128 v[25:28], v83 offset:16
	ds_load_b128 v[21:24], v83 offset:32
	;; [unrolled: 1-line block ×3, first 2 shown]
	v_cmp_lt_i16_e32 vcc_lo, -1, v33
	v_lshrrev_b32_e32 v0, 16, v33
	v_lshrrev_b32_e32 v38, 16, v34
	;; [unrolled: 1-line block ×4, first 2 shown]
	s_wait_alu 0xfffd
	v_cndmask_b32_e64 v37, 0xffff8000, -1, vcc_lo
	v_cmp_lt_i16_e32 vcc_lo, -1, v34
	s_wait_alu 0xfffd
	v_cndmask_b32_e64 v39, 0xffff8000, -1, vcc_lo
	v_cmp_lt_i16_e32 vcc_lo, -1, v35
	;; [unrolled: 3-line block ×5, first 2 shown]
	s_delay_alu instid0(VALU_DEP_2) | instskip(SKIP_3) | instid1(VALU_DEP_3)
	v_perm_b32 v0, v0, v37, 0x5040100
	s_wait_alu 0xfffd
	v_cndmask_b32_e64 v38, 0xffff8000, -1, vcc_lo
	v_cmp_lt_i16_e32 vcc_lo, -1, v40
	v_xor_b32_e32 v0, v0, v33
	s_delay_alu instid0(VALU_DEP_3) | instskip(SKIP_3) | instid1(VALU_DEP_3)
	v_perm_b32 v37, v38, v39, 0x5040100
	s_wait_alu 0xfffd
	v_cndmask_b32_e64 v40, 0xffff8000, -1, vcc_lo
	v_cmp_lt_i16_e32 vcc_lo, -1, v74
	v_xor_b32_e32 v34, v37, v34
	s_delay_alu instid0(VALU_DEP_3) | instskip(SKIP_2) | instid1(VALU_DEP_2)
	v_perm_b32 v38, v40, v73, 0x5040100
	s_wait_alu 0xfffd
	v_cndmask_b32_e64 v74, 0xffff8000, -1, vcc_lo
	v_xor_b32_e32 v33, v38, v35
	s_delay_alu instid0(VALU_DEP_2) | instskip(NEXT) | instid1(VALU_DEP_1)
	v_perm_b32 v39, v74, v75, 0x5040100
	v_xor_b32_e32 v35, v39, v36
	s_branch .LBB251_131
.LBB251_79:
	v_lshlrev_b64_e32 v[1:2], 3, v[41:42]
	v_dual_mov_b32 v43, v42 :: v_dual_mov_b32 v10, v42
	v_dual_mov_b32 v9, v42 :: v_dual_mov_b32 v12, v42
	v_mov_b32_e32 v11, v42
	s_delay_alu instid0(VALU_DEP_4)
	v_add_co_u32 v1, vcc_lo, s34, v1
	s_wait_alu 0xfffd
	v_add_co_ci_u32_e64 v2, null, s35, v2, vcc_lo
	v_dual_mov_b32 v3, v42 :: v_dual_mov_b32 v6, v42
	v_dual_mov_b32 v5, v42 :: v_dual_mov_b32 v8, v42
	global_load_b64 v[13:14], v[1:2], off
	v_dual_mov_b32 v1, v42 :: v_dual_mov_b32 v4, v42
	v_dual_mov_b32 v2, v42 :: v_dual_mov_b32 v7, v42
	s_or_b32 exec_lo, exec_lo, s1
	s_and_saveexec_b32 s1, s3
	s_cbranch_execz .LBB251_25
.LBB251_80:
	v_mul_lo_u32 v22, s28, v15
	v_mov_b32_e32 v23, 0
	s_delay_alu instid0(VALU_DEP_1) | instskip(NEXT) | instid1(VALU_DEP_1)
	v_lshlrev_b64_e32 v[22:23], 3, v[22:23]
	v_add_co_u32 v22, vcc_lo, s34, v22
	s_wait_alu 0xfffd
	s_delay_alu instid0(VALU_DEP_2)
	v_add_co_ci_u32_e64 v23, null, s35, v23, vcc_lo
	global_load_b64 v[42:43], v[22:23], off
	s_or_b32 exec_lo, exec_lo, s1
	s_and_saveexec_b32 s1, s4
	s_cbranch_execz .LBB251_26
.LBB251_81:
	v_mul_lo_u32 v9, s28, v16
	v_mov_b32_e32 v10, 0
	s_delay_alu instid0(VALU_DEP_1) | instskip(NEXT) | instid1(VALU_DEP_1)
	v_lshlrev_b64_e32 v[9:10], 3, v[9:10]
	v_add_co_u32 v9, vcc_lo, s34, v9
	s_wait_alu 0xfffd
	s_delay_alu instid0(VALU_DEP_2)
	v_add_co_ci_u32_e64 v10, null, s35, v10, vcc_lo
	global_load_b64 v[9:10], v[9:10], off
	s_or_b32 exec_lo, exec_lo, s1
	s_and_saveexec_b32 s1, s5
	s_cbranch_execz .LBB251_27
.LBB251_82:
	v_mul_lo_u32 v11, s28, v17
	v_mov_b32_e32 v12, 0
	s_delay_alu instid0(VALU_DEP_1) | instskip(NEXT) | instid1(VALU_DEP_1)
	v_lshlrev_b64_e32 v[11:12], 3, v[11:12]
	v_add_co_u32 v11, vcc_lo, s34, v11
	s_wait_alu 0xfffd
	s_delay_alu instid0(VALU_DEP_2)
	v_add_co_ci_u32_e64 v12, null, s35, v12, vcc_lo
	global_load_b64 v[11:12], v[11:12], off
	s_or_b32 exec_lo, exec_lo, s1
	s_and_saveexec_b32 s1, s6
	s_cbranch_execz .LBB251_28
.LBB251_83:
	v_mul_lo_u32 v1, s28, v18
	v_mov_b32_e32 v2, 0
	s_delay_alu instid0(VALU_DEP_1) | instskip(NEXT) | instid1(VALU_DEP_1)
	v_lshlrev_b64_e32 v[1:2], 3, v[1:2]
	v_add_co_u32 v1, vcc_lo, s34, v1
	s_wait_alu 0xfffd
	s_delay_alu instid0(VALU_DEP_2)
	v_add_co_ci_u32_e64 v2, null, s35, v2, vcc_lo
	global_load_b64 v[1:2], v[1:2], off
	s_or_b32 exec_lo, exec_lo, s1
	s_and_saveexec_b32 s1, s7
	s_cbranch_execz .LBB251_29
.LBB251_84:
	v_mul_lo_u32 v3, s28, v19
	v_mov_b32_e32 v4, 0
	s_delay_alu instid0(VALU_DEP_1) | instskip(NEXT) | instid1(VALU_DEP_1)
	v_lshlrev_b64_e32 v[3:4], 3, v[3:4]
	v_add_co_u32 v3, vcc_lo, s34, v3
	s_wait_alu 0xfffd
	s_delay_alu instid0(VALU_DEP_2)
	v_add_co_ci_u32_e64 v4, null, s35, v4, vcc_lo
	global_load_b64 v[3:4], v[3:4], off
	s_or_b32 exec_lo, exec_lo, s1
	s_and_saveexec_b32 s1, s8
	s_cbranch_execnz .LBB251_30
	s_branch .LBB251_31
.LBB251_85:
                                        ; implicit-def: $vgpr19_vgpr20
                                        ; implicit-def: $vgpr23_vgpr24
                                        ; implicit-def: $vgpr27_vgpr28
                                        ; implicit-def: $vgpr31_vgpr32
                                        ; implicit-def: $vgpr35
                                        ; implicit-def: $vgpr33
                                        ; implicit-def: $vgpr34
                                        ; implicit-def: $vgpr0
	s_cbranch_execz .LBB251_131
; %bb.86:
	v_lshrrev_b32_e32 v0, 16, v49
	v_cmp_gt_i16_e32 vcc_lo, 0, v49
	s_wait_dscnt 0x0
	v_lshrrev_b32_e32 v17, 16, v50
	v_lshrrev_b32_e32 v18, 16, v47
	;; [unrolled: 1-line block ×3, first 2 shown]
	v_or_b32_e32 v21, v69, v70
	s_wait_alu 0xfffd
	v_cndmask_b32_e64 v20, 0x7fff, 0, vcc_lo
	v_cmp_gt_i16_e32 vcc_lo, 0, v0
	v_and_or_b32 v36, 0x1f00, v66, v69
	s_mov_b32 s12, 0
	s_getpc_b64 s[10:11]
	s_wait_alu 0xfffe
	s_sext_i32_i16 s11, s11
	s_add_co_u32 s10, s10, _ZN7rocprim17ROCPRIM_400000_NS16block_radix_sortI12hip_bfloat16Lj256ELj8ElLj1ELj1ELj0ELNS0_26block_radix_rank_algorithmE1ELNS0_18block_padding_hintE2ELNS0_4arch9wavefront6targetE0EE19radix_bits_per_passE@rel32@lo+12
	s_wait_alu 0xfffe
	s_add_co_ci_u32 s11, s11, _ZN7rocprim17ROCPRIM_400000_NS16block_radix_sortI12hip_bfloat16Lj256ELj8ElLj1ELj1ELj0ELNS0_26block_radix_rank_algorithmE1ELNS0_18block_padding_hintE2ELNS0_4arch9wavefront6targetE0EE19radix_bits_per_passE@rel32@hi+24
	s_mov_b32 s13, s12
	s_wait_alu 0xfffd
	v_cndmask_b32_e64 v0, 0x7fff, 0, vcc_lo
	v_cmp_gt_i16_e32 vcc_lo, 0, v50
	s_mov_b32 s14, s12
	s_mov_b32 s15, s12
	v_lshlrev_b32_e32 v25, 1, v36
	v_perm_b32 v0, v0, v20, 0x5040100
	s_wait_alu 0xfffd
	v_cndmask_b32_e64 v22, 0x7fff, 0, vcc_lo
	v_cmp_gt_i16_e32 vcc_lo, 0, v17
	s_load_b32 s20, s[10:11], 0x0
	v_cndmask_b32_e64 v17, 0x7fff, 0, vcc_lo
	v_cmp_gt_i16_e32 vcc_lo, 0, v47
	s_delay_alu instid0(VALU_DEP_2)
	v_perm_b32 v20, v17, v22, 0x5040100
	s_wait_alu 0xfffd
	v_cndmask_b32_e64 v23, 0x7fff, 0, vcc_lo
	v_cmp_gt_i16_e32 vcc_lo, 0, v18
	v_xor_b32_e32 v17, v0, v49
	s_wait_alu 0xfffd
	v_cndmask_b32_e64 v18, 0x7fff, 0, vcc_lo
	v_cmp_gt_i16_e32 vcc_lo, 0, v48
	s_wait_kmcnt 0x0
	s_min_u32 s1, s20, 16
	s_delay_alu instid0(VALU_DEP_2)
	v_perm_b32 v22, v18, v23, 0x5040100
	s_wait_alu 0xfffd
	v_cndmask_b32_e64 v24, 0x7fff, 0, vcc_lo
	v_cmp_gt_i16_e32 vcc_lo, 0, v19
	v_lshlrev_b32_e32 v23, 4, v21
	v_xor_b32_e32 v18, v20, v50
	s_lshl_b32 s1, -1, s1
	s_wait_alu 0xfffd
	v_cndmask_b32_e64 v19, 0x7fff, 0, vcc_lo
	s_not_b32 s9, s1
	s_delay_alu instid0(VALU_DEP_1) | instskip(SKIP_1) | instid1(VALU_DEP_2)
	v_perm_b32 v24, v19, v24, 0x5040100
	v_xor_b32_e32 v19, v22, v47
	v_xor_b32_e32 v20, v24, v48
	ds_store_b128 v23, v[17:20]
	; wave barrier
	ds_load_u16 v26, v25
	ds_load_u16 v27, v25 offset:64
	ds_load_u16 v28, v25 offset:128
	;; [unrolled: 1-line block ×7, first 2 shown]
	s_wait_loadcnt_dscnt 0x0
	s_barrier_signal -1
	s_barrier_wait -1
	global_inv scope:SCOPE_SE
	v_cmp_ne_u16_e32 vcc_lo, 0x8000, v26
	s_wait_alu 0xfffd
	v_cndmask_b32_e32 v0, 0x7fff, v26, vcc_lo
	v_mad_u32_u24 v17, v21, 48, v23
	ds_store_b128 v17, v[13:16]
	ds_store_b128 v17, v[9:12] offset:16
	v_and_b32_e32 v0, 0xffff, v0
	ds_store_b128 v17, v[5:8] offset:32
	ds_store_b128 v17, v[1:4] offset:48
	v_mad_u32_u24 v12, v36, 6, v25
	; wave barrier
	s_wait_alu 0xfffe
	v_and_b32_e32 v23, s9, v0
	ds_load_2addr_b64 v[8:11], v12 offset1:32
	ds_load_2addr_b64 v[0:3], v12 offset0:64 offset1:96
	v_and_b32_e32 v4, 1, v23
	v_lshlrev_b32_e32 v18, 30, v23
	v_lshlrev_b32_e32 v19, 29, v23
	;; [unrolled: 1-line block ×3, first 2 shown]
	s_delay_alu instid0(VALU_DEP_4) | instskip(NEXT) | instid1(VALU_DEP_1)
	v_add_co_u32 v16, s1, v4, -1
	v_cndmask_b32_e64 v17, 0, 1, s1
	ds_load_2addr_b64 v[4:7], v12 offset0:128 offset1:160
	ds_load_2addr_b64 v[12:15], v12 offset0:192 offset1:224
	s_wait_loadcnt_dscnt 0x0
	s_barrier_signal -1
	v_cmp_ne_u32_e32 vcc_lo, 0, v17
	v_not_b32_e32 v17, v18
	s_barrier_wait -1
	global_inv scope:SCOPE_SE
	s_load_b32 s1, s[36:37], 0xc
	v_xor_b32_e32 v16, vcc_lo, v16
	v_cmp_gt_i32_e32 vcc_lo, 0, v18
	v_ashrrev_i32_e32 v17, 31, v17
	v_not_b32_e32 v18, v19
	s_delay_alu instid0(VALU_DEP_4) | instskip(SKIP_1) | instid1(VALU_DEP_3)
	v_and_b32_e32 v16, exec_lo, v16
	s_wait_alu 0xfffd
	v_xor_b32_e32 v17, vcc_lo, v17
	v_cmp_gt_i32_e32 vcc_lo, 0, v19
	v_ashrrev_i32_e32 v18, 31, v18
	v_not_b32_e32 v19, v20
	s_delay_alu instid0(VALU_DEP_4)
	v_and_b32_e32 v16, v16, v17
	v_lshlrev_b32_e32 v17, 27, v23
	s_wait_alu 0xfffd
	v_xor_b32_e32 v18, vcc_lo, v18
	v_cmp_gt_i32_e32 vcc_lo, 0, v20
	v_ashrrev_i32_e32 v19, 31, v19
	v_not_b32_e32 v20, v17
	s_delay_alu instid0(VALU_DEP_4)
	v_and_b32_e32 v16, v16, v18
	v_lshlrev_b32_e32 v18, 26, v23
	s_wait_alu 0xfffd
	v_xor_b32_e32 v19, vcc_lo, v19
	v_cmp_gt_i32_e32 vcc_lo, 0, v17
	v_ashrrev_i32_e32 v17, 31, v20
	s_wait_kmcnt 0x0
	s_lshr_b32 s10, s1, 16
	v_not_b32_e32 v20, v18
	v_and_b32_e32 v16, v16, v19
	v_lshlrev_b32_e32 v19, 25, v23
	s_wait_alu 0xfffd
	v_xor_b32_e32 v17, vcc_lo, v17
	v_cmp_gt_i32_e32 vcc_lo, 0, v18
	v_ashrrev_i32_e32 v18, 31, v20
	s_wait_alu 0xfffe
	v_mad_u32_u24 v21, v72, s10, v71
	v_not_b32_e32 v20, v19
	v_and_b32_e32 v16, v16, v17
	v_lshlrev_b32_e32 v17, 24, v23
	s_wait_alu 0xfffd
	v_xor_b32_e32 v18, vcc_lo, v18
	v_cmp_gt_i32_e32 vcc_lo, 0, v19
	v_ashrrev_i32_e32 v19, 31, v20
	s_and_b32 s1, s1, 0xffff
	v_not_b32_e32 v20, v17
	v_and_b32_e32 v16, v16, v18
	s_wait_alu 0xfffe
	v_mad_co_u64_u32 v[21:22], null, v21, s1, v[46:47]
	s_wait_alu 0xfffd
	v_xor_b32_e32 v18, vcc_lo, v19
	v_cmp_gt_i32_e32 vcc_lo, 0, v17
	v_ashrrev_i32_e32 v17, 31, v20
	s_delay_alu instid0(VALU_DEP_3) | instskip(SKIP_2) | instid1(VALU_DEP_3)
	v_and_b32_e32 v16, v16, v18
	v_lshrrev_b32_e32 v21, 5, v21
	s_wait_alu 0xfffd
	v_xor_b32_e32 v22, vcc_lo, v17
	v_dual_mov_b32 v20, s15 :: v_dual_mov_b32 v19, s14
	v_dual_mov_b32 v18, s13 :: v_dual_mov_b32 v17, s12
	s_delay_alu instid0(VALU_DEP_3)
	v_and_b32_e32 v16, v16, v22
	ds_store_b128 v67, v[17:20] offset:32
	ds_store_b128 v67, v[17:20] offset:48
	v_mbcnt_lo_u32_b32 v38, v16, 0
	v_lshlrev_b32_e32 v24, 2, v21
	v_lshlrev_b32_e32 v17, 5, v23
	v_cmp_ne_u32_e64 s1, 0, v16
	s_wait_loadcnt_dscnt 0x0
	v_cmp_eq_u32_e32 vcc_lo, 0, v38
	s_barrier_signal -1
	v_add_nc_u32_e32 v39, v24, v17
	s_barrier_wait -1
	global_inv scope:SCOPE_SE
	s_and_b32 s10, s1, vcc_lo
	; wave barrier
	s_wait_alu 0xfffe
	s_and_saveexec_b32 s1, s10
; %bb.87:
	v_bcnt_u32_b32 v16, v16, 0
	ds_store_b32 v39, v16 offset:32
; %bb.88:
	s_wait_alu 0xfffe
	s_or_b32 exec_lo, exec_lo, s1
	v_cmp_ne_u16_e32 vcc_lo, 0x8000, v27
	; wave barrier
	s_wait_alu 0xfffd
	v_cndmask_b32_e32 v16, 0x7fff, v27, vcc_lo
	s_delay_alu instid0(VALU_DEP_1) | instskip(NEXT) | instid1(VALU_DEP_1)
	v_and_b32_e32 v16, 0xffff, v16
	v_and_b32_e32 v16, s9, v16
	s_delay_alu instid0(VALU_DEP_1)
	v_and_b32_e32 v17, 1, v16
	v_lshlrev_b32_e32 v18, 30, v16
	v_lshlrev_b32_e32 v19, 29, v16
	;; [unrolled: 1-line block ×4, first 2 shown]
	v_add_co_u32 v17, s1, v17, -1
	s_wait_alu 0xf1ff
	v_cndmask_b32_e64 v21, 0, 1, s1
	v_not_b32_e32 v35, v18
	v_cmp_gt_i32_e64 s1, 0, v18
	v_not_b32_e32 v18, v19
	v_lshlrev_b32_e32 v23, 26, v16
	v_cmp_ne_u32_e32 vcc_lo, 0, v21
	v_ashrrev_i32_e32 v35, 31, v35
	v_lshlrev_b32_e32 v34, 25, v16
	v_ashrrev_i32_e32 v18, 31, v18
	v_lshlrev_b32_e32 v21, 24, v16
	s_wait_alu 0xfffd
	v_xor_b32_e32 v17, vcc_lo, v17
	v_cmp_gt_i32_e32 vcc_lo, 0, v19
	v_not_b32_e32 v19, v20
	s_wait_alu 0xf1ff
	v_xor_b32_e32 v35, s1, v35
	v_cmp_gt_i32_e64 s1, 0, v20
	v_and_b32_e32 v17, exec_lo, v17
	v_not_b32_e32 v20, v22
	v_ashrrev_i32_e32 v19, 31, v19
	s_wait_alu 0xfffd
	v_xor_b32_e32 v18, vcc_lo, v18
	v_cmp_gt_i32_e32 vcc_lo, 0, v22
	v_and_b32_e32 v17, v17, v35
	v_not_b32_e32 v22, v23
	v_ashrrev_i32_e32 v20, 31, v20
	s_wait_alu 0xf1ff
	v_xor_b32_e32 v19, s1, v19
	v_cmp_gt_i32_e64 s1, 0, v23
	v_and_b32_e32 v17, v17, v18
	v_not_b32_e32 v18, v34
	v_ashrrev_i32_e32 v22, 31, v22
	s_wait_alu 0xfffd
	v_xor_b32_e32 v20, vcc_lo, v20
	v_cmp_gt_i32_e32 vcc_lo, 0, v34
	v_and_b32_e32 v17, v17, v19
	v_not_b32_e32 v19, v21
	v_ashrrev_i32_e32 v18, 31, v18
	s_wait_alu 0xf1ff
	v_xor_b32_e32 v22, s1, v22
	v_lshlrev_b32_e32 v16, 5, v16
	v_and_b32_e32 v17, v17, v20
	v_cmp_gt_i32_e64 s1, 0, v21
	v_ashrrev_i32_e32 v19, 31, v19
	s_wait_alu 0xfffd
	v_xor_b32_e32 v18, vcc_lo, v18
	v_add_nc_u32_e32 v48, v24, v16
	v_and_b32_e32 v17, v17, v22
	s_wait_alu 0xf1ff
	v_xor_b32_e32 v16, s1, v19
	ds_load_b32 v40, v48 offset:32
	v_and_b32_e32 v17, v17, v18
	; wave barrier
	s_delay_alu instid0(VALU_DEP_1) | instskip(NEXT) | instid1(VALU_DEP_1)
	v_and_b32_e32 v16, v17, v16
	v_mbcnt_lo_u32_b32 v47, v16, 0
	v_cmp_ne_u32_e64 s1, 0, v16
	s_delay_alu instid0(VALU_DEP_2)
	v_cmp_eq_u32_e32 vcc_lo, 0, v47
	s_and_b32 s10, s1, vcc_lo
	s_wait_alu 0xfffe
	s_and_saveexec_b32 s1, s10
	s_cbranch_execz .LBB251_90
; %bb.89:
	s_wait_dscnt 0x0
	v_bcnt_u32_b32 v16, v16, v40
	ds_store_b32 v48, v16 offset:32
.LBB251_90:
	s_wait_alu 0xfffe
	s_or_b32 exec_lo, exec_lo, s1
	v_cmp_ne_u16_e32 vcc_lo, 0x8000, v28
	; wave barrier
	s_wait_alu 0xfffd
	v_cndmask_b32_e32 v16, 0x7fff, v28, vcc_lo
	s_delay_alu instid0(VALU_DEP_1) | instskip(NEXT) | instid1(VALU_DEP_1)
	v_and_b32_e32 v16, 0xffff, v16
	v_and_b32_e32 v16, s9, v16
	s_delay_alu instid0(VALU_DEP_1)
	v_and_b32_e32 v17, 1, v16
	v_lshlrev_b32_e32 v18, 30, v16
	v_lshlrev_b32_e32 v19, 29, v16
	;; [unrolled: 1-line block ×4, first 2 shown]
	v_add_co_u32 v17, s1, v17, -1
	s_wait_alu 0xf1ff
	v_cndmask_b32_e64 v21, 0, 1, s1
	v_not_b32_e32 v35, v18
	v_cmp_gt_i32_e64 s1, 0, v18
	v_not_b32_e32 v18, v19
	v_lshlrev_b32_e32 v23, 26, v16
	v_cmp_ne_u32_e32 vcc_lo, 0, v21
	v_ashrrev_i32_e32 v35, 31, v35
	v_lshlrev_b32_e32 v34, 25, v16
	v_ashrrev_i32_e32 v18, 31, v18
	v_lshlrev_b32_e32 v21, 24, v16
	s_wait_alu 0xfffd
	v_xor_b32_e32 v17, vcc_lo, v17
	v_cmp_gt_i32_e32 vcc_lo, 0, v19
	v_not_b32_e32 v19, v20
	s_wait_alu 0xf1ff
	v_xor_b32_e32 v35, s1, v35
	v_cmp_gt_i32_e64 s1, 0, v20
	v_and_b32_e32 v17, exec_lo, v17
	v_not_b32_e32 v20, v22
	v_ashrrev_i32_e32 v19, 31, v19
	s_wait_alu 0xfffd
	v_xor_b32_e32 v18, vcc_lo, v18
	v_cmp_gt_i32_e32 vcc_lo, 0, v22
	v_and_b32_e32 v17, v17, v35
	v_not_b32_e32 v22, v23
	v_ashrrev_i32_e32 v20, 31, v20
	s_wait_alu 0xf1ff
	v_xor_b32_e32 v19, s1, v19
	v_cmp_gt_i32_e64 s1, 0, v23
	v_and_b32_e32 v17, v17, v18
	v_not_b32_e32 v18, v34
	v_ashrrev_i32_e32 v22, 31, v22
	s_wait_alu 0xfffd
	v_xor_b32_e32 v20, vcc_lo, v20
	v_cmp_gt_i32_e32 vcc_lo, 0, v34
	v_and_b32_e32 v17, v17, v19
	v_not_b32_e32 v19, v21
	v_ashrrev_i32_e32 v18, 31, v18
	s_wait_alu 0xf1ff
	v_xor_b32_e32 v22, s1, v22
	v_lshlrev_b32_e32 v16, 5, v16
	v_and_b32_e32 v17, v17, v20
	v_cmp_gt_i32_e64 s1, 0, v21
	v_ashrrev_i32_e32 v19, 31, v19
	s_wait_alu 0xfffd
	v_xor_b32_e32 v18, vcc_lo, v18
	v_add_nc_u32_e32 v71, v24, v16
	v_and_b32_e32 v17, v17, v22
	s_wait_alu 0xf1ff
	v_xor_b32_e32 v16, s1, v19
	ds_load_b32 v49, v71 offset:32
	v_and_b32_e32 v17, v17, v18
	; wave barrier
	s_delay_alu instid0(VALU_DEP_1) | instskip(NEXT) | instid1(VALU_DEP_1)
	v_and_b32_e32 v16, v17, v16
	v_mbcnt_lo_u32_b32 v50, v16, 0
	v_cmp_ne_u32_e64 s1, 0, v16
	s_delay_alu instid0(VALU_DEP_2)
	v_cmp_eq_u32_e32 vcc_lo, 0, v50
	s_and_b32 s10, s1, vcc_lo
	s_wait_alu 0xfffe
	s_and_saveexec_b32 s1, s10
	s_cbranch_execz .LBB251_92
; %bb.91:
	s_wait_dscnt 0x0
	v_bcnt_u32_b32 v16, v16, v49
	ds_store_b32 v71, v16 offset:32
.LBB251_92:
	s_wait_alu 0xfffe
	s_or_b32 exec_lo, exec_lo, s1
	v_cmp_ne_u16_e32 vcc_lo, 0x8000, v29
	; wave barrier
	s_wait_alu 0xfffd
	v_cndmask_b32_e32 v16, 0x7fff, v29, vcc_lo
	s_delay_alu instid0(VALU_DEP_1) | instskip(NEXT) | instid1(VALU_DEP_1)
	v_and_b32_e32 v16, 0xffff, v16
	v_and_b32_e32 v16, s9, v16
	s_delay_alu instid0(VALU_DEP_1)
	v_and_b32_e32 v17, 1, v16
	v_lshlrev_b32_e32 v18, 30, v16
	v_lshlrev_b32_e32 v19, 29, v16
	v_lshlrev_b32_e32 v20, 28, v16
	v_lshlrev_b32_e32 v22, 27, v16
	v_add_co_u32 v17, s1, v17, -1
	s_wait_alu 0xf1ff
	v_cndmask_b32_e64 v21, 0, 1, s1
	v_not_b32_e32 v35, v18
	v_cmp_gt_i32_e64 s1, 0, v18
	v_not_b32_e32 v18, v19
	v_lshlrev_b32_e32 v23, 26, v16
	v_cmp_ne_u32_e32 vcc_lo, 0, v21
	v_ashrrev_i32_e32 v35, 31, v35
	v_lshlrev_b32_e32 v34, 25, v16
	v_ashrrev_i32_e32 v18, 31, v18
	v_lshlrev_b32_e32 v21, 24, v16
	s_wait_alu 0xfffd
	v_xor_b32_e32 v17, vcc_lo, v17
	v_cmp_gt_i32_e32 vcc_lo, 0, v19
	v_not_b32_e32 v19, v20
	s_wait_alu 0xf1ff
	v_xor_b32_e32 v35, s1, v35
	v_cmp_gt_i32_e64 s1, 0, v20
	v_and_b32_e32 v17, exec_lo, v17
	v_not_b32_e32 v20, v22
	v_ashrrev_i32_e32 v19, 31, v19
	s_wait_alu 0xfffd
	v_xor_b32_e32 v18, vcc_lo, v18
	v_cmp_gt_i32_e32 vcc_lo, 0, v22
	v_and_b32_e32 v17, v17, v35
	v_not_b32_e32 v22, v23
	v_ashrrev_i32_e32 v20, 31, v20
	s_wait_alu 0xf1ff
	v_xor_b32_e32 v19, s1, v19
	v_cmp_gt_i32_e64 s1, 0, v23
	v_and_b32_e32 v17, v17, v18
	v_not_b32_e32 v18, v34
	v_ashrrev_i32_e32 v22, 31, v22
	s_wait_alu 0xfffd
	v_xor_b32_e32 v20, vcc_lo, v20
	v_cmp_gt_i32_e32 vcc_lo, 0, v34
	v_and_b32_e32 v17, v17, v19
	v_not_b32_e32 v19, v21
	v_ashrrev_i32_e32 v18, 31, v18
	s_wait_alu 0xf1ff
	v_xor_b32_e32 v22, s1, v22
	v_lshlrev_b32_e32 v16, 5, v16
	v_and_b32_e32 v17, v17, v20
	v_cmp_gt_i32_e64 s1, 0, v21
	v_ashrrev_i32_e32 v19, 31, v19
	s_wait_alu 0xfffd
	v_xor_b32_e32 v18, vcc_lo, v18
	v_add_nc_u32_e32 v74, v24, v16
	v_and_b32_e32 v17, v17, v22
	s_wait_alu 0xf1ff
	v_xor_b32_e32 v16, s1, v19
	ds_load_b32 v72, v74 offset:32
	v_and_b32_e32 v17, v17, v18
	; wave barrier
	s_delay_alu instid0(VALU_DEP_1) | instskip(NEXT) | instid1(VALU_DEP_1)
	v_and_b32_e32 v16, v17, v16
	v_mbcnt_lo_u32_b32 v73, v16, 0
	v_cmp_ne_u32_e64 s1, 0, v16
	s_delay_alu instid0(VALU_DEP_2)
	v_cmp_eq_u32_e32 vcc_lo, 0, v73
	s_and_b32 s10, s1, vcc_lo
	s_wait_alu 0xfffe
	s_and_saveexec_b32 s1, s10
	s_cbranch_execz .LBB251_94
; %bb.93:
	s_wait_dscnt 0x0
	v_bcnt_u32_b32 v16, v16, v72
	ds_store_b32 v74, v16 offset:32
.LBB251_94:
	s_wait_alu 0xfffe
	s_or_b32 exec_lo, exec_lo, s1
	v_cmp_ne_u16_e32 vcc_lo, 0x8000, v30
	; wave barrier
	s_wait_alu 0xfffd
	v_cndmask_b32_e32 v16, 0x7fff, v30, vcc_lo
	s_delay_alu instid0(VALU_DEP_1) | instskip(NEXT) | instid1(VALU_DEP_1)
	v_and_b32_e32 v16, 0xffff, v16
	v_and_b32_e32 v16, s9, v16
	s_delay_alu instid0(VALU_DEP_1)
	v_and_b32_e32 v17, 1, v16
	v_lshlrev_b32_e32 v18, 30, v16
	v_lshlrev_b32_e32 v19, 29, v16
	;; [unrolled: 1-line block ×4, first 2 shown]
	v_add_co_u32 v17, s1, v17, -1
	s_wait_alu 0xf1ff
	v_cndmask_b32_e64 v21, 0, 1, s1
	v_not_b32_e32 v35, v18
	v_cmp_gt_i32_e64 s1, 0, v18
	v_not_b32_e32 v18, v19
	v_lshlrev_b32_e32 v23, 26, v16
	v_cmp_ne_u32_e32 vcc_lo, 0, v21
	v_ashrrev_i32_e32 v35, 31, v35
	v_lshlrev_b32_e32 v34, 25, v16
	v_ashrrev_i32_e32 v18, 31, v18
	v_lshlrev_b32_e32 v21, 24, v16
	s_wait_alu 0xfffd
	v_xor_b32_e32 v17, vcc_lo, v17
	v_cmp_gt_i32_e32 vcc_lo, 0, v19
	v_not_b32_e32 v19, v20
	s_wait_alu 0xf1ff
	v_xor_b32_e32 v35, s1, v35
	v_cmp_gt_i32_e64 s1, 0, v20
	v_and_b32_e32 v17, exec_lo, v17
	v_not_b32_e32 v20, v22
	v_ashrrev_i32_e32 v19, 31, v19
	s_wait_alu 0xfffd
	v_xor_b32_e32 v18, vcc_lo, v18
	v_cmp_gt_i32_e32 vcc_lo, 0, v22
	v_and_b32_e32 v17, v17, v35
	v_not_b32_e32 v22, v23
	v_ashrrev_i32_e32 v20, 31, v20
	s_wait_alu 0xf1ff
	v_xor_b32_e32 v19, s1, v19
	v_cmp_gt_i32_e64 s1, 0, v23
	v_and_b32_e32 v17, v17, v18
	v_not_b32_e32 v18, v34
	v_ashrrev_i32_e32 v22, 31, v22
	s_wait_alu 0xfffd
	v_xor_b32_e32 v20, vcc_lo, v20
	v_cmp_gt_i32_e32 vcc_lo, 0, v34
	v_and_b32_e32 v17, v17, v19
	v_not_b32_e32 v19, v21
	v_ashrrev_i32_e32 v18, 31, v18
	s_wait_alu 0xf1ff
	v_xor_b32_e32 v22, s1, v22
	v_lshlrev_b32_e32 v16, 5, v16
	v_and_b32_e32 v17, v17, v20
	v_cmp_gt_i32_e64 s1, 0, v21
	v_ashrrev_i32_e32 v19, 31, v19
	s_wait_alu 0xfffd
	v_xor_b32_e32 v18, vcc_lo, v18
	v_add_nc_u32_e32 v77, v24, v16
	v_and_b32_e32 v17, v17, v22
	s_wait_alu 0xf1ff
	v_xor_b32_e32 v16, s1, v19
	ds_load_b32 v75, v77 offset:32
	v_and_b32_e32 v17, v17, v18
	; wave barrier
	s_delay_alu instid0(VALU_DEP_1) | instskip(NEXT) | instid1(VALU_DEP_1)
	v_and_b32_e32 v16, v17, v16
	v_mbcnt_lo_u32_b32 v76, v16, 0
	v_cmp_ne_u32_e64 s1, 0, v16
	s_delay_alu instid0(VALU_DEP_2)
	v_cmp_eq_u32_e32 vcc_lo, 0, v76
	s_and_b32 s10, s1, vcc_lo
	s_wait_alu 0xfffe
	s_and_saveexec_b32 s1, s10
	s_cbranch_execz .LBB251_96
; %bb.95:
	s_wait_dscnt 0x0
	v_bcnt_u32_b32 v16, v16, v75
	ds_store_b32 v77, v16 offset:32
.LBB251_96:
	s_wait_alu 0xfffe
	s_or_b32 exec_lo, exec_lo, s1
	v_cmp_ne_u16_e32 vcc_lo, 0x8000, v31
	; wave barrier
	s_wait_alu 0xfffd
	v_cndmask_b32_e32 v16, 0x7fff, v31, vcc_lo
	s_delay_alu instid0(VALU_DEP_1) | instskip(NEXT) | instid1(VALU_DEP_1)
	v_and_b32_e32 v16, 0xffff, v16
	v_and_b32_e32 v16, s9, v16
	s_delay_alu instid0(VALU_DEP_1)
	v_and_b32_e32 v17, 1, v16
	v_lshlrev_b32_e32 v18, 30, v16
	v_lshlrev_b32_e32 v19, 29, v16
	;; [unrolled: 1-line block ×4, first 2 shown]
	v_add_co_u32 v17, s1, v17, -1
	s_wait_alu 0xf1ff
	v_cndmask_b32_e64 v21, 0, 1, s1
	v_not_b32_e32 v35, v18
	v_cmp_gt_i32_e64 s1, 0, v18
	v_not_b32_e32 v18, v19
	v_lshlrev_b32_e32 v23, 26, v16
	v_cmp_ne_u32_e32 vcc_lo, 0, v21
	v_ashrrev_i32_e32 v35, 31, v35
	v_lshlrev_b32_e32 v34, 25, v16
	v_ashrrev_i32_e32 v18, 31, v18
	v_lshlrev_b32_e32 v21, 24, v16
	s_wait_alu 0xfffd
	v_xor_b32_e32 v17, vcc_lo, v17
	v_cmp_gt_i32_e32 vcc_lo, 0, v19
	v_not_b32_e32 v19, v20
	s_wait_alu 0xf1ff
	v_xor_b32_e32 v35, s1, v35
	v_cmp_gt_i32_e64 s1, 0, v20
	v_and_b32_e32 v17, exec_lo, v17
	v_not_b32_e32 v20, v22
	v_ashrrev_i32_e32 v19, 31, v19
	s_wait_alu 0xfffd
	v_xor_b32_e32 v18, vcc_lo, v18
	v_cmp_gt_i32_e32 vcc_lo, 0, v22
	v_and_b32_e32 v17, v17, v35
	v_not_b32_e32 v22, v23
	v_ashrrev_i32_e32 v20, 31, v20
	s_wait_alu 0xf1ff
	v_xor_b32_e32 v19, s1, v19
	v_cmp_gt_i32_e64 s1, 0, v23
	v_and_b32_e32 v17, v17, v18
	v_not_b32_e32 v18, v34
	v_ashrrev_i32_e32 v22, 31, v22
	s_wait_alu 0xfffd
	v_xor_b32_e32 v20, vcc_lo, v20
	v_cmp_gt_i32_e32 vcc_lo, 0, v34
	v_and_b32_e32 v17, v17, v19
	v_not_b32_e32 v19, v21
	v_ashrrev_i32_e32 v18, 31, v18
	s_wait_alu 0xf1ff
	v_xor_b32_e32 v22, s1, v22
	v_lshlrev_b32_e32 v16, 5, v16
	v_and_b32_e32 v17, v17, v20
	v_cmp_gt_i32_e64 s1, 0, v21
	v_ashrrev_i32_e32 v19, 31, v19
	s_wait_alu 0xfffd
	v_xor_b32_e32 v18, vcc_lo, v18
	v_add_nc_u32_e32 v80, v24, v16
	v_and_b32_e32 v17, v17, v22
	s_wait_alu 0xf1ff
	v_xor_b32_e32 v16, s1, v19
	ds_load_b32 v78, v80 offset:32
	v_and_b32_e32 v17, v17, v18
	; wave barrier
	s_delay_alu instid0(VALU_DEP_1) | instskip(NEXT) | instid1(VALU_DEP_1)
	v_and_b32_e32 v16, v17, v16
	v_mbcnt_lo_u32_b32 v79, v16, 0
	v_cmp_ne_u32_e64 s1, 0, v16
	s_delay_alu instid0(VALU_DEP_2)
	v_cmp_eq_u32_e32 vcc_lo, 0, v79
	s_and_b32 s10, s1, vcc_lo
	s_wait_alu 0xfffe
	s_and_saveexec_b32 s1, s10
	s_cbranch_execz .LBB251_98
; %bb.97:
	s_wait_dscnt 0x0
	v_bcnt_u32_b32 v16, v16, v78
	ds_store_b32 v80, v16 offset:32
.LBB251_98:
	s_wait_alu 0xfffe
	s_or_b32 exec_lo, exec_lo, s1
	v_cmp_ne_u16_e32 vcc_lo, 0x8000, v32
	; wave barrier
	s_wait_alu 0xfffd
	v_cndmask_b32_e32 v16, 0x7fff, v32, vcc_lo
	s_delay_alu instid0(VALU_DEP_1) | instskip(NEXT) | instid1(VALU_DEP_1)
	v_and_b32_e32 v16, 0xffff, v16
	v_and_b32_e32 v16, s9, v16
	s_delay_alu instid0(VALU_DEP_1)
	v_and_b32_e32 v17, 1, v16
	v_lshlrev_b32_e32 v18, 30, v16
	v_lshlrev_b32_e32 v19, 29, v16
	;; [unrolled: 1-line block ×4, first 2 shown]
	v_add_co_u32 v17, s1, v17, -1
	s_wait_alu 0xf1ff
	v_cndmask_b32_e64 v21, 0, 1, s1
	v_not_b32_e32 v35, v18
	v_cmp_gt_i32_e64 s1, 0, v18
	v_not_b32_e32 v18, v19
	v_lshlrev_b32_e32 v23, 26, v16
	v_cmp_ne_u32_e32 vcc_lo, 0, v21
	v_ashrrev_i32_e32 v35, 31, v35
	v_lshlrev_b32_e32 v34, 25, v16
	v_ashrrev_i32_e32 v18, 31, v18
	v_lshlrev_b32_e32 v21, 24, v16
	s_wait_alu 0xfffd
	v_xor_b32_e32 v17, vcc_lo, v17
	v_cmp_gt_i32_e32 vcc_lo, 0, v19
	v_not_b32_e32 v19, v20
	s_wait_alu 0xf1ff
	v_xor_b32_e32 v35, s1, v35
	v_cmp_gt_i32_e64 s1, 0, v20
	v_and_b32_e32 v17, exec_lo, v17
	v_not_b32_e32 v20, v22
	v_ashrrev_i32_e32 v19, 31, v19
	s_wait_alu 0xfffd
	v_xor_b32_e32 v18, vcc_lo, v18
	v_cmp_gt_i32_e32 vcc_lo, 0, v22
	v_and_b32_e32 v17, v17, v35
	v_not_b32_e32 v22, v23
	v_ashrrev_i32_e32 v20, 31, v20
	s_wait_alu 0xf1ff
	v_xor_b32_e32 v19, s1, v19
	v_cmp_gt_i32_e64 s1, 0, v23
	v_and_b32_e32 v17, v17, v18
	v_not_b32_e32 v18, v34
	v_ashrrev_i32_e32 v22, 31, v22
	s_wait_alu 0xfffd
	v_xor_b32_e32 v20, vcc_lo, v20
	v_cmp_gt_i32_e32 vcc_lo, 0, v34
	v_and_b32_e32 v17, v17, v19
	v_not_b32_e32 v19, v21
	v_ashrrev_i32_e32 v18, 31, v18
	s_wait_alu 0xf1ff
	v_xor_b32_e32 v22, s1, v22
	v_lshlrev_b32_e32 v16, 5, v16
	v_and_b32_e32 v17, v17, v20
	v_cmp_gt_i32_e64 s1, 0, v21
	v_ashrrev_i32_e32 v19, 31, v19
	s_wait_alu 0xfffd
	v_xor_b32_e32 v18, vcc_lo, v18
	v_add_nc_u32_e32 v83, v24, v16
	v_and_b32_e32 v17, v17, v22
	s_wait_alu 0xf1ff
	v_xor_b32_e32 v16, s1, v19
	ds_load_b32 v81, v83 offset:32
	v_and_b32_e32 v17, v17, v18
	; wave barrier
	s_delay_alu instid0(VALU_DEP_1) | instskip(NEXT) | instid1(VALU_DEP_1)
	v_and_b32_e32 v16, v17, v16
	v_mbcnt_lo_u32_b32 v82, v16, 0
	v_cmp_ne_u32_e64 s1, 0, v16
	s_delay_alu instid0(VALU_DEP_2)
	v_cmp_eq_u32_e32 vcc_lo, 0, v82
	s_and_b32 s10, s1, vcc_lo
	s_wait_alu 0xfffe
	s_and_saveexec_b32 s1, s10
	s_cbranch_execz .LBB251_100
; %bb.99:
	s_wait_dscnt 0x0
	v_bcnt_u32_b32 v16, v16, v81
	ds_store_b32 v83, v16 offset:32
.LBB251_100:
	s_wait_alu 0xfffe
	s_or_b32 exec_lo, exec_lo, s1
	v_cmp_ne_u16_e32 vcc_lo, 0x8000, v33
	; wave barrier
	s_wait_alu 0xfffd
	v_cndmask_b32_e32 v16, 0x7fff, v33, vcc_lo
	s_delay_alu instid0(VALU_DEP_1) | instskip(NEXT) | instid1(VALU_DEP_1)
	v_and_b32_e32 v16, 0xffff, v16
	v_and_b32_e32 v16, s9, v16
	s_delay_alu instid0(VALU_DEP_1)
	v_and_b32_e32 v17, 1, v16
	v_lshlrev_b32_e32 v18, 30, v16
	v_lshlrev_b32_e32 v19, 29, v16
	;; [unrolled: 1-line block ×4, first 2 shown]
	v_add_co_u32 v17, s1, v17, -1
	s_wait_alu 0xf1ff
	v_cndmask_b32_e64 v21, 0, 1, s1
	v_not_b32_e32 v35, v18
	v_cmp_gt_i32_e64 s1, 0, v18
	v_not_b32_e32 v18, v19
	v_lshlrev_b32_e32 v23, 26, v16
	v_cmp_ne_u32_e32 vcc_lo, 0, v21
	v_ashrrev_i32_e32 v35, 31, v35
	v_lshlrev_b32_e32 v34, 25, v16
	v_ashrrev_i32_e32 v18, 31, v18
	v_lshlrev_b32_e32 v21, 24, v16
	s_wait_alu 0xfffd
	v_xor_b32_e32 v17, vcc_lo, v17
	v_cmp_gt_i32_e32 vcc_lo, 0, v19
	v_not_b32_e32 v19, v20
	s_wait_alu 0xf1ff
	v_xor_b32_e32 v35, s1, v35
	v_cmp_gt_i32_e64 s1, 0, v20
	v_and_b32_e32 v17, exec_lo, v17
	v_not_b32_e32 v20, v22
	v_ashrrev_i32_e32 v19, 31, v19
	s_wait_alu 0xfffd
	v_xor_b32_e32 v18, vcc_lo, v18
	v_cmp_gt_i32_e32 vcc_lo, 0, v22
	v_and_b32_e32 v17, v17, v35
	v_not_b32_e32 v22, v23
	v_ashrrev_i32_e32 v20, 31, v20
	s_wait_alu 0xf1ff
	v_xor_b32_e32 v19, s1, v19
	v_cmp_gt_i32_e64 s1, 0, v23
	v_and_b32_e32 v17, v17, v18
	v_not_b32_e32 v18, v34
	v_ashrrev_i32_e32 v22, 31, v22
	s_wait_alu 0xfffd
	v_xor_b32_e32 v20, vcc_lo, v20
	v_cmp_gt_i32_e32 vcc_lo, 0, v34
	v_and_b32_e32 v17, v17, v19
	v_not_b32_e32 v19, v21
	v_ashrrev_i32_e32 v18, 31, v18
	s_wait_alu 0xf1ff
	v_xor_b32_e32 v22, s1, v22
	v_lshlrev_b32_e32 v16, 5, v16
	v_and_b32_e32 v17, v17, v20
	v_cmp_gt_i32_e64 s1, 0, v21
	v_ashrrev_i32_e32 v19, 31, v19
	s_wait_alu 0xfffd
	v_xor_b32_e32 v18, vcc_lo, v18
	v_add_nc_u32_e32 v86, v24, v16
	v_and_b32_e32 v17, v17, v22
	v_min_u32_e32 v34, 0xe0, v70
	s_wait_alu 0xf1ff
	v_xor_b32_e32 v16, s1, v19
	ds_load_b32 v84, v86 offset:32
	v_and_b32_e32 v17, v17, v18
	; wave barrier
	s_delay_alu instid0(VALU_DEP_1) | instskip(NEXT) | instid1(VALU_DEP_1)
	v_and_b32_e32 v16, v17, v16
	v_mbcnt_lo_u32_b32 v85, v16, 0
	v_cmp_ne_u32_e64 s1, 0, v16
	s_delay_alu instid0(VALU_DEP_2)
	v_cmp_eq_u32_e32 vcc_lo, 0, v85
	s_and_b32 s9, s1, vcc_lo
	s_wait_alu 0xfffe
	s_and_saveexec_b32 s1, s9
	s_cbranch_execz .LBB251_102
; %bb.101:
	s_wait_dscnt 0x0
	v_bcnt_u32_b32 v16, v16, v84
	ds_store_b32 v86, v16 offset:32
.LBB251_102:
	s_wait_alu 0xfffe
	s_or_b32 exec_lo, exec_lo, s1
	; wave barrier
	s_wait_loadcnt_dscnt 0x0
	s_barrier_signal -1
	s_barrier_wait -1
	global_inv scope:SCOPE_SE
	ds_load_b128 v[20:23], v67 offset:32
	ds_load_b128 v[16:19], v67 offset:48
	v_and_b32_e32 v70, 16, v69
	v_or_b32_e32 v34, 31, v34
	s_delay_alu instid0(VALU_DEP_2) | instskip(NEXT) | instid1(VALU_DEP_2)
	v_cmp_eq_u32_e64 s17, 0, v70
	v_cmp_eq_u32_e64 s15, v46, v34
	s_wait_dscnt 0x1
	v_add_nc_u32_e32 v35, v21, v20
	s_delay_alu instid0(VALU_DEP_1) | instskip(SKIP_1) | instid1(VALU_DEP_1)
	v_add3_u32 v35, v35, v22, v23
	s_wait_dscnt 0x0
	v_add3_u32 v35, v35, v16, v17
	s_delay_alu instid0(VALU_DEP_1) | instskip(SKIP_1) | instid1(VALU_DEP_2)
	v_add3_u32 v19, v35, v18, v19
	v_and_b32_e32 v35, 15, v69
	v_mov_b32_dpp v37, v19 row_shr:1 row_mask:0xf bank_mask:0xf
	s_delay_alu instid0(VALU_DEP_2)
	v_cmp_eq_u32_e64 s9, 0, v35
	v_cmp_lt_u32_e64 s11, 1, v35
	v_cmp_lt_u32_e64 s12, 3, v35
	;; [unrolled: 1-line block ×3, first 2 shown]
	s_wait_alu 0xf1ff
	v_cndmask_b32_e64 v37, v37, 0, s9
	s_delay_alu instid0(VALU_DEP_1) | instskip(NEXT) | instid1(VALU_DEP_1)
	v_add_nc_u32_e32 v19, v37, v19
	v_mov_b32_dpp v37, v19 row_shr:2 row_mask:0xf bank_mask:0xf
	s_delay_alu instid0(VALU_DEP_1) | instskip(NEXT) | instid1(VALU_DEP_1)
	v_cndmask_b32_e64 v37, 0, v37, s11
	v_add_nc_u32_e32 v19, v19, v37
	s_delay_alu instid0(VALU_DEP_1) | instskip(NEXT) | instid1(VALU_DEP_1)
	v_mov_b32_dpp v37, v19 row_shr:4 row_mask:0xf bank_mask:0xf
	v_cndmask_b32_e64 v37, 0, v37, s12
	s_delay_alu instid0(VALU_DEP_1) | instskip(NEXT) | instid1(VALU_DEP_1)
	v_add_nc_u32_e32 v19, v19, v37
	v_mov_b32_dpp v37, v19 row_shr:8 row_mask:0xf bank_mask:0xf
	s_delay_alu instid0(VALU_DEP_1) | instskip(NEXT) | instid1(VALU_DEP_1)
	v_cndmask_b32_e64 v35, 0, v37, s14
	v_add_nc_u32_e32 v37, v19, v35
	v_bfe_i32 v35, v69, 4, 1
	ds_swizzle_b32 v19, v37 offset:swizzle(BROADCAST,32,15)
	s_wait_dscnt 0x0
	v_and_b32_e32 v87, v35, v19
	v_mul_i32_i24_e32 v19, 0xffffffe4, v46
	v_lshlrev_b32_e32 v35, 2, v68
	s_delay_alu instid0(VALU_DEP_3)
	v_add_nc_u32_e32 v37, v37, v87
	s_and_saveexec_b32 s1, s15
; %bb.103:
	ds_store_b32 v35, v37
; %bb.104:
	s_wait_alu 0xfffe
	s_or_b32 exec_lo, exec_lo, s1
	v_and_b32_e32 v34, 7, v69
	v_cmp_gt_u32_e64 s16, 8, v46
	s_wait_loadcnt_dscnt 0x0
	s_barrier_signal -1
	s_barrier_wait -1
	v_cmp_eq_u32_e64 s13, 0, v34
	v_cmp_lt_u32_e64 s10, 1, v34
	v_cmp_lt_u32_e32 vcc_lo, 3, v34
	v_add_nc_u32_e32 v34, v67, v19
	global_inv scope:SCOPE_SE
	s_and_saveexec_b32 s1, s16
	s_cbranch_execz .LBB251_106
; %bb.105:
	ds_load_b32 v19, v34
	s_wait_dscnt 0x0
	v_mov_b32_dpp v68, v19 row_shr:1 row_mask:0xf bank_mask:0xf
	s_wait_alu 0xf1ff
	s_delay_alu instid0(VALU_DEP_1) | instskip(NEXT) | instid1(VALU_DEP_1)
	v_cndmask_b32_e64 v68, v68, 0, s13
	v_add_nc_u32_e32 v19, v68, v19
	s_delay_alu instid0(VALU_DEP_1) | instskip(NEXT) | instid1(VALU_DEP_1)
	v_mov_b32_dpp v68, v19 row_shr:2 row_mask:0xf bank_mask:0xf
	v_cndmask_b32_e64 v68, 0, v68, s10
	s_delay_alu instid0(VALU_DEP_1) | instskip(NEXT) | instid1(VALU_DEP_1)
	v_add_nc_u32_e32 v19, v19, v68
	v_mov_b32_dpp v68, v19 row_shr:4 row_mask:0xf bank_mask:0xf
	s_wait_alu 0xfffd
	s_delay_alu instid0(VALU_DEP_1) | instskip(NEXT) | instid1(VALU_DEP_1)
	v_cndmask_b32_e32 v68, 0, v68, vcc_lo
	v_add_nc_u32_e32 v19, v19, v68
	ds_store_b32 v34, v19
.LBB251_106:
	s_wait_alu 0xfffe
	s_or_b32 exec_lo, exec_lo, s1
	v_mul_u32_u24_e32 v19, 6, v36
	v_sub_co_u32 v68, s1, v69, 1
	v_cmp_lt_u32_e64 s18, 31, v46
	v_add_nc_u32_e32 v36, -4, v35
	v_mov_b32_e32 v70, 0
	s_wait_loadcnt_dscnt 0x0
	s_barrier_signal -1
	s_barrier_wait -1
	global_inv scope:SCOPE_SE
	s_and_saveexec_b32 s19, s18
; %bb.107:
	ds_load_b32 v70, v36
; %bb.108:
	s_or_b32 exec_lo, exec_lo, s19
	v_cmp_gt_i32_e64 s19, 0, v68
	s_mov_b32 s24, 0
	s_min_u32 s20, s20, 8
	s_mov_b32 s25, s24
	s_mov_b32 s26, s24
	v_cndmask_b32_e64 v68, v68, v69, s19
	s_mov_b32 s27, s24
	s_wait_dscnt 0x0
	v_add_nc_u32_e32 v69, v70, v37
	v_cmp_eq_u32_e64 s19, 0, v46
	s_wait_alu 0xfffe
	s_lshl_b32 s20, -1, s20
	v_lshlrev_b32_e32 v37, 2, v68
	s_wait_alu 0xfffe
	s_not_b32 s23, s20
	ds_bpermute_b32 v68, v37, v69
	s_wait_dscnt 0x0
	v_cndmask_b32_e64 v68, v68, v70, s1
	s_delay_alu instid0(VALU_DEP_1) | instskip(NEXT) | instid1(VALU_DEP_1)
	v_cndmask_b32_e64 v87, v68, 0, s19
	v_add_nc_u32_e32 v88, v87, v20
	s_delay_alu instid0(VALU_DEP_1) | instskip(NEXT) | instid1(VALU_DEP_1)
	v_add_nc_u32_e32 v89, v88, v21
	v_add_nc_u32_e32 v90, v89, v22
	s_delay_alu instid0(VALU_DEP_1) | instskip(NEXT) | instid1(VALU_DEP_1)
	v_add_nc_u32_e32 v20, v90, v23
	;; [unrolled: 3-line block ×3, first 2 shown]
	v_add_nc_u32_e32 v23, v22, v18
	ds_store_b128 v67, v[87:90] offset:32
	ds_store_b128 v67, v[20:23] offset:48
	s_wait_loadcnt_dscnt 0x0
	s_barrier_signal -1
	s_barrier_wait -1
	global_inv scope:SCOPE_SE
	ds_load_b32 v16, v39 offset:32
	ds_load_b32 v17, v48 offset:32
	;; [unrolled: 1-line block ×8, first 2 shown]
	v_add_nc_u32_e32 v48, v25, v19
	s_wait_loadcnt_dscnt 0x0
	s_barrier_signal -1
	s_barrier_wait -1
	global_inv scope:SCOPE_SE
	v_add_nc_u32_e32 v38, v16, v38
	v_add3_u32 v40, v47, v40, v17
	v_add3_u32 v47, v50, v49, v18
	v_add3_u32 v49, v73, v72, v20
	v_add3_u32 v50, v76, v75, v21
	v_add3_u32 v68, v79, v78, v22
	v_add3_u32 v69, v82, v81, v23
	v_add3_u32 v70, v85, v84, v39
	v_lshlrev_b32_e32 v16, 1, v38
	v_lshlrev_b32_e32 v17, 1, v40
	;; [unrolled: 1-line block ×8, first 2 shown]
	ds_store_b16 v16, v26
	ds_store_b16 v17, v27
	;; [unrolled: 1-line block ×8, first 2 shown]
	s_wait_loadcnt_dscnt 0x0
	s_barrier_signal -1
	s_barrier_wait -1
	global_inv scope:SCOPE_SE
	ds_load_u16 v26, v25
	ds_load_u16 v27, v25 offset:64
	ds_load_u16 v28, v25 offset:128
	;; [unrolled: 1-line block ×7, first 2 shown]
	v_mad_co_u64_u32 v[38:39], null, v38, 6, v[16:17]
	v_mad_co_u64_u32 v[16:17], null, v40, 6, v[17:18]
	;; [unrolled: 1-line block ×3, first 2 shown]
	s_wait_loadcnt_dscnt 0x0
	s_barrier_signal -1
	s_barrier_wait -1
	global_inv scope:SCOPE_SE
	v_mad_co_u64_u32 v[18:19], null, v49, 6, v[19:20]
	v_lshrrev_b16 v33, 8, v26
	v_cmp_ne_u16_e64 s20, 0x8000, v26
	ds_store_b64 v38, v[8:9]
	v_mad_co_u64_u32 v[19:20], null, v50, 6, v[20:21]
	v_mad_co_u64_u32 v[20:21], null, v68, 6, v[21:22]
	s_wait_alu 0xf1ff
	v_cndmask_b32_e64 v33, 0x7f, v33, s20
	v_mad_co_u64_u32 v[21:22], null, v69, 6, v[22:23]
	v_mad_co_u64_u32 v[22:23], null, v70, 6, v[23:24]
	s_delay_alu instid0(VALU_DEP_3)
	v_and_b32_e32 v8, 0xffff, v33
	ds_store_b64 v16, v[10:11]
	ds_store_b64 v17, v[0:1]
	;; [unrolled: 1-line block ×7, first 2 shown]
	s_wait_alu 0xfffe
	v_and_b32_e32 v23, s23, v8
	s_wait_loadcnt_dscnt 0x0
	s_barrier_signal -1
	s_barrier_wait -1
	global_inv scope:SCOPE_SE
	v_and_b32_e32 v0, 1, v23
	v_lshlrev_b32_e32 v1, 30, v23
	v_lshlrev_b32_e32 v2, 29, v23
	;; [unrolled: 1-line block ×4, first 2 shown]
	v_add_co_u32 v0, s20, v0, -1
	s_wait_alu 0xf1ff
	v_cndmask_b32_e64 v4, 0, 1, s20
	v_not_b32_e32 v8, v1
	v_cmp_gt_i32_e64 s21, 0, v1
	v_not_b32_e32 v1, v2
	v_lshlrev_b32_e32 v6, 26, v23
	v_cmp_ne_u32_e64 s20, 0, v4
	v_ashrrev_i32_e32 v8, 31, v8
	v_lshlrev_b32_e32 v7, 25, v23
	v_ashrrev_i32_e32 v1, 31, v1
	v_lshlrev_b32_e32 v4, 24, v23
	s_wait_alu 0xf1ff
	v_xor_b32_e32 v0, s20, v0
	v_cmp_gt_i32_e64 s20, 0, v2
	v_not_b32_e32 v2, v3
	v_xor_b32_e32 v8, s21, v8
	v_cmp_gt_i32_e64 s21, 0, v3
	v_and_b32_e32 v0, exec_lo, v0
	v_not_b32_e32 v3, v5
	v_ashrrev_i32_e32 v2, 31, v2
	s_wait_alu 0xf1ff
	v_xor_b32_e32 v1, s20, v1
	v_cmp_gt_i32_e64 s20, 0, v5
	v_and_b32_e32 v0, v0, v8
	v_not_b32_e32 v5, v6
	v_ashrrev_i32_e32 v3, 31, v3
	v_xor_b32_e32 v2, s21, v2
	v_cmp_gt_i32_e64 s21, 0, v6
	v_and_b32_e32 v0, v0, v1
	v_not_b32_e32 v1, v7
	v_ashrrev_i32_e32 v5, 31, v5
	s_wait_alu 0xf1ff
	v_xor_b32_e32 v3, s20, v3
	v_cmp_gt_i32_e64 s20, 0, v7
	v_and_b32_e32 v0, v0, v2
	v_not_b32_e32 v2, v4
	v_ashrrev_i32_e32 v1, 31, v1
	v_xor_b32_e32 v5, s21, v5
	v_cmp_gt_i32_e64 s21, 0, v4
	v_and_b32_e32 v0, v0, v3
	v_ashrrev_i32_e32 v2, 31, v2
	s_wait_alu 0xf1ff
	v_xor_b32_e32 v1, s20, v1
	v_dual_mov_b32 v17, s24 :: v_dual_mov_b32 v18, s25
	v_and_b32_e32 v0, v0, v5
	v_xor_b32_e32 v16, s21, v2
	ds_load_2addr_b64 v[4:7], v48 offset1:32
	v_dual_mov_b32 v19, s26 :: v_dual_mov_b32 v20, s27
	v_and_b32_e32 v21, v0, v1
	ds_load_2addr_b64 v[12:15], v48 offset0:64 offset1:96
	ds_load_2addr_b64 v[8:11], v48 offset0:128 offset1:160
	;; [unrolled: 1-line block ×3, first 2 shown]
	v_lshl_add_u32 v38, v23, 5, v24
	s_wait_loadcnt_dscnt 0x0
	s_barrier_signal -1
	v_and_b32_e32 v16, v21, v16
	s_barrier_wait -1
	global_inv scope:SCOPE_SE
	ds_store_b128 v67, v[17:20] offset:32
	ds_store_b128 v67, v[17:20] offset:48
	s_wait_loadcnt_dscnt 0x0
	v_mbcnt_lo_u32_b32 v33, v16, 0
	v_cmp_ne_u32_e64 s21, 0, v16
	s_barrier_signal -1
	s_barrier_wait -1
	global_inv scope:SCOPE_SE
	v_cmp_eq_u32_e64 s20, 0, v33
	; wave barrier
	s_and_b32 s21, s21, s20
	s_wait_alu 0xfffe
	s_and_saveexec_b32 s20, s21
; %bb.109:
	v_bcnt_u32_b32 v16, v16, 0
	ds_store_b32 v38, v16 offset:32
; %bb.110:
	s_wait_alu 0xfffe
	s_or_b32 exec_lo, exec_lo, s20
	v_lshrrev_b16 v16, 8, v27
	v_cmp_ne_u16_e64 s20, 0x8000, v27
	; wave barrier
	s_wait_alu 0xf1ff
	s_delay_alu instid0(VALU_DEP_1) | instskip(NEXT) | instid1(VALU_DEP_1)
	v_cndmask_b32_e64 v16, 0x7f, v16, s20
	v_and_b32_e32 v16, s23, v16
	s_delay_alu instid0(VALU_DEP_1)
	v_and_b32_e32 v17, 1, v16
	v_lshlrev_b32_e32 v18, 30, v16
	v_lshlrev_b32_e32 v19, 29, v16
	;; [unrolled: 1-line block ×4, first 2 shown]
	v_add_co_u32 v17, s20, v17, -1
	s_wait_alu 0xf1ff
	v_cndmask_b32_e64 v21, 0, 1, s20
	v_not_b32_e32 v40, v18
	v_cmp_gt_i32_e64 s21, 0, v18
	v_not_b32_e32 v18, v19
	v_lshlrev_b32_e32 v23, 26, v16
	v_cmp_ne_u32_e64 s20, 0, v21
	v_ashrrev_i32_e32 v40, 31, v40
	v_lshlrev_b32_e32 v39, 25, v16
	v_ashrrev_i32_e32 v18, 31, v18
	v_lshlrev_b32_e32 v21, 24, v16
	s_wait_alu 0xf1ff
	v_xor_b32_e32 v17, s20, v17
	v_cmp_gt_i32_e64 s20, 0, v19
	v_not_b32_e32 v19, v20
	v_xor_b32_e32 v40, s21, v40
	v_cmp_gt_i32_e64 s21, 0, v20
	v_and_b32_e32 v17, exec_lo, v17
	v_not_b32_e32 v20, v22
	v_ashrrev_i32_e32 v19, 31, v19
	s_wait_alu 0xf1ff
	v_xor_b32_e32 v18, s20, v18
	v_cmp_gt_i32_e64 s20, 0, v22
	v_and_b32_e32 v17, v17, v40
	v_not_b32_e32 v22, v23
	v_ashrrev_i32_e32 v20, 31, v20
	v_xor_b32_e32 v19, s21, v19
	v_cmp_gt_i32_e64 s21, 0, v23
	v_and_b32_e32 v17, v17, v18
	v_not_b32_e32 v18, v39
	v_ashrrev_i32_e32 v22, 31, v22
	s_wait_alu 0xf1ff
	v_xor_b32_e32 v20, s20, v20
	v_cmp_gt_i32_e64 s20, 0, v39
	v_and_b32_e32 v17, v17, v19
	v_not_b32_e32 v19, v21
	v_ashrrev_i32_e32 v18, 31, v18
	v_xor_b32_e32 v22, s21, v22
	v_cmp_gt_i32_e64 s21, 0, v21
	v_and_b32_e32 v17, v17, v20
	v_ashrrev_i32_e32 v19, 31, v19
	s_wait_alu 0xf1ff
	v_xor_b32_e32 v18, s20, v18
	v_lshl_add_u32 v47, v16, 5, v24
	v_and_b32_e32 v17, v17, v22
	v_xor_b32_e32 v16, s21, v19
	ds_load_b32 v39, v47 offset:32
	v_and_b32_e32 v17, v17, v18
	; wave barrier
	s_delay_alu instid0(VALU_DEP_1) | instskip(NEXT) | instid1(VALU_DEP_1)
	v_and_b32_e32 v16, v17, v16
	v_mbcnt_lo_u32_b32 v40, v16, 0
	v_cmp_ne_u32_e64 s21, 0, v16
	s_delay_alu instid0(VALU_DEP_2)
	v_cmp_eq_u32_e64 s20, 0, v40
	s_and_b32 s21, s21, s20
	s_wait_alu 0xfffe
	s_and_saveexec_b32 s20, s21
	s_cbranch_execz .LBB251_112
; %bb.111:
	s_wait_dscnt 0x0
	v_bcnt_u32_b32 v16, v16, v39
	ds_store_b32 v47, v16 offset:32
.LBB251_112:
	s_wait_alu 0xfffe
	s_or_b32 exec_lo, exec_lo, s20
	v_lshrrev_b16 v16, 8, v28
	v_cmp_ne_u16_e64 s20, 0x8000, v28
	; wave barrier
	s_wait_alu 0xf1ff
	s_delay_alu instid0(VALU_DEP_1) | instskip(NEXT) | instid1(VALU_DEP_1)
	v_cndmask_b32_e64 v16, 0x7f, v16, s20
	v_and_b32_e32 v16, s23, v16
	s_delay_alu instid0(VALU_DEP_1)
	v_and_b32_e32 v17, 1, v16
	v_lshlrev_b32_e32 v18, 30, v16
	v_lshlrev_b32_e32 v19, 29, v16
	;; [unrolled: 1-line block ×4, first 2 shown]
	v_add_co_u32 v17, s20, v17, -1
	s_wait_alu 0xf1ff
	v_cndmask_b32_e64 v21, 0, 1, s20
	v_not_b32_e32 v49, v18
	v_cmp_gt_i32_e64 s21, 0, v18
	v_not_b32_e32 v18, v19
	v_lshlrev_b32_e32 v23, 26, v16
	v_cmp_ne_u32_e64 s20, 0, v21
	v_ashrrev_i32_e32 v49, 31, v49
	v_lshlrev_b32_e32 v48, 25, v16
	v_ashrrev_i32_e32 v18, 31, v18
	v_lshlrev_b32_e32 v21, 24, v16
	s_wait_alu 0xf1ff
	v_xor_b32_e32 v17, s20, v17
	v_cmp_gt_i32_e64 s20, 0, v19
	v_not_b32_e32 v19, v20
	v_xor_b32_e32 v49, s21, v49
	v_cmp_gt_i32_e64 s21, 0, v20
	v_and_b32_e32 v17, exec_lo, v17
	v_not_b32_e32 v20, v22
	v_ashrrev_i32_e32 v19, 31, v19
	s_wait_alu 0xf1ff
	v_xor_b32_e32 v18, s20, v18
	v_cmp_gt_i32_e64 s20, 0, v22
	v_and_b32_e32 v17, v17, v49
	v_not_b32_e32 v22, v23
	v_ashrrev_i32_e32 v20, 31, v20
	v_xor_b32_e32 v19, s21, v19
	v_cmp_gt_i32_e64 s21, 0, v23
	v_and_b32_e32 v17, v17, v18
	v_not_b32_e32 v18, v48
	v_ashrrev_i32_e32 v22, 31, v22
	s_wait_alu 0xf1ff
	v_xor_b32_e32 v20, s20, v20
	v_cmp_gt_i32_e64 s20, 0, v48
	v_and_b32_e32 v17, v17, v19
	v_not_b32_e32 v19, v21
	v_ashrrev_i32_e32 v18, 31, v18
	v_xor_b32_e32 v22, s21, v22
	v_cmp_gt_i32_e64 s21, 0, v21
	v_and_b32_e32 v17, v17, v20
	v_ashrrev_i32_e32 v19, 31, v19
	s_wait_alu 0xf1ff
	v_xor_b32_e32 v18, s20, v18
	v_lshl_add_u32 v50, v16, 5, v24
	v_and_b32_e32 v17, v17, v22
	v_xor_b32_e32 v16, s21, v19
	ds_load_b32 v48, v50 offset:32
	v_and_b32_e32 v17, v17, v18
	; wave barrier
	s_delay_alu instid0(VALU_DEP_1) | instskip(NEXT) | instid1(VALU_DEP_1)
	v_and_b32_e32 v16, v17, v16
	v_mbcnt_lo_u32_b32 v49, v16, 0
	v_cmp_ne_u32_e64 s21, 0, v16
	s_delay_alu instid0(VALU_DEP_2)
	v_cmp_eq_u32_e64 s20, 0, v49
	s_and_b32 s21, s21, s20
	s_wait_alu 0xfffe
	s_and_saveexec_b32 s20, s21
	s_cbranch_execz .LBB251_114
; %bb.113:
	s_wait_dscnt 0x0
	v_bcnt_u32_b32 v16, v16, v48
	ds_store_b32 v50, v16 offset:32
.LBB251_114:
	s_wait_alu 0xfffe
	s_or_b32 exec_lo, exec_lo, s20
	v_lshrrev_b16 v16, 8, v29
	v_cmp_ne_u16_e64 s20, 0x8000, v29
	; wave barrier
	s_wait_alu 0xf1ff
	s_delay_alu instid0(VALU_DEP_1) | instskip(NEXT) | instid1(VALU_DEP_1)
	v_cndmask_b32_e64 v16, 0x7f, v16, s20
	v_and_b32_e32 v16, s23, v16
	s_delay_alu instid0(VALU_DEP_1)
	v_and_b32_e32 v17, 1, v16
	v_lshlrev_b32_e32 v18, 30, v16
	v_lshlrev_b32_e32 v19, 29, v16
	v_lshlrev_b32_e32 v20, 28, v16
	v_lshlrev_b32_e32 v22, 27, v16
	v_add_co_u32 v17, s20, v17, -1
	s_wait_alu 0xf1ff
	v_cndmask_b32_e64 v21, 0, 1, s20
	v_not_b32_e32 v69, v18
	v_cmp_gt_i32_e64 s21, 0, v18
	v_not_b32_e32 v18, v19
	v_lshlrev_b32_e32 v23, 26, v16
	v_cmp_ne_u32_e64 s20, 0, v21
	v_ashrrev_i32_e32 v69, 31, v69
	v_lshlrev_b32_e32 v68, 25, v16
	v_ashrrev_i32_e32 v18, 31, v18
	v_lshlrev_b32_e32 v21, 24, v16
	s_wait_alu 0xf1ff
	v_xor_b32_e32 v17, s20, v17
	v_cmp_gt_i32_e64 s20, 0, v19
	v_not_b32_e32 v19, v20
	v_xor_b32_e32 v69, s21, v69
	v_cmp_gt_i32_e64 s21, 0, v20
	v_and_b32_e32 v17, exec_lo, v17
	v_not_b32_e32 v20, v22
	v_ashrrev_i32_e32 v19, 31, v19
	s_wait_alu 0xf1ff
	v_xor_b32_e32 v18, s20, v18
	v_cmp_gt_i32_e64 s20, 0, v22
	v_and_b32_e32 v17, v17, v69
	v_not_b32_e32 v22, v23
	v_ashrrev_i32_e32 v20, 31, v20
	v_xor_b32_e32 v19, s21, v19
	v_cmp_gt_i32_e64 s21, 0, v23
	v_and_b32_e32 v17, v17, v18
	v_not_b32_e32 v18, v68
	v_ashrrev_i32_e32 v22, 31, v22
	s_wait_alu 0xf1ff
	v_xor_b32_e32 v20, s20, v20
	v_cmp_gt_i32_e64 s20, 0, v68
	v_and_b32_e32 v17, v17, v19
	v_not_b32_e32 v19, v21
	v_ashrrev_i32_e32 v18, 31, v18
	v_xor_b32_e32 v22, s21, v22
	v_cmp_gt_i32_e64 s21, 0, v21
	v_and_b32_e32 v17, v17, v20
	v_ashrrev_i32_e32 v19, 31, v19
	s_wait_alu 0xf1ff
	v_xor_b32_e32 v18, s20, v18
	v_lshl_add_u32 v70, v16, 5, v24
	v_and_b32_e32 v17, v17, v22
	v_xor_b32_e32 v16, s21, v19
	ds_load_b32 v68, v70 offset:32
	v_and_b32_e32 v17, v17, v18
	; wave barrier
	s_delay_alu instid0(VALU_DEP_1) | instskip(NEXT) | instid1(VALU_DEP_1)
	v_and_b32_e32 v16, v17, v16
	v_mbcnt_lo_u32_b32 v69, v16, 0
	v_cmp_ne_u32_e64 s21, 0, v16
	s_delay_alu instid0(VALU_DEP_2)
	v_cmp_eq_u32_e64 s20, 0, v69
	s_and_b32 s21, s21, s20
	s_wait_alu 0xfffe
	s_and_saveexec_b32 s20, s21
	s_cbranch_execz .LBB251_116
; %bb.115:
	s_wait_dscnt 0x0
	v_bcnt_u32_b32 v16, v16, v68
	ds_store_b32 v70, v16 offset:32
.LBB251_116:
	s_wait_alu 0xfffe
	s_or_b32 exec_lo, exec_lo, s20
	v_lshrrev_b16 v16, 8, v30
	v_cmp_ne_u16_e64 s20, 0x8000, v30
	; wave barrier
	s_wait_alu 0xf1ff
	s_delay_alu instid0(VALU_DEP_1) | instskip(NEXT) | instid1(VALU_DEP_1)
	v_cndmask_b32_e64 v16, 0x7f, v16, s20
	v_and_b32_e32 v16, s23, v16
	s_delay_alu instid0(VALU_DEP_1)
	v_and_b32_e32 v17, 1, v16
	v_lshlrev_b32_e32 v18, 30, v16
	v_lshlrev_b32_e32 v19, 29, v16
	;; [unrolled: 1-line block ×4, first 2 shown]
	v_add_co_u32 v17, s20, v17, -1
	s_wait_alu 0xf1ff
	v_cndmask_b32_e64 v21, 0, 1, s20
	v_not_b32_e32 v72, v18
	v_cmp_gt_i32_e64 s21, 0, v18
	v_not_b32_e32 v18, v19
	v_lshlrev_b32_e32 v23, 26, v16
	v_cmp_ne_u32_e64 s20, 0, v21
	v_ashrrev_i32_e32 v72, 31, v72
	v_lshlrev_b32_e32 v71, 25, v16
	v_ashrrev_i32_e32 v18, 31, v18
	v_lshlrev_b32_e32 v21, 24, v16
	s_wait_alu 0xf1ff
	v_xor_b32_e32 v17, s20, v17
	v_cmp_gt_i32_e64 s20, 0, v19
	v_not_b32_e32 v19, v20
	v_xor_b32_e32 v72, s21, v72
	v_cmp_gt_i32_e64 s21, 0, v20
	v_and_b32_e32 v17, exec_lo, v17
	v_not_b32_e32 v20, v22
	v_ashrrev_i32_e32 v19, 31, v19
	s_wait_alu 0xf1ff
	v_xor_b32_e32 v18, s20, v18
	v_cmp_gt_i32_e64 s20, 0, v22
	v_and_b32_e32 v17, v17, v72
	v_not_b32_e32 v22, v23
	v_ashrrev_i32_e32 v20, 31, v20
	v_xor_b32_e32 v19, s21, v19
	v_cmp_gt_i32_e64 s21, 0, v23
	v_and_b32_e32 v17, v17, v18
	v_not_b32_e32 v18, v71
	v_ashrrev_i32_e32 v22, 31, v22
	s_wait_alu 0xf1ff
	v_xor_b32_e32 v20, s20, v20
	v_cmp_gt_i32_e64 s20, 0, v71
	v_and_b32_e32 v17, v17, v19
	v_not_b32_e32 v19, v21
	v_ashrrev_i32_e32 v18, 31, v18
	v_xor_b32_e32 v22, s21, v22
	v_cmp_gt_i32_e64 s21, 0, v21
	v_and_b32_e32 v17, v17, v20
	v_ashrrev_i32_e32 v19, 31, v19
	s_wait_alu 0xf1ff
	v_xor_b32_e32 v18, s20, v18
	v_lshl_add_u32 v73, v16, 5, v24
	v_and_b32_e32 v17, v17, v22
	v_xor_b32_e32 v16, s21, v19
	ds_load_b32 v71, v73 offset:32
	v_and_b32_e32 v17, v17, v18
	; wave barrier
	s_delay_alu instid0(VALU_DEP_1) | instskip(NEXT) | instid1(VALU_DEP_1)
	v_and_b32_e32 v16, v17, v16
	v_mbcnt_lo_u32_b32 v72, v16, 0
	v_cmp_ne_u32_e64 s21, 0, v16
	s_delay_alu instid0(VALU_DEP_2)
	v_cmp_eq_u32_e64 s20, 0, v72
	s_and_b32 s21, s21, s20
	s_wait_alu 0xfffe
	s_and_saveexec_b32 s20, s21
	s_cbranch_execz .LBB251_118
; %bb.117:
	s_wait_dscnt 0x0
	v_bcnt_u32_b32 v16, v16, v71
	ds_store_b32 v73, v16 offset:32
.LBB251_118:
	s_wait_alu 0xfffe
	s_or_b32 exec_lo, exec_lo, s20
	v_lshrrev_b16 v16, 8, v31
	v_cmp_ne_u16_e64 s20, 0x8000, v31
	; wave barrier
	s_wait_alu 0xf1ff
	s_delay_alu instid0(VALU_DEP_1) | instskip(NEXT) | instid1(VALU_DEP_1)
	v_cndmask_b32_e64 v16, 0x7f, v16, s20
	v_and_b32_e32 v16, s23, v16
	s_delay_alu instid0(VALU_DEP_1)
	v_and_b32_e32 v17, 1, v16
	v_lshlrev_b32_e32 v18, 30, v16
	v_lshlrev_b32_e32 v19, 29, v16
	;; [unrolled: 1-line block ×4, first 2 shown]
	v_add_co_u32 v17, s20, v17, -1
	s_wait_alu 0xf1ff
	v_cndmask_b32_e64 v21, 0, 1, s20
	v_not_b32_e32 v75, v18
	v_cmp_gt_i32_e64 s21, 0, v18
	v_not_b32_e32 v18, v19
	v_lshlrev_b32_e32 v23, 26, v16
	v_cmp_ne_u32_e64 s20, 0, v21
	v_ashrrev_i32_e32 v75, 31, v75
	v_lshlrev_b32_e32 v74, 25, v16
	v_ashrrev_i32_e32 v18, 31, v18
	v_lshlrev_b32_e32 v21, 24, v16
	s_wait_alu 0xf1ff
	v_xor_b32_e32 v17, s20, v17
	v_cmp_gt_i32_e64 s20, 0, v19
	v_not_b32_e32 v19, v20
	v_xor_b32_e32 v75, s21, v75
	v_cmp_gt_i32_e64 s21, 0, v20
	v_and_b32_e32 v17, exec_lo, v17
	v_not_b32_e32 v20, v22
	v_ashrrev_i32_e32 v19, 31, v19
	s_wait_alu 0xf1ff
	v_xor_b32_e32 v18, s20, v18
	v_cmp_gt_i32_e64 s20, 0, v22
	v_and_b32_e32 v17, v17, v75
	v_not_b32_e32 v22, v23
	v_ashrrev_i32_e32 v20, 31, v20
	v_xor_b32_e32 v19, s21, v19
	v_cmp_gt_i32_e64 s21, 0, v23
	v_and_b32_e32 v17, v17, v18
	v_not_b32_e32 v18, v74
	v_ashrrev_i32_e32 v22, 31, v22
	s_wait_alu 0xf1ff
	v_xor_b32_e32 v20, s20, v20
	v_cmp_gt_i32_e64 s20, 0, v74
	v_and_b32_e32 v17, v17, v19
	v_not_b32_e32 v19, v21
	v_ashrrev_i32_e32 v18, 31, v18
	v_xor_b32_e32 v22, s21, v22
	v_cmp_gt_i32_e64 s21, 0, v21
	v_and_b32_e32 v17, v17, v20
	v_ashrrev_i32_e32 v19, 31, v19
	s_wait_alu 0xf1ff
	v_xor_b32_e32 v18, s20, v18
	v_lshl_add_u32 v76, v16, 5, v24
	v_and_b32_e32 v17, v17, v22
	v_xor_b32_e32 v16, s21, v19
	ds_load_b32 v74, v76 offset:32
	v_and_b32_e32 v17, v17, v18
	; wave barrier
	s_delay_alu instid0(VALU_DEP_1) | instskip(NEXT) | instid1(VALU_DEP_1)
	v_and_b32_e32 v16, v17, v16
	v_mbcnt_lo_u32_b32 v75, v16, 0
	v_cmp_ne_u32_e64 s21, 0, v16
	s_delay_alu instid0(VALU_DEP_2)
	v_cmp_eq_u32_e64 s20, 0, v75
	s_and_b32 s21, s21, s20
	s_wait_alu 0xfffe
	s_and_saveexec_b32 s20, s21
	s_cbranch_execz .LBB251_120
; %bb.119:
	s_wait_dscnt 0x0
	v_bcnt_u32_b32 v16, v16, v74
	ds_store_b32 v76, v16 offset:32
.LBB251_120:
	s_wait_alu 0xfffe
	s_or_b32 exec_lo, exec_lo, s20
	v_lshrrev_b16 v16, 8, v32
	v_cmp_ne_u16_e64 s20, 0x8000, v32
	; wave barrier
	s_wait_alu 0xf1ff
	s_delay_alu instid0(VALU_DEP_1) | instskip(NEXT) | instid1(VALU_DEP_1)
	v_cndmask_b32_e64 v16, 0x7f, v16, s20
	v_and_b32_e32 v16, s23, v16
	s_delay_alu instid0(VALU_DEP_1)
	v_and_b32_e32 v17, 1, v16
	v_lshlrev_b32_e32 v18, 30, v16
	v_lshlrev_b32_e32 v19, 29, v16
	;; [unrolled: 1-line block ×4, first 2 shown]
	v_add_co_u32 v17, s20, v17, -1
	s_wait_alu 0xf1ff
	v_cndmask_b32_e64 v21, 0, 1, s20
	v_not_b32_e32 v78, v18
	v_cmp_gt_i32_e64 s21, 0, v18
	v_not_b32_e32 v18, v19
	v_lshlrev_b32_e32 v23, 26, v16
	v_cmp_ne_u32_e64 s20, 0, v21
	v_ashrrev_i32_e32 v78, 31, v78
	v_lshlrev_b32_e32 v77, 25, v16
	v_ashrrev_i32_e32 v18, 31, v18
	v_lshlrev_b32_e32 v21, 24, v16
	s_wait_alu 0xf1ff
	v_xor_b32_e32 v17, s20, v17
	v_cmp_gt_i32_e64 s20, 0, v19
	v_not_b32_e32 v19, v20
	v_xor_b32_e32 v78, s21, v78
	v_cmp_gt_i32_e64 s21, 0, v20
	v_and_b32_e32 v17, exec_lo, v17
	v_not_b32_e32 v20, v22
	v_ashrrev_i32_e32 v19, 31, v19
	s_wait_alu 0xf1ff
	v_xor_b32_e32 v18, s20, v18
	v_cmp_gt_i32_e64 s20, 0, v22
	v_and_b32_e32 v17, v17, v78
	v_not_b32_e32 v22, v23
	v_ashrrev_i32_e32 v20, 31, v20
	v_xor_b32_e32 v19, s21, v19
	v_cmp_gt_i32_e64 s21, 0, v23
	v_and_b32_e32 v17, v17, v18
	v_not_b32_e32 v18, v77
	v_ashrrev_i32_e32 v22, 31, v22
	s_wait_alu 0xf1ff
	v_xor_b32_e32 v20, s20, v20
	v_cmp_gt_i32_e64 s20, 0, v77
	v_and_b32_e32 v17, v17, v19
	v_not_b32_e32 v19, v21
	v_ashrrev_i32_e32 v18, 31, v18
	v_xor_b32_e32 v22, s21, v22
	v_cmp_gt_i32_e64 s21, 0, v21
	v_and_b32_e32 v17, v17, v20
	v_ashrrev_i32_e32 v19, 31, v19
	s_wait_alu 0xf1ff
	v_xor_b32_e32 v18, s20, v18
	v_lshl_add_u32 v79, v16, 5, v24
	v_and_b32_e32 v17, v17, v22
	v_xor_b32_e32 v16, s21, v19
	ds_load_b32 v77, v79 offset:32
	v_and_b32_e32 v17, v17, v18
	; wave barrier
	s_delay_alu instid0(VALU_DEP_1) | instskip(NEXT) | instid1(VALU_DEP_1)
	v_and_b32_e32 v16, v17, v16
	v_mbcnt_lo_u32_b32 v78, v16, 0
	v_cmp_ne_u32_e64 s21, 0, v16
	s_delay_alu instid0(VALU_DEP_2)
	v_cmp_eq_u32_e64 s20, 0, v78
	s_and_b32 s21, s21, s20
	s_wait_alu 0xfffe
	s_and_saveexec_b32 s20, s21
	s_cbranch_execz .LBB251_122
; %bb.121:
	s_wait_dscnt 0x0
	v_bcnt_u32_b32 v16, v16, v77
	ds_store_b32 v79, v16 offset:32
.LBB251_122:
	s_wait_alu 0xfffe
	s_or_b32 exec_lo, exec_lo, s20
	v_lshrrev_b16 v16, 8, v25
	v_cmp_ne_u16_e64 s20, 0x8000, v25
	; wave barrier
	s_wait_alu 0xf1ff
	s_delay_alu instid0(VALU_DEP_1) | instskip(NEXT) | instid1(VALU_DEP_1)
	v_cndmask_b32_e64 v16, 0x7f, v16, s20
	v_and_b32_e32 v16, s23, v16
	s_delay_alu instid0(VALU_DEP_1)
	v_and_b32_e32 v17, 1, v16
	v_lshlrev_b32_e32 v18, 30, v16
	v_lshlrev_b32_e32 v19, 29, v16
	;; [unrolled: 1-line block ×4, first 2 shown]
	v_add_co_u32 v17, s20, v17, -1
	s_wait_alu 0xf1ff
	v_cndmask_b32_e64 v21, 0, 1, s20
	v_not_b32_e32 v81, v18
	v_cmp_gt_i32_e64 s21, 0, v18
	v_not_b32_e32 v18, v19
	v_lshlrev_b32_e32 v23, 26, v16
	v_cmp_ne_u32_e64 s20, 0, v21
	v_ashrrev_i32_e32 v81, 31, v81
	v_lshlrev_b32_e32 v80, 25, v16
	v_ashrrev_i32_e32 v18, 31, v18
	v_lshlrev_b32_e32 v21, 24, v16
	s_wait_alu 0xf1ff
	v_xor_b32_e32 v17, s20, v17
	v_cmp_gt_i32_e64 s20, 0, v19
	v_not_b32_e32 v19, v20
	v_xor_b32_e32 v81, s21, v81
	v_cmp_gt_i32_e64 s21, 0, v20
	v_and_b32_e32 v17, exec_lo, v17
	v_not_b32_e32 v20, v22
	v_ashrrev_i32_e32 v19, 31, v19
	s_wait_alu 0xf1ff
	v_xor_b32_e32 v18, s20, v18
	v_cmp_gt_i32_e64 s20, 0, v22
	v_and_b32_e32 v17, v17, v81
	v_not_b32_e32 v22, v23
	v_ashrrev_i32_e32 v20, 31, v20
	v_xor_b32_e32 v19, s21, v19
	v_cmp_gt_i32_e64 s21, 0, v23
	v_and_b32_e32 v17, v17, v18
	v_not_b32_e32 v18, v80
	v_ashrrev_i32_e32 v22, 31, v22
	s_wait_alu 0xf1ff
	v_xor_b32_e32 v20, s20, v20
	v_cmp_gt_i32_e64 s20, 0, v80
	v_and_b32_e32 v17, v17, v19
	v_not_b32_e32 v19, v21
	v_ashrrev_i32_e32 v18, 31, v18
	v_xor_b32_e32 v22, s21, v22
	v_cmp_gt_i32_e64 s21, 0, v21
	v_and_b32_e32 v17, v17, v20
	v_ashrrev_i32_e32 v19, 31, v19
	s_wait_alu 0xf1ff
	v_xor_b32_e32 v18, s20, v18
	v_lshl_add_u32 v81, v16, 5, v24
	v_and_b32_e32 v17, v17, v22
	v_xor_b32_e32 v16, s21, v19
	ds_load_b32 v24, v81 offset:32
	v_and_b32_e32 v17, v17, v18
	; wave barrier
	s_delay_alu instid0(VALU_DEP_1) | instskip(NEXT) | instid1(VALU_DEP_1)
	v_and_b32_e32 v16, v17, v16
	v_mbcnt_lo_u32_b32 v80, v16, 0
	v_cmp_ne_u32_e64 s21, 0, v16
	s_delay_alu instid0(VALU_DEP_2)
	v_cmp_eq_u32_e64 s20, 0, v80
	s_and_b32 s21, s21, s20
	s_wait_alu 0xfffe
	s_and_saveexec_b32 s20, s21
	s_cbranch_execz .LBB251_124
; %bb.123:
	s_wait_dscnt 0x0
	v_bcnt_u32_b32 v16, v16, v24
	ds_store_b32 v81, v16 offset:32
.LBB251_124:
	s_wait_alu 0xfffe
	s_or_b32 exec_lo, exec_lo, s20
	; wave barrier
	s_wait_loadcnt_dscnt 0x0
	s_barrier_signal -1
	s_barrier_wait -1
	global_inv scope:SCOPE_SE
	ds_load_b128 v[20:23], v67 offset:32
	ds_load_b128 v[16:19], v67 offset:48
	s_wait_dscnt 0x1
	v_add_nc_u32_e32 v82, v21, v20
	s_delay_alu instid0(VALU_DEP_1) | instskip(SKIP_1) | instid1(VALU_DEP_1)
	v_add3_u32 v82, v82, v22, v23
	s_wait_dscnt 0x0
	v_add3_u32 v82, v82, v16, v17
	s_delay_alu instid0(VALU_DEP_1) | instskip(NEXT) | instid1(VALU_DEP_1)
	v_add3_u32 v19, v82, v18, v19
	v_mov_b32_dpp v82, v19 row_shr:1 row_mask:0xf bank_mask:0xf
	s_delay_alu instid0(VALU_DEP_1) | instskip(NEXT) | instid1(VALU_DEP_1)
	v_cndmask_b32_e64 v82, v82, 0, s9
	v_add_nc_u32_e32 v19, v82, v19
	s_delay_alu instid0(VALU_DEP_1) | instskip(NEXT) | instid1(VALU_DEP_1)
	v_mov_b32_dpp v82, v19 row_shr:2 row_mask:0xf bank_mask:0xf
	v_cndmask_b32_e64 v82, 0, v82, s11
	s_delay_alu instid0(VALU_DEP_1) | instskip(NEXT) | instid1(VALU_DEP_1)
	v_add_nc_u32_e32 v19, v19, v82
	v_mov_b32_dpp v82, v19 row_shr:4 row_mask:0xf bank_mask:0xf
	s_delay_alu instid0(VALU_DEP_1) | instskip(NEXT) | instid1(VALU_DEP_1)
	v_cndmask_b32_e64 v82, 0, v82, s12
	v_add_nc_u32_e32 v19, v19, v82
	s_delay_alu instid0(VALU_DEP_1) | instskip(NEXT) | instid1(VALU_DEP_1)
	v_mov_b32_dpp v82, v19 row_shr:8 row_mask:0xf bank_mask:0xf
	v_cndmask_b32_e64 v82, 0, v82, s14
	s_delay_alu instid0(VALU_DEP_1) | instskip(SKIP_3) | instid1(VALU_DEP_1)
	v_add_nc_u32_e32 v19, v19, v82
	ds_swizzle_b32 v82, v19 offset:swizzle(BROADCAST,32,15)
	s_wait_dscnt 0x0
	v_cndmask_b32_e64 v82, v82, 0, s17
	v_add_nc_u32_e32 v19, v19, v82
	s_and_saveexec_b32 s9, s15
; %bb.125:
	ds_store_b32 v35, v19
; %bb.126:
	s_wait_alu 0xfffe
	s_or_b32 exec_lo, exec_lo, s9
	s_wait_loadcnt_dscnt 0x0
	s_barrier_signal -1
	s_barrier_wait -1
	global_inv scope:SCOPE_SE
	s_and_saveexec_b32 s9, s16
	s_cbranch_execz .LBB251_128
; %bb.127:
	ds_load_b32 v35, v34
	s_wait_dscnt 0x0
	v_mov_b32_dpp v82, v35 row_shr:1 row_mask:0xf bank_mask:0xf
	s_delay_alu instid0(VALU_DEP_1) | instskip(NEXT) | instid1(VALU_DEP_1)
	v_cndmask_b32_e64 v82, v82, 0, s13
	v_add_nc_u32_e32 v35, v82, v35
	s_delay_alu instid0(VALU_DEP_1) | instskip(NEXT) | instid1(VALU_DEP_1)
	v_mov_b32_dpp v82, v35 row_shr:2 row_mask:0xf bank_mask:0xf
	v_cndmask_b32_e64 v82, 0, v82, s10
	s_delay_alu instid0(VALU_DEP_1) | instskip(NEXT) | instid1(VALU_DEP_1)
	v_add_nc_u32_e32 v35, v35, v82
	v_mov_b32_dpp v82, v35 row_shr:4 row_mask:0xf bank_mask:0xf
	s_wait_alu 0xfffd
	s_delay_alu instid0(VALU_DEP_1) | instskip(NEXT) | instid1(VALU_DEP_1)
	v_cndmask_b32_e32 v82, 0, v82, vcc_lo
	v_add_nc_u32_e32 v35, v35, v82
	ds_store_b32 v34, v35
.LBB251_128:
	s_wait_alu 0xfffe
	s_or_b32 exec_lo, exec_lo, s9
	v_mov_b32_e32 v34, 0
	s_wait_loadcnt_dscnt 0x0
	s_barrier_signal -1
	s_barrier_wait -1
	global_inv scope:SCOPE_SE
	s_and_saveexec_b32 s9, s18
; %bb.129:
	ds_load_b32 v34, v36
; %bb.130:
	s_wait_alu 0xfffe
	s_or_b32 exec_lo, exec_lo, s9
	s_wait_dscnt 0x0
	v_add_nc_u32_e32 v19, v34, v19
	ds_bpermute_b32 v19, v37, v19
	s_wait_dscnt 0x0
	v_cndmask_b32_e64 v19, v19, v34, s1
	s_delay_alu instid0(VALU_DEP_1) | instskip(NEXT) | instid1(VALU_DEP_1)
	v_cndmask_b32_e64 v19, v19, 0, s19
	v_add_nc_u32_e32 v20, v19, v20
	s_delay_alu instid0(VALU_DEP_1) | instskip(NEXT) | instid1(VALU_DEP_1)
	v_add_nc_u32_e32 v21, v20, v21
	v_add_nc_u32_e32 v22, v21, v22
	s_delay_alu instid0(VALU_DEP_1) | instskip(NEXT) | instid1(VALU_DEP_1)
	v_add_nc_u32_e32 v34, v22, v23
	;; [unrolled: 3-line block ×3, first 2 shown]
	v_add_nc_u32_e32 v37, v36, v18
	ds_store_b128 v67, v[19:22] offset:32
	ds_store_b128 v67, v[34:37] offset:48
	s_wait_loadcnt_dscnt 0x0
	s_barrier_signal -1
	s_barrier_wait -1
	global_inv scope:SCOPE_SE
	ds_load_b32 v16, v81 offset:32
	ds_load_b32 v17, v79 offset:32
	;; [unrolled: 1-line block ×8, first 2 shown]
	v_lshlrev_b32_e32 v34, 1, v66
	s_wait_loadcnt_dscnt 0x0
	s_barrier_signal -1
	s_barrier_wait -1
	global_inv scope:SCOPE_SE
	v_mad_u32_u24 v37, v46, 48, v34
	v_add3_u32 v35, v80, v24, v16
	v_add3_u32 v36, v78, v77, v17
	v_add3_u32 v38, v75, v74, v18
	v_add_nc_u32_e32 v24, v19, v33
	v_add3_u32 v33, v40, v39, v20
	v_add3_u32 v39, v49, v48, v21
	;; [unrolled: 1-line block ×4, first 2 shown]
	v_lshlrev_b32_e32 v16, 1, v24
	v_lshlrev_b32_e32 v17, 1, v33
	;; [unrolled: 1-line block ×8, first 2 shown]
	ds_store_b16 v16, v26
	ds_store_b16 v17, v27
	;; [unrolled: 1-line block ×8, first 2 shown]
	v_mad_co_u64_u32 v[24:25], null, v24, 6, v[16:17]
	v_mad_co_u64_u32 v[16:17], null, v33, 6, v[17:18]
	;; [unrolled: 1-line block ×7, first 2 shown]
	s_wait_loadcnt_dscnt 0x0
	s_barrier_signal -1
	s_barrier_wait -1
	global_inv scope:SCOPE_SE
	v_mad_co_u64_u32 v[22:23], null, v35, 6, v[23:24]
	ds_load_b128 v[33:36], v34
	s_wait_loadcnt_dscnt 0x0
	s_barrier_signal -1
	s_barrier_wait -1
	global_inv scope:SCOPE_SE
	ds_store_b64 v24, v[4:5]
	ds_store_b64 v16, v[6:7]
	;; [unrolled: 1-line block ×8, first 2 shown]
	s_wait_loadcnt_dscnt 0x0
	s_barrier_signal -1
	s_barrier_wait -1
	global_inv scope:SCOPE_SE
	ds_load_b128 v[29:32], v37
	ds_load_b128 v[25:28], v37 offset:16
	ds_load_b128 v[21:24], v37 offset:32
	;; [unrolled: 1-line block ×3, first 2 shown]
	v_cmp_gt_i16_e32 vcc_lo, 0, v33
	v_lshrrev_b32_e32 v0, 16, v33
	v_lshrrev_b32_e32 v2, 16, v34
	;; [unrolled: 1-line block ×4, first 2 shown]
	s_wait_alu 0xfffd
	v_cndmask_b32_e64 v1, 0x7fff, 0, vcc_lo
	v_cmp_gt_i16_e32 vcc_lo, 0, v34
	s_wait_alu 0xfffd
	v_cndmask_b32_e64 v3, 0x7fff, 0, vcc_lo
	v_cmp_gt_i16_e32 vcc_lo, 0, v35
	;; [unrolled: 3-line block ×5, first 2 shown]
	s_delay_alu instid0(VALU_DEP_2) | instskip(SKIP_3) | instid1(VALU_DEP_3)
	v_perm_b32 v0, v0, v1, 0x5040100
	s_wait_alu 0xfffd
	v_cndmask_b32_e64 v2, 0x7fff, 0, vcc_lo
	v_cmp_gt_i16_e32 vcc_lo, 0, v4
	v_xor_b32_e32 v0, v0, v33
	s_delay_alu instid0(VALU_DEP_3) | instskip(SKIP_3) | instid1(VALU_DEP_3)
	v_perm_b32 v1, v2, v3, 0x5040100
	s_wait_alu 0xfffd
	v_cndmask_b32_e64 v4, 0x7fff, 0, vcc_lo
	v_cmp_gt_i16_e32 vcc_lo, 0, v6
	v_xor_b32_e32 v34, v1, v34
	s_delay_alu instid0(VALU_DEP_3) | instskip(SKIP_2) | instid1(VALU_DEP_2)
	v_perm_b32 v2, v4, v5, 0x5040100
	s_wait_alu 0xfffd
	v_cndmask_b32_e64 v6, 0x7fff, 0, vcc_lo
	v_xor_b32_e32 v33, v2, v35
	s_delay_alu instid0(VALU_DEP_2) | instskip(NEXT) | instid1(VALU_DEP_1)
	v_perm_b32 v3, v6, v7, 0x5040100
	v_xor_b32_e32 v35, v3, v36
.LBB251_131:
	s_wait_loadcnt_dscnt 0x0
	s_barrier_signal -1
	s_barrier_wait -1
	global_inv scope:SCOPE_SE
	ds_store_2addr_b32 v58, v0, v34 offset1:1
	ds_store_2addr_b32 v58, v33, v35 offset0:2 offset1:3
	s_wait_loadcnt_dscnt 0x0
	s_barrier_signal -1
	s_barrier_wait -1
	global_inv scope:SCOPE_SE
	ds_load_u16 v8, v45 offset:512
	ds_load_u16 v7, v52 offset:1024
	;; [unrolled: 1-line block ×7, first 2 shown]
	v_mov_b32_e32 v45, 0
	s_delay_alu instid0(VALU_DEP_1) | instskip(NEXT) | instid1(VALU_DEP_1)
	v_lshlrev_b64_e32 v[0:1], 1, v[44:45]
	v_add_co_u32 v0, vcc_lo, s30, v0
	s_wait_alu 0xfffd
	s_delay_alu instid0(VALU_DEP_2)
	v_add_co_ci_u32_e64 v1, null, s31, v1, vcc_lo
	s_and_saveexec_b32 s1, s2
	s_cbranch_execnz .LBB251_150
; %bb.132:
	s_wait_alu 0xfffe
	s_or_b32 exec_lo, exec_lo, s1
	s_and_saveexec_b32 s1, s3
	s_cbranch_execnz .LBB251_151
.LBB251_133:
	s_wait_alu 0xfffe
	s_or_b32 exec_lo, exec_lo, s1
	s_and_saveexec_b32 s1, s4
	s_cbranch_execnz .LBB251_152
.LBB251_134:
	s_wait_alu 0xfffe
	s_or_b32 exec_lo, exec_lo, s1
	s_and_saveexec_b32 s1, s5
	s_cbranch_execnz .LBB251_153
.LBB251_135:
	s_wait_alu 0xfffe
	s_or_b32 exec_lo, exec_lo, s1
	s_and_saveexec_b32 s1, s6
	s_cbranch_execnz .LBB251_154
.LBB251_136:
	s_wait_alu 0xfffe
	s_or_b32 exec_lo, exec_lo, s1
	s_and_saveexec_b32 s1, s7
	s_cbranch_execnz .LBB251_155
.LBB251_137:
	s_wait_alu 0xfffe
	s_or_b32 exec_lo, exec_lo, s1
	s_and_saveexec_b32 s1, s8
	s_cbranch_execnz .LBB251_156
.LBB251_138:
	s_wait_alu 0xfffe
	s_or_b32 exec_lo, exec_lo, s1
	s_and_saveexec_b32 s1, s0
	s_cbranch_execz .LBB251_140
.LBB251_139:
	s_mul_i32 s10, s22, 0x700
	s_mov_b32 s11, 0
	s_wait_alu 0xfffe
	s_lshl_b64 s[10:11], s[10:11], 1
	s_wait_alu 0xfffe
	v_add_co_u32 v0, vcc_lo, v0, s10
	s_wait_alu 0xfffd
	v_add_co_ci_u32_e64 v1, null, s11, v1, vcc_lo
	s_wait_dscnt 0x0
	global_store_b16 v[0:1], v2, off
.LBB251_140:
	s_wait_alu 0xfffe
	s_or_b32 exec_lo, exec_lo, s1
	s_wait_storecnt 0x0
	s_wait_loadcnt_dscnt 0x0
	s_barrier_signal -1
	s_barrier_wait -1
	global_inv scope:SCOPE_SE
	ds_store_2addr_b64 v65, v[29:30], v[31:32] offset1:1
	ds_store_2addr_b64 v65, v[25:26], v[27:28] offset0:2 offset1:3
	ds_store_2addr_b64 v65, v[21:22], v[23:24] offset0:4 offset1:5
	;; [unrolled: 1-line block ×3, first 2 shown]
	s_wait_loadcnt_dscnt 0x0
	s_barrier_signal -1
	s_barrier_wait -1
	global_inv scope:SCOPE_SE
	ds_load_b64 v[14:15], v60 offset:2048
	ds_load_b64 v[12:13], v61 offset:4096
	ds_load_b64 v[10:11], v62 offset:6144
	ds_load_b64 v[8:9], v42 offset:8192
	ds_load_b64 v[6:7], v43 offset:10240
	ds_load_b64 v[4:5], v63 offset:12288
	ds_load_b64 v[0:1], v64 offset:14336
	v_mov_b32_e32 v42, 0
	s_delay_alu instid0(VALU_DEP_1) | instskip(NEXT) | instid1(VALU_DEP_1)
	v_lshlrev_b64_e32 v[2:3], 3, v[41:42]
	v_add_co_u32 v2, vcc_lo, s34, v2
	s_wait_alu 0xfffd
	s_delay_alu instid0(VALU_DEP_2)
	v_add_co_ci_u32_e64 v3, null, s35, v3, vcc_lo
	s_and_saveexec_b32 s1, s2
	s_cbranch_execnz .LBB251_157
; %bb.141:
	s_wait_alu 0xfffe
	s_or_b32 exec_lo, exec_lo, s1
	s_and_saveexec_b32 s1, s3
	s_cbranch_execnz .LBB251_158
.LBB251_142:
	s_wait_alu 0xfffe
	s_or_b32 exec_lo, exec_lo, s1
	s_and_saveexec_b32 s1, s4
	s_cbranch_execnz .LBB251_159
.LBB251_143:
	s_wait_alu 0xfffe
	s_or_b32 exec_lo, exec_lo, s1
	s_and_saveexec_b32 s1, s5
	s_cbranch_execnz .LBB251_160
.LBB251_144:
	s_wait_alu 0xfffe
	s_or_b32 exec_lo, exec_lo, s1
	s_and_saveexec_b32 s1, s6
	s_cbranch_execnz .LBB251_161
.LBB251_145:
	s_wait_alu 0xfffe
	s_or_b32 exec_lo, exec_lo, s1
	s_and_saveexec_b32 s1, s7
	s_cbranch_execnz .LBB251_162
.LBB251_146:
	s_wait_alu 0xfffe
	s_or_b32 exec_lo, exec_lo, s1
	s_and_saveexec_b32 s1, s8
	s_cbranch_execnz .LBB251_163
.LBB251_147:
	s_wait_alu 0xfffe
	s_or_b32 exec_lo, exec_lo, s1
	s_and_saveexec_b32 s1, s0
	s_cbranch_execz .LBB251_149
.LBB251_148:
	s_mul_i32 s0, s28, 0x700
	s_mov_b32 s1, 0
	s_wait_alu 0xfffe
	s_lshl_b64 s[0:1], s[0:1], 3
	s_wait_alu 0xfffe
	v_add_co_u32 v2, vcc_lo, v2, s0
	s_wait_alu 0xfffd
	v_add_co_ci_u32_e64 v3, null, s1, v3, vcc_lo
	s_wait_dscnt 0x0
	global_store_b64 v[2:3], v[0:1], off
.LBB251_149:
	s_nop 0
	s_sendmsg sendmsg(MSG_DEALLOC_VGPRS)
	s_endpgm
.LBB251_150:
	ds_load_u16 v9, v51
	s_wait_dscnt 0x0
	global_store_b16 v[0:1], v9, off
	s_wait_alu 0xfffe
	s_or_b32 exec_lo, exec_lo, s1
	s_and_saveexec_b32 s1, s3
	s_cbranch_execz .LBB251_133
.LBB251_151:
	s_lshl_b32 s10, s22, 8
	s_mov_b32 s11, 0
	s_wait_alu 0xfffe
	s_lshl_b64 s[10:11], s[10:11], 1
	s_wait_alu 0xfffe
	v_add_co_u32 v9, vcc_lo, v0, s10
	s_wait_alu 0xfffd
	v_add_co_ci_u32_e64 v10, null, s11, v1, vcc_lo
	s_wait_dscnt 0x6
	global_store_b16 v[9:10], v8, off
	s_or_b32 exec_lo, exec_lo, s1
	s_and_saveexec_b32 s1, s4
	s_cbranch_execz .LBB251_134
.LBB251_152:
	s_lshl_b32 s10, s22, 9
	s_mov_b32 s11, 0
	s_wait_alu 0xfffe
	s_lshl_b64 s[10:11], s[10:11], 1
	s_wait_dscnt 0x6
	s_wait_alu 0xfffe
	v_add_co_u32 v8, vcc_lo, v0, s10
	s_wait_alu 0xfffd
	v_add_co_ci_u32_e64 v9, null, s11, v1, vcc_lo
	s_wait_dscnt 0x5
	global_store_b16 v[8:9], v7, off
	s_or_b32 exec_lo, exec_lo, s1
	s_and_saveexec_b32 s1, s5
	s_cbranch_execz .LBB251_135
.LBB251_153:
	s_mul_i32 s10, s22, 0x300
	s_mov_b32 s11, 0
	s_wait_alu 0xfffe
	s_lshl_b64 s[10:11], s[10:11], 1
	s_wait_dscnt 0x5
	s_wait_alu 0xfffe
	v_add_co_u32 v7, vcc_lo, v0, s10
	s_wait_alu 0xfffd
	v_add_co_ci_u32_e64 v8, null, s11, v1, vcc_lo
	s_wait_dscnt 0x4
	global_store_b16 v[7:8], v6, off
	s_or_b32 exec_lo, exec_lo, s1
	s_and_saveexec_b32 s1, s6
	s_cbranch_execz .LBB251_136
.LBB251_154:
	s_lshl_b32 s10, s22, 10
	s_mov_b32 s11, 0
	s_wait_alu 0xfffe
	s_lshl_b64 s[10:11], s[10:11], 1
	s_wait_dscnt 0x4
	s_wait_alu 0xfffe
	v_add_co_u32 v6, vcc_lo, v0, s10
	s_wait_alu 0xfffd
	v_add_co_ci_u32_e64 v7, null, s11, v1, vcc_lo
	s_wait_dscnt 0x3
	global_store_b16 v[6:7], v5, off
	s_or_b32 exec_lo, exec_lo, s1
	s_and_saveexec_b32 s1, s7
	s_cbranch_execz .LBB251_137
.LBB251_155:
	s_mul_i32 s10, s22, 0x500
	s_mov_b32 s11, 0
	s_wait_alu 0xfffe
	s_lshl_b64 s[10:11], s[10:11], 1
	s_wait_dscnt 0x3
	s_wait_alu 0xfffe
	v_add_co_u32 v5, vcc_lo, v0, s10
	s_wait_alu 0xfffd
	v_add_co_ci_u32_e64 v6, null, s11, v1, vcc_lo
	s_wait_dscnt 0x2
	global_store_b16 v[5:6], v4, off
	s_or_b32 exec_lo, exec_lo, s1
	s_and_saveexec_b32 s1, s8
	s_cbranch_execz .LBB251_138
.LBB251_156:
	s_mul_i32 s10, s22, 0x600
	s_mov_b32 s11, 0
	s_wait_alu 0xfffe
	s_lshl_b64 s[10:11], s[10:11], 1
	s_wait_dscnt 0x2
	s_wait_alu 0xfffe
	v_add_co_u32 v4, vcc_lo, v0, s10
	s_wait_alu 0xfffd
	v_add_co_ci_u32_e64 v5, null, s11, v1, vcc_lo
	s_wait_dscnt 0x1
	global_store_b16 v[4:5], v3, off
	s_or_b32 exec_lo, exec_lo, s1
	s_and_saveexec_b32 s1, s0
	s_cbranch_execnz .LBB251_139
	s_branch .LBB251_140
.LBB251_157:
	ds_load_b64 v[16:17], v59
	s_wait_dscnt 0x0
	global_store_b64 v[2:3], v[16:17], off
	s_wait_alu 0xfffe
	s_or_b32 exec_lo, exec_lo, s1
	s_and_saveexec_b32 s1, s3
	s_cbranch_execz .LBB251_142
.LBB251_158:
	s_lshl_b32 s2, s28, 8
	s_mov_b32 s3, 0
	s_delay_alu instid0(SALU_CYCLE_1) | instskip(NEXT) | instid1(SALU_CYCLE_1)
	s_lshl_b64 s[2:3], s[2:3], 3
	v_add_co_u32 v16, vcc_lo, v2, s2
	s_wait_alu 0xfffd
	v_add_co_ci_u32_e64 v17, null, s3, v3, vcc_lo
	s_wait_dscnt 0x6
	global_store_b64 v[16:17], v[14:15], off
	s_wait_alu 0xfffe
	s_or_b32 exec_lo, exec_lo, s1
	s_and_saveexec_b32 s1, s4
	s_cbranch_execz .LBB251_143
.LBB251_159:
	s_lshl_b32 s2, s28, 9
	s_mov_b32 s3, 0
	s_wait_alu 0xfffe
	s_lshl_b64 s[2:3], s[2:3], 3
	s_wait_dscnt 0x6
	s_wait_alu 0xfffe
	v_add_co_u32 v14, vcc_lo, v2, s2
	s_wait_alu 0xfffd
	v_add_co_ci_u32_e64 v15, null, s3, v3, vcc_lo
	s_wait_dscnt 0x5
	global_store_b64 v[14:15], v[12:13], off
	s_or_b32 exec_lo, exec_lo, s1
	s_and_saveexec_b32 s1, s5
	s_cbranch_execz .LBB251_144
.LBB251_160:
	s_mul_i32 s2, s28, 0x300
	s_mov_b32 s3, 0
	s_wait_alu 0xfffe
	s_lshl_b64 s[2:3], s[2:3], 3
	s_wait_dscnt 0x5
	s_wait_alu 0xfffe
	v_add_co_u32 v12, vcc_lo, v2, s2
	s_wait_alu 0xfffd
	v_add_co_ci_u32_e64 v13, null, s3, v3, vcc_lo
	s_wait_dscnt 0x4
	global_store_b64 v[12:13], v[10:11], off
	s_or_b32 exec_lo, exec_lo, s1
	s_and_saveexec_b32 s1, s6
	s_cbranch_execz .LBB251_145
.LBB251_161:
	s_lshl_b32 s2, s28, 10
	s_mov_b32 s3, 0
	s_wait_alu 0xfffe
	s_lshl_b64 s[2:3], s[2:3], 3
	s_wait_dscnt 0x4
	s_wait_alu 0xfffe
	v_add_co_u32 v10, vcc_lo, v2, s2
	s_wait_alu 0xfffd
	v_add_co_ci_u32_e64 v11, null, s3, v3, vcc_lo
	s_wait_dscnt 0x3
	global_store_b64 v[10:11], v[8:9], off
	s_or_b32 exec_lo, exec_lo, s1
	s_and_saveexec_b32 s1, s7
	s_cbranch_execz .LBB251_146
.LBB251_162:
	s_mul_i32 s2, s28, 0x500
	s_mov_b32 s3, 0
	s_wait_alu 0xfffe
	s_lshl_b64 s[2:3], s[2:3], 3
	s_wait_dscnt 0x3
	s_wait_alu 0xfffe
	v_add_co_u32 v8, vcc_lo, v2, s2
	s_wait_alu 0xfffd
	v_add_co_ci_u32_e64 v9, null, s3, v3, vcc_lo
	s_wait_dscnt 0x2
	global_store_b64 v[8:9], v[6:7], off
	s_or_b32 exec_lo, exec_lo, s1
	s_and_saveexec_b32 s1, s8
	s_cbranch_execz .LBB251_147
.LBB251_163:
	s_mul_i32 s2, s28, 0x600
	s_mov_b32 s3, 0
	s_wait_alu 0xfffe
	s_lshl_b64 s[2:3], s[2:3], 3
	s_wait_dscnt 0x2
	s_wait_alu 0xfffe
	v_add_co_u32 v6, vcc_lo, v2, s2
	s_wait_alu 0xfffd
	v_add_co_ci_u32_e64 v7, null, s3, v3, vcc_lo
	s_wait_dscnt 0x1
	global_store_b64 v[6:7], v[4:5], off
	s_or_b32 exec_lo, exec_lo, s1
	s_and_saveexec_b32 s1, s0
	s_cbranch_execnz .LBB251_148
	s_branch .LBB251_149
	.section	.rodata,"a",@progbits
	.p2align	6, 0x0
	.amdhsa_kernel _ZN2at6native18radixSortKVInPlaceILin1ELin1ELi256ELi8EN3c108BFloat16EljEEvNS_4cuda6detail10TensorInfoIT3_T5_EES8_S8_S8_NS6_IT4_S8_EES8_b
		.amdhsa_group_segment_fixed_size 16896
		.amdhsa_private_segment_fixed_size 0
		.amdhsa_kernarg_size 712
		.amdhsa_user_sgpr_count 2
		.amdhsa_user_sgpr_dispatch_ptr 0
		.amdhsa_user_sgpr_queue_ptr 0
		.amdhsa_user_sgpr_kernarg_segment_ptr 1
		.amdhsa_user_sgpr_dispatch_id 0
		.amdhsa_user_sgpr_private_segment_size 0
		.amdhsa_wavefront_size32 1
		.amdhsa_uses_dynamic_stack 0
		.amdhsa_enable_private_segment 0
		.amdhsa_system_sgpr_workgroup_id_x 1
		.amdhsa_system_sgpr_workgroup_id_y 1
		.amdhsa_system_sgpr_workgroup_id_z 1
		.amdhsa_system_sgpr_workgroup_info 0
		.amdhsa_system_vgpr_workitem_id 2
		.amdhsa_next_free_vgpr 113
		.amdhsa_next_free_sgpr 38
		.amdhsa_reserve_vcc 1
		.amdhsa_float_round_mode_32 0
		.amdhsa_float_round_mode_16_64 0
		.amdhsa_float_denorm_mode_32 3
		.amdhsa_float_denorm_mode_16_64 3
		.amdhsa_fp16_overflow 0
		.amdhsa_workgroup_processor_mode 1
		.amdhsa_memory_ordered 1
		.amdhsa_forward_progress 1
		.amdhsa_inst_pref_size 182
		.amdhsa_round_robin_scheduling 0
		.amdhsa_exception_fp_ieee_invalid_op 0
		.amdhsa_exception_fp_denorm_src 0
		.amdhsa_exception_fp_ieee_div_zero 0
		.amdhsa_exception_fp_ieee_overflow 0
		.amdhsa_exception_fp_ieee_underflow 0
		.amdhsa_exception_fp_ieee_inexact 0
		.amdhsa_exception_int_div_zero 0
	.end_amdhsa_kernel
	.section	.text._ZN2at6native18radixSortKVInPlaceILin1ELin1ELi256ELi8EN3c108BFloat16EljEEvNS_4cuda6detail10TensorInfoIT3_T5_EES8_S8_S8_NS6_IT4_S8_EES8_b,"axG",@progbits,_ZN2at6native18radixSortKVInPlaceILin1ELin1ELi256ELi8EN3c108BFloat16EljEEvNS_4cuda6detail10TensorInfoIT3_T5_EES8_S8_S8_NS6_IT4_S8_EES8_b,comdat
.Lfunc_end251:
	.size	_ZN2at6native18radixSortKVInPlaceILin1ELin1ELi256ELi8EN3c108BFloat16EljEEvNS_4cuda6detail10TensorInfoIT3_T5_EES8_S8_S8_NS6_IT4_S8_EES8_b, .Lfunc_end251-_ZN2at6native18radixSortKVInPlaceILin1ELin1ELi256ELi8EN3c108BFloat16EljEEvNS_4cuda6detail10TensorInfoIT3_T5_EES8_S8_S8_NS6_IT4_S8_EES8_b
                                        ; -- End function
	.set _ZN2at6native18radixSortKVInPlaceILin1ELin1ELi256ELi8EN3c108BFloat16EljEEvNS_4cuda6detail10TensorInfoIT3_T5_EES8_S8_S8_NS6_IT4_S8_EES8_b.num_vgpr, 113
	.set _ZN2at6native18radixSortKVInPlaceILin1ELin1ELi256ELi8EN3c108BFloat16EljEEvNS_4cuda6detail10TensorInfoIT3_T5_EES8_S8_S8_NS6_IT4_S8_EES8_b.num_agpr, 0
	.set _ZN2at6native18radixSortKVInPlaceILin1ELin1ELi256ELi8EN3c108BFloat16EljEEvNS_4cuda6detail10TensorInfoIT3_T5_EES8_S8_S8_NS6_IT4_S8_EES8_b.numbered_sgpr, 38
	.set _ZN2at6native18radixSortKVInPlaceILin1ELin1ELi256ELi8EN3c108BFloat16EljEEvNS_4cuda6detail10TensorInfoIT3_T5_EES8_S8_S8_NS6_IT4_S8_EES8_b.num_named_barrier, 0
	.set _ZN2at6native18radixSortKVInPlaceILin1ELin1ELi256ELi8EN3c108BFloat16EljEEvNS_4cuda6detail10TensorInfoIT3_T5_EES8_S8_S8_NS6_IT4_S8_EES8_b.private_seg_size, 0
	.set _ZN2at6native18radixSortKVInPlaceILin1ELin1ELi256ELi8EN3c108BFloat16EljEEvNS_4cuda6detail10TensorInfoIT3_T5_EES8_S8_S8_NS6_IT4_S8_EES8_b.uses_vcc, 1
	.set _ZN2at6native18radixSortKVInPlaceILin1ELin1ELi256ELi8EN3c108BFloat16EljEEvNS_4cuda6detail10TensorInfoIT3_T5_EES8_S8_S8_NS6_IT4_S8_EES8_b.uses_flat_scratch, 0
	.set _ZN2at6native18radixSortKVInPlaceILin1ELin1ELi256ELi8EN3c108BFloat16EljEEvNS_4cuda6detail10TensorInfoIT3_T5_EES8_S8_S8_NS6_IT4_S8_EES8_b.has_dyn_sized_stack, 0
	.set _ZN2at6native18radixSortKVInPlaceILin1ELin1ELi256ELi8EN3c108BFloat16EljEEvNS_4cuda6detail10TensorInfoIT3_T5_EES8_S8_S8_NS6_IT4_S8_EES8_b.has_recursion, 0
	.set _ZN2at6native18radixSortKVInPlaceILin1ELin1ELi256ELi8EN3c108BFloat16EljEEvNS_4cuda6detail10TensorInfoIT3_T5_EES8_S8_S8_NS6_IT4_S8_EES8_b.has_indirect_call, 0
	.section	.AMDGPU.csdata,"",@progbits
; Kernel info:
; codeLenInByte = 23240
; TotalNumSgprs: 40
; NumVgprs: 113
; ScratchSize: 0
; MemoryBound: 0
; FloatMode: 240
; IeeeMode: 1
; LDSByteSize: 16896 bytes/workgroup (compile time only)
; SGPRBlocks: 0
; VGPRBlocks: 14
; NumSGPRsForWavesPerEU: 40
; NumVGPRsForWavesPerEU: 113
; Occupancy: 12
; WaveLimiterHint : 1
; COMPUTE_PGM_RSRC2:SCRATCH_EN: 0
; COMPUTE_PGM_RSRC2:USER_SGPR: 2
; COMPUTE_PGM_RSRC2:TRAP_HANDLER: 0
; COMPUTE_PGM_RSRC2:TGID_X_EN: 1
; COMPUTE_PGM_RSRC2:TGID_Y_EN: 1
; COMPUTE_PGM_RSRC2:TGID_Z_EN: 1
; COMPUTE_PGM_RSRC2:TIDIG_COMP_CNT: 2
	.section	.text._ZN2at6native18radixSortKVInPlaceILin1ELin1ELi128ELi8EN3c108BFloat16EljEEvNS_4cuda6detail10TensorInfoIT3_T5_EES8_S8_S8_NS6_IT4_S8_EES8_b,"axG",@progbits,_ZN2at6native18radixSortKVInPlaceILin1ELin1ELi128ELi8EN3c108BFloat16EljEEvNS_4cuda6detail10TensorInfoIT3_T5_EES8_S8_S8_NS6_IT4_S8_EES8_b,comdat
	.protected	_ZN2at6native18radixSortKVInPlaceILin1ELin1ELi128ELi8EN3c108BFloat16EljEEvNS_4cuda6detail10TensorInfoIT3_T5_EES8_S8_S8_NS6_IT4_S8_EES8_b ; -- Begin function _ZN2at6native18radixSortKVInPlaceILin1ELin1ELi128ELi8EN3c108BFloat16EljEEvNS_4cuda6detail10TensorInfoIT3_T5_EES8_S8_S8_NS6_IT4_S8_EES8_b
	.globl	_ZN2at6native18radixSortKVInPlaceILin1ELin1ELi128ELi8EN3c108BFloat16EljEEvNS_4cuda6detail10TensorInfoIT3_T5_EES8_S8_S8_NS6_IT4_S8_EES8_b
	.p2align	8
	.type	_ZN2at6native18radixSortKVInPlaceILin1ELin1ELi128ELi8EN3c108BFloat16EljEEvNS_4cuda6detail10TensorInfoIT3_T5_EES8_S8_S8_NS6_IT4_S8_EES8_b,@function
_ZN2at6native18radixSortKVInPlaceILin1ELin1ELi128ELi8EN3c108BFloat16EljEEvNS_4cuda6detail10TensorInfoIT3_T5_EES8_S8_S8_NS6_IT4_S8_EES8_b: ; @_ZN2at6native18radixSortKVInPlaceILin1ELin1ELi128ELi8EN3c108BFloat16EljEEvNS_4cuda6detail10TensorInfoIT3_T5_EES8_S8_S8_NS6_IT4_S8_EES8_b
; %bb.0:
	s_clause 0x1
	s_load_b64 s[2:3], s[0:1], 0x1c8
	s_load_b96 s[20:22], s[0:1], 0xd8
	s_lshr_b32 s4, ttmp7, 16
	s_wait_kmcnt 0x0
	s_mul_i32 s3, s3, s4
	s_and_b32 s4, ttmp7, 0xffff
	s_delay_alu instid0(SALU_CYCLE_1) | instskip(NEXT) | instid1(SALU_CYCLE_1)
	s_add_co_i32 s3, s3, s4
	s_mul_i32 s2, s3, s2
	s_delay_alu instid0(SALU_CYCLE_1) | instskip(NEXT) | instid1(SALU_CYCLE_1)
	s_add_co_i32 s13, s2, ttmp9
	s_cmp_ge_u32 s13, s20
	s_cbranch_scc1 .LBB252_149
; %bb.1:
	s_load_b32 s4, s[0:1], 0xd0
	s_mov_b32 s3, 0
	s_mov_b32 s2, s13
	s_wait_kmcnt 0x0
	s_cmp_lt_i32 s4, 2
	s_cbranch_scc1 .LBB252_4
; %bb.2:
	s_add_co_i32 s2, s4, -1
	s_delay_alu instid0(SALU_CYCLE_1)
	s_lshl_b64 s[6:7], s[2:3], 2
	s_mov_b32 s2, s13
	s_add_nc_u64 s[8:9], s[0:1], s[6:7]
	s_add_co_i32 s6, s4, 1
	s_add_nc_u64 s[4:5], s[8:9], 8
.LBB252_3:                              ; =>This Inner Loop Header: Depth=1
	s_clause 0x1
	s_load_b32 s7, s[4:5], 0x0
	s_load_b32 s8, s[4:5], 0x64
	s_mov_b32 s11, s2
	s_add_nc_u64 s[4:5], s[4:5], -4
	s_wait_kmcnt 0x0
	s_cvt_f32_u32 s9, s7
	s_sub_co_i32 s10, 0, s7
	s_wait_alu 0xfffe
	s_delay_alu instid0(SALU_CYCLE_1) | instskip(NEXT) | instid1(TRANS32_DEP_1)
	v_rcp_iflag_f32_e32 v1, s9
	v_readfirstlane_b32 s9, v1
	s_mul_f32 s9, s9, 0x4f7ffffe
	s_wait_alu 0xfffe
	s_delay_alu instid0(SALU_CYCLE_2) | instskip(SKIP_1) | instid1(SALU_CYCLE_2)
	s_cvt_u32_f32 s9, s9
	s_wait_alu 0xfffe
	s_mul_i32 s10, s10, s9
	s_delay_alu instid0(SALU_CYCLE_1) | instskip(NEXT) | instid1(SALU_CYCLE_1)
	s_mul_hi_u32 s10, s9, s10
	s_add_co_i32 s9, s9, s10
	s_wait_alu 0xfffe
	s_mul_hi_u32 s2, s2, s9
	s_delay_alu instid0(SALU_CYCLE_1)
	s_mul_i32 s9, s2, s7
	s_add_co_i32 s10, s2, 1
	s_wait_alu 0xfffe
	s_sub_co_i32 s9, s11, s9
	s_wait_alu 0xfffe
	s_sub_co_i32 s12, s9, s7
	s_cmp_ge_u32 s9, s7
	s_cselect_b32 s2, s10, s2
	s_cselect_b32 s9, s12, s9
	s_add_co_i32 s10, s2, 1
	s_wait_alu 0xfffe
	s_cmp_ge_u32 s9, s7
	s_cselect_b32 s2, s10, s2
	s_add_co_i32 s6, s6, -1
	s_mul_i32 s7, s2, s7
	s_delay_alu instid0(SALU_CYCLE_1) | instskip(NEXT) | instid1(SALU_CYCLE_1)
	s_sub_co_i32 s7, s11, s7
	s_mul_i32 s7, s8, s7
	s_delay_alu instid0(SALU_CYCLE_1)
	s_add_co_i32 s3, s7, s3
	s_cmp_gt_u32 s6, 2
	s_cbranch_scc1 .LBB252_3
.LBB252_4:
	s_load_b32 s4, s[0:1], 0x1b8
	s_add_nc_u64 s[36:37], s[0:1], 0x1c8
	s_mov_b32 s9, 0
	s_wait_kmcnt 0x0
	s_cmp_lt_i32 s4, 2
	s_cbranch_scc1 .LBB252_7
; %bb.5:
	s_add_co_i32 s8, s4, -1
	s_wait_alu 0xfffe
	s_lshl_b64 s[6:7], s[8:9], 2
	s_delay_alu instid0(SALU_CYCLE_1)
	s_add_nc_u64 s[10:11], s[0:1], s[6:7]
	s_add_co_i32 s6, s4, 1
	s_add_nc_u64 s[4:5], s[10:11], 0xf0
.LBB252_6:                              ; =>This Inner Loop Header: Depth=1
	s_clause 0x1
	s_load_b32 s7, s[4:5], 0x0
	s_load_b32 s8, s[4:5], 0x64
	s_mov_b32 s12, s13
	s_add_nc_u64 s[4:5], s[4:5], -4
	s_wait_kmcnt 0x0
	s_cvt_f32_u32 s10, s7
	s_sub_co_i32 s11, 0, s7
	s_wait_alu 0xfffe
	s_delay_alu instid0(SALU_CYCLE_1) | instskip(NEXT) | instid1(TRANS32_DEP_1)
	v_rcp_iflag_f32_e32 v1, s10
	v_readfirstlane_b32 s10, v1
	s_mul_f32 s10, s10, 0x4f7ffffe
	s_wait_alu 0xfffe
	s_delay_alu instid0(SALU_CYCLE_2) | instskip(SKIP_1) | instid1(SALU_CYCLE_2)
	s_cvt_u32_f32 s10, s10
	s_wait_alu 0xfffe
	s_mul_i32 s11, s11, s10
	s_wait_alu 0xfffe
	s_mul_hi_u32 s11, s10, s11
	s_wait_alu 0xfffe
	s_add_co_i32 s10, s10, s11
	s_wait_alu 0xfffe
	s_mul_hi_u32 s10, s13, s10
	s_wait_alu 0xfffe
	s_mul_i32 s11, s10, s7
	s_wait_alu 0xfffe
	s_sub_co_i32 s11, s13, s11
	s_add_co_i32 s13, s10, 1
	s_wait_alu 0xfffe
	s_sub_co_i32 s14, s11, s7
	s_cmp_ge_u32 s11, s7
	s_cselect_b32 s10, s13, s10
	s_cselect_b32 s11, s14, s11
	s_wait_alu 0xfffe
	s_add_co_i32 s13, s10, 1
	s_cmp_ge_u32 s11, s7
	s_cselect_b32 s13, s13, s10
	s_add_co_i32 s6, s6, -1
	s_mul_i32 s7, s13, s7
	s_delay_alu instid0(SALU_CYCLE_1) | instskip(NEXT) | instid1(SALU_CYCLE_1)
	s_sub_co_i32 s7, s12, s7
	s_mul_i32 s7, s8, s7
	s_delay_alu instid0(SALU_CYCLE_1)
	s_add_co_i32 s9, s7, s9
	s_cmp_gt_u32 s6, 2
	s_cbranch_scc1 .LBB252_6
.LBB252_7:
	s_clause 0x2
	s_load_b32 s4, s[0:1], 0x6c
	s_load_b64 s[28:29], s[0:1], 0x1c0
	s_load_b64 s[6:7], s[0:1], 0x0
	s_mov_b32 s5, 0
	s_wait_kmcnt 0x0
	s_mul_i32 s2, s4, s2
	s_delay_alu instid0(SALU_CYCLE_1) | instskip(SKIP_3) | instid1(SALU_CYCLE_1)
	s_add_co_i32 s4, s2, s3
	s_bitcmp1_b32 s29, 0
	s_mov_b32 s2, 0xffff
	s_cselect_b32 s12, -1, 0
	s_and_b32 s3, s12, exec_lo
	s_cselect_b32 s14, s2, 0x7fff
	s_delay_alu instid0(SALU_CYCLE_1) | instskip(SKIP_1) | instid1(SALU_CYCLE_1)
	v_dual_mov_b32 v1, s14 :: v_dual_and_b32 v46, 0x3ff, v0
	s_lshl_b64 s[4:5], s[4:5], 1
	s_add_nc_u64 s[30:31], s[6:7], s[4:5]
	s_delay_alu instid0(VALU_DEP_1)
	v_mul_lo_u32 v44, s22, v46
	v_cmp_gt_u32_e64 s2, s21, v46
	s_and_saveexec_b32 s3, s2
	s_cbranch_execz .LBB252_9
; %bb.8:
	v_mov_b32_e32 v45, 0
	s_delay_alu instid0(VALU_DEP_1) | instskip(NEXT) | instid1(VALU_DEP_1)
	v_lshlrev_b64_e32 v[1:2], 1, v[44:45]
	v_add_co_u32 v1, vcc_lo, s30, v1
	s_delay_alu instid0(VALU_DEP_1)
	v_add_co_ci_u32_e64 v2, null, s31, v2, vcc_lo
	global_load_u16 v1, v[1:2], off
.LBB252_9:
	s_or_b32 exec_lo, exec_lo, s3
	v_dual_mov_b32 v2, s14 :: v_dual_add_nc_u32 v15, 0x80, v46
	s_delay_alu instid0(VALU_DEP_1)
	v_cmp_gt_u32_e64 s3, s21, v15
	s_and_saveexec_b32 s4, s3
	s_cbranch_execz .LBB252_11
; %bb.10:
	v_mul_lo_u32 v2, s22, v15
	v_mov_b32_e32 v3, 0
	s_delay_alu instid0(VALU_DEP_1) | instskip(NEXT) | instid1(VALU_DEP_1)
	v_lshlrev_b64_e32 v[2:3], 1, v[2:3]
	v_add_co_u32 v2, vcc_lo, s30, v2
	s_wait_alu 0xfffd
	s_delay_alu instid0(VALU_DEP_2)
	v_add_co_ci_u32_e64 v3, null, s31, v3, vcc_lo
	global_load_u16 v2, v[2:3], off
.LBB252_11:
	s_or_b32 exec_lo, exec_lo, s4
	v_dual_mov_b32 v3, s14 :: v_dual_add_nc_u32 v16, 0x100, v46
	s_delay_alu instid0(VALU_DEP_1)
	v_cmp_gt_u32_e64 s4, s21, v16
	s_and_saveexec_b32 s5, s4
	s_cbranch_execz .LBB252_13
; %bb.12:
	v_mul_lo_u32 v3, s22, v16
	v_mov_b32_e32 v4, 0
	s_delay_alu instid0(VALU_DEP_1) | instskip(NEXT) | instid1(VALU_DEP_1)
	v_lshlrev_b64_e32 v[3:4], 1, v[3:4]
	v_add_co_u32 v3, vcc_lo, s30, v3
	s_wait_alu 0xfffd
	s_delay_alu instid0(VALU_DEP_2)
	v_add_co_ci_u32_e64 v4, null, s31, v4, vcc_lo
	global_load_u16 v3, v[3:4], off
.LBB252_13:
	;; [unrolled: 17-line block ×5, first 2 shown]
	s_wait_alu 0xfffe
	s_or_b32 exec_lo, exec_lo, s8
	v_dual_mov_b32 v7, s14 :: v_dual_add_nc_u32 v20, 0x300, v46
	s_delay_alu instid0(VALU_DEP_1)
	v_cmp_gt_u32_e64 s8, s21, v20
	s_and_saveexec_b32 s10, s8
	s_cbranch_execz .LBB252_21
; %bb.20:
	v_mul_lo_u32 v7, s22, v20
	v_mov_b32_e32 v8, 0
	s_delay_alu instid0(VALU_DEP_1) | instskip(NEXT) | instid1(VALU_DEP_1)
	v_lshlrev_b64_e32 v[7:8], 1, v[7:8]
	v_add_co_u32 v7, vcc_lo, s30, v7
	s_wait_alu 0xfffd
	s_delay_alu instid0(VALU_DEP_2)
	v_add_co_ci_u32_e64 v8, null, s31, v8, vcc_lo
	global_load_u16 v7, v[7:8], off
.LBB252_21:
	s_wait_alu 0xfffe
	s_or_b32 exec_lo, exec_lo, s10
	s_clause 0x1
	s_load_b32 s15, s[0:1], 0x154
	s_load_b64 s[10:11], s[0:1], 0xe8
	v_dual_mov_b32 v8, s14 :: v_dual_add_nc_u32 v21, 0x380, v46
	s_delay_alu instid0(VALU_DEP_1)
	v_cmp_gt_u32_e64 s0, s21, v21
	s_and_saveexec_b32 s1, s0
	s_cbranch_execz .LBB252_23
; %bb.22:
	v_mul_lo_u32 v8, s22, v21
	v_mov_b32_e32 v9, 0
	s_delay_alu instid0(VALU_DEP_1) | instskip(NEXT) | instid1(VALU_DEP_1)
	v_lshlrev_b64_e32 v[8:9], 1, v[8:9]
	v_add_co_u32 v8, vcc_lo, s30, v8
	s_wait_alu 0xfffd
	s_delay_alu instid0(VALU_DEP_2)
	v_add_co_ci_u32_e64 v9, null, s31, v9, vcc_lo
	global_load_u16 v8, v[8:9], off
.LBB252_23:
	s_or_b32 exec_lo, exec_lo, s1
	v_lshrrev_b32_e32 v9, 4, v46
	v_lshrrev_b32_e32 v10, 4, v15
	v_lshrrev_b32_e32 v11, 4, v16
	v_lshrrev_b32_e32 v13, 4, v17
	v_lshrrev_b32_e32 v14, 4, v21
	v_dual_mov_b32 v42, 0 :: v_dual_and_b32 v9, 60, v9
	v_lshlrev_b32_e32 v12, 1, v46
	v_and_b32_e32 v10, 0x7c, v10
	v_and_b32_e32 v11, 0x7c, v11
	s_wait_kmcnt 0x0
	s_mul_i32 s1, s15, s13
	v_mov_b32_e32 v43, v42
	v_add_nc_u32_e32 v51, v9, v12
	v_add_nc_u32_e32 v45, v10, v12
	;; [unrolled: 1-line block ×3, first 2 shown]
	v_and_b32_e32 v9, 0x7c, v13
	v_lshrrev_b32_e32 v10, 4, v18
	v_lshrrev_b32_e32 v11, 4, v19
	;; [unrolled: 1-line block ×3, first 2 shown]
	v_mul_lo_u32 v41, s28, v46
	v_add_nc_u32_e32 v53, v9, v12
	v_and_b32_e32 v9, 0x7c, v10
	v_and_b32_e32 v10, 0x7c, v11
	;; [unrolled: 1-line block ×4, first 2 shown]
	v_lshrrev_b32_e32 v14, 1, v46
	v_add_nc_u32_e32 v54, v9, v12
	v_add_nc_u32_e32 v55, v10, v12
	;; [unrolled: 1-line block ×4, first 2 shown]
	v_and_b32_e32 v9, 0x1fc, v14
	v_mov_b32_e32 v13, 0
	v_dual_mov_b32 v11, v42 :: v_dual_mov_b32 v12, v42
	v_mov_b32_e32 v14, 0
	s_delay_alu instid0(VALU_DEP_4)
	v_lshl_add_u32 v58, v46, 4, v9
	s_wait_loadcnt 0x0
	ds_store_b16 v51, v1
	ds_store_b16 v45, v2 offset:256
	ds_store_b16 v52, v3 offset:512
	;; [unrolled: 1-line block ×7, first 2 shown]
	s_wait_dscnt 0x0
	s_barrier_signal -1
	s_barrier_wait -1
	global_inv scope:SCOPE_SE
	ds_load_2addr_b32 v[49:50], v58 offset1:1
	ds_load_2addr_b32 v[47:48], v58 offset0:2 offset1:3
	s_add_co_i32 s14, s1, s9
	s_mov_b32 s15, 0
	v_dual_mov_b32 v9, v42 :: v_dual_mov_b32 v10, v42
	v_dual_mov_b32 v1, v42 :: v_dual_mov_b32 v2, v42
	;; [unrolled: 1-line block ×5, first 2 shown]
	s_wait_alu 0xfffe
	s_lshl_b64 s[14:15], s[14:15], 3
	s_wait_loadcnt_dscnt 0x0
	s_wait_alu 0xfffe
	s_add_nc_u64 s[34:35], s[10:11], s[14:15]
	s_barrier_signal -1
	s_barrier_wait -1
	global_inv scope:SCOPE_SE
	s_and_saveexec_b32 s1, s2
	s_cbranch_execnz .LBB252_79
; %bb.24:
	s_or_b32 exec_lo, exec_lo, s1
	s_and_saveexec_b32 s1, s3
	s_cbranch_execnz .LBB252_80
.LBB252_25:
	s_or_b32 exec_lo, exec_lo, s1
	s_and_saveexec_b32 s1, s4
	s_cbranch_execnz .LBB252_81
.LBB252_26:
	s_or_b32 exec_lo, exec_lo, s1
	s_and_saveexec_b32 s1, s5
	s_cbranch_execnz .LBB252_82
.LBB252_27:
	s_or_b32 exec_lo, exec_lo, s1
	s_and_saveexec_b32 s1, s6
	s_cbranch_execnz .LBB252_83
.LBB252_28:
	s_or_b32 exec_lo, exec_lo, s1
	s_and_saveexec_b32 s1, s7
	s_cbranch_execnz .LBB252_84
.LBB252_29:
	s_or_b32 exec_lo, exec_lo, s1
	s_and_saveexec_b32 s1, s8
	s_cbranch_execz .LBB252_31
.LBB252_30:
	v_mul_lo_u32 v5, s28, v20
	v_mov_b32_e32 v6, 0
	s_delay_alu instid0(VALU_DEP_1) | instskip(NEXT) | instid1(VALU_DEP_1)
	v_lshlrev_b64_e32 v[5:6], 3, v[5:6]
	v_add_co_u32 v5, vcc_lo, s34, v5
	s_wait_alu 0xfffd
	s_delay_alu instid0(VALU_DEP_2)
	v_add_co_ci_u32_e64 v6, null, s35, v6, vcc_lo
	global_load_b64 v[5:6], v[5:6], off
.LBB252_31:
	s_or_b32 exec_lo, exec_lo, s1
	v_lshrrev_b32_e32 v68, 5, v46
	v_lshrrev_b32_e32 v25, 5, v15
	;; [unrolled: 1-line block ×8, first 2 shown]
	v_lshlrev_b32_e32 v66, 3, v46
	v_lshrrev_b32_e32 v15, 2, v46
	s_xor_b32 s1, s12, -1
	s_and_saveexec_b32 s9, s0
	s_cbranch_execz .LBB252_33
; %bb.32:
	v_mul_lo_u32 v7, s28, v21
	v_mov_b32_e32 v8, 0
	s_delay_alu instid0(VALU_DEP_1) | instskip(NEXT) | instid1(VALU_DEP_1)
	v_lshlrev_b64_e32 v[7:8], 3, v[7:8]
	v_add_co_u32 v7, vcc_lo, s34, v7
	s_wait_alu 0xfffd
	s_delay_alu instid0(VALU_DEP_2)
	v_add_co_ci_u32_e64 v8, null, s35, v8, vcc_lo
	global_load_b64 v[7:8], v[7:8], off
.LBB252_33:
	s_wait_alu 0xfffe
	s_or_b32 exec_lo, exec_lo, s9
	v_lshl_add_u32 v59, v68, 3, v66
	v_lshl_add_u32 v60, v25, 3, v66
	;; [unrolled: 1-line block ×5, first 2 shown]
	s_wait_loadcnt 0x0
	ds_store_b64 v59, v[13:14]
	ds_store_b64 v60, v[42:43] offset:1024
	ds_store_b64 v61, v[9:10] offset:2048
	;; [unrolled: 1-line block ×3, first 2 shown]
	v_lshlrev_b32_e32 v9, 3, v66
	v_lshl_add_u32 v42, v22, 3, v66
	v_lshl_add_u32 v43, v18, 3, v66
	v_lshl_add_u32 v64, v16, 3, v66
	ds_store_b64 v42, v[1:2] offset:4096
	ds_store_b64 v43, v[3:4] offset:5120
	;; [unrolled: 1-line block ×4, first 2 shown]
	v_lshl_add_u32 v65, v15, 3, v9
	s_wait_dscnt 0x0
	s_barrier_signal -1
	s_barrier_wait -1
	global_inv scope:SCOPE_SE
	ds_load_2addr_b64 v[13:16], v65 offset1:1
	ds_load_2addr_b64 v[9:12], v65 offset0:2 offset1:3
	ds_load_2addr_b64 v[5:8], v65 offset0:4 offset1:5
	;; [unrolled: 1-line block ×3, first 2 shown]
	v_bfe_u32 v71, v0, 10, 10
	v_bfe_u32 v72, v0, 20, 10
	v_mbcnt_lo_u32_b32 v69, -1, 0
	v_and_b32_e32 v70, 0x3e0, v46
	v_lshlrev_b32_e32 v67, 2, v66
	s_and_b32 vcc_lo, exec_lo, s1
	s_wait_loadcnt_dscnt 0x0
	s_barrier_signal -1
	s_barrier_wait -1
	global_inv scope:SCOPE_SE
	s_wait_alu 0xfffe
	s_cbranch_vccz .LBB252_85
; %bb.34:
	v_pk_ashrrev_i16 v0, 15, v49 op_sel_hi:[0,1]
	v_pk_ashrrev_i16 v17, 15, v50 op_sel_hi:[0,1]
	;; [unrolled: 1-line block ×4, first 2 shown]
	v_or_b32_e32 v21, v69, v70
	v_or_b32_e32 v0, 0x80008000, v0
	v_or_b32_e32 v20, 0x80008000, v17
	v_or_b32_e32 v22, 0x80008000, v18
	v_or_b32_e32 v24, 0x80008000, v19
	v_and_or_b32 v84, 0x1f00, v66, v69
	s_mov_b32 s12, 0
	v_xor_b32_e32 v17, v0, v49
	v_xor_b32_e32 v18, v20, v50
	v_xor_b32_e32 v19, v22, v47
	v_xor_b32_e32 v20, v24, v48
	s_mov_b32 s13, s12
	s_mov_b32 s14, s12
	;; [unrolled: 1-line block ×3, first 2 shown]
	v_lshlrev_b32_e32 v23, 4, v21
	v_lshlrev_b32_e32 v73, 1, v84
	s_getpc_b64 s[10:11]
	s_wait_alu 0xfffe
	s_sext_i32_i16 s11, s11
	s_add_co_u32 s10, s10, _ZN7rocprim17ROCPRIM_400000_NS16block_radix_sortI12hip_bfloat16Lj128ELj8ElLj1ELj1ELj0ELNS0_26block_radix_rank_algorithmE1ELNS0_18block_padding_hintE2ELNS0_4arch9wavefront6targetE0EE19radix_bits_per_passE@rel32@lo+12
	s_wait_alu 0xfffe
	s_add_co_ci_u32 s11, s11, _ZN7rocprim17ROCPRIM_400000_NS16block_radix_sortI12hip_bfloat16Lj128ELj8ElLj1ELj1ELj0ELNS0_26block_radix_rank_algorithmE1ELNS0_18block_padding_hintE2ELNS0_4arch9wavefront6targetE0EE19radix_bits_per_passE@rel32@hi+24
	s_load_b32 s19, s[10:11], 0x0
	ds_store_b128 v23, v[17:20]
	; wave barrier
	ds_load_u16 v74, v73
	v_mad_u32_u24 v0, v21, 48, v23
	ds_load_u16 v75, v73 offset:64
	ds_load_u16 v76, v73 offset:128
	;; [unrolled: 1-line block ×7, first 2 shown]
	s_wait_loadcnt_dscnt 0x0
	s_barrier_signal -1
	s_barrier_wait -1
	global_inv scope:SCOPE_SE
	ds_store_b128 v0, v[13:16]
	ds_store_b128 v0, v[9:12] offset:16
	ds_store_b128 v0, v[5:8] offset:32
	;; [unrolled: 1-line block ×3, first 2 shown]
	v_mad_u32_u24 v29, v84, 6, v73
	; wave barrier
	s_wait_kmcnt 0x0
	s_min_u32 s1, s19, 16
	s_delay_alu instid0(SALU_CYCLE_1) | instskip(SKIP_4) | instid1(VALU_DEP_1)
	s_lshl_b32 s1, -1, s1
	v_cmp_ne_u16_e32 vcc_lo, 0x7fff, v74
	s_not_b32 s9, s1
	s_wait_alu 0xfffd
	v_cndmask_b32_e32 v17, 0xffff8000, v74, vcc_lo
	v_and_b32_e32 v17, 0xffff, v17
	s_wait_alu 0xfffe
	s_delay_alu instid0(VALU_DEP_1)
	v_and_b32_e32 v40, s9, v17
	ds_load_2addr_b64 v[17:20], v29 offset1:32
	ds_load_2addr_b64 v[25:28], v29 offset0:64 offset1:96
	ds_load_2addr_b64 v[21:24], v29 offset0:128 offset1:160
	;; [unrolled: 1-line block ×3, first 2 shown]
	s_wait_loadcnt_dscnt 0x0
	v_and_b32_e32 v0, 1, v40
	v_lshlrev_b32_e32 v33, 30, v40
	v_lshlrev_b32_e32 v36, 28, v40
	s_barrier_signal -1
	s_barrier_wait -1
	v_add_co_u32 v0, s1, v0, -1
	s_delay_alu instid0(VALU_DEP_1)
	v_cndmask_b32_e64 v34, 0, 1, s1
	v_not_b32_e32 v35, v33
	v_cmp_gt_i32_e64 s1, 0, v33
	global_inv scope:SCOPE_SE
	v_cmp_ne_u32_e32 vcc_lo, 0, v34
	v_lshlrev_b32_e32 v34, 29, v40
	v_ashrrev_i32_e32 v33, 31, v35
	s_wait_alu 0xfffd
	v_xor_b32_e32 v0, vcc_lo, v0
	s_delay_alu instid0(VALU_DEP_3)
	v_not_b32_e32 v35, v34
	s_wait_alu 0xf1ff
	v_xor_b32_e32 v33, s1, v33
	v_cmp_gt_i32_e32 vcc_lo, 0, v34
	s_load_b32 s1, s[36:37], 0xc
	v_and_b32_e32 v0, exec_lo, v0
	v_ashrrev_i32_e32 v34, 31, v35
	v_not_b32_e32 v35, v36
	s_delay_alu instid0(VALU_DEP_3) | instskip(SKIP_1) | instid1(VALU_DEP_4)
	v_and_b32_e32 v0, v0, v33
	v_lshlrev_b32_e32 v33, 27, v40
	v_xor_b32_e32 v34, vcc_lo, v34
	v_cmp_gt_i32_e32 vcc_lo, 0, v36
	v_ashrrev_i32_e32 v35, 31, v35
	s_delay_alu instid0(VALU_DEP_4) | instskip(NEXT) | instid1(VALU_DEP_4)
	v_not_b32_e32 v36, v33
	v_and_b32_e32 v0, v0, v34
	v_lshlrev_b32_e32 v34, 26, v40
	s_wait_alu 0xfffd
	v_xor_b32_e32 v35, vcc_lo, v35
	v_cmp_gt_i32_e32 vcc_lo, 0, v33
	v_ashrrev_i32_e32 v33, 31, v36
	v_not_b32_e32 v36, v34
	s_delay_alu instid0(VALU_DEP_4)
	v_and_b32_e32 v0, v0, v35
	v_lshlrev_b32_e32 v35, 25, v40
	s_wait_alu 0xfffd
	v_xor_b32_e32 v33, vcc_lo, v33
	v_cmp_gt_i32_e32 vcc_lo, 0, v34
	v_ashrrev_i32_e32 v34, 31, v36
	s_wait_kmcnt 0x0
	s_lshr_b32 s10, s1, 16
	v_not_b32_e32 v36, v35
	v_and_b32_e32 v0, v0, v33
	v_lshlrev_b32_e32 v33, 24, v40
	s_wait_alu 0xfffd
	v_xor_b32_e32 v34, vcc_lo, v34
	v_cmp_gt_i32_e32 vcc_lo, 0, v35
	v_ashrrev_i32_e32 v35, 31, v36
	s_wait_alu 0xfffe
	v_mad_u32_u24 v37, v72, s10, v71
	v_not_b32_e32 v36, v33
	v_and_b32_e32 v0, v0, v34
	s_and_b32 s1, s1, 0xffff
	s_wait_alu 0xfffd
	v_xor_b32_e32 v34, vcc_lo, v35
	v_cmp_gt_i32_e32 vcc_lo, 0, v33
	v_ashrrev_i32_e32 v33, 31, v36
	s_wait_alu 0xfffe
	v_mad_co_u64_u32 v[38:39], null, v37, s1, v[46:47]
	v_dual_mov_b32 v37, s15 :: v_dual_and_b32 v0, v0, v34
	s_wait_alu 0xfffd
	v_xor_b32_e32 v33, vcc_lo, v33
	v_dual_mov_b32 v36, s14 :: v_dual_mov_b32 v35, s13
	v_mov_b32_e32 v34, s12
	ds_store_b128 v67, v[34:37] offset:16
	ds_store_b128 v67, v[34:37] offset:32
	v_and_b32_e32 v33, v0, v33
	v_lshrrev_b32_e32 v0, 5, v38
	v_lshlrev_b32_e32 v34, 4, v40
	s_wait_loadcnt_dscnt 0x0
	s_barrier_signal -1
	v_mbcnt_lo_u32_b32 v86, v33, 0
	v_lshlrev_b32_e32 v0, 2, v0
	v_cmp_ne_u32_e64 s1, 0, v33
	s_barrier_wait -1
	global_inv scope:SCOPE_SE
	v_cmp_eq_u32_e32 vcc_lo, 0, v86
	v_add_nc_u32_e32 v87, v0, v34
	; wave barrier
	s_and_b32 s10, s1, vcc_lo
	s_wait_alu 0xfffe
	s_and_saveexec_b32 s1, s10
; %bb.35:
	v_bcnt_u32_b32 v33, v33, 0
	ds_store_b32 v87, v33 offset:16
; %bb.36:
	s_wait_alu 0xfffe
	s_or_b32 exec_lo, exec_lo, s1
	v_cmp_ne_u16_e32 vcc_lo, 0x7fff, v75
	; wave barrier
	s_wait_alu 0xfffd
	v_cndmask_b32_e32 v33, 0xffff8000, v75, vcc_lo
	s_delay_alu instid0(VALU_DEP_1) | instskip(NEXT) | instid1(VALU_DEP_1)
	v_and_b32_e32 v33, 0xffff, v33
	v_and_b32_e32 v33, s9, v33
	s_delay_alu instid0(VALU_DEP_1)
	v_and_b32_e32 v34, 1, v33
	v_lshlrev_b32_e32 v35, 30, v33
	v_lshlrev_b32_e32 v36, 29, v33
	;; [unrolled: 1-line block ×4, first 2 shown]
	v_add_co_u32 v34, s1, v34, -1
	s_wait_alu 0xf1ff
	v_cndmask_b32_e64 v38, 0, 1, s1
	v_not_b32_e32 v83, v35
	v_cmp_gt_i32_e64 s1, 0, v35
	v_not_b32_e32 v35, v36
	v_lshlrev_b32_e32 v40, 26, v33
	v_cmp_ne_u32_e32 vcc_lo, 0, v38
	v_ashrrev_i32_e32 v83, 31, v83
	v_lshlrev_b32_e32 v82, 25, v33
	v_ashrrev_i32_e32 v35, 31, v35
	v_lshlrev_b32_e32 v38, 24, v33
	s_wait_alu 0xfffd
	v_xor_b32_e32 v34, vcc_lo, v34
	v_cmp_gt_i32_e32 vcc_lo, 0, v36
	v_not_b32_e32 v36, v37
	s_wait_alu 0xf1ff
	v_xor_b32_e32 v83, s1, v83
	v_cmp_gt_i32_e64 s1, 0, v37
	v_and_b32_e32 v34, exec_lo, v34
	v_not_b32_e32 v37, v39
	v_ashrrev_i32_e32 v36, 31, v36
	s_wait_alu 0xfffd
	v_xor_b32_e32 v35, vcc_lo, v35
	v_cmp_gt_i32_e32 vcc_lo, 0, v39
	v_and_b32_e32 v34, v34, v83
	v_not_b32_e32 v39, v40
	v_ashrrev_i32_e32 v37, 31, v37
	s_wait_alu 0xf1ff
	v_xor_b32_e32 v36, s1, v36
	v_cmp_gt_i32_e64 s1, 0, v40
	v_and_b32_e32 v34, v34, v35
	v_not_b32_e32 v35, v82
	v_ashrrev_i32_e32 v39, 31, v39
	s_wait_alu 0xfffd
	v_xor_b32_e32 v37, vcc_lo, v37
	v_cmp_gt_i32_e32 vcc_lo, 0, v82
	v_and_b32_e32 v34, v34, v36
	v_not_b32_e32 v36, v38
	v_ashrrev_i32_e32 v35, 31, v35
	s_wait_alu 0xf1ff
	v_xor_b32_e32 v39, s1, v39
	v_lshlrev_b32_e32 v33, 4, v33
	v_and_b32_e32 v34, v34, v37
	v_cmp_gt_i32_e64 s1, 0, v38
	v_ashrrev_i32_e32 v36, 31, v36
	s_wait_alu 0xfffd
	v_xor_b32_e32 v35, vcc_lo, v35
	v_add_nc_u32_e32 v90, v0, v33
	v_and_b32_e32 v34, v34, v39
	s_wait_alu 0xf1ff
	v_xor_b32_e32 v33, s1, v36
	ds_load_b32 v88, v90 offset:16
	v_and_b32_e32 v34, v34, v35
	; wave barrier
	s_delay_alu instid0(VALU_DEP_1) | instskip(NEXT) | instid1(VALU_DEP_1)
	v_and_b32_e32 v33, v34, v33
	v_mbcnt_lo_u32_b32 v89, v33, 0
	v_cmp_ne_u32_e64 s1, 0, v33
	s_delay_alu instid0(VALU_DEP_2)
	v_cmp_eq_u32_e32 vcc_lo, 0, v89
	s_and_b32 s10, s1, vcc_lo
	s_wait_alu 0xfffe
	s_and_saveexec_b32 s1, s10
	s_cbranch_execz .LBB252_38
; %bb.37:
	s_wait_dscnt 0x0
	v_bcnt_u32_b32 v33, v33, v88
	ds_store_b32 v90, v33 offset:16
.LBB252_38:
	s_wait_alu 0xfffe
	s_or_b32 exec_lo, exec_lo, s1
	v_cmp_ne_u16_e32 vcc_lo, 0x7fff, v76
	; wave barrier
	s_wait_alu 0xfffd
	v_cndmask_b32_e32 v33, 0xffff8000, v76, vcc_lo
	s_delay_alu instid0(VALU_DEP_1) | instskip(NEXT) | instid1(VALU_DEP_1)
	v_and_b32_e32 v33, 0xffff, v33
	v_and_b32_e32 v33, s9, v33
	s_delay_alu instid0(VALU_DEP_1)
	v_and_b32_e32 v34, 1, v33
	v_lshlrev_b32_e32 v35, 30, v33
	v_lshlrev_b32_e32 v36, 29, v33
	;; [unrolled: 1-line block ×4, first 2 shown]
	v_add_co_u32 v34, s1, v34, -1
	s_wait_alu 0xf1ff
	v_cndmask_b32_e64 v38, 0, 1, s1
	v_not_b32_e32 v83, v35
	v_cmp_gt_i32_e64 s1, 0, v35
	v_not_b32_e32 v35, v36
	v_lshlrev_b32_e32 v40, 26, v33
	v_cmp_ne_u32_e32 vcc_lo, 0, v38
	v_ashrrev_i32_e32 v83, 31, v83
	v_lshlrev_b32_e32 v82, 25, v33
	v_ashrrev_i32_e32 v35, 31, v35
	v_lshlrev_b32_e32 v38, 24, v33
	s_wait_alu 0xfffd
	v_xor_b32_e32 v34, vcc_lo, v34
	v_cmp_gt_i32_e32 vcc_lo, 0, v36
	v_not_b32_e32 v36, v37
	s_wait_alu 0xf1ff
	v_xor_b32_e32 v83, s1, v83
	v_cmp_gt_i32_e64 s1, 0, v37
	v_and_b32_e32 v34, exec_lo, v34
	v_not_b32_e32 v37, v39
	v_ashrrev_i32_e32 v36, 31, v36
	s_wait_alu 0xfffd
	v_xor_b32_e32 v35, vcc_lo, v35
	v_cmp_gt_i32_e32 vcc_lo, 0, v39
	v_and_b32_e32 v34, v34, v83
	v_not_b32_e32 v39, v40
	v_ashrrev_i32_e32 v37, 31, v37
	s_wait_alu 0xf1ff
	v_xor_b32_e32 v36, s1, v36
	v_cmp_gt_i32_e64 s1, 0, v40
	v_and_b32_e32 v34, v34, v35
	v_not_b32_e32 v35, v82
	v_ashrrev_i32_e32 v39, 31, v39
	s_wait_alu 0xfffd
	v_xor_b32_e32 v37, vcc_lo, v37
	v_cmp_gt_i32_e32 vcc_lo, 0, v82
	v_and_b32_e32 v34, v34, v36
	v_not_b32_e32 v36, v38
	v_ashrrev_i32_e32 v35, 31, v35
	s_wait_alu 0xf1ff
	v_xor_b32_e32 v39, s1, v39
	v_lshlrev_b32_e32 v33, 4, v33
	v_and_b32_e32 v34, v34, v37
	v_cmp_gt_i32_e64 s1, 0, v38
	v_ashrrev_i32_e32 v36, 31, v36
	s_wait_alu 0xfffd
	v_xor_b32_e32 v35, vcc_lo, v35
	v_add_nc_u32_e32 v93, v0, v33
	v_and_b32_e32 v34, v34, v39
	s_wait_alu 0xf1ff
	v_xor_b32_e32 v33, s1, v36
	ds_load_b32 v91, v93 offset:16
	v_and_b32_e32 v34, v34, v35
	; wave barrier
	s_delay_alu instid0(VALU_DEP_1) | instskip(NEXT) | instid1(VALU_DEP_1)
	v_and_b32_e32 v33, v34, v33
	v_mbcnt_lo_u32_b32 v92, v33, 0
	v_cmp_ne_u32_e64 s1, 0, v33
	s_delay_alu instid0(VALU_DEP_2)
	v_cmp_eq_u32_e32 vcc_lo, 0, v92
	s_and_b32 s10, s1, vcc_lo
	s_wait_alu 0xfffe
	s_and_saveexec_b32 s1, s10
	s_cbranch_execz .LBB252_40
; %bb.39:
	s_wait_dscnt 0x0
	v_bcnt_u32_b32 v33, v33, v91
	ds_store_b32 v93, v33 offset:16
.LBB252_40:
	s_wait_alu 0xfffe
	s_or_b32 exec_lo, exec_lo, s1
	v_cmp_ne_u16_e32 vcc_lo, 0x7fff, v77
	; wave barrier
	s_wait_alu 0xfffd
	v_cndmask_b32_e32 v33, 0xffff8000, v77, vcc_lo
	s_delay_alu instid0(VALU_DEP_1) | instskip(NEXT) | instid1(VALU_DEP_1)
	v_and_b32_e32 v33, 0xffff, v33
	v_and_b32_e32 v33, s9, v33
	s_delay_alu instid0(VALU_DEP_1)
	v_and_b32_e32 v34, 1, v33
	v_lshlrev_b32_e32 v35, 30, v33
	v_lshlrev_b32_e32 v36, 29, v33
	;; [unrolled: 1-line block ×4, first 2 shown]
	v_add_co_u32 v34, s1, v34, -1
	s_wait_alu 0xf1ff
	v_cndmask_b32_e64 v38, 0, 1, s1
	v_not_b32_e32 v83, v35
	v_cmp_gt_i32_e64 s1, 0, v35
	v_not_b32_e32 v35, v36
	v_lshlrev_b32_e32 v40, 26, v33
	v_cmp_ne_u32_e32 vcc_lo, 0, v38
	v_ashrrev_i32_e32 v83, 31, v83
	v_lshlrev_b32_e32 v82, 25, v33
	v_ashrrev_i32_e32 v35, 31, v35
	v_lshlrev_b32_e32 v38, 24, v33
	s_wait_alu 0xfffd
	v_xor_b32_e32 v34, vcc_lo, v34
	v_cmp_gt_i32_e32 vcc_lo, 0, v36
	v_not_b32_e32 v36, v37
	s_wait_alu 0xf1ff
	v_xor_b32_e32 v83, s1, v83
	v_cmp_gt_i32_e64 s1, 0, v37
	v_and_b32_e32 v34, exec_lo, v34
	v_not_b32_e32 v37, v39
	v_ashrrev_i32_e32 v36, 31, v36
	s_wait_alu 0xfffd
	v_xor_b32_e32 v35, vcc_lo, v35
	v_cmp_gt_i32_e32 vcc_lo, 0, v39
	v_and_b32_e32 v34, v34, v83
	v_not_b32_e32 v39, v40
	v_ashrrev_i32_e32 v37, 31, v37
	s_wait_alu 0xf1ff
	v_xor_b32_e32 v36, s1, v36
	v_cmp_gt_i32_e64 s1, 0, v40
	v_and_b32_e32 v34, v34, v35
	v_not_b32_e32 v35, v82
	v_ashrrev_i32_e32 v39, 31, v39
	s_wait_alu 0xfffd
	v_xor_b32_e32 v37, vcc_lo, v37
	v_cmp_gt_i32_e32 vcc_lo, 0, v82
	v_and_b32_e32 v34, v34, v36
	v_not_b32_e32 v36, v38
	v_ashrrev_i32_e32 v35, 31, v35
	s_wait_alu 0xf1ff
	v_xor_b32_e32 v39, s1, v39
	v_lshlrev_b32_e32 v33, 4, v33
	v_and_b32_e32 v34, v34, v37
	v_cmp_gt_i32_e64 s1, 0, v38
	v_ashrrev_i32_e32 v36, 31, v36
	s_wait_alu 0xfffd
	v_xor_b32_e32 v35, vcc_lo, v35
	v_add_nc_u32_e32 v96, v0, v33
	v_and_b32_e32 v34, v34, v39
	s_wait_alu 0xf1ff
	v_xor_b32_e32 v33, s1, v36
	ds_load_b32 v94, v96 offset:16
	v_and_b32_e32 v34, v34, v35
	; wave barrier
	s_delay_alu instid0(VALU_DEP_1) | instskip(NEXT) | instid1(VALU_DEP_1)
	v_and_b32_e32 v33, v34, v33
	v_mbcnt_lo_u32_b32 v95, v33, 0
	v_cmp_ne_u32_e64 s1, 0, v33
	s_delay_alu instid0(VALU_DEP_2)
	v_cmp_eq_u32_e32 vcc_lo, 0, v95
	s_and_b32 s10, s1, vcc_lo
	s_wait_alu 0xfffe
	s_and_saveexec_b32 s1, s10
	s_cbranch_execz .LBB252_42
; %bb.41:
	s_wait_dscnt 0x0
	v_bcnt_u32_b32 v33, v33, v94
	ds_store_b32 v96, v33 offset:16
.LBB252_42:
	s_wait_alu 0xfffe
	s_or_b32 exec_lo, exec_lo, s1
	v_cmp_ne_u16_e32 vcc_lo, 0x7fff, v78
	; wave barrier
	s_wait_alu 0xfffd
	v_cndmask_b32_e32 v33, 0xffff8000, v78, vcc_lo
	s_delay_alu instid0(VALU_DEP_1) | instskip(NEXT) | instid1(VALU_DEP_1)
	v_and_b32_e32 v33, 0xffff, v33
	v_and_b32_e32 v33, s9, v33
	s_delay_alu instid0(VALU_DEP_1)
	v_and_b32_e32 v34, 1, v33
	v_lshlrev_b32_e32 v35, 30, v33
	v_lshlrev_b32_e32 v36, 29, v33
	;; [unrolled: 1-line block ×4, first 2 shown]
	v_add_co_u32 v34, s1, v34, -1
	s_wait_alu 0xf1ff
	v_cndmask_b32_e64 v38, 0, 1, s1
	v_not_b32_e32 v83, v35
	v_cmp_gt_i32_e64 s1, 0, v35
	v_not_b32_e32 v35, v36
	v_lshlrev_b32_e32 v40, 26, v33
	v_cmp_ne_u32_e32 vcc_lo, 0, v38
	v_ashrrev_i32_e32 v83, 31, v83
	v_lshlrev_b32_e32 v82, 25, v33
	v_ashrrev_i32_e32 v35, 31, v35
	v_lshlrev_b32_e32 v38, 24, v33
	s_wait_alu 0xfffd
	v_xor_b32_e32 v34, vcc_lo, v34
	v_cmp_gt_i32_e32 vcc_lo, 0, v36
	v_not_b32_e32 v36, v37
	s_wait_alu 0xf1ff
	v_xor_b32_e32 v83, s1, v83
	v_cmp_gt_i32_e64 s1, 0, v37
	v_and_b32_e32 v34, exec_lo, v34
	v_not_b32_e32 v37, v39
	v_ashrrev_i32_e32 v36, 31, v36
	s_wait_alu 0xfffd
	v_xor_b32_e32 v35, vcc_lo, v35
	v_cmp_gt_i32_e32 vcc_lo, 0, v39
	v_and_b32_e32 v34, v34, v83
	v_not_b32_e32 v39, v40
	v_ashrrev_i32_e32 v37, 31, v37
	s_wait_alu 0xf1ff
	v_xor_b32_e32 v36, s1, v36
	v_cmp_gt_i32_e64 s1, 0, v40
	v_and_b32_e32 v34, v34, v35
	v_not_b32_e32 v35, v82
	v_ashrrev_i32_e32 v39, 31, v39
	s_wait_alu 0xfffd
	v_xor_b32_e32 v37, vcc_lo, v37
	v_cmp_gt_i32_e32 vcc_lo, 0, v82
	v_and_b32_e32 v34, v34, v36
	v_not_b32_e32 v36, v38
	v_ashrrev_i32_e32 v35, 31, v35
	s_wait_alu 0xf1ff
	v_xor_b32_e32 v39, s1, v39
	v_lshlrev_b32_e32 v33, 4, v33
	v_and_b32_e32 v34, v34, v37
	v_cmp_gt_i32_e64 s1, 0, v38
	v_ashrrev_i32_e32 v36, 31, v36
	s_wait_alu 0xfffd
	v_xor_b32_e32 v35, vcc_lo, v35
	v_add_nc_u32_e32 v99, v0, v33
	v_and_b32_e32 v34, v34, v39
	s_wait_alu 0xf1ff
	v_xor_b32_e32 v33, s1, v36
	ds_load_b32 v97, v99 offset:16
	v_and_b32_e32 v34, v34, v35
	; wave barrier
	s_delay_alu instid0(VALU_DEP_1) | instskip(NEXT) | instid1(VALU_DEP_1)
	v_and_b32_e32 v33, v34, v33
	v_mbcnt_lo_u32_b32 v98, v33, 0
	v_cmp_ne_u32_e64 s1, 0, v33
	s_delay_alu instid0(VALU_DEP_2)
	v_cmp_eq_u32_e32 vcc_lo, 0, v98
	s_and_b32 s10, s1, vcc_lo
	s_wait_alu 0xfffe
	s_and_saveexec_b32 s1, s10
	s_cbranch_execz .LBB252_44
; %bb.43:
	s_wait_dscnt 0x0
	v_bcnt_u32_b32 v33, v33, v97
	ds_store_b32 v99, v33 offset:16
.LBB252_44:
	s_wait_alu 0xfffe
	s_or_b32 exec_lo, exec_lo, s1
	v_cmp_ne_u16_e32 vcc_lo, 0x7fff, v79
	; wave barrier
	s_wait_alu 0xfffd
	v_cndmask_b32_e32 v33, 0xffff8000, v79, vcc_lo
	s_delay_alu instid0(VALU_DEP_1) | instskip(NEXT) | instid1(VALU_DEP_1)
	v_and_b32_e32 v33, 0xffff, v33
	v_and_b32_e32 v33, s9, v33
	s_delay_alu instid0(VALU_DEP_1)
	v_and_b32_e32 v34, 1, v33
	v_lshlrev_b32_e32 v35, 30, v33
	v_lshlrev_b32_e32 v36, 29, v33
	;; [unrolled: 1-line block ×4, first 2 shown]
	v_add_co_u32 v34, s1, v34, -1
	s_wait_alu 0xf1ff
	v_cndmask_b32_e64 v38, 0, 1, s1
	v_not_b32_e32 v83, v35
	v_cmp_gt_i32_e64 s1, 0, v35
	v_not_b32_e32 v35, v36
	v_lshlrev_b32_e32 v40, 26, v33
	v_cmp_ne_u32_e32 vcc_lo, 0, v38
	v_ashrrev_i32_e32 v83, 31, v83
	v_lshlrev_b32_e32 v82, 25, v33
	v_ashrrev_i32_e32 v35, 31, v35
	v_lshlrev_b32_e32 v38, 24, v33
	s_wait_alu 0xfffd
	v_xor_b32_e32 v34, vcc_lo, v34
	v_cmp_gt_i32_e32 vcc_lo, 0, v36
	v_not_b32_e32 v36, v37
	s_wait_alu 0xf1ff
	v_xor_b32_e32 v83, s1, v83
	v_cmp_gt_i32_e64 s1, 0, v37
	v_and_b32_e32 v34, exec_lo, v34
	v_not_b32_e32 v37, v39
	v_ashrrev_i32_e32 v36, 31, v36
	s_wait_alu 0xfffd
	v_xor_b32_e32 v35, vcc_lo, v35
	v_cmp_gt_i32_e32 vcc_lo, 0, v39
	v_and_b32_e32 v34, v34, v83
	v_not_b32_e32 v39, v40
	v_ashrrev_i32_e32 v37, 31, v37
	s_wait_alu 0xf1ff
	v_xor_b32_e32 v36, s1, v36
	v_cmp_gt_i32_e64 s1, 0, v40
	v_and_b32_e32 v34, v34, v35
	v_not_b32_e32 v35, v82
	v_ashrrev_i32_e32 v39, 31, v39
	s_wait_alu 0xfffd
	v_xor_b32_e32 v37, vcc_lo, v37
	v_cmp_gt_i32_e32 vcc_lo, 0, v82
	v_and_b32_e32 v34, v34, v36
	v_not_b32_e32 v36, v38
	v_ashrrev_i32_e32 v35, 31, v35
	s_wait_alu 0xf1ff
	v_xor_b32_e32 v39, s1, v39
	v_lshlrev_b32_e32 v33, 4, v33
	v_and_b32_e32 v34, v34, v37
	v_cmp_gt_i32_e64 s1, 0, v38
	v_ashrrev_i32_e32 v36, 31, v36
	s_wait_alu 0xfffd
	v_xor_b32_e32 v35, vcc_lo, v35
	v_add_nc_u32_e32 v102, v0, v33
	v_and_b32_e32 v34, v34, v39
	s_wait_alu 0xf1ff
	v_xor_b32_e32 v33, s1, v36
	ds_load_b32 v100, v102 offset:16
	v_and_b32_e32 v34, v34, v35
	; wave barrier
	s_delay_alu instid0(VALU_DEP_1) | instskip(NEXT) | instid1(VALU_DEP_1)
	v_and_b32_e32 v33, v34, v33
	v_mbcnt_lo_u32_b32 v101, v33, 0
	v_cmp_ne_u32_e64 s1, 0, v33
	s_delay_alu instid0(VALU_DEP_2)
	v_cmp_eq_u32_e32 vcc_lo, 0, v101
	s_and_b32 s10, s1, vcc_lo
	s_wait_alu 0xfffe
	s_and_saveexec_b32 s1, s10
	s_cbranch_execz .LBB252_46
; %bb.45:
	s_wait_dscnt 0x0
	v_bcnt_u32_b32 v33, v33, v100
	ds_store_b32 v102, v33 offset:16
.LBB252_46:
	s_wait_alu 0xfffe
	s_or_b32 exec_lo, exec_lo, s1
	v_cmp_ne_u16_e32 vcc_lo, 0x7fff, v80
	; wave barrier
	s_wait_alu 0xfffd
	v_cndmask_b32_e32 v33, 0xffff8000, v80, vcc_lo
	s_delay_alu instid0(VALU_DEP_1) | instskip(NEXT) | instid1(VALU_DEP_1)
	v_and_b32_e32 v33, 0xffff, v33
	v_and_b32_e32 v33, s9, v33
	s_delay_alu instid0(VALU_DEP_1)
	v_and_b32_e32 v34, 1, v33
	v_lshlrev_b32_e32 v35, 30, v33
	v_lshlrev_b32_e32 v36, 29, v33
	v_lshlrev_b32_e32 v37, 28, v33
	v_lshlrev_b32_e32 v39, 27, v33
	v_add_co_u32 v34, s1, v34, -1
	s_wait_alu 0xf1ff
	v_cndmask_b32_e64 v38, 0, 1, s1
	v_not_b32_e32 v83, v35
	v_cmp_gt_i32_e64 s1, 0, v35
	v_not_b32_e32 v35, v36
	v_lshlrev_b32_e32 v40, 26, v33
	v_cmp_ne_u32_e32 vcc_lo, 0, v38
	v_ashrrev_i32_e32 v83, 31, v83
	v_lshlrev_b32_e32 v82, 25, v33
	v_ashrrev_i32_e32 v35, 31, v35
	v_lshlrev_b32_e32 v38, 24, v33
	s_wait_alu 0xfffd
	v_xor_b32_e32 v34, vcc_lo, v34
	v_cmp_gt_i32_e32 vcc_lo, 0, v36
	v_not_b32_e32 v36, v37
	s_wait_alu 0xf1ff
	v_xor_b32_e32 v83, s1, v83
	v_cmp_gt_i32_e64 s1, 0, v37
	v_and_b32_e32 v34, exec_lo, v34
	v_not_b32_e32 v37, v39
	v_ashrrev_i32_e32 v36, 31, v36
	s_wait_alu 0xfffd
	v_xor_b32_e32 v35, vcc_lo, v35
	v_cmp_gt_i32_e32 vcc_lo, 0, v39
	v_and_b32_e32 v34, v34, v83
	v_not_b32_e32 v39, v40
	v_ashrrev_i32_e32 v37, 31, v37
	s_wait_alu 0xf1ff
	v_xor_b32_e32 v36, s1, v36
	v_cmp_gt_i32_e64 s1, 0, v40
	v_and_b32_e32 v34, v34, v35
	v_not_b32_e32 v35, v82
	v_ashrrev_i32_e32 v39, 31, v39
	s_wait_alu 0xfffd
	v_xor_b32_e32 v37, vcc_lo, v37
	v_cmp_gt_i32_e32 vcc_lo, 0, v82
	v_and_b32_e32 v34, v34, v36
	v_not_b32_e32 v36, v38
	v_ashrrev_i32_e32 v35, 31, v35
	s_wait_alu 0xf1ff
	v_xor_b32_e32 v39, s1, v39
	v_lshlrev_b32_e32 v33, 4, v33
	v_and_b32_e32 v34, v34, v37
	v_cmp_gt_i32_e64 s1, 0, v38
	v_ashrrev_i32_e32 v36, 31, v36
	s_wait_alu 0xfffd
	v_xor_b32_e32 v35, vcc_lo, v35
	v_add_nc_u32_e32 v105, v0, v33
	v_and_b32_e32 v34, v34, v39
	s_wait_alu 0xf1ff
	v_xor_b32_e32 v33, s1, v36
	ds_load_b32 v103, v105 offset:16
	v_and_b32_e32 v34, v34, v35
	; wave barrier
	s_delay_alu instid0(VALU_DEP_1) | instskip(NEXT) | instid1(VALU_DEP_1)
	v_and_b32_e32 v33, v34, v33
	v_mbcnt_lo_u32_b32 v104, v33, 0
	v_cmp_ne_u32_e64 s1, 0, v33
	s_delay_alu instid0(VALU_DEP_2)
	v_cmp_eq_u32_e32 vcc_lo, 0, v104
	s_and_b32 s10, s1, vcc_lo
	s_wait_alu 0xfffe
	s_and_saveexec_b32 s1, s10
	s_cbranch_execz .LBB252_48
; %bb.47:
	s_wait_dscnt 0x0
	v_bcnt_u32_b32 v33, v33, v103
	ds_store_b32 v105, v33 offset:16
.LBB252_48:
	s_wait_alu 0xfffe
	s_or_b32 exec_lo, exec_lo, s1
	v_cmp_ne_u16_e32 vcc_lo, 0x7fff, v81
	; wave barrier
	s_wait_alu 0xfffd
	v_cndmask_b32_e32 v33, 0xffff8000, v81, vcc_lo
	s_delay_alu instid0(VALU_DEP_1) | instskip(NEXT) | instid1(VALU_DEP_1)
	v_and_b32_e32 v33, 0xffff, v33
	v_and_b32_e32 v33, s9, v33
	s_delay_alu instid0(VALU_DEP_1)
	v_and_b32_e32 v34, 1, v33
	v_lshlrev_b32_e32 v35, 30, v33
	v_lshlrev_b32_e32 v36, 29, v33
	;; [unrolled: 1-line block ×4, first 2 shown]
	v_add_co_u32 v34, s1, v34, -1
	s_wait_alu 0xf1ff
	v_cndmask_b32_e64 v38, 0, 1, s1
	v_not_b32_e32 v83, v35
	v_cmp_gt_i32_e64 s1, 0, v35
	v_not_b32_e32 v35, v36
	v_lshlrev_b32_e32 v40, 26, v33
	v_cmp_ne_u32_e32 vcc_lo, 0, v38
	v_ashrrev_i32_e32 v83, 31, v83
	v_lshlrev_b32_e32 v82, 25, v33
	v_ashrrev_i32_e32 v35, 31, v35
	v_lshlrev_b32_e32 v38, 24, v33
	s_wait_alu 0xfffd
	v_xor_b32_e32 v34, vcc_lo, v34
	v_cmp_gt_i32_e32 vcc_lo, 0, v36
	v_not_b32_e32 v36, v37
	s_wait_alu 0xf1ff
	v_xor_b32_e32 v83, s1, v83
	v_cmp_gt_i32_e64 s1, 0, v37
	v_and_b32_e32 v34, exec_lo, v34
	v_not_b32_e32 v37, v39
	v_ashrrev_i32_e32 v36, 31, v36
	s_wait_alu 0xfffd
	v_xor_b32_e32 v35, vcc_lo, v35
	v_cmp_gt_i32_e32 vcc_lo, 0, v39
	v_and_b32_e32 v34, v34, v83
	v_not_b32_e32 v39, v40
	v_ashrrev_i32_e32 v37, 31, v37
	s_wait_alu 0xf1ff
	v_xor_b32_e32 v36, s1, v36
	v_cmp_gt_i32_e64 s1, 0, v40
	v_and_b32_e32 v34, v34, v35
	v_not_b32_e32 v35, v82
	v_ashrrev_i32_e32 v39, 31, v39
	s_wait_alu 0xfffd
	v_xor_b32_e32 v37, vcc_lo, v37
	v_cmp_gt_i32_e32 vcc_lo, 0, v82
	v_and_b32_e32 v34, v34, v36
	v_not_b32_e32 v36, v38
	v_ashrrev_i32_e32 v35, 31, v35
	s_wait_alu 0xf1ff
	v_xor_b32_e32 v39, s1, v39
	v_lshlrev_b32_e32 v33, 4, v33
	v_and_b32_e32 v34, v34, v37
	v_cmp_gt_i32_e64 s1, 0, v38
	v_ashrrev_i32_e32 v36, 31, v36
	s_wait_alu 0xfffd
	v_xor_b32_e32 v35, vcc_lo, v35
	v_add_nc_u32_e32 v108, v0, v33
	v_and_b32_e32 v34, v34, v39
	v_min_u32_e32 v82, 0x60, v70
	s_wait_alu 0xf1ff
	v_xor_b32_e32 v33, s1, v36
	ds_load_b32 v106, v108 offset:16
	v_and_b32_e32 v34, v34, v35
	; wave barrier
	s_delay_alu instid0(VALU_DEP_1) | instskip(NEXT) | instid1(VALU_DEP_1)
	v_and_b32_e32 v33, v34, v33
	v_mbcnt_lo_u32_b32 v107, v33, 0
	v_cmp_ne_u32_e64 s1, 0, v33
	s_delay_alu instid0(VALU_DEP_2)
	v_cmp_eq_u32_e32 vcc_lo, 0, v107
	s_and_b32 s9, s1, vcc_lo
	s_wait_alu 0xfffe
	s_and_saveexec_b32 s1, s9
	s_cbranch_execz .LBB252_50
; %bb.49:
	s_wait_dscnt 0x0
	v_bcnt_u32_b32 v33, v33, v106
	ds_store_b32 v108, v33 offset:16
.LBB252_50:
	s_wait_alu 0xfffe
	s_or_b32 exec_lo, exec_lo, s1
	; wave barrier
	s_wait_loadcnt_dscnt 0x0
	s_barrier_signal -1
	s_barrier_wait -1
	global_inv scope:SCOPE_SE
	ds_load_b128 v[37:40], v67 offset:16
	ds_load_b128 v[33:36], v67 offset:32
	v_and_b32_e32 v109, 16, v69
	v_or_b32_e32 v82, 31, v82
	s_delay_alu instid0(VALU_DEP_2) | instskip(NEXT) | instid1(VALU_DEP_2)
	v_cmp_eq_u32_e64 s16, 0, v109
	v_cmp_eq_u32_e64 s14, v46, v82
	v_lshlrev_b32_e32 v82, 2, v68
	s_wait_dscnt 0x1
	v_add_nc_u32_e32 v83, v38, v37
	s_delay_alu instid0(VALU_DEP_1) | instskip(SKIP_1) | instid1(VALU_DEP_1)
	v_add3_u32 v83, v83, v39, v40
	s_wait_dscnt 0x0
	v_add3_u32 v83, v83, v33, v34
	s_delay_alu instid0(VALU_DEP_1) | instskip(SKIP_1) | instid1(VALU_DEP_2)
	v_add3_u32 v36, v83, v35, v36
	v_and_b32_e32 v83, 15, v69
	v_mov_b32_dpp v85, v36 row_shr:1 row_mask:0xf bank_mask:0xf
	s_delay_alu instid0(VALU_DEP_2)
	v_cmp_eq_u32_e64 s1, 0, v83
	v_cmp_lt_u32_e64 s10, 1, v83
	v_cmp_lt_u32_e64 s11, 3, v83
	;; [unrolled: 1-line block ×3, first 2 shown]
	s_wait_alu 0xf1ff
	v_cndmask_b32_e64 v85, v85, 0, s1
	s_delay_alu instid0(VALU_DEP_1) | instskip(NEXT) | instid1(VALU_DEP_1)
	v_add_nc_u32_e32 v36, v85, v36
	v_mov_b32_dpp v85, v36 row_shr:2 row_mask:0xf bank_mask:0xf
	s_delay_alu instid0(VALU_DEP_1) | instskip(NEXT) | instid1(VALU_DEP_1)
	v_cndmask_b32_e64 v85, 0, v85, s10
	v_add_nc_u32_e32 v36, v36, v85
	s_delay_alu instid0(VALU_DEP_1) | instskip(NEXT) | instid1(VALU_DEP_1)
	v_mov_b32_dpp v85, v36 row_shr:4 row_mask:0xf bank_mask:0xf
	v_cndmask_b32_e64 v85, 0, v85, s11
	s_delay_alu instid0(VALU_DEP_1) | instskip(NEXT) | instid1(VALU_DEP_1)
	v_add_nc_u32_e32 v36, v36, v85
	v_mov_b32_dpp v85, v36 row_shr:8 row_mask:0xf bank_mask:0xf
	s_delay_alu instid0(VALU_DEP_1) | instskip(SKIP_1) | instid1(VALU_DEP_2)
	v_cndmask_b32_e64 v83, 0, v85, s13
	v_bfe_i32 v85, v69, 4, 1
	v_add_nc_u32_e32 v83, v36, v83
	ds_swizzle_b32 v36, v83 offset:swizzle(BROADCAST,32,15)
	s_wait_dscnt 0x0
	v_and_b32_e32 v85, v85, v36
	v_mul_i32_i24_e32 v36, 0xffffffe4, v46
	s_delay_alu instid0(VALU_DEP_2)
	v_add_nc_u32_e32 v85, v83, v85
	s_and_saveexec_b32 s9, s14
; %bb.51:
	ds_store_b32 v82, v85
; %bb.52:
	s_wait_alu 0xfffe
	s_or_b32 exec_lo, exec_lo, s9
	v_and_b32_e32 v83, 3, v69
	v_cmp_gt_u32_e64 s15, 4, v46
	s_wait_loadcnt_dscnt 0x0
	s_barrier_signal -1
	s_barrier_wait -1
	v_cmp_eq_u32_e64 s12, 0, v83
	v_cmp_lt_u32_e64 s9, 1, v83
	v_add_nc_u32_e32 v83, v67, v36
	global_inv scope:SCOPE_SE
	s_and_saveexec_b32 s17, s15
	s_cbranch_execz .LBB252_54
; %bb.53:
	ds_load_b32 v36, v83
	s_wait_dscnt 0x0
	v_mov_b32_dpp v109, v36 row_shr:1 row_mask:0xf bank_mask:0xf
	s_delay_alu instid0(VALU_DEP_1) | instskip(NEXT) | instid1(VALU_DEP_1)
	v_cndmask_b32_e64 v109, v109, 0, s12
	v_add_nc_u32_e32 v36, v109, v36
	s_delay_alu instid0(VALU_DEP_1) | instskip(NEXT) | instid1(VALU_DEP_1)
	v_mov_b32_dpp v109, v36 row_shr:2 row_mask:0xf bank_mask:0xf
	v_cndmask_b32_e64 v109, 0, v109, s9
	s_delay_alu instid0(VALU_DEP_1)
	v_add_nc_u32_e32 v36, v36, v109
	ds_store_b32 v83, v36
.LBB252_54:
	s_or_b32 exec_lo, exec_lo, s17
	v_mul_u32_u24_e32 v36, 6, v84
	v_sub_co_u32 v109, vcc_lo, v69, 1
	v_cmp_lt_u32_e64 s17, 31, v46
	v_add_nc_u32_e32 v84, -4, v82
	v_mov_b32_e32 v110, 0
	s_wait_loadcnt_dscnt 0x0
	s_barrier_signal -1
	s_barrier_wait -1
	global_inv scope:SCOPE_SE
	s_and_saveexec_b32 s18, s17
; %bb.55:
	ds_load_b32 v110, v84
; %bb.56:
	s_or_b32 exec_lo, exec_lo, s18
	v_cmp_gt_i32_e64 s18, 0, v109
	s_mov_b32 s24, 0
	s_min_u32 s19, s19, 8
	s_mov_b32 s25, s24
	s_mov_b32 s26, s24
	v_cndmask_b32_e64 v109, v109, v69, s18
	s_mov_b32 s27, s24
	s_wait_dscnt 0x0
	v_add_nc_u32_e32 v111, v110, v85
	v_cmp_eq_u32_e64 s18, 0, v46
	s_lshl_b32 s19, -1, s19
	v_lshlrev_b32_e32 v85, 2, v109
	s_wait_alu 0xfffe
	s_not_b32 s21, s19
	ds_bpermute_b32 v109, v85, v111
	s_wait_dscnt 0x0
	s_wait_alu 0xfffd
	v_cndmask_b32_e32 v109, v109, v110, vcc_lo
	s_delay_alu instid0(VALU_DEP_1) | instskip(NEXT) | instid1(VALU_DEP_1)
	v_cndmask_b32_e64 v109, v109, 0, s18
	v_add_nc_u32_e32 v110, v109, v37
	s_delay_alu instid0(VALU_DEP_1) | instskip(NEXT) | instid1(VALU_DEP_1)
	v_add_nc_u32_e32 v111, v110, v38
	v_add_nc_u32_e32 v112, v111, v39
	s_delay_alu instid0(VALU_DEP_1) | instskip(NEXT) | instid1(VALU_DEP_1)
	v_add_nc_u32_e32 v37, v112, v40
	;; [unrolled: 3-line block ×3, first 2 shown]
	v_add_nc_u32_e32 v40, v39, v35
	ds_store_b128 v67, v[109:112] offset:16
	ds_store_b128 v67, v[37:40] offset:32
	s_wait_loadcnt_dscnt 0x0
	s_barrier_signal -1
	s_barrier_wait -1
	global_inv scope:SCOPE_SE
	ds_load_b32 v33, v87 offset:16
	ds_load_b32 v34, v90 offset:16
	;; [unrolled: 1-line block ×8, first 2 shown]
	v_add_nc_u32_e32 v90, v73, v36
	s_wait_loadcnt_dscnt 0x0
	s_barrier_signal -1
	s_barrier_wait -1
	global_inv scope:SCOPE_SE
	v_add_nc_u32_e32 v86, v33, v86
	v_add3_u32 v88, v89, v88, v34
	v_add3_u32 v89, v92, v91, v35
	;; [unrolled: 1-line block ×7, first 2 shown]
	v_lshlrev_b32_e32 v33, 1, v86
	v_lshlrev_b32_e32 v34, 1, v88
	;; [unrolled: 1-line block ×8, first 2 shown]
	ds_store_b16 v33, v74
	ds_store_b16 v34, v75
	;; [unrolled: 1-line block ×8, first 2 shown]
	s_wait_loadcnt_dscnt 0x0
	s_barrier_signal -1
	s_barrier_wait -1
	global_inv scope:SCOPE_SE
	ds_load_u16 v74, v73
	ds_load_u16 v75, v73 offset:64
	ds_load_u16 v76, v73 offset:128
	;; [unrolled: 1-line block ×7, first 2 shown]
	v_mad_co_u64_u32 v[86:87], null, v86, 6, v[33:34]
	v_mad_co_u64_u32 v[33:34], null, v88, 6, v[34:35]
	;; [unrolled: 1-line block ×3, first 2 shown]
	s_wait_loadcnt_dscnt 0x0
	s_barrier_signal -1
	s_barrier_wait -1
	global_inv scope:SCOPE_SE
	v_mad_co_u64_u32 v[35:36], null, v91, 6, v[36:37]
	v_lshrrev_b16 v81, 8, v74
	v_cmp_ne_u16_e64 s19, 0x7fff, v74
	ds_store_b64 v86, v[17:18]
	v_mad_co_u64_u32 v[36:37], null, v92, 6, v[37:38]
	v_mad_co_u64_u32 v[37:38], null, v93, 6, v[38:39]
	s_wait_alu 0xf1ff
	v_cndmask_b32_e64 v81, 0x80, v81, s19
	v_mad_co_u64_u32 v[38:39], null, v94, 6, v[39:40]
	v_mad_co_u64_u32 v[39:40], null, v95, 6, v[40:41]
	s_delay_alu instid0(VALU_DEP_3)
	v_and_b32_e32 v17, 0xffff, v81
	ds_store_b64 v33, v[19:20]
	ds_store_b64 v34, v[25:26]
	;; [unrolled: 1-line block ×7, first 2 shown]
	s_wait_alu 0xfffe
	v_and_b32_e32 v40, s21, v17
	s_wait_loadcnt_dscnt 0x0
	s_barrier_signal -1
	s_barrier_wait -1
	global_inv scope:SCOPE_SE
	v_and_b32_e32 v17, 1, v40
	v_lshlrev_b32_e32 v18, 30, v40
	v_lshlrev_b32_e32 v19, 29, v40
	;; [unrolled: 1-line block ×4, first 2 shown]
	v_add_co_u32 v17, s19, v17, -1
	s_wait_alu 0xf1ff
	v_cndmask_b32_e64 v21, 0, 1, s19
	v_not_b32_e32 v25, v18
	v_cmp_gt_i32_e64 s20, 0, v18
	v_not_b32_e32 v18, v19
	v_lshlrev_b32_e32 v23, 26, v40
	v_cmp_ne_u32_e64 s19, 0, v21
	v_ashrrev_i32_e32 v25, 31, v25
	v_lshlrev_b32_e32 v24, 25, v40
	v_ashrrev_i32_e32 v18, 31, v18
	v_lshlrev_b32_e32 v21, 24, v40
	s_wait_alu 0xf1ff
	v_xor_b32_e32 v17, s19, v17
	v_cmp_gt_i32_e64 s19, 0, v19
	v_not_b32_e32 v19, v20
	v_xor_b32_e32 v25, s20, v25
	v_cmp_gt_i32_e64 s20, 0, v20
	v_and_b32_e32 v17, exec_lo, v17
	v_not_b32_e32 v20, v22
	v_ashrrev_i32_e32 v19, 31, v19
	s_wait_alu 0xf1ff
	v_xor_b32_e32 v18, s19, v18
	v_cmp_gt_i32_e64 s19, 0, v22
	v_and_b32_e32 v17, v17, v25
	v_not_b32_e32 v22, v23
	v_ashrrev_i32_e32 v20, 31, v20
	v_xor_b32_e32 v19, s20, v19
	v_cmp_gt_i32_e64 s20, 0, v23
	v_and_b32_e32 v17, v17, v18
	v_not_b32_e32 v18, v24
	v_ashrrev_i32_e32 v22, 31, v22
	s_wait_alu 0xf1ff
	v_xor_b32_e32 v20, s19, v20
	v_cmp_gt_i32_e64 s19, 0, v24
	v_and_b32_e32 v17, v17, v19
	v_not_b32_e32 v19, v21
	v_ashrrev_i32_e32 v18, 31, v18
	v_xor_b32_e32 v22, s20, v22
	v_cmp_gt_i32_e64 s20, 0, v21
	v_and_b32_e32 v17, v17, v20
	v_ashrrev_i32_e32 v19, 31, v19
	s_wait_alu 0xf1ff
	v_xor_b32_e32 v18, s19, v18
	v_dual_mov_b32 v37, s27 :: v_dual_mov_b32 v36, s26
	v_and_b32_e32 v17, v17, v22
	v_xor_b32_e32 v33, s20, v19
	ds_load_2addr_b64 v[21:24], v90 offset1:32
	v_dual_mov_b32 v35, s25 :: v_dual_mov_b32 v34, s24
	v_and_b32_e32 v38, v17, v18
	ds_load_2addr_b64 v[29:32], v90 offset0:64 offset1:96
	ds_load_2addr_b64 v[25:28], v90 offset0:128 offset1:160
	ds_load_2addr_b64 v[17:20], v90 offset0:192 offset1:224
	v_lshl_add_u32 v86, v40, 4, v0
	s_wait_loadcnt_dscnt 0x0
	s_barrier_signal -1
	v_and_b32_e32 v33, v38, v33
	s_barrier_wait -1
	global_inv scope:SCOPE_SE
	ds_store_b128 v67, v[34:37] offset:16
	ds_store_b128 v67, v[34:37] offset:32
	s_wait_loadcnt_dscnt 0x0
	v_mbcnt_lo_u32_b32 v81, v33, 0
	v_cmp_ne_u32_e64 s20, 0, v33
	s_barrier_signal -1
	s_barrier_wait -1
	global_inv scope:SCOPE_SE
	v_cmp_eq_u32_e64 s19, 0, v81
	; wave barrier
	s_and_b32 s20, s20, s19
	s_wait_alu 0xfffe
	s_and_saveexec_b32 s19, s20
; %bb.57:
	v_bcnt_u32_b32 v33, v33, 0
	ds_store_b32 v86, v33 offset:16
; %bb.58:
	s_wait_alu 0xfffe
	s_or_b32 exec_lo, exec_lo, s19
	v_lshrrev_b16 v33, 8, v75
	v_cmp_ne_u16_e64 s19, 0x7fff, v75
	; wave barrier
	s_wait_alu 0xf1ff
	s_delay_alu instid0(VALU_DEP_1) | instskip(NEXT) | instid1(VALU_DEP_1)
	v_cndmask_b32_e64 v33, 0x80, v33, s19
	v_and_b32_e32 v33, s21, v33
	s_delay_alu instid0(VALU_DEP_1)
	v_and_b32_e32 v34, 1, v33
	v_lshlrev_b32_e32 v35, 30, v33
	v_lshlrev_b32_e32 v36, 29, v33
	;; [unrolled: 1-line block ×4, first 2 shown]
	v_add_co_u32 v34, s19, v34, -1
	s_wait_alu 0xf1ff
	v_cndmask_b32_e64 v38, 0, 1, s19
	v_not_b32_e32 v88, v35
	v_cmp_gt_i32_e64 s20, 0, v35
	v_not_b32_e32 v35, v36
	v_lshlrev_b32_e32 v40, 26, v33
	v_cmp_ne_u32_e64 s19, 0, v38
	v_ashrrev_i32_e32 v88, 31, v88
	v_lshlrev_b32_e32 v87, 25, v33
	v_ashrrev_i32_e32 v35, 31, v35
	v_lshlrev_b32_e32 v38, 24, v33
	s_wait_alu 0xf1ff
	v_xor_b32_e32 v34, s19, v34
	v_cmp_gt_i32_e64 s19, 0, v36
	v_not_b32_e32 v36, v37
	v_xor_b32_e32 v88, s20, v88
	v_cmp_gt_i32_e64 s20, 0, v37
	v_and_b32_e32 v34, exec_lo, v34
	v_not_b32_e32 v37, v39
	v_ashrrev_i32_e32 v36, 31, v36
	s_wait_alu 0xf1ff
	v_xor_b32_e32 v35, s19, v35
	v_cmp_gt_i32_e64 s19, 0, v39
	v_and_b32_e32 v34, v34, v88
	v_not_b32_e32 v39, v40
	v_ashrrev_i32_e32 v37, 31, v37
	v_xor_b32_e32 v36, s20, v36
	v_cmp_gt_i32_e64 s20, 0, v40
	v_and_b32_e32 v34, v34, v35
	v_not_b32_e32 v35, v87
	v_ashrrev_i32_e32 v39, 31, v39
	s_wait_alu 0xf1ff
	v_xor_b32_e32 v37, s19, v37
	v_cmp_gt_i32_e64 s19, 0, v87
	v_and_b32_e32 v34, v34, v36
	v_not_b32_e32 v36, v38
	v_ashrrev_i32_e32 v35, 31, v35
	v_xor_b32_e32 v39, s20, v39
	v_cmp_gt_i32_e64 s20, 0, v38
	v_and_b32_e32 v34, v34, v37
	v_ashrrev_i32_e32 v36, 31, v36
	s_wait_alu 0xf1ff
	v_xor_b32_e32 v35, s19, v35
	v_lshl_add_u32 v89, v33, 4, v0
	v_and_b32_e32 v34, v34, v39
	v_xor_b32_e32 v33, s20, v36
	ds_load_b32 v87, v89 offset:16
	v_and_b32_e32 v34, v34, v35
	; wave barrier
	s_delay_alu instid0(VALU_DEP_1) | instskip(NEXT) | instid1(VALU_DEP_1)
	v_and_b32_e32 v33, v34, v33
	v_mbcnt_lo_u32_b32 v88, v33, 0
	v_cmp_ne_u32_e64 s20, 0, v33
	s_delay_alu instid0(VALU_DEP_2)
	v_cmp_eq_u32_e64 s19, 0, v88
	s_and_b32 s20, s20, s19
	s_wait_alu 0xfffe
	s_and_saveexec_b32 s19, s20
	s_cbranch_execz .LBB252_60
; %bb.59:
	s_wait_dscnt 0x0
	v_bcnt_u32_b32 v33, v33, v87
	ds_store_b32 v89, v33 offset:16
.LBB252_60:
	s_wait_alu 0xfffe
	s_or_b32 exec_lo, exec_lo, s19
	v_lshrrev_b16 v33, 8, v76
	v_cmp_ne_u16_e64 s19, 0x7fff, v76
	; wave barrier
	s_wait_alu 0xf1ff
	s_delay_alu instid0(VALU_DEP_1) | instskip(NEXT) | instid1(VALU_DEP_1)
	v_cndmask_b32_e64 v33, 0x80, v33, s19
	v_and_b32_e32 v33, s21, v33
	s_delay_alu instid0(VALU_DEP_1)
	v_and_b32_e32 v34, 1, v33
	v_lshlrev_b32_e32 v35, 30, v33
	v_lshlrev_b32_e32 v36, 29, v33
	v_lshlrev_b32_e32 v37, 28, v33
	v_lshlrev_b32_e32 v39, 27, v33
	v_add_co_u32 v34, s19, v34, -1
	s_wait_alu 0xf1ff
	v_cndmask_b32_e64 v38, 0, 1, s19
	v_not_b32_e32 v91, v35
	v_cmp_gt_i32_e64 s20, 0, v35
	v_not_b32_e32 v35, v36
	v_lshlrev_b32_e32 v40, 26, v33
	v_cmp_ne_u32_e64 s19, 0, v38
	v_ashrrev_i32_e32 v91, 31, v91
	v_lshlrev_b32_e32 v90, 25, v33
	v_ashrrev_i32_e32 v35, 31, v35
	v_lshlrev_b32_e32 v38, 24, v33
	s_wait_alu 0xf1ff
	v_xor_b32_e32 v34, s19, v34
	v_cmp_gt_i32_e64 s19, 0, v36
	v_not_b32_e32 v36, v37
	v_xor_b32_e32 v91, s20, v91
	v_cmp_gt_i32_e64 s20, 0, v37
	v_and_b32_e32 v34, exec_lo, v34
	v_not_b32_e32 v37, v39
	v_ashrrev_i32_e32 v36, 31, v36
	s_wait_alu 0xf1ff
	v_xor_b32_e32 v35, s19, v35
	v_cmp_gt_i32_e64 s19, 0, v39
	v_and_b32_e32 v34, v34, v91
	v_not_b32_e32 v39, v40
	v_ashrrev_i32_e32 v37, 31, v37
	v_xor_b32_e32 v36, s20, v36
	v_cmp_gt_i32_e64 s20, 0, v40
	v_and_b32_e32 v34, v34, v35
	v_not_b32_e32 v35, v90
	v_ashrrev_i32_e32 v39, 31, v39
	s_wait_alu 0xf1ff
	v_xor_b32_e32 v37, s19, v37
	v_cmp_gt_i32_e64 s19, 0, v90
	v_and_b32_e32 v34, v34, v36
	v_not_b32_e32 v36, v38
	v_ashrrev_i32_e32 v35, 31, v35
	v_xor_b32_e32 v39, s20, v39
	v_cmp_gt_i32_e64 s20, 0, v38
	v_and_b32_e32 v34, v34, v37
	v_ashrrev_i32_e32 v36, 31, v36
	s_wait_alu 0xf1ff
	v_xor_b32_e32 v35, s19, v35
	v_lshl_add_u32 v92, v33, 4, v0
	v_and_b32_e32 v34, v34, v39
	v_xor_b32_e32 v33, s20, v36
	ds_load_b32 v90, v92 offset:16
	v_and_b32_e32 v34, v34, v35
	; wave barrier
	s_delay_alu instid0(VALU_DEP_1) | instskip(NEXT) | instid1(VALU_DEP_1)
	v_and_b32_e32 v33, v34, v33
	v_mbcnt_lo_u32_b32 v91, v33, 0
	v_cmp_ne_u32_e64 s20, 0, v33
	s_delay_alu instid0(VALU_DEP_2)
	v_cmp_eq_u32_e64 s19, 0, v91
	s_and_b32 s20, s20, s19
	s_wait_alu 0xfffe
	s_and_saveexec_b32 s19, s20
	s_cbranch_execz .LBB252_62
; %bb.61:
	s_wait_dscnt 0x0
	v_bcnt_u32_b32 v33, v33, v90
	ds_store_b32 v92, v33 offset:16
.LBB252_62:
	s_wait_alu 0xfffe
	s_or_b32 exec_lo, exec_lo, s19
	v_lshrrev_b16 v33, 8, v77
	v_cmp_ne_u16_e64 s19, 0x7fff, v77
	; wave barrier
	s_wait_alu 0xf1ff
	s_delay_alu instid0(VALU_DEP_1) | instskip(NEXT) | instid1(VALU_DEP_1)
	v_cndmask_b32_e64 v33, 0x80, v33, s19
	v_and_b32_e32 v33, s21, v33
	s_delay_alu instid0(VALU_DEP_1)
	v_and_b32_e32 v34, 1, v33
	v_lshlrev_b32_e32 v35, 30, v33
	v_lshlrev_b32_e32 v36, 29, v33
	;; [unrolled: 1-line block ×4, first 2 shown]
	v_add_co_u32 v34, s19, v34, -1
	s_wait_alu 0xf1ff
	v_cndmask_b32_e64 v38, 0, 1, s19
	v_not_b32_e32 v94, v35
	v_cmp_gt_i32_e64 s20, 0, v35
	v_not_b32_e32 v35, v36
	v_lshlrev_b32_e32 v40, 26, v33
	v_cmp_ne_u32_e64 s19, 0, v38
	v_ashrrev_i32_e32 v94, 31, v94
	v_lshlrev_b32_e32 v93, 25, v33
	v_ashrrev_i32_e32 v35, 31, v35
	v_lshlrev_b32_e32 v38, 24, v33
	s_wait_alu 0xf1ff
	v_xor_b32_e32 v34, s19, v34
	v_cmp_gt_i32_e64 s19, 0, v36
	v_not_b32_e32 v36, v37
	v_xor_b32_e32 v94, s20, v94
	v_cmp_gt_i32_e64 s20, 0, v37
	v_and_b32_e32 v34, exec_lo, v34
	v_not_b32_e32 v37, v39
	v_ashrrev_i32_e32 v36, 31, v36
	s_wait_alu 0xf1ff
	v_xor_b32_e32 v35, s19, v35
	v_cmp_gt_i32_e64 s19, 0, v39
	v_and_b32_e32 v34, v34, v94
	v_not_b32_e32 v39, v40
	v_ashrrev_i32_e32 v37, 31, v37
	v_xor_b32_e32 v36, s20, v36
	v_cmp_gt_i32_e64 s20, 0, v40
	v_and_b32_e32 v34, v34, v35
	v_not_b32_e32 v35, v93
	v_ashrrev_i32_e32 v39, 31, v39
	s_wait_alu 0xf1ff
	v_xor_b32_e32 v37, s19, v37
	v_cmp_gt_i32_e64 s19, 0, v93
	v_and_b32_e32 v34, v34, v36
	v_not_b32_e32 v36, v38
	v_ashrrev_i32_e32 v35, 31, v35
	v_xor_b32_e32 v39, s20, v39
	v_cmp_gt_i32_e64 s20, 0, v38
	v_and_b32_e32 v34, v34, v37
	v_ashrrev_i32_e32 v36, 31, v36
	s_wait_alu 0xf1ff
	v_xor_b32_e32 v35, s19, v35
	v_lshl_add_u32 v95, v33, 4, v0
	v_and_b32_e32 v34, v34, v39
	v_xor_b32_e32 v33, s20, v36
	ds_load_b32 v93, v95 offset:16
	v_and_b32_e32 v34, v34, v35
	; wave barrier
	s_delay_alu instid0(VALU_DEP_1) | instskip(NEXT) | instid1(VALU_DEP_1)
	v_and_b32_e32 v33, v34, v33
	v_mbcnt_lo_u32_b32 v94, v33, 0
	v_cmp_ne_u32_e64 s20, 0, v33
	s_delay_alu instid0(VALU_DEP_2)
	v_cmp_eq_u32_e64 s19, 0, v94
	s_and_b32 s20, s20, s19
	s_wait_alu 0xfffe
	s_and_saveexec_b32 s19, s20
	s_cbranch_execz .LBB252_64
; %bb.63:
	s_wait_dscnt 0x0
	v_bcnt_u32_b32 v33, v33, v93
	ds_store_b32 v95, v33 offset:16
.LBB252_64:
	s_wait_alu 0xfffe
	s_or_b32 exec_lo, exec_lo, s19
	v_lshrrev_b16 v33, 8, v78
	v_cmp_ne_u16_e64 s19, 0x7fff, v78
	; wave barrier
	s_wait_alu 0xf1ff
	s_delay_alu instid0(VALU_DEP_1) | instskip(NEXT) | instid1(VALU_DEP_1)
	v_cndmask_b32_e64 v33, 0x80, v33, s19
	v_and_b32_e32 v33, s21, v33
	s_delay_alu instid0(VALU_DEP_1)
	v_and_b32_e32 v34, 1, v33
	v_lshlrev_b32_e32 v35, 30, v33
	v_lshlrev_b32_e32 v36, 29, v33
	;; [unrolled: 1-line block ×4, first 2 shown]
	v_add_co_u32 v34, s19, v34, -1
	s_wait_alu 0xf1ff
	v_cndmask_b32_e64 v38, 0, 1, s19
	v_not_b32_e32 v97, v35
	v_cmp_gt_i32_e64 s20, 0, v35
	v_not_b32_e32 v35, v36
	v_lshlrev_b32_e32 v40, 26, v33
	v_cmp_ne_u32_e64 s19, 0, v38
	v_ashrrev_i32_e32 v97, 31, v97
	v_lshlrev_b32_e32 v96, 25, v33
	v_ashrrev_i32_e32 v35, 31, v35
	v_lshlrev_b32_e32 v38, 24, v33
	s_wait_alu 0xf1ff
	v_xor_b32_e32 v34, s19, v34
	v_cmp_gt_i32_e64 s19, 0, v36
	v_not_b32_e32 v36, v37
	v_xor_b32_e32 v97, s20, v97
	v_cmp_gt_i32_e64 s20, 0, v37
	v_and_b32_e32 v34, exec_lo, v34
	v_not_b32_e32 v37, v39
	v_ashrrev_i32_e32 v36, 31, v36
	s_wait_alu 0xf1ff
	v_xor_b32_e32 v35, s19, v35
	v_cmp_gt_i32_e64 s19, 0, v39
	v_and_b32_e32 v34, v34, v97
	v_not_b32_e32 v39, v40
	v_ashrrev_i32_e32 v37, 31, v37
	v_xor_b32_e32 v36, s20, v36
	v_cmp_gt_i32_e64 s20, 0, v40
	v_and_b32_e32 v34, v34, v35
	v_not_b32_e32 v35, v96
	v_ashrrev_i32_e32 v39, 31, v39
	s_wait_alu 0xf1ff
	v_xor_b32_e32 v37, s19, v37
	v_cmp_gt_i32_e64 s19, 0, v96
	v_and_b32_e32 v34, v34, v36
	v_not_b32_e32 v36, v38
	v_ashrrev_i32_e32 v35, 31, v35
	v_xor_b32_e32 v39, s20, v39
	v_cmp_gt_i32_e64 s20, 0, v38
	v_and_b32_e32 v34, v34, v37
	v_ashrrev_i32_e32 v36, 31, v36
	s_wait_alu 0xf1ff
	v_xor_b32_e32 v35, s19, v35
	v_lshl_add_u32 v98, v33, 4, v0
	v_and_b32_e32 v34, v34, v39
	v_xor_b32_e32 v33, s20, v36
	ds_load_b32 v96, v98 offset:16
	v_and_b32_e32 v34, v34, v35
	; wave barrier
	s_delay_alu instid0(VALU_DEP_1) | instskip(NEXT) | instid1(VALU_DEP_1)
	v_and_b32_e32 v33, v34, v33
	v_mbcnt_lo_u32_b32 v97, v33, 0
	v_cmp_ne_u32_e64 s20, 0, v33
	s_delay_alu instid0(VALU_DEP_2)
	v_cmp_eq_u32_e64 s19, 0, v97
	s_and_b32 s20, s20, s19
	s_wait_alu 0xfffe
	s_and_saveexec_b32 s19, s20
	s_cbranch_execz .LBB252_66
; %bb.65:
	s_wait_dscnt 0x0
	v_bcnt_u32_b32 v33, v33, v96
	ds_store_b32 v98, v33 offset:16
.LBB252_66:
	s_wait_alu 0xfffe
	s_or_b32 exec_lo, exec_lo, s19
	v_lshrrev_b16 v33, 8, v79
	v_cmp_ne_u16_e64 s19, 0x7fff, v79
	; wave barrier
	s_wait_alu 0xf1ff
	s_delay_alu instid0(VALU_DEP_1) | instskip(NEXT) | instid1(VALU_DEP_1)
	v_cndmask_b32_e64 v33, 0x80, v33, s19
	v_and_b32_e32 v33, s21, v33
	s_delay_alu instid0(VALU_DEP_1)
	v_and_b32_e32 v34, 1, v33
	v_lshlrev_b32_e32 v35, 30, v33
	v_lshlrev_b32_e32 v36, 29, v33
	;; [unrolled: 1-line block ×4, first 2 shown]
	v_add_co_u32 v34, s19, v34, -1
	s_wait_alu 0xf1ff
	v_cndmask_b32_e64 v38, 0, 1, s19
	v_not_b32_e32 v100, v35
	v_cmp_gt_i32_e64 s20, 0, v35
	v_not_b32_e32 v35, v36
	v_lshlrev_b32_e32 v40, 26, v33
	v_cmp_ne_u32_e64 s19, 0, v38
	v_ashrrev_i32_e32 v100, 31, v100
	v_lshlrev_b32_e32 v99, 25, v33
	v_ashrrev_i32_e32 v35, 31, v35
	v_lshlrev_b32_e32 v38, 24, v33
	s_wait_alu 0xf1ff
	v_xor_b32_e32 v34, s19, v34
	v_cmp_gt_i32_e64 s19, 0, v36
	v_not_b32_e32 v36, v37
	v_xor_b32_e32 v100, s20, v100
	v_cmp_gt_i32_e64 s20, 0, v37
	v_and_b32_e32 v34, exec_lo, v34
	v_not_b32_e32 v37, v39
	v_ashrrev_i32_e32 v36, 31, v36
	s_wait_alu 0xf1ff
	v_xor_b32_e32 v35, s19, v35
	v_cmp_gt_i32_e64 s19, 0, v39
	v_and_b32_e32 v34, v34, v100
	v_not_b32_e32 v39, v40
	v_ashrrev_i32_e32 v37, 31, v37
	v_xor_b32_e32 v36, s20, v36
	v_cmp_gt_i32_e64 s20, 0, v40
	v_and_b32_e32 v34, v34, v35
	v_not_b32_e32 v35, v99
	v_ashrrev_i32_e32 v39, 31, v39
	s_wait_alu 0xf1ff
	v_xor_b32_e32 v37, s19, v37
	v_cmp_gt_i32_e64 s19, 0, v99
	v_and_b32_e32 v34, v34, v36
	v_not_b32_e32 v36, v38
	v_ashrrev_i32_e32 v35, 31, v35
	v_xor_b32_e32 v39, s20, v39
	v_cmp_gt_i32_e64 s20, 0, v38
	v_and_b32_e32 v34, v34, v37
	v_ashrrev_i32_e32 v36, 31, v36
	s_wait_alu 0xf1ff
	v_xor_b32_e32 v35, s19, v35
	v_lshl_add_u32 v101, v33, 4, v0
	v_and_b32_e32 v34, v34, v39
	v_xor_b32_e32 v33, s20, v36
	ds_load_b32 v99, v101 offset:16
	v_and_b32_e32 v34, v34, v35
	; wave barrier
	s_delay_alu instid0(VALU_DEP_1) | instskip(NEXT) | instid1(VALU_DEP_1)
	v_and_b32_e32 v33, v34, v33
	v_mbcnt_lo_u32_b32 v100, v33, 0
	v_cmp_ne_u32_e64 s20, 0, v33
	s_delay_alu instid0(VALU_DEP_2)
	v_cmp_eq_u32_e64 s19, 0, v100
	s_and_b32 s20, s20, s19
	s_wait_alu 0xfffe
	s_and_saveexec_b32 s19, s20
	s_cbranch_execz .LBB252_68
; %bb.67:
	s_wait_dscnt 0x0
	v_bcnt_u32_b32 v33, v33, v99
	ds_store_b32 v101, v33 offset:16
.LBB252_68:
	s_wait_alu 0xfffe
	s_or_b32 exec_lo, exec_lo, s19
	v_lshrrev_b16 v33, 8, v80
	v_cmp_ne_u16_e64 s19, 0x7fff, v80
	; wave barrier
	s_wait_alu 0xf1ff
	s_delay_alu instid0(VALU_DEP_1) | instskip(NEXT) | instid1(VALU_DEP_1)
	v_cndmask_b32_e64 v33, 0x80, v33, s19
	v_and_b32_e32 v33, s21, v33
	s_delay_alu instid0(VALU_DEP_1)
	v_and_b32_e32 v34, 1, v33
	v_lshlrev_b32_e32 v35, 30, v33
	v_lshlrev_b32_e32 v36, 29, v33
	;; [unrolled: 1-line block ×4, first 2 shown]
	v_add_co_u32 v34, s19, v34, -1
	s_wait_alu 0xf1ff
	v_cndmask_b32_e64 v38, 0, 1, s19
	v_not_b32_e32 v103, v35
	v_cmp_gt_i32_e64 s20, 0, v35
	v_not_b32_e32 v35, v36
	v_lshlrev_b32_e32 v40, 26, v33
	v_cmp_ne_u32_e64 s19, 0, v38
	v_ashrrev_i32_e32 v103, 31, v103
	v_lshlrev_b32_e32 v102, 25, v33
	v_ashrrev_i32_e32 v35, 31, v35
	v_lshlrev_b32_e32 v38, 24, v33
	s_wait_alu 0xf1ff
	v_xor_b32_e32 v34, s19, v34
	v_cmp_gt_i32_e64 s19, 0, v36
	v_not_b32_e32 v36, v37
	v_xor_b32_e32 v103, s20, v103
	v_cmp_gt_i32_e64 s20, 0, v37
	v_and_b32_e32 v34, exec_lo, v34
	v_not_b32_e32 v37, v39
	v_ashrrev_i32_e32 v36, 31, v36
	s_wait_alu 0xf1ff
	v_xor_b32_e32 v35, s19, v35
	v_cmp_gt_i32_e64 s19, 0, v39
	v_and_b32_e32 v34, v34, v103
	v_not_b32_e32 v39, v40
	v_ashrrev_i32_e32 v37, 31, v37
	v_xor_b32_e32 v36, s20, v36
	v_cmp_gt_i32_e64 s20, 0, v40
	v_and_b32_e32 v34, v34, v35
	v_not_b32_e32 v35, v102
	v_ashrrev_i32_e32 v39, 31, v39
	s_wait_alu 0xf1ff
	v_xor_b32_e32 v37, s19, v37
	v_cmp_gt_i32_e64 s19, 0, v102
	v_and_b32_e32 v34, v34, v36
	v_not_b32_e32 v36, v38
	v_ashrrev_i32_e32 v35, 31, v35
	v_xor_b32_e32 v39, s20, v39
	v_cmp_gt_i32_e64 s20, 0, v38
	v_and_b32_e32 v34, v34, v37
	v_ashrrev_i32_e32 v36, 31, v36
	s_wait_alu 0xf1ff
	v_xor_b32_e32 v35, s19, v35
	v_lshl_add_u32 v104, v33, 4, v0
	v_and_b32_e32 v34, v34, v39
	v_xor_b32_e32 v33, s20, v36
	ds_load_b32 v102, v104 offset:16
	v_and_b32_e32 v34, v34, v35
	; wave barrier
	s_delay_alu instid0(VALU_DEP_1) | instskip(NEXT) | instid1(VALU_DEP_1)
	v_and_b32_e32 v33, v34, v33
	v_mbcnt_lo_u32_b32 v103, v33, 0
	v_cmp_ne_u32_e64 s20, 0, v33
	s_delay_alu instid0(VALU_DEP_2)
	v_cmp_eq_u32_e64 s19, 0, v103
	s_and_b32 s20, s20, s19
	s_wait_alu 0xfffe
	s_and_saveexec_b32 s19, s20
	s_cbranch_execz .LBB252_70
; %bb.69:
	s_wait_dscnt 0x0
	v_bcnt_u32_b32 v33, v33, v102
	ds_store_b32 v104, v33 offset:16
.LBB252_70:
	s_wait_alu 0xfffe
	s_or_b32 exec_lo, exec_lo, s19
	v_lshrrev_b16 v33, 8, v73
	v_cmp_ne_u16_e64 s19, 0x7fff, v73
	; wave barrier
	s_wait_alu 0xf1ff
	s_delay_alu instid0(VALU_DEP_1) | instskip(NEXT) | instid1(VALU_DEP_1)
	v_cndmask_b32_e64 v33, 0x80, v33, s19
	v_and_b32_e32 v33, s21, v33
	s_delay_alu instid0(VALU_DEP_1)
	v_and_b32_e32 v34, 1, v33
	v_lshlrev_b32_e32 v35, 30, v33
	v_lshlrev_b32_e32 v36, 29, v33
	;; [unrolled: 1-line block ×4, first 2 shown]
	v_add_co_u32 v34, s19, v34, -1
	s_wait_alu 0xf1ff
	v_cndmask_b32_e64 v38, 0, 1, s19
	v_not_b32_e32 v106, v35
	v_cmp_gt_i32_e64 s20, 0, v35
	v_not_b32_e32 v35, v36
	v_lshlrev_b32_e32 v40, 26, v33
	v_cmp_ne_u32_e64 s19, 0, v38
	v_ashrrev_i32_e32 v106, 31, v106
	v_lshlrev_b32_e32 v105, 25, v33
	v_ashrrev_i32_e32 v35, 31, v35
	v_lshlrev_b32_e32 v38, 24, v33
	s_wait_alu 0xf1ff
	v_xor_b32_e32 v34, s19, v34
	v_cmp_gt_i32_e64 s19, 0, v36
	v_not_b32_e32 v36, v37
	v_xor_b32_e32 v106, s20, v106
	v_cmp_gt_i32_e64 s20, 0, v37
	v_and_b32_e32 v34, exec_lo, v34
	v_not_b32_e32 v37, v39
	v_ashrrev_i32_e32 v36, 31, v36
	s_wait_alu 0xf1ff
	v_xor_b32_e32 v35, s19, v35
	v_cmp_gt_i32_e64 s19, 0, v39
	v_and_b32_e32 v34, v34, v106
	v_not_b32_e32 v39, v40
	v_ashrrev_i32_e32 v37, 31, v37
	v_xor_b32_e32 v36, s20, v36
	v_cmp_gt_i32_e64 s20, 0, v40
	v_and_b32_e32 v34, v34, v35
	v_not_b32_e32 v35, v105
	v_ashrrev_i32_e32 v39, 31, v39
	s_wait_alu 0xf1ff
	v_xor_b32_e32 v37, s19, v37
	v_cmp_gt_i32_e64 s19, 0, v105
	v_and_b32_e32 v34, v34, v36
	v_not_b32_e32 v36, v38
	v_ashrrev_i32_e32 v35, 31, v35
	v_xor_b32_e32 v39, s20, v39
	v_cmp_gt_i32_e64 s20, 0, v38
	v_and_b32_e32 v34, v34, v37
	v_ashrrev_i32_e32 v36, 31, v36
	s_wait_alu 0xf1ff
	v_xor_b32_e32 v35, s19, v35
	v_lshl_add_u32 v106, v33, 4, v0
	v_and_b32_e32 v34, v34, v39
	v_xor_b32_e32 v33, s20, v36
	ds_load_b32 v0, v106 offset:16
	v_and_b32_e32 v34, v34, v35
	; wave barrier
	s_delay_alu instid0(VALU_DEP_1) | instskip(NEXT) | instid1(VALU_DEP_1)
	v_and_b32_e32 v33, v34, v33
	v_mbcnt_lo_u32_b32 v105, v33, 0
	v_cmp_ne_u32_e64 s20, 0, v33
	s_delay_alu instid0(VALU_DEP_2)
	v_cmp_eq_u32_e64 s19, 0, v105
	s_and_b32 s20, s20, s19
	s_wait_alu 0xfffe
	s_and_saveexec_b32 s19, s20
	s_cbranch_execz .LBB252_72
; %bb.71:
	s_wait_dscnt 0x0
	v_bcnt_u32_b32 v33, v33, v0
	ds_store_b32 v106, v33 offset:16
.LBB252_72:
	s_wait_alu 0xfffe
	s_or_b32 exec_lo, exec_lo, s19
	; wave barrier
	s_wait_loadcnt_dscnt 0x0
	s_barrier_signal -1
	s_barrier_wait -1
	global_inv scope:SCOPE_SE
	ds_load_b128 v[37:40], v67 offset:16
	ds_load_b128 v[33:36], v67 offset:32
	s_wait_dscnt 0x1
	v_add_nc_u32_e32 v107, v38, v37
	s_delay_alu instid0(VALU_DEP_1) | instskip(SKIP_1) | instid1(VALU_DEP_1)
	v_add3_u32 v107, v107, v39, v40
	s_wait_dscnt 0x0
	v_add3_u32 v107, v107, v33, v34
	s_delay_alu instid0(VALU_DEP_1) | instskip(NEXT) | instid1(VALU_DEP_1)
	v_add3_u32 v36, v107, v35, v36
	v_mov_b32_dpp v107, v36 row_shr:1 row_mask:0xf bank_mask:0xf
	s_delay_alu instid0(VALU_DEP_1) | instskip(NEXT) | instid1(VALU_DEP_1)
	v_cndmask_b32_e64 v107, v107, 0, s1
	v_add_nc_u32_e32 v36, v107, v36
	s_delay_alu instid0(VALU_DEP_1) | instskip(NEXT) | instid1(VALU_DEP_1)
	v_mov_b32_dpp v107, v36 row_shr:2 row_mask:0xf bank_mask:0xf
	v_cndmask_b32_e64 v107, 0, v107, s10
	s_delay_alu instid0(VALU_DEP_1) | instskip(NEXT) | instid1(VALU_DEP_1)
	v_add_nc_u32_e32 v36, v36, v107
	v_mov_b32_dpp v107, v36 row_shr:4 row_mask:0xf bank_mask:0xf
	s_delay_alu instid0(VALU_DEP_1) | instskip(NEXT) | instid1(VALU_DEP_1)
	v_cndmask_b32_e64 v107, 0, v107, s11
	v_add_nc_u32_e32 v36, v36, v107
	s_delay_alu instid0(VALU_DEP_1) | instskip(NEXT) | instid1(VALU_DEP_1)
	v_mov_b32_dpp v107, v36 row_shr:8 row_mask:0xf bank_mask:0xf
	v_cndmask_b32_e64 v107, 0, v107, s13
	s_delay_alu instid0(VALU_DEP_1) | instskip(SKIP_3) | instid1(VALU_DEP_1)
	v_add_nc_u32_e32 v36, v36, v107
	ds_swizzle_b32 v107, v36 offset:swizzle(BROADCAST,32,15)
	s_wait_dscnt 0x0
	v_cndmask_b32_e64 v107, v107, 0, s16
	v_add_nc_u32_e32 v36, v36, v107
	s_and_saveexec_b32 s1, s14
; %bb.73:
	ds_store_b32 v82, v36
; %bb.74:
	s_wait_alu 0xfffe
	s_or_b32 exec_lo, exec_lo, s1
	s_wait_loadcnt_dscnt 0x0
	s_barrier_signal -1
	s_barrier_wait -1
	global_inv scope:SCOPE_SE
	s_and_saveexec_b32 s1, s15
	s_cbranch_execz .LBB252_76
; %bb.75:
	ds_load_b32 v82, v83
	s_wait_dscnt 0x0
	v_mov_b32_dpp v107, v82 row_shr:1 row_mask:0xf bank_mask:0xf
	s_delay_alu instid0(VALU_DEP_1) | instskip(NEXT) | instid1(VALU_DEP_1)
	v_cndmask_b32_e64 v107, v107, 0, s12
	v_add_nc_u32_e32 v82, v107, v82
	s_delay_alu instid0(VALU_DEP_1) | instskip(NEXT) | instid1(VALU_DEP_1)
	v_mov_b32_dpp v107, v82 row_shr:2 row_mask:0xf bank_mask:0xf
	v_cndmask_b32_e64 v107, 0, v107, s9
	s_delay_alu instid0(VALU_DEP_1)
	v_add_nc_u32_e32 v82, v82, v107
	ds_store_b32 v83, v82
.LBB252_76:
	s_wait_alu 0xfffe
	s_or_b32 exec_lo, exec_lo, s1
	v_mov_b32_e32 v82, 0
	s_wait_loadcnt_dscnt 0x0
	s_barrier_signal -1
	s_barrier_wait -1
	global_inv scope:SCOPE_SE
	s_and_saveexec_b32 s1, s17
; %bb.77:
	ds_load_b32 v82, v84
; %bb.78:
	s_wait_alu 0xfffe
	s_or_b32 exec_lo, exec_lo, s1
	s_wait_dscnt 0x0
	v_add_nc_u32_e32 v36, v82, v36
	ds_bpermute_b32 v36, v85, v36
	s_wait_dscnt 0x0
	v_cndmask_b32_e32 v36, v36, v82, vcc_lo
	s_delay_alu instid0(VALU_DEP_1) | instskip(NEXT) | instid1(VALU_DEP_1)
	v_cndmask_b32_e64 v36, v36, 0, s18
	v_add_nc_u32_e32 v37, v36, v37
	s_delay_alu instid0(VALU_DEP_1) | instskip(NEXT) | instid1(VALU_DEP_1)
	v_add_nc_u32_e32 v38, v37, v38
	v_add_nc_u32_e32 v39, v38, v39
	s_delay_alu instid0(VALU_DEP_1) | instskip(NEXT) | instid1(VALU_DEP_1)
	v_add_nc_u32_e32 v82, v39, v40
	;; [unrolled: 3-line block ×3, first 2 shown]
	v_add_nc_u32_e32 v85, v84, v35
	ds_store_b128 v67, v[36:39] offset:16
	ds_store_b128 v67, v[82:85] offset:32
	s_wait_loadcnt_dscnt 0x0
	s_barrier_signal -1
	s_barrier_wait -1
	global_inv scope:SCOPE_SE
	ds_load_b32 v33, v106 offset:16
	ds_load_b32 v34, v104 offset:16
	ds_load_b32 v35, v101 offset:16
	ds_load_b32 v36, v86 offset:16
	ds_load_b32 v37, v89 offset:16
	ds_load_b32 v38, v92 offset:16
	ds_load_b32 v39, v95 offset:16
	ds_load_b32 v40, v98 offset:16
	v_lshlrev_b32_e32 v82, 1, v66
	s_wait_loadcnt_dscnt 0x0
	s_barrier_signal -1
	s_barrier_wait -1
	global_inv scope:SCOPE_SE
	v_mad_u32_u24 v83, v46, 48, v82
	v_add3_u32 v84, v105, v0, v33
	v_add3_u32 v85, v103, v102, v34
	;; [unrolled: 1-line block ×3, first 2 shown]
	v_add_nc_u32_e32 v81, v36, v81
	v_add3_u32 v87, v88, v87, v37
	v_add3_u32 v88, v91, v90, v38
	;; [unrolled: 1-line block ×4, first 2 shown]
	v_lshlrev_b32_e32 v0, 1, v81
	v_lshlrev_b32_e32 v33, 1, v87
	;; [unrolled: 1-line block ×8, first 2 shown]
	ds_store_b16 v0, v74
	ds_store_b16 v33, v75
	;; [unrolled: 1-line block ×8, first 2 shown]
	v_mad_co_u64_u32 v[73:74], null, v81, 6, v[0:1]
	v_mad_co_u64_u32 v[74:75], null, v87, 6, v[33:34]
	;; [unrolled: 1-line block ×4, first 2 shown]
	s_wait_loadcnt_dscnt 0x0
	s_barrier_signal -1
	s_barrier_wait -1
	global_inv scope:SCOPE_SE
	v_mad_co_u64_u32 v[77:78], null, v40, 6, v[36:37]
	ds_load_b128 v[33:36], v82
	v_mad_co_u64_u32 v[78:79], null, v86, 6, v[37:38]
	v_mad_co_u64_u32 v[37:38], null, v85, 6, v[38:39]
	v_mad_co_u64_u32 v[38:39], null, v84, 6, v[39:40]
	s_wait_loadcnt_dscnt 0x0
	s_barrier_signal -1
	s_barrier_wait -1
	global_inv scope:SCOPE_SE
	ds_store_b64 v73, v[21:22]
	ds_store_b64 v74, v[23:24]
	;; [unrolled: 1-line block ×8, first 2 shown]
	s_wait_loadcnt_dscnt 0x0
	s_barrier_signal -1
	s_barrier_wait -1
	global_inv scope:SCOPE_SE
	ds_load_b128 v[29:32], v83
	ds_load_b128 v[25:28], v83 offset:16
	ds_load_b128 v[21:24], v83 offset:32
	;; [unrolled: 1-line block ×3, first 2 shown]
	v_cmp_lt_i16_e32 vcc_lo, -1, v33
	v_lshrrev_b32_e32 v0, 16, v33
	v_lshrrev_b32_e32 v38, 16, v34
	v_lshrrev_b32_e32 v40, 16, v35
	v_lshrrev_b32_e32 v74, 16, v36
	s_wait_alu 0xfffd
	v_cndmask_b32_e64 v37, 0xffff8000, -1, vcc_lo
	v_cmp_lt_i16_e32 vcc_lo, -1, v34
	s_wait_alu 0xfffd
	v_cndmask_b32_e64 v39, 0xffff8000, -1, vcc_lo
	v_cmp_lt_i16_e32 vcc_lo, -1, v35
	;; [unrolled: 3-line block ×5, first 2 shown]
	s_delay_alu instid0(VALU_DEP_2) | instskip(SKIP_3) | instid1(VALU_DEP_3)
	v_perm_b32 v0, v0, v37, 0x5040100
	s_wait_alu 0xfffd
	v_cndmask_b32_e64 v38, 0xffff8000, -1, vcc_lo
	v_cmp_lt_i16_e32 vcc_lo, -1, v40
	v_xor_b32_e32 v0, v0, v33
	s_delay_alu instid0(VALU_DEP_3) | instskip(SKIP_3) | instid1(VALU_DEP_3)
	v_perm_b32 v37, v38, v39, 0x5040100
	s_wait_alu 0xfffd
	v_cndmask_b32_e64 v40, 0xffff8000, -1, vcc_lo
	v_cmp_lt_i16_e32 vcc_lo, -1, v74
	v_xor_b32_e32 v34, v37, v34
	s_delay_alu instid0(VALU_DEP_3) | instskip(SKIP_2) | instid1(VALU_DEP_2)
	v_perm_b32 v38, v40, v73, 0x5040100
	s_wait_alu 0xfffd
	v_cndmask_b32_e64 v74, 0xffff8000, -1, vcc_lo
	v_xor_b32_e32 v33, v38, v35
	s_delay_alu instid0(VALU_DEP_2) | instskip(NEXT) | instid1(VALU_DEP_1)
	v_perm_b32 v39, v74, v75, 0x5040100
	v_xor_b32_e32 v35, v39, v36
	s_branch .LBB252_131
.LBB252_79:
	v_lshlrev_b64_e32 v[1:2], 3, v[41:42]
	v_dual_mov_b32 v43, v42 :: v_dual_mov_b32 v10, v42
	v_dual_mov_b32 v9, v42 :: v_dual_mov_b32 v12, v42
	v_mov_b32_e32 v11, v42
	s_delay_alu instid0(VALU_DEP_4)
	v_add_co_u32 v1, vcc_lo, s34, v1
	s_wait_alu 0xfffd
	v_add_co_ci_u32_e64 v2, null, s35, v2, vcc_lo
	v_dual_mov_b32 v3, v42 :: v_dual_mov_b32 v6, v42
	v_dual_mov_b32 v5, v42 :: v_dual_mov_b32 v8, v42
	global_load_b64 v[13:14], v[1:2], off
	v_dual_mov_b32 v1, v42 :: v_dual_mov_b32 v4, v42
	v_dual_mov_b32 v2, v42 :: v_dual_mov_b32 v7, v42
	s_or_b32 exec_lo, exec_lo, s1
	s_and_saveexec_b32 s1, s3
	s_cbranch_execz .LBB252_25
.LBB252_80:
	v_mul_lo_u32 v22, s28, v15
	v_mov_b32_e32 v23, 0
	s_delay_alu instid0(VALU_DEP_1) | instskip(NEXT) | instid1(VALU_DEP_1)
	v_lshlrev_b64_e32 v[22:23], 3, v[22:23]
	v_add_co_u32 v22, vcc_lo, s34, v22
	s_wait_alu 0xfffd
	s_delay_alu instid0(VALU_DEP_2)
	v_add_co_ci_u32_e64 v23, null, s35, v23, vcc_lo
	global_load_b64 v[42:43], v[22:23], off
	s_or_b32 exec_lo, exec_lo, s1
	s_and_saveexec_b32 s1, s4
	s_cbranch_execz .LBB252_26
.LBB252_81:
	v_mul_lo_u32 v9, s28, v16
	v_mov_b32_e32 v10, 0
	s_delay_alu instid0(VALU_DEP_1) | instskip(NEXT) | instid1(VALU_DEP_1)
	v_lshlrev_b64_e32 v[9:10], 3, v[9:10]
	v_add_co_u32 v9, vcc_lo, s34, v9
	s_wait_alu 0xfffd
	s_delay_alu instid0(VALU_DEP_2)
	v_add_co_ci_u32_e64 v10, null, s35, v10, vcc_lo
	global_load_b64 v[9:10], v[9:10], off
	s_or_b32 exec_lo, exec_lo, s1
	s_and_saveexec_b32 s1, s5
	s_cbranch_execz .LBB252_27
.LBB252_82:
	v_mul_lo_u32 v11, s28, v17
	v_mov_b32_e32 v12, 0
	s_delay_alu instid0(VALU_DEP_1) | instskip(NEXT) | instid1(VALU_DEP_1)
	v_lshlrev_b64_e32 v[11:12], 3, v[11:12]
	v_add_co_u32 v11, vcc_lo, s34, v11
	s_wait_alu 0xfffd
	s_delay_alu instid0(VALU_DEP_2)
	v_add_co_ci_u32_e64 v12, null, s35, v12, vcc_lo
	global_load_b64 v[11:12], v[11:12], off
	s_or_b32 exec_lo, exec_lo, s1
	s_and_saveexec_b32 s1, s6
	s_cbranch_execz .LBB252_28
.LBB252_83:
	v_mul_lo_u32 v1, s28, v18
	v_mov_b32_e32 v2, 0
	s_delay_alu instid0(VALU_DEP_1) | instskip(NEXT) | instid1(VALU_DEP_1)
	v_lshlrev_b64_e32 v[1:2], 3, v[1:2]
	v_add_co_u32 v1, vcc_lo, s34, v1
	s_wait_alu 0xfffd
	s_delay_alu instid0(VALU_DEP_2)
	v_add_co_ci_u32_e64 v2, null, s35, v2, vcc_lo
	global_load_b64 v[1:2], v[1:2], off
	s_or_b32 exec_lo, exec_lo, s1
	s_and_saveexec_b32 s1, s7
	s_cbranch_execz .LBB252_29
.LBB252_84:
	v_mul_lo_u32 v3, s28, v19
	v_mov_b32_e32 v4, 0
	s_delay_alu instid0(VALU_DEP_1) | instskip(NEXT) | instid1(VALU_DEP_1)
	v_lshlrev_b64_e32 v[3:4], 3, v[3:4]
	v_add_co_u32 v3, vcc_lo, s34, v3
	s_wait_alu 0xfffd
	s_delay_alu instid0(VALU_DEP_2)
	v_add_co_ci_u32_e64 v4, null, s35, v4, vcc_lo
	global_load_b64 v[3:4], v[3:4], off
	s_or_b32 exec_lo, exec_lo, s1
	s_and_saveexec_b32 s1, s8
	s_cbranch_execnz .LBB252_30
	s_branch .LBB252_31
.LBB252_85:
                                        ; implicit-def: $vgpr19_vgpr20
                                        ; implicit-def: $vgpr23_vgpr24
                                        ; implicit-def: $vgpr27_vgpr28
                                        ; implicit-def: $vgpr31_vgpr32
                                        ; implicit-def: $vgpr35
                                        ; implicit-def: $vgpr33
                                        ; implicit-def: $vgpr34
                                        ; implicit-def: $vgpr0
	s_cbranch_execz .LBB252_131
; %bb.86:
	v_lshrrev_b32_e32 v0, 16, v49
	v_cmp_gt_i16_e32 vcc_lo, 0, v49
	s_wait_dscnt 0x0
	v_lshrrev_b32_e32 v17, 16, v50
	v_lshrrev_b32_e32 v18, 16, v47
	;; [unrolled: 1-line block ×3, first 2 shown]
	v_or_b32_e32 v21, v69, v70
	s_wait_alu 0xfffd
	v_cndmask_b32_e64 v20, 0x7fff, 0, vcc_lo
	v_cmp_gt_i16_e32 vcc_lo, 0, v0
	v_and_or_b32 v36, 0x1f00, v66, v69
	s_mov_b32 s12, 0
	s_getpc_b64 s[10:11]
	s_wait_alu 0xfffe
	s_sext_i32_i16 s11, s11
	s_add_co_u32 s10, s10, _ZN7rocprim17ROCPRIM_400000_NS16block_radix_sortI12hip_bfloat16Lj128ELj8ElLj1ELj1ELj0ELNS0_26block_radix_rank_algorithmE1ELNS0_18block_padding_hintE2ELNS0_4arch9wavefront6targetE0EE19radix_bits_per_passE@rel32@lo+12
	s_wait_alu 0xfffe
	s_add_co_ci_u32 s11, s11, _ZN7rocprim17ROCPRIM_400000_NS16block_radix_sortI12hip_bfloat16Lj128ELj8ElLj1ELj1ELj0ELNS0_26block_radix_rank_algorithmE1ELNS0_18block_padding_hintE2ELNS0_4arch9wavefront6targetE0EE19radix_bits_per_passE@rel32@hi+24
	s_mov_b32 s13, s12
	s_wait_alu 0xfffd
	v_cndmask_b32_e64 v0, 0x7fff, 0, vcc_lo
	v_cmp_gt_i16_e32 vcc_lo, 0, v50
	s_mov_b32 s14, s12
	s_mov_b32 s15, s12
	v_lshlrev_b32_e32 v25, 1, v36
	v_perm_b32 v0, v0, v20, 0x5040100
	s_wait_alu 0xfffd
	v_cndmask_b32_e64 v22, 0x7fff, 0, vcc_lo
	v_cmp_gt_i16_e32 vcc_lo, 0, v17
	s_load_b32 s19, s[10:11], 0x0
	v_cndmask_b32_e64 v17, 0x7fff, 0, vcc_lo
	v_cmp_gt_i16_e32 vcc_lo, 0, v47
	s_delay_alu instid0(VALU_DEP_2)
	v_perm_b32 v20, v17, v22, 0x5040100
	s_wait_alu 0xfffd
	v_cndmask_b32_e64 v23, 0x7fff, 0, vcc_lo
	v_cmp_gt_i16_e32 vcc_lo, 0, v18
	v_xor_b32_e32 v17, v0, v49
	s_wait_alu 0xfffd
	v_cndmask_b32_e64 v18, 0x7fff, 0, vcc_lo
	v_cmp_gt_i16_e32 vcc_lo, 0, v48
	s_wait_kmcnt 0x0
	s_min_u32 s1, s19, 16
	s_delay_alu instid0(VALU_DEP_2)
	v_perm_b32 v22, v18, v23, 0x5040100
	s_wait_alu 0xfffd
	v_cndmask_b32_e64 v24, 0x7fff, 0, vcc_lo
	v_cmp_gt_i16_e32 vcc_lo, 0, v19
	v_lshlrev_b32_e32 v23, 4, v21
	v_xor_b32_e32 v18, v20, v50
	s_lshl_b32 s1, -1, s1
	s_wait_alu 0xfffd
	v_cndmask_b32_e64 v19, 0x7fff, 0, vcc_lo
	s_not_b32 s9, s1
	s_delay_alu instid0(VALU_DEP_1) | instskip(SKIP_1) | instid1(VALU_DEP_2)
	v_perm_b32 v24, v19, v24, 0x5040100
	v_xor_b32_e32 v19, v22, v47
	v_xor_b32_e32 v20, v24, v48
	ds_store_b128 v23, v[17:20]
	; wave barrier
	ds_load_u16 v26, v25
	ds_load_u16 v27, v25 offset:64
	ds_load_u16 v28, v25 offset:128
	;; [unrolled: 1-line block ×7, first 2 shown]
	s_wait_loadcnt_dscnt 0x0
	s_barrier_signal -1
	s_barrier_wait -1
	global_inv scope:SCOPE_SE
	v_cmp_ne_u16_e32 vcc_lo, 0x8000, v26
	s_wait_alu 0xfffd
	v_cndmask_b32_e32 v0, 0x7fff, v26, vcc_lo
	v_mad_u32_u24 v17, v21, 48, v23
	ds_store_b128 v17, v[13:16]
	ds_store_b128 v17, v[9:12] offset:16
	v_and_b32_e32 v0, 0xffff, v0
	ds_store_b128 v17, v[5:8] offset:32
	ds_store_b128 v17, v[1:4] offset:48
	v_mad_u32_u24 v12, v36, 6, v25
	; wave barrier
	s_wait_alu 0xfffe
	v_and_b32_e32 v23, s9, v0
	ds_load_2addr_b64 v[8:11], v12 offset1:32
	ds_load_2addr_b64 v[0:3], v12 offset0:64 offset1:96
	v_and_b32_e32 v4, 1, v23
	v_lshlrev_b32_e32 v18, 30, v23
	v_lshlrev_b32_e32 v19, 29, v23
	;; [unrolled: 1-line block ×3, first 2 shown]
	s_delay_alu instid0(VALU_DEP_4) | instskip(NEXT) | instid1(VALU_DEP_1)
	v_add_co_u32 v16, s1, v4, -1
	v_cndmask_b32_e64 v17, 0, 1, s1
	ds_load_2addr_b64 v[4:7], v12 offset0:128 offset1:160
	ds_load_2addr_b64 v[12:15], v12 offset0:192 offset1:224
	s_wait_loadcnt_dscnt 0x0
	s_barrier_signal -1
	v_cmp_ne_u32_e32 vcc_lo, 0, v17
	v_not_b32_e32 v17, v18
	s_barrier_wait -1
	global_inv scope:SCOPE_SE
	s_load_b32 s1, s[36:37], 0xc
	v_xor_b32_e32 v16, vcc_lo, v16
	v_cmp_gt_i32_e32 vcc_lo, 0, v18
	v_ashrrev_i32_e32 v17, 31, v17
	v_not_b32_e32 v18, v19
	s_delay_alu instid0(VALU_DEP_4) | instskip(SKIP_1) | instid1(VALU_DEP_3)
	v_and_b32_e32 v16, exec_lo, v16
	s_wait_alu 0xfffd
	v_xor_b32_e32 v17, vcc_lo, v17
	v_cmp_gt_i32_e32 vcc_lo, 0, v19
	v_ashrrev_i32_e32 v18, 31, v18
	v_not_b32_e32 v19, v20
	s_delay_alu instid0(VALU_DEP_4)
	v_and_b32_e32 v16, v16, v17
	v_lshlrev_b32_e32 v17, 27, v23
	s_wait_alu 0xfffd
	v_xor_b32_e32 v18, vcc_lo, v18
	v_cmp_gt_i32_e32 vcc_lo, 0, v20
	v_ashrrev_i32_e32 v19, 31, v19
	v_not_b32_e32 v20, v17
	s_delay_alu instid0(VALU_DEP_4)
	v_and_b32_e32 v16, v16, v18
	v_lshlrev_b32_e32 v18, 26, v23
	s_wait_alu 0xfffd
	v_xor_b32_e32 v19, vcc_lo, v19
	v_cmp_gt_i32_e32 vcc_lo, 0, v17
	v_ashrrev_i32_e32 v17, 31, v20
	s_wait_kmcnt 0x0
	s_lshr_b32 s10, s1, 16
	v_not_b32_e32 v20, v18
	v_and_b32_e32 v16, v16, v19
	v_lshlrev_b32_e32 v19, 25, v23
	s_wait_alu 0xfffd
	v_xor_b32_e32 v17, vcc_lo, v17
	v_cmp_gt_i32_e32 vcc_lo, 0, v18
	v_ashrrev_i32_e32 v18, 31, v20
	s_wait_alu 0xfffe
	v_mad_u32_u24 v21, v72, s10, v71
	v_not_b32_e32 v20, v19
	v_and_b32_e32 v16, v16, v17
	v_lshlrev_b32_e32 v17, 24, v23
	s_wait_alu 0xfffd
	v_xor_b32_e32 v18, vcc_lo, v18
	v_cmp_gt_i32_e32 vcc_lo, 0, v19
	v_ashrrev_i32_e32 v19, 31, v20
	s_and_b32 s1, s1, 0xffff
	v_not_b32_e32 v20, v17
	v_and_b32_e32 v16, v16, v18
	s_wait_alu 0xfffe
	v_mad_co_u64_u32 v[21:22], null, v21, s1, v[46:47]
	s_wait_alu 0xfffd
	v_xor_b32_e32 v18, vcc_lo, v19
	v_cmp_gt_i32_e32 vcc_lo, 0, v17
	v_ashrrev_i32_e32 v17, 31, v20
	s_delay_alu instid0(VALU_DEP_3) | instskip(SKIP_2) | instid1(VALU_DEP_3)
	v_and_b32_e32 v16, v16, v18
	v_lshrrev_b32_e32 v21, 5, v21
	s_wait_alu 0xfffd
	v_xor_b32_e32 v22, vcc_lo, v17
	v_dual_mov_b32 v20, s15 :: v_dual_mov_b32 v19, s14
	v_dual_mov_b32 v18, s13 :: v_dual_mov_b32 v17, s12
	s_delay_alu instid0(VALU_DEP_3)
	v_and_b32_e32 v16, v16, v22
	ds_store_b128 v67, v[17:20] offset:16
	ds_store_b128 v67, v[17:20] offset:32
	v_mbcnt_lo_u32_b32 v38, v16, 0
	v_lshlrev_b32_e32 v24, 2, v21
	v_lshlrev_b32_e32 v17, 4, v23
	v_cmp_ne_u32_e64 s1, 0, v16
	s_wait_loadcnt_dscnt 0x0
	v_cmp_eq_u32_e32 vcc_lo, 0, v38
	s_barrier_signal -1
	v_add_nc_u32_e32 v39, v24, v17
	s_barrier_wait -1
	global_inv scope:SCOPE_SE
	s_and_b32 s10, s1, vcc_lo
	; wave barrier
	s_wait_alu 0xfffe
	s_and_saveexec_b32 s1, s10
; %bb.87:
	v_bcnt_u32_b32 v16, v16, 0
	ds_store_b32 v39, v16 offset:16
; %bb.88:
	s_wait_alu 0xfffe
	s_or_b32 exec_lo, exec_lo, s1
	v_cmp_ne_u16_e32 vcc_lo, 0x8000, v27
	; wave barrier
	s_wait_alu 0xfffd
	v_cndmask_b32_e32 v16, 0x7fff, v27, vcc_lo
	s_delay_alu instid0(VALU_DEP_1) | instskip(NEXT) | instid1(VALU_DEP_1)
	v_and_b32_e32 v16, 0xffff, v16
	v_and_b32_e32 v16, s9, v16
	s_delay_alu instid0(VALU_DEP_1)
	v_and_b32_e32 v17, 1, v16
	v_lshlrev_b32_e32 v18, 30, v16
	v_lshlrev_b32_e32 v19, 29, v16
	;; [unrolled: 1-line block ×4, first 2 shown]
	v_add_co_u32 v17, s1, v17, -1
	s_wait_alu 0xf1ff
	v_cndmask_b32_e64 v21, 0, 1, s1
	v_not_b32_e32 v35, v18
	v_cmp_gt_i32_e64 s1, 0, v18
	v_not_b32_e32 v18, v19
	v_lshlrev_b32_e32 v23, 26, v16
	v_cmp_ne_u32_e32 vcc_lo, 0, v21
	v_ashrrev_i32_e32 v35, 31, v35
	v_lshlrev_b32_e32 v34, 25, v16
	v_ashrrev_i32_e32 v18, 31, v18
	v_lshlrev_b32_e32 v21, 24, v16
	s_wait_alu 0xfffd
	v_xor_b32_e32 v17, vcc_lo, v17
	v_cmp_gt_i32_e32 vcc_lo, 0, v19
	v_not_b32_e32 v19, v20
	s_wait_alu 0xf1ff
	v_xor_b32_e32 v35, s1, v35
	v_cmp_gt_i32_e64 s1, 0, v20
	v_and_b32_e32 v17, exec_lo, v17
	v_not_b32_e32 v20, v22
	v_ashrrev_i32_e32 v19, 31, v19
	s_wait_alu 0xfffd
	v_xor_b32_e32 v18, vcc_lo, v18
	v_cmp_gt_i32_e32 vcc_lo, 0, v22
	v_and_b32_e32 v17, v17, v35
	v_not_b32_e32 v22, v23
	v_ashrrev_i32_e32 v20, 31, v20
	s_wait_alu 0xf1ff
	v_xor_b32_e32 v19, s1, v19
	v_cmp_gt_i32_e64 s1, 0, v23
	v_and_b32_e32 v17, v17, v18
	v_not_b32_e32 v18, v34
	v_ashrrev_i32_e32 v22, 31, v22
	s_wait_alu 0xfffd
	v_xor_b32_e32 v20, vcc_lo, v20
	v_cmp_gt_i32_e32 vcc_lo, 0, v34
	v_and_b32_e32 v17, v17, v19
	v_not_b32_e32 v19, v21
	v_ashrrev_i32_e32 v18, 31, v18
	s_wait_alu 0xf1ff
	v_xor_b32_e32 v22, s1, v22
	v_lshlrev_b32_e32 v16, 4, v16
	v_and_b32_e32 v17, v17, v20
	v_cmp_gt_i32_e64 s1, 0, v21
	v_ashrrev_i32_e32 v19, 31, v19
	s_wait_alu 0xfffd
	v_xor_b32_e32 v18, vcc_lo, v18
	v_add_nc_u32_e32 v48, v24, v16
	v_and_b32_e32 v17, v17, v22
	s_wait_alu 0xf1ff
	v_xor_b32_e32 v16, s1, v19
	ds_load_b32 v40, v48 offset:16
	v_and_b32_e32 v17, v17, v18
	; wave barrier
	s_delay_alu instid0(VALU_DEP_1) | instskip(NEXT) | instid1(VALU_DEP_1)
	v_and_b32_e32 v16, v17, v16
	v_mbcnt_lo_u32_b32 v47, v16, 0
	v_cmp_ne_u32_e64 s1, 0, v16
	s_delay_alu instid0(VALU_DEP_2)
	v_cmp_eq_u32_e32 vcc_lo, 0, v47
	s_and_b32 s10, s1, vcc_lo
	s_wait_alu 0xfffe
	s_and_saveexec_b32 s1, s10
	s_cbranch_execz .LBB252_90
; %bb.89:
	s_wait_dscnt 0x0
	v_bcnt_u32_b32 v16, v16, v40
	ds_store_b32 v48, v16 offset:16
.LBB252_90:
	s_wait_alu 0xfffe
	s_or_b32 exec_lo, exec_lo, s1
	v_cmp_ne_u16_e32 vcc_lo, 0x8000, v28
	; wave barrier
	s_wait_alu 0xfffd
	v_cndmask_b32_e32 v16, 0x7fff, v28, vcc_lo
	s_delay_alu instid0(VALU_DEP_1) | instskip(NEXT) | instid1(VALU_DEP_1)
	v_and_b32_e32 v16, 0xffff, v16
	v_and_b32_e32 v16, s9, v16
	s_delay_alu instid0(VALU_DEP_1)
	v_and_b32_e32 v17, 1, v16
	v_lshlrev_b32_e32 v18, 30, v16
	v_lshlrev_b32_e32 v19, 29, v16
	;; [unrolled: 1-line block ×4, first 2 shown]
	v_add_co_u32 v17, s1, v17, -1
	s_wait_alu 0xf1ff
	v_cndmask_b32_e64 v21, 0, 1, s1
	v_not_b32_e32 v35, v18
	v_cmp_gt_i32_e64 s1, 0, v18
	v_not_b32_e32 v18, v19
	v_lshlrev_b32_e32 v23, 26, v16
	v_cmp_ne_u32_e32 vcc_lo, 0, v21
	v_ashrrev_i32_e32 v35, 31, v35
	v_lshlrev_b32_e32 v34, 25, v16
	v_ashrrev_i32_e32 v18, 31, v18
	v_lshlrev_b32_e32 v21, 24, v16
	s_wait_alu 0xfffd
	v_xor_b32_e32 v17, vcc_lo, v17
	v_cmp_gt_i32_e32 vcc_lo, 0, v19
	v_not_b32_e32 v19, v20
	s_wait_alu 0xf1ff
	v_xor_b32_e32 v35, s1, v35
	v_cmp_gt_i32_e64 s1, 0, v20
	v_and_b32_e32 v17, exec_lo, v17
	v_not_b32_e32 v20, v22
	v_ashrrev_i32_e32 v19, 31, v19
	s_wait_alu 0xfffd
	v_xor_b32_e32 v18, vcc_lo, v18
	v_cmp_gt_i32_e32 vcc_lo, 0, v22
	v_and_b32_e32 v17, v17, v35
	v_not_b32_e32 v22, v23
	v_ashrrev_i32_e32 v20, 31, v20
	s_wait_alu 0xf1ff
	v_xor_b32_e32 v19, s1, v19
	v_cmp_gt_i32_e64 s1, 0, v23
	v_and_b32_e32 v17, v17, v18
	v_not_b32_e32 v18, v34
	v_ashrrev_i32_e32 v22, 31, v22
	s_wait_alu 0xfffd
	v_xor_b32_e32 v20, vcc_lo, v20
	v_cmp_gt_i32_e32 vcc_lo, 0, v34
	v_and_b32_e32 v17, v17, v19
	v_not_b32_e32 v19, v21
	v_ashrrev_i32_e32 v18, 31, v18
	s_wait_alu 0xf1ff
	v_xor_b32_e32 v22, s1, v22
	v_lshlrev_b32_e32 v16, 4, v16
	v_and_b32_e32 v17, v17, v20
	v_cmp_gt_i32_e64 s1, 0, v21
	v_ashrrev_i32_e32 v19, 31, v19
	s_wait_alu 0xfffd
	v_xor_b32_e32 v18, vcc_lo, v18
	v_add_nc_u32_e32 v71, v24, v16
	v_and_b32_e32 v17, v17, v22
	s_wait_alu 0xf1ff
	v_xor_b32_e32 v16, s1, v19
	ds_load_b32 v49, v71 offset:16
	v_and_b32_e32 v17, v17, v18
	; wave barrier
	s_delay_alu instid0(VALU_DEP_1) | instskip(NEXT) | instid1(VALU_DEP_1)
	v_and_b32_e32 v16, v17, v16
	v_mbcnt_lo_u32_b32 v50, v16, 0
	v_cmp_ne_u32_e64 s1, 0, v16
	s_delay_alu instid0(VALU_DEP_2)
	v_cmp_eq_u32_e32 vcc_lo, 0, v50
	s_and_b32 s10, s1, vcc_lo
	s_wait_alu 0xfffe
	s_and_saveexec_b32 s1, s10
	s_cbranch_execz .LBB252_92
; %bb.91:
	s_wait_dscnt 0x0
	v_bcnt_u32_b32 v16, v16, v49
	ds_store_b32 v71, v16 offset:16
.LBB252_92:
	s_wait_alu 0xfffe
	s_or_b32 exec_lo, exec_lo, s1
	v_cmp_ne_u16_e32 vcc_lo, 0x8000, v29
	; wave barrier
	s_wait_alu 0xfffd
	v_cndmask_b32_e32 v16, 0x7fff, v29, vcc_lo
	s_delay_alu instid0(VALU_DEP_1) | instskip(NEXT) | instid1(VALU_DEP_1)
	v_and_b32_e32 v16, 0xffff, v16
	v_and_b32_e32 v16, s9, v16
	s_delay_alu instid0(VALU_DEP_1)
	v_and_b32_e32 v17, 1, v16
	v_lshlrev_b32_e32 v18, 30, v16
	v_lshlrev_b32_e32 v19, 29, v16
	;; [unrolled: 1-line block ×4, first 2 shown]
	v_add_co_u32 v17, s1, v17, -1
	s_wait_alu 0xf1ff
	v_cndmask_b32_e64 v21, 0, 1, s1
	v_not_b32_e32 v35, v18
	v_cmp_gt_i32_e64 s1, 0, v18
	v_not_b32_e32 v18, v19
	v_lshlrev_b32_e32 v23, 26, v16
	v_cmp_ne_u32_e32 vcc_lo, 0, v21
	v_ashrrev_i32_e32 v35, 31, v35
	v_lshlrev_b32_e32 v34, 25, v16
	v_ashrrev_i32_e32 v18, 31, v18
	v_lshlrev_b32_e32 v21, 24, v16
	s_wait_alu 0xfffd
	v_xor_b32_e32 v17, vcc_lo, v17
	v_cmp_gt_i32_e32 vcc_lo, 0, v19
	v_not_b32_e32 v19, v20
	s_wait_alu 0xf1ff
	v_xor_b32_e32 v35, s1, v35
	v_cmp_gt_i32_e64 s1, 0, v20
	v_and_b32_e32 v17, exec_lo, v17
	v_not_b32_e32 v20, v22
	v_ashrrev_i32_e32 v19, 31, v19
	s_wait_alu 0xfffd
	v_xor_b32_e32 v18, vcc_lo, v18
	v_cmp_gt_i32_e32 vcc_lo, 0, v22
	v_and_b32_e32 v17, v17, v35
	v_not_b32_e32 v22, v23
	v_ashrrev_i32_e32 v20, 31, v20
	s_wait_alu 0xf1ff
	v_xor_b32_e32 v19, s1, v19
	v_cmp_gt_i32_e64 s1, 0, v23
	v_and_b32_e32 v17, v17, v18
	v_not_b32_e32 v18, v34
	v_ashrrev_i32_e32 v22, 31, v22
	s_wait_alu 0xfffd
	v_xor_b32_e32 v20, vcc_lo, v20
	v_cmp_gt_i32_e32 vcc_lo, 0, v34
	v_and_b32_e32 v17, v17, v19
	v_not_b32_e32 v19, v21
	v_ashrrev_i32_e32 v18, 31, v18
	s_wait_alu 0xf1ff
	v_xor_b32_e32 v22, s1, v22
	v_lshlrev_b32_e32 v16, 4, v16
	v_and_b32_e32 v17, v17, v20
	v_cmp_gt_i32_e64 s1, 0, v21
	v_ashrrev_i32_e32 v19, 31, v19
	s_wait_alu 0xfffd
	v_xor_b32_e32 v18, vcc_lo, v18
	v_add_nc_u32_e32 v74, v24, v16
	v_and_b32_e32 v17, v17, v22
	s_wait_alu 0xf1ff
	v_xor_b32_e32 v16, s1, v19
	ds_load_b32 v72, v74 offset:16
	v_and_b32_e32 v17, v17, v18
	; wave barrier
	s_delay_alu instid0(VALU_DEP_1) | instskip(NEXT) | instid1(VALU_DEP_1)
	v_and_b32_e32 v16, v17, v16
	v_mbcnt_lo_u32_b32 v73, v16, 0
	v_cmp_ne_u32_e64 s1, 0, v16
	s_delay_alu instid0(VALU_DEP_2)
	v_cmp_eq_u32_e32 vcc_lo, 0, v73
	s_and_b32 s10, s1, vcc_lo
	s_wait_alu 0xfffe
	s_and_saveexec_b32 s1, s10
	s_cbranch_execz .LBB252_94
; %bb.93:
	s_wait_dscnt 0x0
	v_bcnt_u32_b32 v16, v16, v72
	ds_store_b32 v74, v16 offset:16
.LBB252_94:
	s_wait_alu 0xfffe
	s_or_b32 exec_lo, exec_lo, s1
	v_cmp_ne_u16_e32 vcc_lo, 0x8000, v30
	; wave barrier
	s_wait_alu 0xfffd
	v_cndmask_b32_e32 v16, 0x7fff, v30, vcc_lo
	s_delay_alu instid0(VALU_DEP_1) | instskip(NEXT) | instid1(VALU_DEP_1)
	v_and_b32_e32 v16, 0xffff, v16
	v_and_b32_e32 v16, s9, v16
	s_delay_alu instid0(VALU_DEP_1)
	v_and_b32_e32 v17, 1, v16
	v_lshlrev_b32_e32 v18, 30, v16
	v_lshlrev_b32_e32 v19, 29, v16
	;; [unrolled: 1-line block ×4, first 2 shown]
	v_add_co_u32 v17, s1, v17, -1
	s_wait_alu 0xf1ff
	v_cndmask_b32_e64 v21, 0, 1, s1
	v_not_b32_e32 v35, v18
	v_cmp_gt_i32_e64 s1, 0, v18
	v_not_b32_e32 v18, v19
	v_lshlrev_b32_e32 v23, 26, v16
	v_cmp_ne_u32_e32 vcc_lo, 0, v21
	v_ashrrev_i32_e32 v35, 31, v35
	v_lshlrev_b32_e32 v34, 25, v16
	v_ashrrev_i32_e32 v18, 31, v18
	v_lshlrev_b32_e32 v21, 24, v16
	s_wait_alu 0xfffd
	v_xor_b32_e32 v17, vcc_lo, v17
	v_cmp_gt_i32_e32 vcc_lo, 0, v19
	v_not_b32_e32 v19, v20
	s_wait_alu 0xf1ff
	v_xor_b32_e32 v35, s1, v35
	v_cmp_gt_i32_e64 s1, 0, v20
	v_and_b32_e32 v17, exec_lo, v17
	v_not_b32_e32 v20, v22
	v_ashrrev_i32_e32 v19, 31, v19
	s_wait_alu 0xfffd
	v_xor_b32_e32 v18, vcc_lo, v18
	v_cmp_gt_i32_e32 vcc_lo, 0, v22
	v_and_b32_e32 v17, v17, v35
	v_not_b32_e32 v22, v23
	v_ashrrev_i32_e32 v20, 31, v20
	s_wait_alu 0xf1ff
	v_xor_b32_e32 v19, s1, v19
	v_cmp_gt_i32_e64 s1, 0, v23
	v_and_b32_e32 v17, v17, v18
	v_not_b32_e32 v18, v34
	v_ashrrev_i32_e32 v22, 31, v22
	s_wait_alu 0xfffd
	v_xor_b32_e32 v20, vcc_lo, v20
	v_cmp_gt_i32_e32 vcc_lo, 0, v34
	v_and_b32_e32 v17, v17, v19
	v_not_b32_e32 v19, v21
	v_ashrrev_i32_e32 v18, 31, v18
	s_wait_alu 0xf1ff
	v_xor_b32_e32 v22, s1, v22
	v_lshlrev_b32_e32 v16, 4, v16
	v_and_b32_e32 v17, v17, v20
	v_cmp_gt_i32_e64 s1, 0, v21
	v_ashrrev_i32_e32 v19, 31, v19
	s_wait_alu 0xfffd
	v_xor_b32_e32 v18, vcc_lo, v18
	v_add_nc_u32_e32 v77, v24, v16
	v_and_b32_e32 v17, v17, v22
	s_wait_alu 0xf1ff
	v_xor_b32_e32 v16, s1, v19
	ds_load_b32 v75, v77 offset:16
	v_and_b32_e32 v17, v17, v18
	; wave barrier
	s_delay_alu instid0(VALU_DEP_1) | instskip(NEXT) | instid1(VALU_DEP_1)
	v_and_b32_e32 v16, v17, v16
	v_mbcnt_lo_u32_b32 v76, v16, 0
	v_cmp_ne_u32_e64 s1, 0, v16
	s_delay_alu instid0(VALU_DEP_2)
	v_cmp_eq_u32_e32 vcc_lo, 0, v76
	s_and_b32 s10, s1, vcc_lo
	s_wait_alu 0xfffe
	s_and_saveexec_b32 s1, s10
	s_cbranch_execz .LBB252_96
; %bb.95:
	s_wait_dscnt 0x0
	v_bcnt_u32_b32 v16, v16, v75
	ds_store_b32 v77, v16 offset:16
.LBB252_96:
	s_wait_alu 0xfffe
	s_or_b32 exec_lo, exec_lo, s1
	v_cmp_ne_u16_e32 vcc_lo, 0x8000, v31
	; wave barrier
	s_wait_alu 0xfffd
	v_cndmask_b32_e32 v16, 0x7fff, v31, vcc_lo
	s_delay_alu instid0(VALU_DEP_1) | instskip(NEXT) | instid1(VALU_DEP_1)
	v_and_b32_e32 v16, 0xffff, v16
	v_and_b32_e32 v16, s9, v16
	s_delay_alu instid0(VALU_DEP_1)
	v_and_b32_e32 v17, 1, v16
	v_lshlrev_b32_e32 v18, 30, v16
	v_lshlrev_b32_e32 v19, 29, v16
	;; [unrolled: 1-line block ×4, first 2 shown]
	v_add_co_u32 v17, s1, v17, -1
	s_wait_alu 0xf1ff
	v_cndmask_b32_e64 v21, 0, 1, s1
	v_not_b32_e32 v35, v18
	v_cmp_gt_i32_e64 s1, 0, v18
	v_not_b32_e32 v18, v19
	v_lshlrev_b32_e32 v23, 26, v16
	v_cmp_ne_u32_e32 vcc_lo, 0, v21
	v_ashrrev_i32_e32 v35, 31, v35
	v_lshlrev_b32_e32 v34, 25, v16
	v_ashrrev_i32_e32 v18, 31, v18
	v_lshlrev_b32_e32 v21, 24, v16
	s_wait_alu 0xfffd
	v_xor_b32_e32 v17, vcc_lo, v17
	v_cmp_gt_i32_e32 vcc_lo, 0, v19
	v_not_b32_e32 v19, v20
	s_wait_alu 0xf1ff
	v_xor_b32_e32 v35, s1, v35
	v_cmp_gt_i32_e64 s1, 0, v20
	v_and_b32_e32 v17, exec_lo, v17
	v_not_b32_e32 v20, v22
	v_ashrrev_i32_e32 v19, 31, v19
	s_wait_alu 0xfffd
	v_xor_b32_e32 v18, vcc_lo, v18
	v_cmp_gt_i32_e32 vcc_lo, 0, v22
	v_and_b32_e32 v17, v17, v35
	v_not_b32_e32 v22, v23
	v_ashrrev_i32_e32 v20, 31, v20
	s_wait_alu 0xf1ff
	v_xor_b32_e32 v19, s1, v19
	v_cmp_gt_i32_e64 s1, 0, v23
	v_and_b32_e32 v17, v17, v18
	v_not_b32_e32 v18, v34
	v_ashrrev_i32_e32 v22, 31, v22
	s_wait_alu 0xfffd
	v_xor_b32_e32 v20, vcc_lo, v20
	v_cmp_gt_i32_e32 vcc_lo, 0, v34
	v_and_b32_e32 v17, v17, v19
	v_not_b32_e32 v19, v21
	v_ashrrev_i32_e32 v18, 31, v18
	s_wait_alu 0xf1ff
	v_xor_b32_e32 v22, s1, v22
	v_lshlrev_b32_e32 v16, 4, v16
	v_and_b32_e32 v17, v17, v20
	v_cmp_gt_i32_e64 s1, 0, v21
	v_ashrrev_i32_e32 v19, 31, v19
	s_wait_alu 0xfffd
	v_xor_b32_e32 v18, vcc_lo, v18
	v_add_nc_u32_e32 v80, v24, v16
	v_and_b32_e32 v17, v17, v22
	s_wait_alu 0xf1ff
	v_xor_b32_e32 v16, s1, v19
	ds_load_b32 v78, v80 offset:16
	v_and_b32_e32 v17, v17, v18
	; wave barrier
	s_delay_alu instid0(VALU_DEP_1) | instskip(NEXT) | instid1(VALU_DEP_1)
	v_and_b32_e32 v16, v17, v16
	v_mbcnt_lo_u32_b32 v79, v16, 0
	v_cmp_ne_u32_e64 s1, 0, v16
	s_delay_alu instid0(VALU_DEP_2)
	v_cmp_eq_u32_e32 vcc_lo, 0, v79
	s_and_b32 s10, s1, vcc_lo
	s_wait_alu 0xfffe
	s_and_saveexec_b32 s1, s10
	s_cbranch_execz .LBB252_98
; %bb.97:
	s_wait_dscnt 0x0
	v_bcnt_u32_b32 v16, v16, v78
	ds_store_b32 v80, v16 offset:16
.LBB252_98:
	s_wait_alu 0xfffe
	s_or_b32 exec_lo, exec_lo, s1
	v_cmp_ne_u16_e32 vcc_lo, 0x8000, v32
	; wave barrier
	s_wait_alu 0xfffd
	v_cndmask_b32_e32 v16, 0x7fff, v32, vcc_lo
	s_delay_alu instid0(VALU_DEP_1) | instskip(NEXT) | instid1(VALU_DEP_1)
	v_and_b32_e32 v16, 0xffff, v16
	v_and_b32_e32 v16, s9, v16
	s_delay_alu instid0(VALU_DEP_1)
	v_and_b32_e32 v17, 1, v16
	v_lshlrev_b32_e32 v18, 30, v16
	v_lshlrev_b32_e32 v19, 29, v16
	v_lshlrev_b32_e32 v20, 28, v16
	v_lshlrev_b32_e32 v22, 27, v16
	v_add_co_u32 v17, s1, v17, -1
	s_wait_alu 0xf1ff
	v_cndmask_b32_e64 v21, 0, 1, s1
	v_not_b32_e32 v35, v18
	v_cmp_gt_i32_e64 s1, 0, v18
	v_not_b32_e32 v18, v19
	v_lshlrev_b32_e32 v23, 26, v16
	v_cmp_ne_u32_e32 vcc_lo, 0, v21
	v_ashrrev_i32_e32 v35, 31, v35
	v_lshlrev_b32_e32 v34, 25, v16
	v_ashrrev_i32_e32 v18, 31, v18
	v_lshlrev_b32_e32 v21, 24, v16
	s_wait_alu 0xfffd
	v_xor_b32_e32 v17, vcc_lo, v17
	v_cmp_gt_i32_e32 vcc_lo, 0, v19
	v_not_b32_e32 v19, v20
	s_wait_alu 0xf1ff
	v_xor_b32_e32 v35, s1, v35
	v_cmp_gt_i32_e64 s1, 0, v20
	v_and_b32_e32 v17, exec_lo, v17
	v_not_b32_e32 v20, v22
	v_ashrrev_i32_e32 v19, 31, v19
	s_wait_alu 0xfffd
	v_xor_b32_e32 v18, vcc_lo, v18
	v_cmp_gt_i32_e32 vcc_lo, 0, v22
	v_and_b32_e32 v17, v17, v35
	v_not_b32_e32 v22, v23
	v_ashrrev_i32_e32 v20, 31, v20
	s_wait_alu 0xf1ff
	v_xor_b32_e32 v19, s1, v19
	v_cmp_gt_i32_e64 s1, 0, v23
	v_and_b32_e32 v17, v17, v18
	v_not_b32_e32 v18, v34
	v_ashrrev_i32_e32 v22, 31, v22
	s_wait_alu 0xfffd
	v_xor_b32_e32 v20, vcc_lo, v20
	v_cmp_gt_i32_e32 vcc_lo, 0, v34
	v_and_b32_e32 v17, v17, v19
	v_not_b32_e32 v19, v21
	v_ashrrev_i32_e32 v18, 31, v18
	s_wait_alu 0xf1ff
	v_xor_b32_e32 v22, s1, v22
	v_lshlrev_b32_e32 v16, 4, v16
	v_and_b32_e32 v17, v17, v20
	v_cmp_gt_i32_e64 s1, 0, v21
	v_ashrrev_i32_e32 v19, 31, v19
	s_wait_alu 0xfffd
	v_xor_b32_e32 v18, vcc_lo, v18
	v_add_nc_u32_e32 v83, v24, v16
	v_and_b32_e32 v17, v17, v22
	s_wait_alu 0xf1ff
	v_xor_b32_e32 v16, s1, v19
	ds_load_b32 v81, v83 offset:16
	v_and_b32_e32 v17, v17, v18
	; wave barrier
	s_delay_alu instid0(VALU_DEP_1) | instskip(NEXT) | instid1(VALU_DEP_1)
	v_and_b32_e32 v16, v17, v16
	v_mbcnt_lo_u32_b32 v82, v16, 0
	v_cmp_ne_u32_e64 s1, 0, v16
	s_delay_alu instid0(VALU_DEP_2)
	v_cmp_eq_u32_e32 vcc_lo, 0, v82
	s_and_b32 s10, s1, vcc_lo
	s_wait_alu 0xfffe
	s_and_saveexec_b32 s1, s10
	s_cbranch_execz .LBB252_100
; %bb.99:
	s_wait_dscnt 0x0
	v_bcnt_u32_b32 v16, v16, v81
	ds_store_b32 v83, v16 offset:16
.LBB252_100:
	s_wait_alu 0xfffe
	s_or_b32 exec_lo, exec_lo, s1
	v_cmp_ne_u16_e32 vcc_lo, 0x8000, v33
	; wave barrier
	s_wait_alu 0xfffd
	v_cndmask_b32_e32 v16, 0x7fff, v33, vcc_lo
	s_delay_alu instid0(VALU_DEP_1) | instskip(NEXT) | instid1(VALU_DEP_1)
	v_and_b32_e32 v16, 0xffff, v16
	v_and_b32_e32 v16, s9, v16
	s_delay_alu instid0(VALU_DEP_1)
	v_and_b32_e32 v17, 1, v16
	v_lshlrev_b32_e32 v18, 30, v16
	v_lshlrev_b32_e32 v19, 29, v16
	v_lshlrev_b32_e32 v20, 28, v16
	v_lshlrev_b32_e32 v22, 27, v16
	v_add_co_u32 v17, s1, v17, -1
	s_wait_alu 0xf1ff
	v_cndmask_b32_e64 v21, 0, 1, s1
	v_not_b32_e32 v35, v18
	v_cmp_gt_i32_e64 s1, 0, v18
	v_not_b32_e32 v18, v19
	v_lshlrev_b32_e32 v23, 26, v16
	v_cmp_ne_u32_e32 vcc_lo, 0, v21
	v_ashrrev_i32_e32 v35, 31, v35
	v_lshlrev_b32_e32 v34, 25, v16
	v_ashrrev_i32_e32 v18, 31, v18
	v_lshlrev_b32_e32 v21, 24, v16
	s_wait_alu 0xfffd
	v_xor_b32_e32 v17, vcc_lo, v17
	v_cmp_gt_i32_e32 vcc_lo, 0, v19
	v_not_b32_e32 v19, v20
	s_wait_alu 0xf1ff
	v_xor_b32_e32 v35, s1, v35
	v_cmp_gt_i32_e64 s1, 0, v20
	v_and_b32_e32 v17, exec_lo, v17
	v_not_b32_e32 v20, v22
	v_ashrrev_i32_e32 v19, 31, v19
	s_wait_alu 0xfffd
	v_xor_b32_e32 v18, vcc_lo, v18
	v_cmp_gt_i32_e32 vcc_lo, 0, v22
	v_and_b32_e32 v17, v17, v35
	v_not_b32_e32 v22, v23
	v_ashrrev_i32_e32 v20, 31, v20
	s_wait_alu 0xf1ff
	v_xor_b32_e32 v19, s1, v19
	v_cmp_gt_i32_e64 s1, 0, v23
	v_and_b32_e32 v17, v17, v18
	v_not_b32_e32 v18, v34
	v_ashrrev_i32_e32 v22, 31, v22
	s_wait_alu 0xfffd
	v_xor_b32_e32 v20, vcc_lo, v20
	v_cmp_gt_i32_e32 vcc_lo, 0, v34
	v_and_b32_e32 v17, v17, v19
	v_not_b32_e32 v19, v21
	v_ashrrev_i32_e32 v18, 31, v18
	s_wait_alu 0xf1ff
	v_xor_b32_e32 v22, s1, v22
	v_lshlrev_b32_e32 v16, 4, v16
	v_and_b32_e32 v17, v17, v20
	v_cmp_gt_i32_e64 s1, 0, v21
	v_ashrrev_i32_e32 v19, 31, v19
	s_wait_alu 0xfffd
	v_xor_b32_e32 v18, vcc_lo, v18
	v_add_nc_u32_e32 v86, v24, v16
	v_and_b32_e32 v17, v17, v22
	v_min_u32_e32 v34, 0x60, v70
	s_wait_alu 0xf1ff
	v_xor_b32_e32 v16, s1, v19
	ds_load_b32 v84, v86 offset:16
	v_and_b32_e32 v17, v17, v18
	; wave barrier
	s_delay_alu instid0(VALU_DEP_1) | instskip(NEXT) | instid1(VALU_DEP_1)
	v_and_b32_e32 v16, v17, v16
	v_mbcnt_lo_u32_b32 v85, v16, 0
	v_cmp_ne_u32_e64 s1, 0, v16
	s_delay_alu instid0(VALU_DEP_2)
	v_cmp_eq_u32_e32 vcc_lo, 0, v85
	s_and_b32 s9, s1, vcc_lo
	s_wait_alu 0xfffe
	s_and_saveexec_b32 s1, s9
	s_cbranch_execz .LBB252_102
; %bb.101:
	s_wait_dscnt 0x0
	v_bcnt_u32_b32 v16, v16, v84
	ds_store_b32 v86, v16 offset:16
.LBB252_102:
	s_wait_alu 0xfffe
	s_or_b32 exec_lo, exec_lo, s1
	; wave barrier
	s_wait_loadcnt_dscnt 0x0
	s_barrier_signal -1
	s_barrier_wait -1
	global_inv scope:SCOPE_SE
	ds_load_b128 v[20:23], v67 offset:16
	ds_load_b128 v[16:19], v67 offset:32
	v_and_b32_e32 v70, 16, v69
	v_or_b32_e32 v34, 31, v34
	s_delay_alu instid0(VALU_DEP_2) | instskip(NEXT) | instid1(VALU_DEP_2)
	v_cmp_eq_u32_e64 s16, 0, v70
	v_cmp_eq_u32_e64 s14, v46, v34
	v_lshlrev_b32_e32 v34, 2, v68
	s_wait_dscnt 0x1
	v_add_nc_u32_e32 v35, v21, v20
	s_delay_alu instid0(VALU_DEP_1) | instskip(SKIP_1) | instid1(VALU_DEP_1)
	v_add3_u32 v35, v35, v22, v23
	s_wait_dscnt 0x0
	v_add3_u32 v35, v35, v16, v17
	s_delay_alu instid0(VALU_DEP_1) | instskip(SKIP_1) | instid1(VALU_DEP_2)
	v_add3_u32 v19, v35, v18, v19
	v_and_b32_e32 v35, 15, v69
	v_mov_b32_dpp v37, v19 row_shr:1 row_mask:0xf bank_mask:0xf
	s_delay_alu instid0(VALU_DEP_2)
	v_cmp_eq_u32_e64 s1, 0, v35
	v_cmp_lt_u32_e64 s10, 1, v35
	v_cmp_lt_u32_e64 s11, 3, v35
	;; [unrolled: 1-line block ×3, first 2 shown]
	s_wait_alu 0xf1ff
	v_cndmask_b32_e64 v37, v37, 0, s1
	s_delay_alu instid0(VALU_DEP_1) | instskip(NEXT) | instid1(VALU_DEP_1)
	v_add_nc_u32_e32 v19, v37, v19
	v_mov_b32_dpp v37, v19 row_shr:2 row_mask:0xf bank_mask:0xf
	s_delay_alu instid0(VALU_DEP_1) | instskip(NEXT) | instid1(VALU_DEP_1)
	v_cndmask_b32_e64 v37, 0, v37, s10
	v_add_nc_u32_e32 v19, v19, v37
	s_delay_alu instid0(VALU_DEP_1) | instskip(NEXT) | instid1(VALU_DEP_1)
	v_mov_b32_dpp v37, v19 row_shr:4 row_mask:0xf bank_mask:0xf
	v_cndmask_b32_e64 v37, 0, v37, s11
	s_delay_alu instid0(VALU_DEP_1) | instskip(NEXT) | instid1(VALU_DEP_1)
	v_add_nc_u32_e32 v19, v19, v37
	v_mov_b32_dpp v37, v19 row_shr:8 row_mask:0xf bank_mask:0xf
	s_delay_alu instid0(VALU_DEP_1) | instskip(SKIP_1) | instid1(VALU_DEP_2)
	v_cndmask_b32_e64 v35, 0, v37, s13
	v_bfe_i32 v37, v69, 4, 1
	v_add_nc_u32_e32 v35, v19, v35
	ds_swizzle_b32 v19, v35 offset:swizzle(BROADCAST,32,15)
	s_wait_dscnt 0x0
	v_and_b32_e32 v37, v37, v19
	v_mul_i32_i24_e32 v19, 0xffffffe4, v46
	s_delay_alu instid0(VALU_DEP_2)
	v_add_nc_u32_e32 v37, v35, v37
	s_and_saveexec_b32 s9, s14
; %bb.103:
	ds_store_b32 v34, v37
; %bb.104:
	s_wait_alu 0xfffe
	s_or_b32 exec_lo, exec_lo, s9
	v_and_b32_e32 v35, 3, v69
	v_cmp_gt_u32_e64 s15, 4, v46
	s_wait_loadcnt_dscnt 0x0
	s_barrier_signal -1
	s_barrier_wait -1
	v_cmp_eq_u32_e64 s12, 0, v35
	v_cmp_lt_u32_e64 s9, 1, v35
	v_add_nc_u32_e32 v35, v67, v19
	global_inv scope:SCOPE_SE
	s_and_saveexec_b32 s17, s15
	s_cbranch_execz .LBB252_106
; %bb.105:
	ds_load_b32 v19, v35
	s_wait_dscnt 0x0
	v_mov_b32_dpp v68, v19 row_shr:1 row_mask:0xf bank_mask:0xf
	s_delay_alu instid0(VALU_DEP_1) | instskip(NEXT) | instid1(VALU_DEP_1)
	v_cndmask_b32_e64 v68, v68, 0, s12
	v_add_nc_u32_e32 v19, v68, v19
	s_delay_alu instid0(VALU_DEP_1) | instskip(NEXT) | instid1(VALU_DEP_1)
	v_mov_b32_dpp v68, v19 row_shr:2 row_mask:0xf bank_mask:0xf
	v_cndmask_b32_e64 v68, 0, v68, s9
	s_delay_alu instid0(VALU_DEP_1)
	v_add_nc_u32_e32 v19, v19, v68
	ds_store_b32 v35, v19
.LBB252_106:
	s_or_b32 exec_lo, exec_lo, s17
	v_mul_u32_u24_e32 v19, 6, v36
	v_sub_co_u32 v68, vcc_lo, v69, 1
	v_cmp_lt_u32_e64 s17, 31, v46
	v_add_nc_u32_e32 v36, -4, v34
	v_mov_b32_e32 v70, 0
	s_wait_loadcnt_dscnt 0x0
	s_barrier_signal -1
	s_barrier_wait -1
	global_inv scope:SCOPE_SE
	s_and_saveexec_b32 s18, s17
; %bb.107:
	ds_load_b32 v70, v36
; %bb.108:
	s_or_b32 exec_lo, exec_lo, s18
	v_cmp_gt_i32_e64 s18, 0, v68
	s_mov_b32 s24, 0
	s_min_u32 s19, s19, 8
	s_mov_b32 s25, s24
	s_mov_b32 s26, s24
	v_cndmask_b32_e64 v68, v68, v69, s18
	s_wait_dscnt 0x0
	v_add_nc_u32_e32 v69, v70, v37
	s_mov_b32 s27, s24
	v_cmp_eq_u32_e64 s18, 0, v46
	s_lshl_b32 s19, -1, s19
	v_lshlrev_b32_e32 v37, 2, v68
	s_wait_alu 0xfffe
	s_not_b32 s21, s19
	ds_bpermute_b32 v68, v37, v69
	s_wait_dscnt 0x0
	s_wait_alu 0xfffd
	v_cndmask_b32_e32 v68, v68, v70, vcc_lo
	s_delay_alu instid0(VALU_DEP_1) | instskip(NEXT) | instid1(VALU_DEP_1)
	v_cndmask_b32_e64 v87, v68, 0, s18
	v_add_nc_u32_e32 v88, v87, v20
	s_delay_alu instid0(VALU_DEP_1) | instskip(NEXT) | instid1(VALU_DEP_1)
	v_add_nc_u32_e32 v89, v88, v21
	v_add_nc_u32_e32 v90, v89, v22
	s_delay_alu instid0(VALU_DEP_1) | instskip(NEXT) | instid1(VALU_DEP_1)
	v_add_nc_u32_e32 v20, v90, v23
	;; [unrolled: 3-line block ×3, first 2 shown]
	v_add_nc_u32_e32 v23, v22, v18
	ds_store_b128 v67, v[87:90] offset:16
	ds_store_b128 v67, v[20:23] offset:32
	s_wait_loadcnt_dscnt 0x0
	s_barrier_signal -1
	s_barrier_wait -1
	global_inv scope:SCOPE_SE
	ds_load_b32 v16, v39 offset:16
	ds_load_b32 v17, v48 offset:16
	;; [unrolled: 1-line block ×8, first 2 shown]
	v_add_nc_u32_e32 v48, v25, v19
	s_wait_loadcnt_dscnt 0x0
	s_barrier_signal -1
	s_barrier_wait -1
	global_inv scope:SCOPE_SE
	v_add_nc_u32_e32 v38, v16, v38
	v_add3_u32 v40, v47, v40, v17
	v_add3_u32 v47, v50, v49, v18
	;; [unrolled: 1-line block ×7, first 2 shown]
	v_lshlrev_b32_e32 v16, 1, v38
	v_lshlrev_b32_e32 v17, 1, v40
	;; [unrolled: 1-line block ×8, first 2 shown]
	ds_store_b16 v16, v26
	ds_store_b16 v17, v27
	;; [unrolled: 1-line block ×8, first 2 shown]
	s_wait_loadcnt_dscnt 0x0
	s_barrier_signal -1
	s_barrier_wait -1
	global_inv scope:SCOPE_SE
	ds_load_u16 v26, v25
	ds_load_u16 v27, v25 offset:64
	ds_load_u16 v28, v25 offset:128
	;; [unrolled: 1-line block ×7, first 2 shown]
	v_mad_co_u64_u32 v[38:39], null, v38, 6, v[16:17]
	v_mad_co_u64_u32 v[16:17], null, v40, 6, v[17:18]
	;; [unrolled: 1-line block ×3, first 2 shown]
	s_wait_loadcnt_dscnt 0x0
	s_barrier_signal -1
	s_barrier_wait -1
	global_inv scope:SCOPE_SE
	v_mad_co_u64_u32 v[18:19], null, v49, 6, v[19:20]
	v_lshrrev_b16 v33, 8, v26
	v_cmp_ne_u16_e64 s19, 0x8000, v26
	ds_store_b64 v38, v[8:9]
	v_mad_co_u64_u32 v[19:20], null, v50, 6, v[20:21]
	v_mad_co_u64_u32 v[20:21], null, v68, 6, v[21:22]
	s_wait_alu 0xf1ff
	v_cndmask_b32_e64 v33, 0x7f, v33, s19
	v_mad_co_u64_u32 v[21:22], null, v69, 6, v[22:23]
	v_mad_co_u64_u32 v[22:23], null, v70, 6, v[23:24]
	s_delay_alu instid0(VALU_DEP_3)
	v_and_b32_e32 v8, 0xffff, v33
	ds_store_b64 v16, v[10:11]
	ds_store_b64 v17, v[0:1]
	;; [unrolled: 1-line block ×7, first 2 shown]
	s_wait_alu 0xfffe
	v_and_b32_e32 v23, s21, v8
	s_wait_loadcnt_dscnt 0x0
	s_barrier_signal -1
	s_barrier_wait -1
	global_inv scope:SCOPE_SE
	v_and_b32_e32 v0, 1, v23
	v_lshlrev_b32_e32 v1, 30, v23
	v_lshlrev_b32_e32 v2, 29, v23
	;; [unrolled: 1-line block ×4, first 2 shown]
	v_add_co_u32 v0, s19, v0, -1
	s_wait_alu 0xf1ff
	v_cndmask_b32_e64 v4, 0, 1, s19
	v_not_b32_e32 v8, v1
	v_cmp_gt_i32_e64 s20, 0, v1
	v_not_b32_e32 v1, v2
	v_lshlrev_b32_e32 v6, 26, v23
	v_cmp_ne_u32_e64 s19, 0, v4
	v_ashrrev_i32_e32 v8, 31, v8
	v_lshlrev_b32_e32 v7, 25, v23
	v_ashrrev_i32_e32 v1, 31, v1
	v_lshlrev_b32_e32 v4, 24, v23
	s_wait_alu 0xf1ff
	v_xor_b32_e32 v0, s19, v0
	v_cmp_gt_i32_e64 s19, 0, v2
	v_not_b32_e32 v2, v3
	v_xor_b32_e32 v8, s20, v8
	v_cmp_gt_i32_e64 s20, 0, v3
	v_and_b32_e32 v0, exec_lo, v0
	v_not_b32_e32 v3, v5
	v_ashrrev_i32_e32 v2, 31, v2
	s_wait_alu 0xf1ff
	v_xor_b32_e32 v1, s19, v1
	v_cmp_gt_i32_e64 s19, 0, v5
	v_and_b32_e32 v0, v0, v8
	v_not_b32_e32 v5, v6
	v_ashrrev_i32_e32 v3, 31, v3
	v_xor_b32_e32 v2, s20, v2
	v_cmp_gt_i32_e64 s20, 0, v6
	v_and_b32_e32 v0, v0, v1
	v_not_b32_e32 v1, v7
	v_ashrrev_i32_e32 v5, 31, v5
	s_wait_alu 0xf1ff
	v_xor_b32_e32 v3, s19, v3
	v_cmp_gt_i32_e64 s19, 0, v7
	v_and_b32_e32 v0, v0, v2
	v_not_b32_e32 v2, v4
	v_ashrrev_i32_e32 v1, 31, v1
	v_xor_b32_e32 v5, s20, v5
	v_cmp_gt_i32_e64 s20, 0, v4
	v_and_b32_e32 v0, v0, v3
	v_ashrrev_i32_e32 v2, 31, v2
	s_wait_alu 0xf1ff
	v_xor_b32_e32 v1, s19, v1
	v_dual_mov_b32 v17, s24 :: v_dual_mov_b32 v18, s25
	v_and_b32_e32 v0, v0, v5
	v_xor_b32_e32 v16, s20, v2
	ds_load_2addr_b64 v[4:7], v48 offset1:32
	v_dual_mov_b32 v19, s26 :: v_dual_mov_b32 v20, s27
	v_and_b32_e32 v21, v0, v1
	ds_load_2addr_b64 v[12:15], v48 offset0:64 offset1:96
	ds_load_2addr_b64 v[8:11], v48 offset0:128 offset1:160
	;; [unrolled: 1-line block ×3, first 2 shown]
	v_lshl_add_u32 v38, v23, 4, v24
	s_wait_loadcnt_dscnt 0x0
	s_barrier_signal -1
	v_and_b32_e32 v16, v21, v16
	s_barrier_wait -1
	global_inv scope:SCOPE_SE
	ds_store_b128 v67, v[17:20] offset:16
	ds_store_b128 v67, v[17:20] offset:32
	s_wait_loadcnt_dscnt 0x0
	v_mbcnt_lo_u32_b32 v33, v16, 0
	v_cmp_ne_u32_e64 s20, 0, v16
	s_barrier_signal -1
	s_barrier_wait -1
	global_inv scope:SCOPE_SE
	v_cmp_eq_u32_e64 s19, 0, v33
	; wave barrier
	s_and_b32 s20, s20, s19
	s_wait_alu 0xfffe
	s_and_saveexec_b32 s19, s20
; %bb.109:
	v_bcnt_u32_b32 v16, v16, 0
	ds_store_b32 v38, v16 offset:16
; %bb.110:
	s_wait_alu 0xfffe
	s_or_b32 exec_lo, exec_lo, s19
	v_lshrrev_b16 v16, 8, v27
	v_cmp_ne_u16_e64 s19, 0x8000, v27
	; wave barrier
	s_wait_alu 0xf1ff
	s_delay_alu instid0(VALU_DEP_1) | instskip(NEXT) | instid1(VALU_DEP_1)
	v_cndmask_b32_e64 v16, 0x7f, v16, s19
	v_and_b32_e32 v16, s21, v16
	s_delay_alu instid0(VALU_DEP_1)
	v_and_b32_e32 v17, 1, v16
	v_lshlrev_b32_e32 v18, 30, v16
	v_lshlrev_b32_e32 v19, 29, v16
	;; [unrolled: 1-line block ×4, first 2 shown]
	v_add_co_u32 v17, s19, v17, -1
	s_wait_alu 0xf1ff
	v_cndmask_b32_e64 v21, 0, 1, s19
	v_not_b32_e32 v40, v18
	v_cmp_gt_i32_e64 s20, 0, v18
	v_not_b32_e32 v18, v19
	v_lshlrev_b32_e32 v23, 26, v16
	v_cmp_ne_u32_e64 s19, 0, v21
	v_ashrrev_i32_e32 v40, 31, v40
	v_lshlrev_b32_e32 v39, 25, v16
	v_ashrrev_i32_e32 v18, 31, v18
	v_lshlrev_b32_e32 v21, 24, v16
	s_wait_alu 0xf1ff
	v_xor_b32_e32 v17, s19, v17
	v_cmp_gt_i32_e64 s19, 0, v19
	v_not_b32_e32 v19, v20
	v_xor_b32_e32 v40, s20, v40
	v_cmp_gt_i32_e64 s20, 0, v20
	v_and_b32_e32 v17, exec_lo, v17
	v_not_b32_e32 v20, v22
	v_ashrrev_i32_e32 v19, 31, v19
	s_wait_alu 0xf1ff
	v_xor_b32_e32 v18, s19, v18
	v_cmp_gt_i32_e64 s19, 0, v22
	v_and_b32_e32 v17, v17, v40
	v_not_b32_e32 v22, v23
	v_ashrrev_i32_e32 v20, 31, v20
	v_xor_b32_e32 v19, s20, v19
	v_cmp_gt_i32_e64 s20, 0, v23
	v_and_b32_e32 v17, v17, v18
	v_not_b32_e32 v18, v39
	v_ashrrev_i32_e32 v22, 31, v22
	s_wait_alu 0xf1ff
	v_xor_b32_e32 v20, s19, v20
	v_cmp_gt_i32_e64 s19, 0, v39
	v_and_b32_e32 v17, v17, v19
	v_not_b32_e32 v19, v21
	v_ashrrev_i32_e32 v18, 31, v18
	v_xor_b32_e32 v22, s20, v22
	v_cmp_gt_i32_e64 s20, 0, v21
	v_and_b32_e32 v17, v17, v20
	v_ashrrev_i32_e32 v19, 31, v19
	s_wait_alu 0xf1ff
	v_xor_b32_e32 v18, s19, v18
	v_lshl_add_u32 v47, v16, 4, v24
	v_and_b32_e32 v17, v17, v22
	v_xor_b32_e32 v16, s20, v19
	ds_load_b32 v39, v47 offset:16
	v_and_b32_e32 v17, v17, v18
	; wave barrier
	s_delay_alu instid0(VALU_DEP_1) | instskip(NEXT) | instid1(VALU_DEP_1)
	v_and_b32_e32 v16, v17, v16
	v_mbcnt_lo_u32_b32 v40, v16, 0
	v_cmp_ne_u32_e64 s20, 0, v16
	s_delay_alu instid0(VALU_DEP_2)
	v_cmp_eq_u32_e64 s19, 0, v40
	s_and_b32 s20, s20, s19
	s_wait_alu 0xfffe
	s_and_saveexec_b32 s19, s20
	s_cbranch_execz .LBB252_112
; %bb.111:
	s_wait_dscnt 0x0
	v_bcnt_u32_b32 v16, v16, v39
	ds_store_b32 v47, v16 offset:16
.LBB252_112:
	s_wait_alu 0xfffe
	s_or_b32 exec_lo, exec_lo, s19
	v_lshrrev_b16 v16, 8, v28
	v_cmp_ne_u16_e64 s19, 0x8000, v28
	; wave barrier
	s_wait_alu 0xf1ff
	s_delay_alu instid0(VALU_DEP_1) | instskip(NEXT) | instid1(VALU_DEP_1)
	v_cndmask_b32_e64 v16, 0x7f, v16, s19
	v_and_b32_e32 v16, s21, v16
	s_delay_alu instid0(VALU_DEP_1)
	v_and_b32_e32 v17, 1, v16
	v_lshlrev_b32_e32 v18, 30, v16
	v_lshlrev_b32_e32 v19, 29, v16
	;; [unrolled: 1-line block ×4, first 2 shown]
	v_add_co_u32 v17, s19, v17, -1
	s_wait_alu 0xf1ff
	v_cndmask_b32_e64 v21, 0, 1, s19
	v_not_b32_e32 v49, v18
	v_cmp_gt_i32_e64 s20, 0, v18
	v_not_b32_e32 v18, v19
	v_lshlrev_b32_e32 v23, 26, v16
	v_cmp_ne_u32_e64 s19, 0, v21
	v_ashrrev_i32_e32 v49, 31, v49
	v_lshlrev_b32_e32 v48, 25, v16
	v_ashrrev_i32_e32 v18, 31, v18
	v_lshlrev_b32_e32 v21, 24, v16
	s_wait_alu 0xf1ff
	v_xor_b32_e32 v17, s19, v17
	v_cmp_gt_i32_e64 s19, 0, v19
	v_not_b32_e32 v19, v20
	v_xor_b32_e32 v49, s20, v49
	v_cmp_gt_i32_e64 s20, 0, v20
	v_and_b32_e32 v17, exec_lo, v17
	v_not_b32_e32 v20, v22
	v_ashrrev_i32_e32 v19, 31, v19
	s_wait_alu 0xf1ff
	v_xor_b32_e32 v18, s19, v18
	v_cmp_gt_i32_e64 s19, 0, v22
	v_and_b32_e32 v17, v17, v49
	v_not_b32_e32 v22, v23
	v_ashrrev_i32_e32 v20, 31, v20
	v_xor_b32_e32 v19, s20, v19
	v_cmp_gt_i32_e64 s20, 0, v23
	v_and_b32_e32 v17, v17, v18
	v_not_b32_e32 v18, v48
	v_ashrrev_i32_e32 v22, 31, v22
	s_wait_alu 0xf1ff
	v_xor_b32_e32 v20, s19, v20
	v_cmp_gt_i32_e64 s19, 0, v48
	v_and_b32_e32 v17, v17, v19
	v_not_b32_e32 v19, v21
	v_ashrrev_i32_e32 v18, 31, v18
	v_xor_b32_e32 v22, s20, v22
	v_cmp_gt_i32_e64 s20, 0, v21
	v_and_b32_e32 v17, v17, v20
	v_ashrrev_i32_e32 v19, 31, v19
	s_wait_alu 0xf1ff
	v_xor_b32_e32 v18, s19, v18
	v_lshl_add_u32 v50, v16, 4, v24
	v_and_b32_e32 v17, v17, v22
	v_xor_b32_e32 v16, s20, v19
	ds_load_b32 v48, v50 offset:16
	v_and_b32_e32 v17, v17, v18
	; wave barrier
	s_delay_alu instid0(VALU_DEP_1) | instskip(NEXT) | instid1(VALU_DEP_1)
	v_and_b32_e32 v16, v17, v16
	v_mbcnt_lo_u32_b32 v49, v16, 0
	v_cmp_ne_u32_e64 s20, 0, v16
	s_delay_alu instid0(VALU_DEP_2)
	v_cmp_eq_u32_e64 s19, 0, v49
	s_and_b32 s20, s20, s19
	s_wait_alu 0xfffe
	s_and_saveexec_b32 s19, s20
	s_cbranch_execz .LBB252_114
; %bb.113:
	s_wait_dscnt 0x0
	v_bcnt_u32_b32 v16, v16, v48
	ds_store_b32 v50, v16 offset:16
.LBB252_114:
	s_wait_alu 0xfffe
	s_or_b32 exec_lo, exec_lo, s19
	v_lshrrev_b16 v16, 8, v29
	v_cmp_ne_u16_e64 s19, 0x8000, v29
	; wave barrier
	s_wait_alu 0xf1ff
	s_delay_alu instid0(VALU_DEP_1) | instskip(NEXT) | instid1(VALU_DEP_1)
	v_cndmask_b32_e64 v16, 0x7f, v16, s19
	v_and_b32_e32 v16, s21, v16
	s_delay_alu instid0(VALU_DEP_1)
	v_and_b32_e32 v17, 1, v16
	v_lshlrev_b32_e32 v18, 30, v16
	v_lshlrev_b32_e32 v19, 29, v16
	;; [unrolled: 1-line block ×4, first 2 shown]
	v_add_co_u32 v17, s19, v17, -1
	s_wait_alu 0xf1ff
	v_cndmask_b32_e64 v21, 0, 1, s19
	v_not_b32_e32 v69, v18
	v_cmp_gt_i32_e64 s20, 0, v18
	v_not_b32_e32 v18, v19
	v_lshlrev_b32_e32 v23, 26, v16
	v_cmp_ne_u32_e64 s19, 0, v21
	v_ashrrev_i32_e32 v69, 31, v69
	v_lshlrev_b32_e32 v68, 25, v16
	v_ashrrev_i32_e32 v18, 31, v18
	v_lshlrev_b32_e32 v21, 24, v16
	s_wait_alu 0xf1ff
	v_xor_b32_e32 v17, s19, v17
	v_cmp_gt_i32_e64 s19, 0, v19
	v_not_b32_e32 v19, v20
	v_xor_b32_e32 v69, s20, v69
	v_cmp_gt_i32_e64 s20, 0, v20
	v_and_b32_e32 v17, exec_lo, v17
	v_not_b32_e32 v20, v22
	v_ashrrev_i32_e32 v19, 31, v19
	s_wait_alu 0xf1ff
	v_xor_b32_e32 v18, s19, v18
	v_cmp_gt_i32_e64 s19, 0, v22
	v_and_b32_e32 v17, v17, v69
	v_not_b32_e32 v22, v23
	v_ashrrev_i32_e32 v20, 31, v20
	v_xor_b32_e32 v19, s20, v19
	v_cmp_gt_i32_e64 s20, 0, v23
	v_and_b32_e32 v17, v17, v18
	v_not_b32_e32 v18, v68
	v_ashrrev_i32_e32 v22, 31, v22
	s_wait_alu 0xf1ff
	v_xor_b32_e32 v20, s19, v20
	v_cmp_gt_i32_e64 s19, 0, v68
	v_and_b32_e32 v17, v17, v19
	v_not_b32_e32 v19, v21
	v_ashrrev_i32_e32 v18, 31, v18
	v_xor_b32_e32 v22, s20, v22
	v_cmp_gt_i32_e64 s20, 0, v21
	v_and_b32_e32 v17, v17, v20
	v_ashrrev_i32_e32 v19, 31, v19
	s_wait_alu 0xf1ff
	v_xor_b32_e32 v18, s19, v18
	v_lshl_add_u32 v70, v16, 4, v24
	v_and_b32_e32 v17, v17, v22
	v_xor_b32_e32 v16, s20, v19
	ds_load_b32 v68, v70 offset:16
	v_and_b32_e32 v17, v17, v18
	; wave barrier
	s_delay_alu instid0(VALU_DEP_1) | instskip(NEXT) | instid1(VALU_DEP_1)
	v_and_b32_e32 v16, v17, v16
	v_mbcnt_lo_u32_b32 v69, v16, 0
	v_cmp_ne_u32_e64 s20, 0, v16
	s_delay_alu instid0(VALU_DEP_2)
	v_cmp_eq_u32_e64 s19, 0, v69
	s_and_b32 s20, s20, s19
	s_wait_alu 0xfffe
	s_and_saveexec_b32 s19, s20
	s_cbranch_execz .LBB252_116
; %bb.115:
	s_wait_dscnt 0x0
	v_bcnt_u32_b32 v16, v16, v68
	ds_store_b32 v70, v16 offset:16
.LBB252_116:
	s_wait_alu 0xfffe
	s_or_b32 exec_lo, exec_lo, s19
	v_lshrrev_b16 v16, 8, v30
	v_cmp_ne_u16_e64 s19, 0x8000, v30
	; wave barrier
	s_wait_alu 0xf1ff
	s_delay_alu instid0(VALU_DEP_1) | instskip(NEXT) | instid1(VALU_DEP_1)
	v_cndmask_b32_e64 v16, 0x7f, v16, s19
	v_and_b32_e32 v16, s21, v16
	s_delay_alu instid0(VALU_DEP_1)
	v_and_b32_e32 v17, 1, v16
	v_lshlrev_b32_e32 v18, 30, v16
	v_lshlrev_b32_e32 v19, 29, v16
	;; [unrolled: 1-line block ×4, first 2 shown]
	v_add_co_u32 v17, s19, v17, -1
	s_wait_alu 0xf1ff
	v_cndmask_b32_e64 v21, 0, 1, s19
	v_not_b32_e32 v72, v18
	v_cmp_gt_i32_e64 s20, 0, v18
	v_not_b32_e32 v18, v19
	v_lshlrev_b32_e32 v23, 26, v16
	v_cmp_ne_u32_e64 s19, 0, v21
	v_ashrrev_i32_e32 v72, 31, v72
	v_lshlrev_b32_e32 v71, 25, v16
	v_ashrrev_i32_e32 v18, 31, v18
	v_lshlrev_b32_e32 v21, 24, v16
	s_wait_alu 0xf1ff
	v_xor_b32_e32 v17, s19, v17
	v_cmp_gt_i32_e64 s19, 0, v19
	v_not_b32_e32 v19, v20
	v_xor_b32_e32 v72, s20, v72
	v_cmp_gt_i32_e64 s20, 0, v20
	v_and_b32_e32 v17, exec_lo, v17
	v_not_b32_e32 v20, v22
	v_ashrrev_i32_e32 v19, 31, v19
	s_wait_alu 0xf1ff
	v_xor_b32_e32 v18, s19, v18
	v_cmp_gt_i32_e64 s19, 0, v22
	v_and_b32_e32 v17, v17, v72
	v_not_b32_e32 v22, v23
	v_ashrrev_i32_e32 v20, 31, v20
	v_xor_b32_e32 v19, s20, v19
	v_cmp_gt_i32_e64 s20, 0, v23
	v_and_b32_e32 v17, v17, v18
	v_not_b32_e32 v18, v71
	v_ashrrev_i32_e32 v22, 31, v22
	s_wait_alu 0xf1ff
	v_xor_b32_e32 v20, s19, v20
	v_cmp_gt_i32_e64 s19, 0, v71
	v_and_b32_e32 v17, v17, v19
	v_not_b32_e32 v19, v21
	v_ashrrev_i32_e32 v18, 31, v18
	v_xor_b32_e32 v22, s20, v22
	v_cmp_gt_i32_e64 s20, 0, v21
	v_and_b32_e32 v17, v17, v20
	v_ashrrev_i32_e32 v19, 31, v19
	s_wait_alu 0xf1ff
	v_xor_b32_e32 v18, s19, v18
	v_lshl_add_u32 v73, v16, 4, v24
	v_and_b32_e32 v17, v17, v22
	v_xor_b32_e32 v16, s20, v19
	ds_load_b32 v71, v73 offset:16
	v_and_b32_e32 v17, v17, v18
	; wave barrier
	s_delay_alu instid0(VALU_DEP_1) | instskip(NEXT) | instid1(VALU_DEP_1)
	v_and_b32_e32 v16, v17, v16
	v_mbcnt_lo_u32_b32 v72, v16, 0
	v_cmp_ne_u32_e64 s20, 0, v16
	s_delay_alu instid0(VALU_DEP_2)
	v_cmp_eq_u32_e64 s19, 0, v72
	s_and_b32 s20, s20, s19
	s_wait_alu 0xfffe
	s_and_saveexec_b32 s19, s20
	s_cbranch_execz .LBB252_118
; %bb.117:
	s_wait_dscnt 0x0
	v_bcnt_u32_b32 v16, v16, v71
	ds_store_b32 v73, v16 offset:16
.LBB252_118:
	s_wait_alu 0xfffe
	s_or_b32 exec_lo, exec_lo, s19
	v_lshrrev_b16 v16, 8, v31
	v_cmp_ne_u16_e64 s19, 0x8000, v31
	; wave barrier
	s_wait_alu 0xf1ff
	s_delay_alu instid0(VALU_DEP_1) | instskip(NEXT) | instid1(VALU_DEP_1)
	v_cndmask_b32_e64 v16, 0x7f, v16, s19
	v_and_b32_e32 v16, s21, v16
	s_delay_alu instid0(VALU_DEP_1)
	v_and_b32_e32 v17, 1, v16
	v_lshlrev_b32_e32 v18, 30, v16
	v_lshlrev_b32_e32 v19, 29, v16
	;; [unrolled: 1-line block ×4, first 2 shown]
	v_add_co_u32 v17, s19, v17, -1
	s_wait_alu 0xf1ff
	v_cndmask_b32_e64 v21, 0, 1, s19
	v_not_b32_e32 v75, v18
	v_cmp_gt_i32_e64 s20, 0, v18
	v_not_b32_e32 v18, v19
	v_lshlrev_b32_e32 v23, 26, v16
	v_cmp_ne_u32_e64 s19, 0, v21
	v_ashrrev_i32_e32 v75, 31, v75
	v_lshlrev_b32_e32 v74, 25, v16
	v_ashrrev_i32_e32 v18, 31, v18
	v_lshlrev_b32_e32 v21, 24, v16
	s_wait_alu 0xf1ff
	v_xor_b32_e32 v17, s19, v17
	v_cmp_gt_i32_e64 s19, 0, v19
	v_not_b32_e32 v19, v20
	v_xor_b32_e32 v75, s20, v75
	v_cmp_gt_i32_e64 s20, 0, v20
	v_and_b32_e32 v17, exec_lo, v17
	v_not_b32_e32 v20, v22
	v_ashrrev_i32_e32 v19, 31, v19
	s_wait_alu 0xf1ff
	v_xor_b32_e32 v18, s19, v18
	v_cmp_gt_i32_e64 s19, 0, v22
	v_and_b32_e32 v17, v17, v75
	v_not_b32_e32 v22, v23
	v_ashrrev_i32_e32 v20, 31, v20
	v_xor_b32_e32 v19, s20, v19
	v_cmp_gt_i32_e64 s20, 0, v23
	v_and_b32_e32 v17, v17, v18
	v_not_b32_e32 v18, v74
	v_ashrrev_i32_e32 v22, 31, v22
	s_wait_alu 0xf1ff
	v_xor_b32_e32 v20, s19, v20
	v_cmp_gt_i32_e64 s19, 0, v74
	v_and_b32_e32 v17, v17, v19
	v_not_b32_e32 v19, v21
	v_ashrrev_i32_e32 v18, 31, v18
	v_xor_b32_e32 v22, s20, v22
	v_cmp_gt_i32_e64 s20, 0, v21
	v_and_b32_e32 v17, v17, v20
	v_ashrrev_i32_e32 v19, 31, v19
	s_wait_alu 0xf1ff
	v_xor_b32_e32 v18, s19, v18
	v_lshl_add_u32 v76, v16, 4, v24
	v_and_b32_e32 v17, v17, v22
	v_xor_b32_e32 v16, s20, v19
	ds_load_b32 v74, v76 offset:16
	v_and_b32_e32 v17, v17, v18
	; wave barrier
	s_delay_alu instid0(VALU_DEP_1) | instskip(NEXT) | instid1(VALU_DEP_1)
	v_and_b32_e32 v16, v17, v16
	v_mbcnt_lo_u32_b32 v75, v16, 0
	v_cmp_ne_u32_e64 s20, 0, v16
	s_delay_alu instid0(VALU_DEP_2)
	v_cmp_eq_u32_e64 s19, 0, v75
	s_and_b32 s20, s20, s19
	s_wait_alu 0xfffe
	s_and_saveexec_b32 s19, s20
	s_cbranch_execz .LBB252_120
; %bb.119:
	s_wait_dscnt 0x0
	v_bcnt_u32_b32 v16, v16, v74
	ds_store_b32 v76, v16 offset:16
.LBB252_120:
	s_wait_alu 0xfffe
	s_or_b32 exec_lo, exec_lo, s19
	v_lshrrev_b16 v16, 8, v32
	v_cmp_ne_u16_e64 s19, 0x8000, v32
	; wave barrier
	s_wait_alu 0xf1ff
	s_delay_alu instid0(VALU_DEP_1) | instskip(NEXT) | instid1(VALU_DEP_1)
	v_cndmask_b32_e64 v16, 0x7f, v16, s19
	v_and_b32_e32 v16, s21, v16
	s_delay_alu instid0(VALU_DEP_1)
	v_and_b32_e32 v17, 1, v16
	v_lshlrev_b32_e32 v18, 30, v16
	v_lshlrev_b32_e32 v19, 29, v16
	v_lshlrev_b32_e32 v20, 28, v16
	v_lshlrev_b32_e32 v22, 27, v16
	v_add_co_u32 v17, s19, v17, -1
	s_wait_alu 0xf1ff
	v_cndmask_b32_e64 v21, 0, 1, s19
	v_not_b32_e32 v78, v18
	v_cmp_gt_i32_e64 s20, 0, v18
	v_not_b32_e32 v18, v19
	v_lshlrev_b32_e32 v23, 26, v16
	v_cmp_ne_u32_e64 s19, 0, v21
	v_ashrrev_i32_e32 v78, 31, v78
	v_lshlrev_b32_e32 v77, 25, v16
	v_ashrrev_i32_e32 v18, 31, v18
	v_lshlrev_b32_e32 v21, 24, v16
	s_wait_alu 0xf1ff
	v_xor_b32_e32 v17, s19, v17
	v_cmp_gt_i32_e64 s19, 0, v19
	v_not_b32_e32 v19, v20
	v_xor_b32_e32 v78, s20, v78
	v_cmp_gt_i32_e64 s20, 0, v20
	v_and_b32_e32 v17, exec_lo, v17
	v_not_b32_e32 v20, v22
	v_ashrrev_i32_e32 v19, 31, v19
	s_wait_alu 0xf1ff
	v_xor_b32_e32 v18, s19, v18
	v_cmp_gt_i32_e64 s19, 0, v22
	v_and_b32_e32 v17, v17, v78
	v_not_b32_e32 v22, v23
	v_ashrrev_i32_e32 v20, 31, v20
	v_xor_b32_e32 v19, s20, v19
	v_cmp_gt_i32_e64 s20, 0, v23
	v_and_b32_e32 v17, v17, v18
	v_not_b32_e32 v18, v77
	v_ashrrev_i32_e32 v22, 31, v22
	s_wait_alu 0xf1ff
	v_xor_b32_e32 v20, s19, v20
	v_cmp_gt_i32_e64 s19, 0, v77
	v_and_b32_e32 v17, v17, v19
	v_not_b32_e32 v19, v21
	v_ashrrev_i32_e32 v18, 31, v18
	v_xor_b32_e32 v22, s20, v22
	v_cmp_gt_i32_e64 s20, 0, v21
	v_and_b32_e32 v17, v17, v20
	v_ashrrev_i32_e32 v19, 31, v19
	s_wait_alu 0xf1ff
	v_xor_b32_e32 v18, s19, v18
	v_lshl_add_u32 v79, v16, 4, v24
	v_and_b32_e32 v17, v17, v22
	v_xor_b32_e32 v16, s20, v19
	ds_load_b32 v77, v79 offset:16
	v_and_b32_e32 v17, v17, v18
	; wave barrier
	s_delay_alu instid0(VALU_DEP_1) | instskip(NEXT) | instid1(VALU_DEP_1)
	v_and_b32_e32 v16, v17, v16
	v_mbcnt_lo_u32_b32 v78, v16, 0
	v_cmp_ne_u32_e64 s20, 0, v16
	s_delay_alu instid0(VALU_DEP_2)
	v_cmp_eq_u32_e64 s19, 0, v78
	s_and_b32 s20, s20, s19
	s_wait_alu 0xfffe
	s_and_saveexec_b32 s19, s20
	s_cbranch_execz .LBB252_122
; %bb.121:
	s_wait_dscnt 0x0
	v_bcnt_u32_b32 v16, v16, v77
	ds_store_b32 v79, v16 offset:16
.LBB252_122:
	s_wait_alu 0xfffe
	s_or_b32 exec_lo, exec_lo, s19
	v_lshrrev_b16 v16, 8, v25
	v_cmp_ne_u16_e64 s19, 0x8000, v25
	; wave barrier
	s_wait_alu 0xf1ff
	s_delay_alu instid0(VALU_DEP_1) | instskip(NEXT) | instid1(VALU_DEP_1)
	v_cndmask_b32_e64 v16, 0x7f, v16, s19
	v_and_b32_e32 v16, s21, v16
	s_delay_alu instid0(VALU_DEP_1)
	v_and_b32_e32 v17, 1, v16
	v_lshlrev_b32_e32 v18, 30, v16
	v_lshlrev_b32_e32 v19, 29, v16
	;; [unrolled: 1-line block ×4, first 2 shown]
	v_add_co_u32 v17, s19, v17, -1
	s_wait_alu 0xf1ff
	v_cndmask_b32_e64 v21, 0, 1, s19
	v_not_b32_e32 v81, v18
	v_cmp_gt_i32_e64 s20, 0, v18
	v_not_b32_e32 v18, v19
	v_lshlrev_b32_e32 v23, 26, v16
	v_cmp_ne_u32_e64 s19, 0, v21
	v_ashrrev_i32_e32 v81, 31, v81
	v_lshlrev_b32_e32 v80, 25, v16
	v_ashrrev_i32_e32 v18, 31, v18
	v_lshlrev_b32_e32 v21, 24, v16
	s_wait_alu 0xf1ff
	v_xor_b32_e32 v17, s19, v17
	v_cmp_gt_i32_e64 s19, 0, v19
	v_not_b32_e32 v19, v20
	v_xor_b32_e32 v81, s20, v81
	v_cmp_gt_i32_e64 s20, 0, v20
	v_and_b32_e32 v17, exec_lo, v17
	v_not_b32_e32 v20, v22
	v_ashrrev_i32_e32 v19, 31, v19
	s_wait_alu 0xf1ff
	v_xor_b32_e32 v18, s19, v18
	v_cmp_gt_i32_e64 s19, 0, v22
	v_and_b32_e32 v17, v17, v81
	v_not_b32_e32 v22, v23
	v_ashrrev_i32_e32 v20, 31, v20
	v_xor_b32_e32 v19, s20, v19
	v_cmp_gt_i32_e64 s20, 0, v23
	v_and_b32_e32 v17, v17, v18
	v_not_b32_e32 v18, v80
	v_ashrrev_i32_e32 v22, 31, v22
	s_wait_alu 0xf1ff
	v_xor_b32_e32 v20, s19, v20
	v_cmp_gt_i32_e64 s19, 0, v80
	v_and_b32_e32 v17, v17, v19
	v_not_b32_e32 v19, v21
	v_ashrrev_i32_e32 v18, 31, v18
	v_xor_b32_e32 v22, s20, v22
	v_cmp_gt_i32_e64 s20, 0, v21
	v_and_b32_e32 v17, v17, v20
	v_ashrrev_i32_e32 v19, 31, v19
	s_wait_alu 0xf1ff
	v_xor_b32_e32 v18, s19, v18
	v_lshl_add_u32 v81, v16, 4, v24
	v_and_b32_e32 v17, v17, v22
	v_xor_b32_e32 v16, s20, v19
	ds_load_b32 v24, v81 offset:16
	v_and_b32_e32 v17, v17, v18
	; wave barrier
	s_delay_alu instid0(VALU_DEP_1) | instskip(NEXT) | instid1(VALU_DEP_1)
	v_and_b32_e32 v16, v17, v16
	v_mbcnt_lo_u32_b32 v80, v16, 0
	v_cmp_ne_u32_e64 s20, 0, v16
	s_delay_alu instid0(VALU_DEP_2)
	v_cmp_eq_u32_e64 s19, 0, v80
	s_and_b32 s20, s20, s19
	s_wait_alu 0xfffe
	s_and_saveexec_b32 s19, s20
	s_cbranch_execz .LBB252_124
; %bb.123:
	s_wait_dscnt 0x0
	v_bcnt_u32_b32 v16, v16, v24
	ds_store_b32 v81, v16 offset:16
.LBB252_124:
	s_wait_alu 0xfffe
	s_or_b32 exec_lo, exec_lo, s19
	; wave barrier
	s_wait_loadcnt_dscnt 0x0
	s_barrier_signal -1
	s_barrier_wait -1
	global_inv scope:SCOPE_SE
	ds_load_b128 v[20:23], v67 offset:16
	ds_load_b128 v[16:19], v67 offset:32
	s_wait_dscnt 0x1
	v_add_nc_u32_e32 v82, v21, v20
	s_delay_alu instid0(VALU_DEP_1) | instskip(SKIP_1) | instid1(VALU_DEP_1)
	v_add3_u32 v82, v82, v22, v23
	s_wait_dscnt 0x0
	v_add3_u32 v82, v82, v16, v17
	s_delay_alu instid0(VALU_DEP_1) | instskip(NEXT) | instid1(VALU_DEP_1)
	v_add3_u32 v19, v82, v18, v19
	v_mov_b32_dpp v82, v19 row_shr:1 row_mask:0xf bank_mask:0xf
	s_delay_alu instid0(VALU_DEP_1) | instskip(NEXT) | instid1(VALU_DEP_1)
	v_cndmask_b32_e64 v82, v82, 0, s1
	v_add_nc_u32_e32 v19, v82, v19
	s_delay_alu instid0(VALU_DEP_1) | instskip(NEXT) | instid1(VALU_DEP_1)
	v_mov_b32_dpp v82, v19 row_shr:2 row_mask:0xf bank_mask:0xf
	v_cndmask_b32_e64 v82, 0, v82, s10
	s_delay_alu instid0(VALU_DEP_1) | instskip(NEXT) | instid1(VALU_DEP_1)
	v_add_nc_u32_e32 v19, v19, v82
	v_mov_b32_dpp v82, v19 row_shr:4 row_mask:0xf bank_mask:0xf
	s_delay_alu instid0(VALU_DEP_1) | instskip(NEXT) | instid1(VALU_DEP_1)
	v_cndmask_b32_e64 v82, 0, v82, s11
	v_add_nc_u32_e32 v19, v19, v82
	s_delay_alu instid0(VALU_DEP_1) | instskip(NEXT) | instid1(VALU_DEP_1)
	v_mov_b32_dpp v82, v19 row_shr:8 row_mask:0xf bank_mask:0xf
	v_cndmask_b32_e64 v82, 0, v82, s13
	s_delay_alu instid0(VALU_DEP_1) | instskip(SKIP_3) | instid1(VALU_DEP_1)
	v_add_nc_u32_e32 v19, v19, v82
	ds_swizzle_b32 v82, v19 offset:swizzle(BROADCAST,32,15)
	s_wait_dscnt 0x0
	v_cndmask_b32_e64 v82, v82, 0, s16
	v_add_nc_u32_e32 v19, v19, v82
	s_and_saveexec_b32 s1, s14
; %bb.125:
	ds_store_b32 v34, v19
; %bb.126:
	s_wait_alu 0xfffe
	s_or_b32 exec_lo, exec_lo, s1
	s_wait_loadcnt_dscnt 0x0
	s_barrier_signal -1
	s_barrier_wait -1
	global_inv scope:SCOPE_SE
	s_and_saveexec_b32 s1, s15
	s_cbranch_execz .LBB252_128
; %bb.127:
	ds_load_b32 v34, v35
	s_wait_dscnt 0x0
	v_mov_b32_dpp v82, v34 row_shr:1 row_mask:0xf bank_mask:0xf
	s_delay_alu instid0(VALU_DEP_1) | instskip(NEXT) | instid1(VALU_DEP_1)
	v_cndmask_b32_e64 v82, v82, 0, s12
	v_add_nc_u32_e32 v34, v82, v34
	s_delay_alu instid0(VALU_DEP_1) | instskip(NEXT) | instid1(VALU_DEP_1)
	v_mov_b32_dpp v82, v34 row_shr:2 row_mask:0xf bank_mask:0xf
	v_cndmask_b32_e64 v82, 0, v82, s9
	s_delay_alu instid0(VALU_DEP_1)
	v_add_nc_u32_e32 v34, v34, v82
	ds_store_b32 v35, v34
.LBB252_128:
	s_wait_alu 0xfffe
	s_or_b32 exec_lo, exec_lo, s1
	v_mov_b32_e32 v34, 0
	s_wait_loadcnt_dscnt 0x0
	s_barrier_signal -1
	s_barrier_wait -1
	global_inv scope:SCOPE_SE
	s_and_saveexec_b32 s1, s17
; %bb.129:
	ds_load_b32 v34, v36
; %bb.130:
	s_wait_alu 0xfffe
	s_or_b32 exec_lo, exec_lo, s1
	s_wait_dscnt 0x0
	v_add_nc_u32_e32 v19, v34, v19
	ds_bpermute_b32 v19, v37, v19
	s_wait_dscnt 0x0
	v_cndmask_b32_e32 v19, v19, v34, vcc_lo
	s_delay_alu instid0(VALU_DEP_1) | instskip(NEXT) | instid1(VALU_DEP_1)
	v_cndmask_b32_e64 v19, v19, 0, s18
	v_add_nc_u32_e32 v20, v19, v20
	s_delay_alu instid0(VALU_DEP_1) | instskip(NEXT) | instid1(VALU_DEP_1)
	v_add_nc_u32_e32 v21, v20, v21
	v_add_nc_u32_e32 v22, v21, v22
	s_delay_alu instid0(VALU_DEP_1) | instskip(NEXT) | instid1(VALU_DEP_1)
	v_add_nc_u32_e32 v34, v22, v23
	;; [unrolled: 3-line block ×3, first 2 shown]
	v_add_nc_u32_e32 v37, v36, v18
	ds_store_b128 v67, v[19:22] offset:16
	ds_store_b128 v67, v[34:37] offset:32
	s_wait_loadcnt_dscnt 0x0
	s_barrier_signal -1
	s_barrier_wait -1
	global_inv scope:SCOPE_SE
	ds_load_b32 v16, v81 offset:16
	ds_load_b32 v17, v79 offset:16
	;; [unrolled: 1-line block ×8, first 2 shown]
	v_lshlrev_b32_e32 v34, 1, v66
	s_wait_loadcnt_dscnt 0x0
	s_barrier_signal -1
	s_barrier_wait -1
	global_inv scope:SCOPE_SE
	v_mad_u32_u24 v37, v46, 48, v34
	v_add3_u32 v35, v80, v24, v16
	v_add3_u32 v36, v78, v77, v17
	;; [unrolled: 1-line block ×3, first 2 shown]
	v_add_nc_u32_e32 v24, v19, v33
	v_add3_u32 v33, v40, v39, v20
	v_add3_u32 v39, v49, v48, v21
	;; [unrolled: 1-line block ×4, first 2 shown]
	v_lshlrev_b32_e32 v16, 1, v24
	v_lshlrev_b32_e32 v17, 1, v33
	;; [unrolled: 1-line block ×8, first 2 shown]
	ds_store_b16 v16, v26
	ds_store_b16 v17, v27
	;; [unrolled: 1-line block ×8, first 2 shown]
	v_mad_co_u64_u32 v[24:25], null, v24, 6, v[16:17]
	v_mad_co_u64_u32 v[16:17], null, v33, 6, v[17:18]
	;; [unrolled: 1-line block ×7, first 2 shown]
	s_wait_loadcnt_dscnt 0x0
	s_barrier_signal -1
	s_barrier_wait -1
	global_inv scope:SCOPE_SE
	v_mad_co_u64_u32 v[22:23], null, v35, 6, v[23:24]
	ds_load_b128 v[33:36], v34
	s_wait_loadcnt_dscnt 0x0
	s_barrier_signal -1
	s_barrier_wait -1
	global_inv scope:SCOPE_SE
	ds_store_b64 v24, v[4:5]
	ds_store_b64 v16, v[6:7]
	;; [unrolled: 1-line block ×8, first 2 shown]
	s_wait_loadcnt_dscnt 0x0
	s_barrier_signal -1
	s_barrier_wait -1
	global_inv scope:SCOPE_SE
	ds_load_b128 v[29:32], v37
	ds_load_b128 v[25:28], v37 offset:16
	ds_load_b128 v[21:24], v37 offset:32
	ds_load_b128 v[17:20], v37 offset:48
	v_cmp_gt_i16_e32 vcc_lo, 0, v33
	v_lshrrev_b32_e32 v0, 16, v33
	v_lshrrev_b32_e32 v2, 16, v34
	;; [unrolled: 1-line block ×4, first 2 shown]
	s_wait_alu 0xfffd
	v_cndmask_b32_e64 v1, 0x7fff, 0, vcc_lo
	v_cmp_gt_i16_e32 vcc_lo, 0, v34
	s_wait_alu 0xfffd
	v_cndmask_b32_e64 v3, 0x7fff, 0, vcc_lo
	v_cmp_gt_i16_e32 vcc_lo, 0, v35
	;; [unrolled: 3-line block ×5, first 2 shown]
	s_delay_alu instid0(VALU_DEP_2) | instskip(SKIP_3) | instid1(VALU_DEP_3)
	v_perm_b32 v0, v0, v1, 0x5040100
	s_wait_alu 0xfffd
	v_cndmask_b32_e64 v2, 0x7fff, 0, vcc_lo
	v_cmp_gt_i16_e32 vcc_lo, 0, v4
	v_xor_b32_e32 v0, v0, v33
	s_delay_alu instid0(VALU_DEP_3) | instskip(SKIP_3) | instid1(VALU_DEP_3)
	v_perm_b32 v1, v2, v3, 0x5040100
	s_wait_alu 0xfffd
	v_cndmask_b32_e64 v4, 0x7fff, 0, vcc_lo
	v_cmp_gt_i16_e32 vcc_lo, 0, v6
	v_xor_b32_e32 v34, v1, v34
	s_delay_alu instid0(VALU_DEP_3) | instskip(SKIP_2) | instid1(VALU_DEP_2)
	v_perm_b32 v2, v4, v5, 0x5040100
	s_wait_alu 0xfffd
	v_cndmask_b32_e64 v6, 0x7fff, 0, vcc_lo
	v_xor_b32_e32 v33, v2, v35
	s_delay_alu instid0(VALU_DEP_2) | instskip(NEXT) | instid1(VALU_DEP_1)
	v_perm_b32 v3, v6, v7, 0x5040100
	v_xor_b32_e32 v35, v3, v36
.LBB252_131:
	s_wait_loadcnt_dscnt 0x0
	s_barrier_signal -1
	s_barrier_wait -1
	global_inv scope:SCOPE_SE
	ds_store_2addr_b32 v58, v0, v34 offset1:1
	ds_store_2addr_b32 v58, v33, v35 offset0:2 offset1:3
	s_wait_loadcnt_dscnt 0x0
	s_barrier_signal -1
	s_barrier_wait -1
	global_inv scope:SCOPE_SE
	ds_load_u16 v8, v45 offset:256
	ds_load_u16 v7, v52 offset:512
	;; [unrolled: 1-line block ×7, first 2 shown]
	v_mov_b32_e32 v45, 0
	s_delay_alu instid0(VALU_DEP_1) | instskip(NEXT) | instid1(VALU_DEP_1)
	v_lshlrev_b64_e32 v[0:1], 1, v[44:45]
	v_add_co_u32 v0, vcc_lo, s30, v0
	s_wait_alu 0xfffd
	s_delay_alu instid0(VALU_DEP_2)
	v_add_co_ci_u32_e64 v1, null, s31, v1, vcc_lo
	s_and_saveexec_b32 s1, s2
	s_cbranch_execnz .LBB252_150
; %bb.132:
	s_wait_alu 0xfffe
	s_or_b32 exec_lo, exec_lo, s1
	s_and_saveexec_b32 s1, s3
	s_cbranch_execnz .LBB252_151
.LBB252_133:
	s_wait_alu 0xfffe
	s_or_b32 exec_lo, exec_lo, s1
	s_and_saveexec_b32 s1, s4
	s_cbranch_execnz .LBB252_152
.LBB252_134:
	s_wait_alu 0xfffe
	s_or_b32 exec_lo, exec_lo, s1
	s_and_saveexec_b32 s1, s5
	s_cbranch_execnz .LBB252_153
.LBB252_135:
	s_wait_alu 0xfffe
	s_or_b32 exec_lo, exec_lo, s1
	s_and_saveexec_b32 s1, s6
	s_cbranch_execnz .LBB252_154
.LBB252_136:
	s_wait_alu 0xfffe
	s_or_b32 exec_lo, exec_lo, s1
	s_and_saveexec_b32 s1, s7
	s_cbranch_execnz .LBB252_155
.LBB252_137:
	s_wait_alu 0xfffe
	s_or_b32 exec_lo, exec_lo, s1
	s_and_saveexec_b32 s1, s8
	s_cbranch_execnz .LBB252_156
.LBB252_138:
	s_wait_alu 0xfffe
	s_or_b32 exec_lo, exec_lo, s1
	s_and_saveexec_b32 s1, s0
	s_cbranch_execz .LBB252_140
.LBB252_139:
	s_mul_i32 s10, s22, 0x380
	s_mov_b32 s11, 0
	s_wait_alu 0xfffe
	s_lshl_b64 s[10:11], s[10:11], 1
	s_wait_alu 0xfffe
	v_add_co_u32 v0, vcc_lo, v0, s10
	s_wait_alu 0xfffd
	v_add_co_ci_u32_e64 v1, null, s11, v1, vcc_lo
	s_wait_dscnt 0x0
	global_store_b16 v[0:1], v2, off
.LBB252_140:
	s_wait_alu 0xfffe
	s_or_b32 exec_lo, exec_lo, s1
	s_wait_storecnt 0x0
	s_wait_loadcnt_dscnt 0x0
	s_barrier_signal -1
	s_barrier_wait -1
	global_inv scope:SCOPE_SE
	ds_store_2addr_b64 v65, v[29:30], v[31:32] offset1:1
	ds_store_2addr_b64 v65, v[25:26], v[27:28] offset0:2 offset1:3
	ds_store_2addr_b64 v65, v[21:22], v[23:24] offset0:4 offset1:5
	;; [unrolled: 1-line block ×3, first 2 shown]
	s_wait_loadcnt_dscnt 0x0
	s_barrier_signal -1
	s_barrier_wait -1
	global_inv scope:SCOPE_SE
	ds_load_b64 v[14:15], v60 offset:1024
	ds_load_b64 v[12:13], v61 offset:2048
	;; [unrolled: 1-line block ×7, first 2 shown]
	v_mov_b32_e32 v42, 0
	s_delay_alu instid0(VALU_DEP_1) | instskip(NEXT) | instid1(VALU_DEP_1)
	v_lshlrev_b64_e32 v[2:3], 3, v[41:42]
	v_add_co_u32 v2, vcc_lo, s34, v2
	s_wait_alu 0xfffd
	s_delay_alu instid0(VALU_DEP_2)
	v_add_co_ci_u32_e64 v3, null, s35, v3, vcc_lo
	s_and_saveexec_b32 s1, s2
	s_cbranch_execnz .LBB252_157
; %bb.141:
	s_wait_alu 0xfffe
	s_or_b32 exec_lo, exec_lo, s1
	s_and_saveexec_b32 s1, s3
	s_cbranch_execnz .LBB252_158
.LBB252_142:
	s_wait_alu 0xfffe
	s_or_b32 exec_lo, exec_lo, s1
	s_and_saveexec_b32 s1, s4
	s_cbranch_execnz .LBB252_159
.LBB252_143:
	s_wait_alu 0xfffe
	s_or_b32 exec_lo, exec_lo, s1
	s_and_saveexec_b32 s1, s5
	s_cbranch_execnz .LBB252_160
.LBB252_144:
	s_wait_alu 0xfffe
	s_or_b32 exec_lo, exec_lo, s1
	s_and_saveexec_b32 s1, s6
	s_cbranch_execnz .LBB252_161
.LBB252_145:
	s_wait_alu 0xfffe
	s_or_b32 exec_lo, exec_lo, s1
	s_and_saveexec_b32 s1, s7
	s_cbranch_execnz .LBB252_162
.LBB252_146:
	s_wait_alu 0xfffe
	s_or_b32 exec_lo, exec_lo, s1
	s_and_saveexec_b32 s1, s8
	s_cbranch_execnz .LBB252_163
.LBB252_147:
	s_wait_alu 0xfffe
	s_or_b32 exec_lo, exec_lo, s1
	s_and_saveexec_b32 s1, s0
	s_cbranch_execz .LBB252_149
.LBB252_148:
	s_mul_i32 s0, s28, 0x380
	s_mov_b32 s1, 0
	s_wait_alu 0xfffe
	s_lshl_b64 s[0:1], s[0:1], 3
	s_wait_alu 0xfffe
	v_add_co_u32 v2, vcc_lo, v2, s0
	s_wait_alu 0xfffd
	v_add_co_ci_u32_e64 v3, null, s1, v3, vcc_lo
	s_wait_dscnt 0x0
	global_store_b64 v[2:3], v[0:1], off
.LBB252_149:
	s_nop 0
	s_sendmsg sendmsg(MSG_DEALLOC_VGPRS)
	s_endpgm
.LBB252_150:
	ds_load_u16 v9, v51
	s_wait_dscnt 0x0
	global_store_b16 v[0:1], v9, off
	s_wait_alu 0xfffe
	s_or_b32 exec_lo, exec_lo, s1
	s_and_saveexec_b32 s1, s3
	s_cbranch_execz .LBB252_133
.LBB252_151:
	s_lshl_b32 s10, s22, 7
	s_mov_b32 s11, 0
	s_wait_alu 0xfffe
	s_lshl_b64 s[10:11], s[10:11], 1
	s_wait_alu 0xfffe
	v_add_co_u32 v9, vcc_lo, v0, s10
	s_wait_alu 0xfffd
	v_add_co_ci_u32_e64 v10, null, s11, v1, vcc_lo
	s_wait_dscnt 0x6
	global_store_b16 v[9:10], v8, off
	s_or_b32 exec_lo, exec_lo, s1
	s_and_saveexec_b32 s1, s4
	s_cbranch_execz .LBB252_134
.LBB252_152:
	s_lshl_b32 s10, s22, 8
	s_mov_b32 s11, 0
	s_wait_alu 0xfffe
	s_lshl_b64 s[10:11], s[10:11], 1
	s_wait_dscnt 0x6
	s_wait_alu 0xfffe
	v_add_co_u32 v8, vcc_lo, v0, s10
	s_wait_alu 0xfffd
	v_add_co_ci_u32_e64 v9, null, s11, v1, vcc_lo
	s_wait_dscnt 0x5
	global_store_b16 v[8:9], v7, off
	s_or_b32 exec_lo, exec_lo, s1
	s_and_saveexec_b32 s1, s5
	s_cbranch_execz .LBB252_135
.LBB252_153:
	s_mul_i32 s10, s22, 0x180
	s_mov_b32 s11, 0
	s_wait_alu 0xfffe
	s_lshl_b64 s[10:11], s[10:11], 1
	s_wait_dscnt 0x5
	s_wait_alu 0xfffe
	v_add_co_u32 v7, vcc_lo, v0, s10
	s_wait_alu 0xfffd
	v_add_co_ci_u32_e64 v8, null, s11, v1, vcc_lo
	s_wait_dscnt 0x4
	global_store_b16 v[7:8], v6, off
	s_or_b32 exec_lo, exec_lo, s1
	s_and_saveexec_b32 s1, s6
	s_cbranch_execz .LBB252_136
.LBB252_154:
	s_lshl_b32 s10, s22, 9
	s_mov_b32 s11, 0
	s_wait_alu 0xfffe
	s_lshl_b64 s[10:11], s[10:11], 1
	s_wait_dscnt 0x4
	s_wait_alu 0xfffe
	v_add_co_u32 v6, vcc_lo, v0, s10
	s_wait_alu 0xfffd
	v_add_co_ci_u32_e64 v7, null, s11, v1, vcc_lo
	s_wait_dscnt 0x3
	global_store_b16 v[6:7], v5, off
	s_or_b32 exec_lo, exec_lo, s1
	s_and_saveexec_b32 s1, s7
	s_cbranch_execz .LBB252_137
.LBB252_155:
	s_mul_i32 s10, s22, 0x280
	s_mov_b32 s11, 0
	s_wait_alu 0xfffe
	s_lshl_b64 s[10:11], s[10:11], 1
	s_wait_dscnt 0x3
	s_wait_alu 0xfffe
	v_add_co_u32 v5, vcc_lo, v0, s10
	s_wait_alu 0xfffd
	v_add_co_ci_u32_e64 v6, null, s11, v1, vcc_lo
	s_wait_dscnt 0x2
	global_store_b16 v[5:6], v4, off
	s_or_b32 exec_lo, exec_lo, s1
	s_and_saveexec_b32 s1, s8
	s_cbranch_execz .LBB252_138
.LBB252_156:
	s_mul_i32 s10, s22, 0x300
	s_mov_b32 s11, 0
	s_wait_alu 0xfffe
	s_lshl_b64 s[10:11], s[10:11], 1
	s_wait_dscnt 0x2
	s_wait_alu 0xfffe
	v_add_co_u32 v4, vcc_lo, v0, s10
	s_wait_alu 0xfffd
	v_add_co_ci_u32_e64 v5, null, s11, v1, vcc_lo
	s_wait_dscnt 0x1
	global_store_b16 v[4:5], v3, off
	s_or_b32 exec_lo, exec_lo, s1
	s_and_saveexec_b32 s1, s0
	s_cbranch_execnz .LBB252_139
	s_branch .LBB252_140
.LBB252_157:
	ds_load_b64 v[16:17], v59
	s_wait_dscnt 0x0
	global_store_b64 v[2:3], v[16:17], off
	s_wait_alu 0xfffe
	s_or_b32 exec_lo, exec_lo, s1
	s_and_saveexec_b32 s1, s3
	s_cbranch_execz .LBB252_142
.LBB252_158:
	s_lshl_b32 s2, s28, 7
	s_mov_b32 s3, 0
	s_delay_alu instid0(SALU_CYCLE_1) | instskip(NEXT) | instid1(SALU_CYCLE_1)
	s_lshl_b64 s[2:3], s[2:3], 3
	v_add_co_u32 v16, vcc_lo, v2, s2
	s_wait_alu 0xfffd
	v_add_co_ci_u32_e64 v17, null, s3, v3, vcc_lo
	s_wait_dscnt 0x6
	global_store_b64 v[16:17], v[14:15], off
	s_wait_alu 0xfffe
	s_or_b32 exec_lo, exec_lo, s1
	s_and_saveexec_b32 s1, s4
	s_cbranch_execz .LBB252_143
.LBB252_159:
	s_lshl_b32 s2, s28, 8
	s_mov_b32 s3, 0
	s_wait_alu 0xfffe
	s_lshl_b64 s[2:3], s[2:3], 3
	s_wait_dscnt 0x6
	s_wait_alu 0xfffe
	v_add_co_u32 v14, vcc_lo, v2, s2
	s_wait_alu 0xfffd
	v_add_co_ci_u32_e64 v15, null, s3, v3, vcc_lo
	s_wait_dscnt 0x5
	global_store_b64 v[14:15], v[12:13], off
	s_or_b32 exec_lo, exec_lo, s1
	s_and_saveexec_b32 s1, s5
	s_cbranch_execz .LBB252_144
.LBB252_160:
	s_mul_i32 s2, s28, 0x180
	s_mov_b32 s3, 0
	s_wait_alu 0xfffe
	s_lshl_b64 s[2:3], s[2:3], 3
	s_wait_dscnt 0x5
	s_wait_alu 0xfffe
	v_add_co_u32 v12, vcc_lo, v2, s2
	s_wait_alu 0xfffd
	v_add_co_ci_u32_e64 v13, null, s3, v3, vcc_lo
	s_wait_dscnt 0x4
	global_store_b64 v[12:13], v[10:11], off
	s_or_b32 exec_lo, exec_lo, s1
	s_and_saveexec_b32 s1, s6
	s_cbranch_execz .LBB252_145
.LBB252_161:
	s_lshl_b32 s2, s28, 9
	s_mov_b32 s3, 0
	s_wait_alu 0xfffe
	s_lshl_b64 s[2:3], s[2:3], 3
	s_wait_dscnt 0x4
	s_wait_alu 0xfffe
	v_add_co_u32 v10, vcc_lo, v2, s2
	s_wait_alu 0xfffd
	v_add_co_ci_u32_e64 v11, null, s3, v3, vcc_lo
	s_wait_dscnt 0x3
	global_store_b64 v[10:11], v[8:9], off
	s_or_b32 exec_lo, exec_lo, s1
	s_and_saveexec_b32 s1, s7
	s_cbranch_execz .LBB252_146
.LBB252_162:
	s_mul_i32 s2, s28, 0x280
	s_mov_b32 s3, 0
	s_wait_alu 0xfffe
	s_lshl_b64 s[2:3], s[2:3], 3
	s_wait_dscnt 0x3
	s_wait_alu 0xfffe
	v_add_co_u32 v8, vcc_lo, v2, s2
	s_wait_alu 0xfffd
	v_add_co_ci_u32_e64 v9, null, s3, v3, vcc_lo
	s_wait_dscnt 0x2
	global_store_b64 v[8:9], v[6:7], off
	s_or_b32 exec_lo, exec_lo, s1
	s_and_saveexec_b32 s1, s8
	s_cbranch_execz .LBB252_147
.LBB252_163:
	s_mul_i32 s2, s28, 0x300
	s_mov_b32 s3, 0
	s_wait_alu 0xfffe
	s_lshl_b64 s[2:3], s[2:3], 3
	s_wait_dscnt 0x2
	s_wait_alu 0xfffe
	v_add_co_u32 v6, vcc_lo, v2, s2
	s_wait_alu 0xfffd
	v_add_co_ci_u32_e64 v7, null, s3, v3, vcc_lo
	s_wait_dscnt 0x1
	global_store_b64 v[6:7], v[4:5], off
	s_or_b32 exec_lo, exec_lo, s1
	s_and_saveexec_b32 s1, s0
	s_cbranch_execnz .LBB252_148
	s_branch .LBB252_149
	.section	.rodata,"a",@progbits
	.p2align	6, 0x0
	.amdhsa_kernel _ZN2at6native18radixSortKVInPlaceILin1ELin1ELi128ELi8EN3c108BFloat16EljEEvNS_4cuda6detail10TensorInfoIT3_T5_EES8_S8_S8_NS6_IT4_S8_EES8_b
		.amdhsa_group_segment_fixed_size 8448
		.amdhsa_private_segment_fixed_size 0
		.amdhsa_kernarg_size 712
		.amdhsa_user_sgpr_count 2
		.amdhsa_user_sgpr_dispatch_ptr 0
		.amdhsa_user_sgpr_queue_ptr 0
		.amdhsa_user_sgpr_kernarg_segment_ptr 1
		.amdhsa_user_sgpr_dispatch_id 0
		.amdhsa_user_sgpr_private_segment_size 0
		.amdhsa_wavefront_size32 1
		.amdhsa_uses_dynamic_stack 0
		.amdhsa_enable_private_segment 0
		.amdhsa_system_sgpr_workgroup_id_x 1
		.amdhsa_system_sgpr_workgroup_id_y 1
		.amdhsa_system_sgpr_workgroup_id_z 1
		.amdhsa_system_sgpr_workgroup_info 0
		.amdhsa_system_vgpr_workitem_id 2
		.amdhsa_next_free_vgpr 113
		.amdhsa_next_free_sgpr 38
		.amdhsa_reserve_vcc 1
		.amdhsa_float_round_mode_32 0
		.amdhsa_float_round_mode_16_64 0
		.amdhsa_float_denorm_mode_32 3
		.amdhsa_float_denorm_mode_16_64 3
		.amdhsa_fp16_overflow 0
		.amdhsa_workgroup_processor_mode 1
		.amdhsa_memory_ordered 1
		.amdhsa_forward_progress 1
		.amdhsa_inst_pref_size 181
		.amdhsa_round_robin_scheduling 0
		.amdhsa_exception_fp_ieee_invalid_op 0
		.amdhsa_exception_fp_denorm_src 0
		.amdhsa_exception_fp_ieee_div_zero 0
		.amdhsa_exception_fp_ieee_overflow 0
		.amdhsa_exception_fp_ieee_underflow 0
		.amdhsa_exception_fp_ieee_inexact 0
		.amdhsa_exception_int_div_zero 0
	.end_amdhsa_kernel
	.section	.text._ZN2at6native18radixSortKVInPlaceILin1ELin1ELi128ELi8EN3c108BFloat16EljEEvNS_4cuda6detail10TensorInfoIT3_T5_EES8_S8_S8_NS6_IT4_S8_EES8_b,"axG",@progbits,_ZN2at6native18radixSortKVInPlaceILin1ELin1ELi128ELi8EN3c108BFloat16EljEEvNS_4cuda6detail10TensorInfoIT3_T5_EES8_S8_S8_NS6_IT4_S8_EES8_b,comdat
.Lfunc_end252:
	.size	_ZN2at6native18radixSortKVInPlaceILin1ELin1ELi128ELi8EN3c108BFloat16EljEEvNS_4cuda6detail10TensorInfoIT3_T5_EES8_S8_S8_NS6_IT4_S8_EES8_b, .Lfunc_end252-_ZN2at6native18radixSortKVInPlaceILin1ELin1ELi128ELi8EN3c108BFloat16EljEEvNS_4cuda6detail10TensorInfoIT3_T5_EES8_S8_S8_NS6_IT4_S8_EES8_b
                                        ; -- End function
	.set _ZN2at6native18radixSortKVInPlaceILin1ELin1ELi128ELi8EN3c108BFloat16EljEEvNS_4cuda6detail10TensorInfoIT3_T5_EES8_S8_S8_NS6_IT4_S8_EES8_b.num_vgpr, 113
	.set _ZN2at6native18radixSortKVInPlaceILin1ELin1ELi128ELi8EN3c108BFloat16EljEEvNS_4cuda6detail10TensorInfoIT3_T5_EES8_S8_S8_NS6_IT4_S8_EES8_b.num_agpr, 0
	.set _ZN2at6native18radixSortKVInPlaceILin1ELin1ELi128ELi8EN3c108BFloat16EljEEvNS_4cuda6detail10TensorInfoIT3_T5_EES8_S8_S8_NS6_IT4_S8_EES8_b.numbered_sgpr, 38
	.set _ZN2at6native18radixSortKVInPlaceILin1ELin1ELi128ELi8EN3c108BFloat16EljEEvNS_4cuda6detail10TensorInfoIT3_T5_EES8_S8_S8_NS6_IT4_S8_EES8_b.num_named_barrier, 0
	.set _ZN2at6native18radixSortKVInPlaceILin1ELin1ELi128ELi8EN3c108BFloat16EljEEvNS_4cuda6detail10TensorInfoIT3_T5_EES8_S8_S8_NS6_IT4_S8_EES8_b.private_seg_size, 0
	.set _ZN2at6native18radixSortKVInPlaceILin1ELin1ELi128ELi8EN3c108BFloat16EljEEvNS_4cuda6detail10TensorInfoIT3_T5_EES8_S8_S8_NS6_IT4_S8_EES8_b.uses_vcc, 1
	.set _ZN2at6native18radixSortKVInPlaceILin1ELin1ELi128ELi8EN3c108BFloat16EljEEvNS_4cuda6detail10TensorInfoIT3_T5_EES8_S8_S8_NS6_IT4_S8_EES8_b.uses_flat_scratch, 0
	.set _ZN2at6native18radixSortKVInPlaceILin1ELin1ELi128ELi8EN3c108BFloat16EljEEvNS_4cuda6detail10TensorInfoIT3_T5_EES8_S8_S8_NS6_IT4_S8_EES8_b.has_dyn_sized_stack, 0
	.set _ZN2at6native18radixSortKVInPlaceILin1ELin1ELi128ELi8EN3c108BFloat16EljEEvNS_4cuda6detail10TensorInfoIT3_T5_EES8_S8_S8_NS6_IT4_S8_EES8_b.has_recursion, 0
	.set _ZN2at6native18radixSortKVInPlaceILin1ELin1ELi128ELi8EN3c108BFloat16EljEEvNS_4cuda6detail10TensorInfoIT3_T5_EES8_S8_S8_NS6_IT4_S8_EES8_b.has_indirect_call, 0
	.section	.AMDGPU.csdata,"",@progbits
; Kernel info:
; codeLenInByte = 23104
; TotalNumSgprs: 40
; NumVgprs: 113
; ScratchSize: 0
; MemoryBound: 0
; FloatMode: 240
; IeeeMode: 1
; LDSByteSize: 8448 bytes/workgroup (compile time only)
; SGPRBlocks: 0
; VGPRBlocks: 14
; NumSGPRsForWavesPerEU: 40
; NumVGPRsForWavesPerEU: 113
; Occupancy: 12
; WaveLimiterHint : 1
; COMPUTE_PGM_RSRC2:SCRATCH_EN: 0
; COMPUTE_PGM_RSRC2:USER_SGPR: 2
; COMPUTE_PGM_RSRC2:TRAP_HANDLER: 0
; COMPUTE_PGM_RSRC2:TGID_X_EN: 1
; COMPUTE_PGM_RSRC2:TGID_Y_EN: 1
; COMPUTE_PGM_RSRC2:TGID_Z_EN: 1
; COMPUTE_PGM_RSRC2:TIDIG_COMP_CNT: 2
	.section	.text._ZN2at6native18radixSortKVInPlaceILin1ELin1ELi32ELi4EN3c108BFloat16EljEEvNS_4cuda6detail10TensorInfoIT3_T5_EES8_S8_S8_NS6_IT4_S8_EES8_b,"axG",@progbits,_ZN2at6native18radixSortKVInPlaceILin1ELin1ELi32ELi4EN3c108BFloat16EljEEvNS_4cuda6detail10TensorInfoIT3_T5_EES8_S8_S8_NS6_IT4_S8_EES8_b,comdat
	.protected	_ZN2at6native18radixSortKVInPlaceILin1ELin1ELi32ELi4EN3c108BFloat16EljEEvNS_4cuda6detail10TensorInfoIT3_T5_EES8_S8_S8_NS6_IT4_S8_EES8_b ; -- Begin function _ZN2at6native18radixSortKVInPlaceILin1ELin1ELi32ELi4EN3c108BFloat16EljEEvNS_4cuda6detail10TensorInfoIT3_T5_EES8_S8_S8_NS6_IT4_S8_EES8_b
	.globl	_ZN2at6native18radixSortKVInPlaceILin1ELin1ELi32ELi4EN3c108BFloat16EljEEvNS_4cuda6detail10TensorInfoIT3_T5_EES8_S8_S8_NS6_IT4_S8_EES8_b
	.p2align	8
	.type	_ZN2at6native18radixSortKVInPlaceILin1ELin1ELi32ELi4EN3c108BFloat16EljEEvNS_4cuda6detail10TensorInfoIT3_T5_EES8_S8_S8_NS6_IT4_S8_EES8_b,@function
_ZN2at6native18radixSortKVInPlaceILin1ELin1ELi32ELi4EN3c108BFloat16EljEEvNS_4cuda6detail10TensorInfoIT3_T5_EES8_S8_S8_NS6_IT4_S8_EES8_b: ; @_ZN2at6native18radixSortKVInPlaceILin1ELin1ELi32ELi4EN3c108BFloat16EljEEvNS_4cuda6detail10TensorInfoIT3_T5_EES8_S8_S8_NS6_IT4_S8_EES8_b
; %bb.0:
	s_clause 0x1
	s_load_b64 s[2:3], s[0:1], 0x1c8
	s_load_b96 s[12:14], s[0:1], 0xd8
	s_lshr_b32 s4, ttmp7, 16
	s_wait_kmcnt 0x0
	s_mul_i32 s3, s3, s4
	s_and_b32 s4, ttmp7, 0xffff
	s_delay_alu instid0(SALU_CYCLE_1) | instskip(NEXT) | instid1(SALU_CYCLE_1)
	s_add_co_i32 s3, s3, s4
	s_mul_i32 s2, s3, s2
	s_delay_alu instid0(SALU_CYCLE_1) | instskip(NEXT) | instid1(SALU_CYCLE_1)
	s_add_co_i32 s8, s2, ttmp9
	s_cmp_ge_u32 s8, s12
	s_cbranch_scc1 .LBB253_77
; %bb.1:
	s_load_b32 s4, s[0:1], 0xd0
	s_mov_b32 s3, 0
	s_mov_b32 s2, s8
	s_wait_kmcnt 0x0
	s_cmp_lt_i32 s4, 2
	s_cbranch_scc1 .LBB253_4
; %bb.2:
	s_add_co_i32 s2, s4, -1
	s_delay_alu instid0(SALU_CYCLE_1)
	s_lshl_b64 s[6:7], s[2:3], 2
	s_mov_b32 s2, s8
	s_add_nc_u64 s[10:11], s[0:1], s[6:7]
	s_add_co_i32 s6, s4, 1
	s_add_nc_u64 s[4:5], s[10:11], 8
.LBB253_3:                              ; =>This Inner Loop Header: Depth=1
	s_clause 0x1
	s_load_b32 s7, s[4:5], 0x0
	s_load_b32 s9, s[4:5], 0x64
	s_mov_b32 s12, s2
	s_add_nc_u64 s[4:5], s[4:5], -4
	s_wait_kmcnt 0x0
	s_cvt_f32_u32 s10, s7
	s_sub_co_i32 s11, 0, s7
	s_wait_alu 0xfffe
	s_delay_alu instid0(SALU_CYCLE_1) | instskip(NEXT) | instid1(TRANS32_DEP_1)
	v_rcp_iflag_f32_e32 v1, s10
	v_readfirstlane_b32 s10, v1
	s_mul_f32 s10, s10, 0x4f7ffffe
	s_wait_alu 0xfffe
	s_delay_alu instid0(SALU_CYCLE_2) | instskip(SKIP_1) | instid1(SALU_CYCLE_2)
	s_cvt_u32_f32 s10, s10
	s_wait_alu 0xfffe
	s_mul_i32 s11, s11, s10
	s_wait_alu 0xfffe
	s_mul_hi_u32 s11, s10, s11
	s_wait_alu 0xfffe
	s_add_co_i32 s10, s10, s11
	s_wait_alu 0xfffe
	s_mul_hi_u32 s2, s2, s10
	s_delay_alu instid0(SALU_CYCLE_1)
	s_mul_i32 s10, s2, s7
	s_add_co_i32 s11, s2, 1
	s_wait_alu 0xfffe
	s_sub_co_i32 s10, s12, s10
	s_wait_alu 0xfffe
	s_sub_co_i32 s15, s10, s7
	s_cmp_ge_u32 s10, s7
	s_cselect_b32 s2, s11, s2
	s_cselect_b32 s10, s15, s10
	s_add_co_i32 s11, s2, 1
	s_wait_alu 0xfffe
	s_cmp_ge_u32 s10, s7
	s_cselect_b32 s2, s11, s2
	s_add_co_i32 s6, s6, -1
	s_mul_i32 s7, s2, s7
	s_delay_alu instid0(SALU_CYCLE_1) | instskip(NEXT) | instid1(SALU_CYCLE_1)
	s_sub_co_i32 s7, s12, s7
	s_mul_i32 s7, s9, s7
	s_delay_alu instid0(SALU_CYCLE_1)
	s_add_co_i32 s3, s7, s3
	s_cmp_gt_u32 s6, 2
	s_cbranch_scc1 .LBB253_3
.LBB253_4:
	s_load_b32 s6, s[0:1], 0x1b8
	s_add_nc_u64 s[22:23], s[0:1], 0x1c8
	s_mov_b32 s5, 0
	s_wait_kmcnt 0x0
	s_cmp_lt_i32 s6, 2
	s_cbranch_scc1 .LBB253_7
; %bb.5:
	s_add_co_i32 s4, s6, -1
	s_delay_alu instid0(SALU_CYCLE_1)
	s_lshl_b64 s[10:11], s[4:5], 2
	s_add_co_i32 s4, s6, 1
	s_wait_alu 0xfffe
	s_add_nc_u64 s[10:11], s[0:1], s[10:11]
	s_wait_alu 0xfffe
	s_add_nc_u64 s[6:7], s[10:11], 0xf0
.LBB253_6:                              ; =>This Inner Loop Header: Depth=1
	s_clause 0x1
	s_load_b32 s9, s[6:7], 0x0
	s_load_b32 s10, s[6:7], 0x64
	s_mov_b32 s15, s8
	s_add_nc_u64 s[6:7], s[6:7], -4
	s_wait_kmcnt 0x0
	s_cvt_f32_u32 s11, s9
	s_sub_co_i32 s12, 0, s9
	s_wait_alu 0xfffe
	s_delay_alu instid0(SALU_CYCLE_1) | instskip(NEXT) | instid1(TRANS32_DEP_1)
	v_rcp_iflag_f32_e32 v1, s11
	v_readfirstlane_b32 s11, v1
	s_mul_f32 s11, s11, 0x4f7ffffe
	s_wait_alu 0xfffe
	s_delay_alu instid0(SALU_CYCLE_2) | instskip(SKIP_1) | instid1(SALU_CYCLE_2)
	s_cvt_u32_f32 s11, s11
	s_wait_alu 0xfffe
	s_mul_i32 s12, s12, s11
	s_delay_alu instid0(SALU_CYCLE_1) | instskip(NEXT) | instid1(SALU_CYCLE_1)
	s_mul_hi_u32 s12, s11, s12
	s_add_co_i32 s11, s11, s12
	s_wait_alu 0xfffe
	s_mul_hi_u32 s8, s8, s11
	s_delay_alu instid0(SALU_CYCLE_1)
	s_mul_i32 s11, s8, s9
	s_add_co_i32 s12, s8, 1
	s_wait_alu 0xfffe
	s_sub_co_i32 s11, s15, s11
	s_wait_alu 0xfffe
	s_sub_co_i32 s16, s11, s9
	s_cmp_ge_u32 s11, s9
	s_cselect_b32 s8, s12, s8
	s_cselect_b32 s11, s16, s11
	s_add_co_i32 s12, s8, 1
	s_wait_alu 0xfffe
	s_cmp_ge_u32 s11, s9
	s_cselect_b32 s8, s12, s8
	s_add_co_i32 s4, s4, -1
	s_mul_i32 s9, s8, s9
	s_delay_alu instid0(SALU_CYCLE_1) | instskip(NEXT) | instid1(SALU_CYCLE_1)
	s_sub_co_i32 s9, s15, s9
	s_mul_i32 s9, s10, s9
	s_delay_alu instid0(SALU_CYCLE_1)
	s_add_co_i32 s5, s9, s5
	s_cmp_gt_u32 s4, 2
	s_cbranch_scc1 .LBB253_6
.LBB253_7:
	s_clause 0x2
	s_load_b32 s4, s[0:1], 0x6c
	s_load_b64 s[16:17], s[0:1], 0x1c0
	s_load_b64 s[6:7], s[0:1], 0x0
	v_and_b32_e32 v21, 0x3ff, v0
	s_mov_b32 s19, 0
	s_delay_alu instid0(VALU_DEP_1) | instskip(SKIP_2) | instid1(SALU_CYCLE_1)
	v_mul_lo_u32 v17, s14, v21
	s_wait_kmcnt 0x0
	s_mul_i32 s2, s4, s2
	s_add_co_i32 s18, s2, s3
	s_bitcmp1_b32 s17, 0
	s_mov_b32 s2, 0xffff
	s_cselect_b32 s9, -1, 0
	s_delay_alu instid0(SALU_CYCLE_1)
	s_and_b32 s3, s9, exec_lo
	s_cselect_b32 s10, s2, 0x7fff
	v_cmp_gt_u32_e64 s2, s13, v21
	s_wait_alu 0xfffe
	v_mov_b32_e32 v1, s10
	s_lshl_b64 s[18:19], s[18:19], 1
	s_delay_alu instid0(SALU_CYCLE_1)
	s_add_nc_u64 s[18:19], s[6:7], s[18:19]
	s_and_saveexec_b32 s3, s2
	s_cbranch_execz .LBB253_9
; %bb.8:
	v_mov_b32_e32 v18, 0
	s_delay_alu instid0(VALU_DEP_1) | instskip(NEXT) | instid1(VALU_DEP_1)
	v_lshlrev_b64_e32 v[1:2], 1, v[17:18]
	v_add_co_u32 v1, vcc_lo, s18, v1
	s_delay_alu instid0(VALU_DEP_1)
	v_add_co_ci_u32_e64 v2, null, s19, v2, vcc_lo
	global_load_u16 v1, v[1:2], off
.LBB253_9:
	s_or_b32 exec_lo, exec_lo, s3
	v_dual_mov_b32 v2, s10 :: v_dual_add_nc_u32 v9, 32, v21
	s_delay_alu instid0(VALU_DEP_1)
	v_cmp_gt_u32_e64 s3, s13, v9
	s_and_saveexec_b32 s4, s3
	s_cbranch_execz .LBB253_11
; %bb.10:
	v_mul_lo_u32 v2, s14, v9
	v_mov_b32_e32 v3, 0
	s_delay_alu instid0(VALU_DEP_1) | instskip(NEXT) | instid1(VALU_DEP_1)
	v_lshlrev_b64_e32 v[2:3], 1, v[2:3]
	v_add_co_u32 v2, vcc_lo, s18, v2
	s_wait_alu 0xfffd
	s_delay_alu instid0(VALU_DEP_2)
	v_add_co_ci_u32_e64 v3, null, s19, v3, vcc_lo
	global_load_u16 v2, v[2:3], off
.LBB253_11:
	s_or_b32 exec_lo, exec_lo, s4
	v_dual_mov_b32 v3, s10 :: v_dual_add_nc_u32 v10, 64, v21
	s_delay_alu instid0(VALU_DEP_1)
	v_cmp_gt_u32_e64 s4, s13, v10
	s_and_saveexec_b32 s6, s4
	s_cbranch_execz .LBB253_13
; %bb.12:
	v_mul_lo_u32 v3, s14, v10
	v_mov_b32_e32 v4, 0
	s_delay_alu instid0(VALU_DEP_1) | instskip(NEXT) | instid1(VALU_DEP_1)
	v_lshlrev_b64_e32 v[3:4], 1, v[3:4]
	v_add_co_u32 v3, vcc_lo, s18, v3
	s_wait_alu 0xfffd
	s_delay_alu instid0(VALU_DEP_2)
	v_add_co_ci_u32_e64 v4, null, s19, v4, vcc_lo
	global_load_u16 v3, v[3:4], off
.LBB253_13:
	s_or_b32 exec_lo, exec_lo, s6
	s_clause 0x1
	s_load_b32 s11, s[0:1], 0x154
	s_load_b64 s[6:7], s[0:1], 0xe8
	v_dual_mov_b32 v4, s10 :: v_dual_add_nc_u32 v11, 0x60, v21
	s_delay_alu instid0(VALU_DEP_1)
	v_cmp_gt_u32_e64 s0, s13, v11
	s_and_saveexec_b32 s1, s0
	s_cbranch_execz .LBB253_15
; %bb.14:
	v_mul_lo_u32 v4, s14, v11
	v_mov_b32_e32 v5, 0
	s_delay_alu instid0(VALU_DEP_1) | instskip(NEXT) | instid1(VALU_DEP_1)
	v_lshlrev_b64_e32 v[4:5], 1, v[4:5]
	v_add_co_u32 v4, vcc_lo, s18, v4
	s_wait_alu 0xfffd
	s_delay_alu instid0(VALU_DEP_2)
	v_add_co_ci_u32_e64 v5, null, s19, v5, vcc_lo
	global_load_u16 v4, v[4:5], off
.LBB253_15:
	s_or_b32 exec_lo, exec_lo, s1
	v_lshrrev_b32_e32 v5, 4, v21
	v_lshrrev_b32_e32 v6, 4, v9
	v_lshlrev_b32_e32 v7, 1, v21
	v_lshrrev_b32_e32 v8, 4, v10
	v_lshrrev_b32_e32 v13, 2, v21
	v_and_b32_e32 v5, 60, v5
	v_and_b32_e32 v6, 0x7c, v6
	v_lshrrev_b32_e32 v12, 4, v11
	v_and_b32_e32 v8, 0x7c, v8
	s_wait_kmcnt 0x0
	s_mul_i32 s1, s11, s8
	v_add_nc_u32_e32 v32, v5, v7
	v_add_nc_u32_e32 v18, v6, v7
	v_and_b32_e32 v5, 0xfc, v13
	v_and_b32_e32 v12, 0x7c, v12
	v_mul_lo_u32 v19, s16, v21
	s_wait_loadcnt 0x0
	ds_store_b16 v32, v1
	ds_store_b16 v18, v2 offset:64
	v_mov_b32_e32 v1, 0
	v_lshl_add_u32 v35, v21, 3, v5
	v_dual_mov_b32 v2, 0 :: v_dual_add_nc_u32 v33, v8, v7
	v_add_nc_u32_e32 v34, v12, v7
	ds_store_b16 v33, v3 offset:128
	ds_store_b16 v34, v4 offset:192
	s_wait_dscnt 0x0
	; wave barrier
	global_inv scope:SCOPE_SE
	ds_load_2addr_b32 v[22:23], v35 offset1:1
	s_add_co_i32 s10, s1, s5
	s_mov_b32 s11, 0
	v_mov_b32_e32 v3, 0
	v_mov_b32_e32 v4, 0
	s_wait_alu 0xfffe
	s_lshl_b64 s[10:11], s[10:11], 3
	s_wait_loadcnt_dscnt 0x0
	s_wait_alu 0xfffe
	s_add_nc_u64 s[20:21], s[6:7], s[10:11]
	; wave barrier
	global_inv scope:SCOPE_SE
	s_and_saveexec_b32 s1, s2
	s_cbranch_execz .LBB253_17
; %bb.16:
	v_mov_b32_e32 v20, 0
	s_delay_alu instid0(VALU_DEP_1) | instskip(NEXT) | instid1(VALU_DEP_1)
	v_lshlrev_b64_e32 v[3:4], 3, v[19:20]
	v_add_co_u32 v3, vcc_lo, s20, v3
	s_wait_alu 0xfffd
	s_delay_alu instid0(VALU_DEP_2)
	v_add_co_ci_u32_e64 v4, null, s21, v4, vcc_lo
	global_load_b64 v[3:4], v[3:4], off
.LBB253_17:
	s_or_b32 exec_lo, exec_lo, s1
	s_and_saveexec_b32 s1, s3
	s_cbranch_execz .LBB253_19
; %bb.18:
	v_mul_lo_u32 v1, s16, v9
	v_mov_b32_e32 v2, 0
	s_delay_alu instid0(VALU_DEP_1) | instskip(NEXT) | instid1(VALU_DEP_1)
	v_lshlrev_b64_e32 v[1:2], 3, v[1:2]
	v_add_co_u32 v1, vcc_lo, s20, v1
	s_wait_alu 0xfffd
	s_delay_alu instid0(VALU_DEP_2)
	v_add_co_ci_u32_e64 v2, null, s21, v2, vcc_lo
	global_load_b64 v[1:2], v[1:2], off
.LBB253_19:
	s_or_b32 exec_lo, exec_lo, s1
	v_mov_b32_e32 v5, 0
	v_dual_mov_b32 v6, 0 :: v_dual_mov_b32 v7, 0
	v_mov_b32_e32 v8, 0
	s_and_saveexec_b32 s1, s4
	s_cbranch_execz .LBB253_21
; %bb.20:
	v_mul_lo_u32 v7, s16, v10
	v_mov_b32_e32 v8, 0
	s_delay_alu instid0(VALU_DEP_1) | instskip(NEXT) | instid1(VALU_DEP_1)
	v_lshlrev_b64_e32 v[7:8], 3, v[7:8]
	v_add_co_u32 v7, vcc_lo, s20, v7
	s_wait_alu 0xfffd
	s_delay_alu instid0(VALU_DEP_2)
	v_add_co_ci_u32_e64 v8, null, s21, v8, vcc_lo
	global_load_b64 v[7:8], v[7:8], off
.LBB253_21:
	s_or_b32 exec_lo, exec_lo, s1
	v_lshrrev_b32_e32 v12, 5, v21
	v_lshrrev_b32_e32 v9, 5, v9
	;; [unrolled: 1-line block ×4, first 2 shown]
	v_lshlrev_b32_e32 v41, 2, v21
	v_lshrrev_b32_e32 v14, 3, v21
	s_xor_b32 s6, s9, -1
	s_and_saveexec_b32 s1, s0
	s_cbranch_execz .LBB253_23
; %bb.22:
	v_mul_lo_u32 v5, s16, v11
	v_mov_b32_e32 v6, 0
	s_delay_alu instid0(VALU_DEP_1) | instskip(NEXT) | instid1(VALU_DEP_1)
	v_lshlrev_b64_e32 v[5:6], 3, v[5:6]
	v_add_co_u32 v5, vcc_lo, s20, v5
	s_wait_alu 0xfffd
	s_delay_alu instid0(VALU_DEP_2)
	v_add_co_ci_u32_e64 v6, null, s21, v6, vcc_lo
	global_load_b64 v[5:6], v[5:6], off
.LBB253_23:
	s_or_b32 exec_lo, exec_lo, s1
	v_lshlrev_b32_e32 v11, 3, v21
	v_lshlrev_b32_e32 v40, 3, v41
	v_mbcnt_lo_u32_b32 v44, -1, 0
	v_lshrrev_b32_e32 v48, 16, v22
	v_lshrrev_b32_e32 v47, 16, v23
	v_lshl_add_u32 v36, v12, 3, v11
	v_lshl_add_u32 v39, v14, 3, v40
	;; [unrolled: 1-line block ×5, first 2 shown]
	s_wait_loadcnt 0x0
	ds_store_b64 v36, v[3:4]
	ds_store_b64 v20, v[1:2] offset:256
	ds_store_b64 v37, v[7:8] offset:512
	;; [unrolled: 1-line block ×3, first 2 shown]
	s_wait_dscnt 0x0
	; wave barrier
	global_inv scope:SCOPE_SE
	ds_load_2addr_b64 v[5:8], v39 offset1:1
	ds_load_2addr_b64 v[1:4], v39 offset0:2 offset1:3
	v_and_b32_e32 v43, 3, v44
	v_and_b32_e32 v45, 28, v44
	s_and_b32 vcc_lo, exec_lo, s6
	v_bfe_u32 v46, v0, 10, 10
	v_bfe_u32 v0, v0, 20, 10
	v_cmp_eq_u32_e64 s5, 1, v43
	v_cmp_eq_u32_e64 s1, 2, v43
	;; [unrolled: 1-line block ×3, first 2 shown]
	v_lshlrev_b32_e32 v42, 5, v21
	s_mov_b32 s7, -1
	; wave barrier
	s_wait_loadcnt_dscnt 0x0
	global_inv scope:SCOPE_SE
                                        ; implicit-def: $vgpr14
                                        ; implicit-def: $vgpr13
	s_wait_alu 0xfffe
	s_cbranch_vccz .LBB253_45
; %bb.24:
	v_cmp_lt_i16_e32 vcc_lo, -1, v22
	s_getpc_b64 s[8:9]
	s_sext_i32_i16 s9, s9
	s_add_co_u32 s8, s8, _ZN7rocprim17ROCPRIM_400000_NS16block_radix_sortI12hip_bfloat16Lj32ELj4ElLj1ELj1ELj0ELNS0_26block_radix_rank_algorithmE1ELNS0_18block_padding_hintE2ELNS0_4arch9wavefront6targetE0EE19radix_bits_per_passE@rel32@lo+8
	s_add_co_ci_u32 s9, s9, _ZN7rocprim17ROCPRIM_400000_NS16block_radix_sortI12hip_bfloat16Lj32ELj4ElLj1ELj1ELj0ELNS0_26block_radix_rank_algorithmE1ELNS0_18block_padding_hintE2ELNS0_4arch9wavefront6targetE0EE19radix_bits_per_passE@rel32@hi+16
	s_wait_loadcnt 0x0
	s_load_b32 s13, s[8:9], 0x0
	; wave barrier
	global_inv scope:SCOPE_SE
	v_cndmask_b32_e64 v9, -1, 0xffff8000, vcc_lo
	v_cmp_lt_i16_e32 vcc_lo, -1, v48
	s_load_b32 s9, s[22:23], 0xc
	ds_bpermute_b32 v56, v45, v5
	ds_bpermute_b32 v31, v45, v6
	v_xor_b32_e32 v9, v9, v22
	v_cndmask_b32_e64 v10, -1, 0xffff8000, vcc_lo
	v_cmp_lt_i16_e32 vcc_lo, -1, v23
	ds_bpermute_b32 v49, v45, v7
	ds_bpermute_b32 v28, v45, v8
	v_and_b32_e32 v9, 0xffff, v9
	v_xor_b32_e32 v10, v10, v48
	s_wait_alu 0xfffd
	v_cndmask_b32_e64 v11, -1, 0xffff8000, vcc_lo
	v_cmp_lt_i16_e32 vcc_lo, -1, v47
	ds_bpermute_b32 v29, v45, v1
	ds_bpermute_b32 v13, v45, v9
	v_dual_mov_b32 v83, 0 :: v_dual_and_b32 v10, 0xffff, v10
	s_wait_alu 0xfffd
	v_cndmask_b32_e64 v12, -1, 0xffff8000, vcc_lo
	v_xor_b32_e32 v11, v11, v23
	s_wait_kmcnt 0x0
	s_min_u32 s7, s13, 16
	ds_bpermute_b32 v14, v45, v10
	s_lshl_b32 s7, -1, s7
	v_xor_b32_e32 v12, v12, v47
	v_and_b32_e32 v11, 0xffff, v11
	s_not_b32 s8, s7
	ds_bpermute_b32 v25, v45, v2
	ds_bpermute_b32 v26, v45, v3
	v_and_b32_e32 v12, 0xffff, v12
	ds_bpermute_b32 v15, v45, v11
	ds_bpermute_b32 v27, v45, v4
	ds_bpermute_b32 v63, v45, v5 offset:32
	ds_bpermute_b32 v64, v45, v6 offset:32
	ds_bpermute_b32 v16, v45, v12
	ds_bpermute_b32 v55, v45, v7 offset:32
	ds_bpermute_b32 v57, v45, v8 offset:32
	ds_bpermute_b32 v52, v45, v1 offset:32
	ds_bpermute_b32 v53, v45, v2 offset:32
	ds_bpermute_b32 v30, v45, v3 offset:32
	ds_bpermute_b32 v50, v45, v4 offset:32
	ds_bpermute_b32 v65, v45, v5 offset:64
	s_wait_dscnt 0xe
	v_cndmask_b32_e64 v13, v13, v14, s5
	ds_bpermute_b32 v66, v45, v6 offset:64
	ds_bpermute_b32 v60, v45, v7 offset:64
	ds_bpermute_b32 v61, v45, v8 offset:64
	ds_bpermute_b32 v58, v45, v1 offset:64
	ds_bpermute_b32 v59, v45, v2 offset:64
	ds_bpermute_b32 v51, v45, v3 offset:64
	ds_bpermute_b32 v54, v45, v4 offset:64
	s_wait_dscnt 0x12
	v_cndmask_b32_e64 v13, v13, v15, s1
	ds_bpermute_b32 v67, v45, v5 offset:96
	ds_bpermute_b32 v68, v45, v9 offset:32
	;; [unrolled: 1-line block ×4, first 2 shown]
	s_wait_dscnt 0x12
	v_cndmask_b32_e64 v62, v13, v16, s6
	ds_bpermute_b32 v80, v45, v12 offset:32
	ds_bpermute_b32 v14, v45, v10 offset:64
	;; [unrolled: 1-line block ×4, first 2 shown]
	v_and_b32_e32 v13, 0xffff, v62
	v_cmp_ne_u16_e32 vcc_lo, 0x7fff, v62
	ds_bpermute_b32 v12, v45, v12 offset:96
	ds_store_2addr_b32 v42, v83, v83 offset0:1 offset1:2
	ds_store_2addr_b32 v42, v83, v83 offset0:3 offset1:4
	;; [unrolled: 1-line block ×4, first 2 shown]
	; wave barrier
	s_wait_loadcnt_dscnt 0x0
	global_inv scope:SCOPE_SE
	s_wait_alu 0xfffd
	v_cndmask_b32_e32 v13, 0x8000, v13, vcc_lo
	; wave barrier
	s_delay_alu instid0(VALU_DEP_1)
	v_and_b32_e32 v78, s8, v13
	ds_bpermute_b32 v13, v45, v9 offset:64
	ds_bpermute_b32 v9, v45, v9 offset:96
	v_and_b32_e32 v15, 1, v78
	v_lshlrev_b32_e32 v24, 30, v78
	v_lshlrev_b32_e32 v72, 28, v78
	s_delay_alu instid0(VALU_DEP_3)
	v_add_co_u32 v69, s7, v15, -1
	s_wait_alu 0xf1ff
	v_cndmask_b32_e64 v70, 0, 1, s7
	v_not_b32_e32 v71, v24
	v_cmp_gt_i32_e64 s7, 0, v24
	ds_bpermute_b32 v15, v45, v11 offset:64
	ds_bpermute_b32 v11, v45, v11 offset:96
	v_cmp_ne_u32_e32 vcc_lo, 0, v70
	v_lshlrev_b32_e32 v70, 29, v78
	v_ashrrev_i32_e32 v24, 31, v71
	s_wait_alu 0xfffd
	v_xor_b32_e32 v69, vcc_lo, v69
	s_delay_alu instid0(VALU_DEP_3)
	v_not_b32_e32 v71, v70
	s_wait_alu 0xf1ff
	v_xor_b32_e32 v24, s7, v24
	v_cmp_gt_i32_e32 vcc_lo, 0, v70
	s_lshr_b32 s7, s9, 16
	v_and_b32_e32 v69, exec_lo, v69
	v_ashrrev_i32_e32 v70, 31, v71
	v_not_b32_e32 v71, v72
	s_wait_alu 0xfffe
	v_mad_u32_u24 v75, v0, s7, v46
	s_and_b32 s9, s9, 0xffff
	v_and_b32_e32 v24, v69, v24
	v_lshlrev_b32_e32 v69, 27, v78
	s_wait_alu 0xfffd
	v_xor_b32_e32 v70, vcc_lo, v70
	v_cmp_gt_i32_e32 vcc_lo, 0, v72
	v_ashrrev_i32_e32 v72, 31, v71
	s_wait_alu 0xfffe
	v_mad_co_u64_u32 v[81:82], null, v75, s9, v[21:22]
	v_not_b32_e32 v73, v69
	v_and_b32_e32 v24, v24, v70
	v_lshlrev_b32_e32 v70, 26, v78
	s_wait_alu 0xfffd
	v_xor_b32_e32 v72, vcc_lo, v72
	v_cmp_gt_i32_e32 vcc_lo, 0, v69
	v_ashrrev_i32_e32 v73, 31, v73
	ds_bpermute_b32 v71, v45, v6 offset:96
	v_not_b32_e32 v74, v70
	v_and_b32_e32 v24, v24, v72
	v_lshlrev_b32_e32 v72, 25, v78
	s_wait_alu 0xfffd
	v_xor_b32_e32 v73, vcc_lo, v73
	v_cmp_gt_i32_e32 vcc_lo, 0, v70
	v_ashrrev_i32_e32 v70, 31, v74
	ds_bpermute_b32 v69, v45, v7 offset:96
	;; [unrolled: 8-line block ×3, first 2 shown]
	v_not_b32_e32 v74, v73
	v_and_b32_e32 v24, v24, v70
	v_lshrrev_b32_e32 v82, 5, v81
	s_wait_alu 0xfffd
	v_xor_b32_e32 v70, vcc_lo, v72
	v_cmp_gt_i32_e32 vcc_lo, 0, v73
	v_ashrrev_i32_e32 v72, 31, v74
	ds_bpermute_b32 v73, v45, v1 offset:96
	ds_bpermute_b32 v74, v45, v2 offset:96
	v_and_b32_e32 v24, v24, v70
	ds_bpermute_b32 v70, v45, v3 offset:96
	s_wait_alu 0xfffd
	v_xor_b32_e32 v76, vcc_lo, v72
	ds_bpermute_b32 v72, v45, v4 offset:96
	v_and_b32_e32 v81, v24, v76
	v_lshlrev_b32_e32 v24, 2, v82
	s_delay_alu instid0(VALU_DEP_2) | instskip(SKIP_1) | instid1(VALU_DEP_3)
	v_mbcnt_lo_u32_b32 v76, v81, 0
	v_cmp_ne_u32_e64 s7, 0, v81
	v_lshl_add_u32 v78, v78, 2, v24
	s_delay_alu instid0(VALU_DEP_3)
	v_cmp_eq_u32_e32 vcc_lo, 0, v76
	s_and_b32 s9, s7, vcc_lo
	s_wait_alu 0xfffe
	s_and_saveexec_b32 s7, s9
; %bb.25:
	v_bcnt_u32_b32 v81, v81, 0
	ds_store_b32 v78, v81 offset:4
; %bb.26:
	s_wait_alu 0xfffe
	s_or_b32 exec_lo, exec_lo, s7
	v_cndmask_b32_e64 v68, v68, v77, s5
	; wave barrier
	s_delay_alu instid0(VALU_DEP_1) | instskip(NEXT) | instid1(VALU_DEP_1)
	v_cndmask_b32_e64 v68, v68, v79, s1
	v_cndmask_b32_e64 v77, v68, v80, s6
	s_delay_alu instid0(VALU_DEP_1) | instskip(SKIP_2) | instid1(VALU_DEP_2)
	v_and_b32_e32 v68, 0xffff, v77
	v_cmp_ne_u16_e32 vcc_lo, 0x7fff, v77
	s_wait_alu 0xfffd
	v_cndmask_b32_e32 v68, 0x8000, v68, vcc_lo
	s_delay_alu instid0(VALU_DEP_1) | instskip(NEXT) | instid1(VALU_DEP_1)
	v_and_b32_e32 v68, s8, v68
	v_and_b32_e32 v79, 1, v68
	v_lshlrev_b32_e32 v80, 30, v68
	v_lshlrev_b32_e32 v81, 29, v68
	v_lshlrev_b32_e32 v82, 28, v68
	v_lshlrev_b32_e32 v84, 27, v68
	v_add_co_u32 v79, s7, v79, -1
	s_wait_alu 0xf1ff
	v_cndmask_b32_e64 v83, 0, 1, s7
	v_not_b32_e32 v87, v80
	v_cmp_gt_i32_e64 s7, 0, v80
	v_not_b32_e32 v80, v81
	v_lshlrev_b32_e32 v85, 26, v68
	v_cmp_ne_u32_e32 vcc_lo, 0, v83
	v_ashrrev_i32_e32 v87, 31, v87
	v_lshlrev_b32_e32 v86, 25, v68
	v_ashrrev_i32_e32 v80, 31, v80
	v_lshlrev_b32_e32 v83, 24, v68
	s_wait_alu 0xfffd
	v_xor_b32_e32 v79, vcc_lo, v79
	v_cmp_gt_i32_e32 vcc_lo, 0, v81
	v_not_b32_e32 v81, v82
	s_wait_alu 0xf1ff
	v_xor_b32_e32 v87, s7, v87
	v_cmp_gt_i32_e64 s7, 0, v82
	v_and_b32_e32 v79, exec_lo, v79
	v_not_b32_e32 v82, v84
	v_ashrrev_i32_e32 v81, 31, v81
	s_wait_alu 0xfffd
	v_xor_b32_e32 v80, vcc_lo, v80
	v_cmp_gt_i32_e32 vcc_lo, 0, v84
	v_and_b32_e32 v79, v79, v87
	v_not_b32_e32 v84, v85
	v_ashrrev_i32_e32 v82, 31, v82
	s_wait_alu 0xf1ff
	v_xor_b32_e32 v81, s7, v81
	v_cmp_gt_i32_e64 s7, 0, v85
	v_and_b32_e32 v79, v79, v80
	v_not_b32_e32 v80, v86
	v_ashrrev_i32_e32 v84, 31, v84
	s_wait_alu 0xfffd
	v_xor_b32_e32 v82, vcc_lo, v82
	v_cmp_gt_i32_e32 vcc_lo, 0, v86
	v_and_b32_e32 v79, v79, v81
	v_not_b32_e32 v81, v83
	v_ashrrev_i32_e32 v80, 31, v80
	s_wait_alu 0xf1ff
	v_xor_b32_e32 v84, s7, v84
	v_cmp_gt_i32_e64 s7, 0, v83
	v_and_b32_e32 v79, v79, v82
	v_ashrrev_i32_e32 v81, 31, v81
	s_wait_alu 0xfffd
	v_xor_b32_e32 v80, vcc_lo, v80
	v_lshl_add_u32 v82, v68, 2, v24
	v_and_b32_e32 v79, v79, v84
	s_wait_alu 0xf1ff
	v_xor_b32_e32 v68, s7, v81
	s_delay_alu instid0(VALU_DEP_2) | instskip(SKIP_2) | instid1(VALU_DEP_1)
	v_and_b32_e32 v80, v79, v80
	ds_load_b32 v79, v82 offset:4
	; wave barrier
	v_and_b32_e32 v68, v80, v68
	v_mbcnt_lo_u32_b32 v80, v68, 0
	v_cmp_ne_u32_e64 s7, 0, v68
	s_delay_alu instid0(VALU_DEP_2)
	v_cmp_eq_u32_e32 vcc_lo, 0, v80
	s_and_b32 s9, s7, vcc_lo
	s_wait_alu 0xfffe
	s_and_saveexec_b32 s7, s9
	s_cbranch_execz .LBB253_28
; %bb.27:
	s_wait_dscnt 0x0
	v_bcnt_u32_b32 v68, v68, v79
	ds_store_b32 v82, v68 offset:4
.LBB253_28:
	s_wait_alu 0xfffe
	s_or_b32 exec_lo, exec_lo, s7
	s_wait_dscnt 0xb
	v_cndmask_b32_e64 v13, v13, v14, s5
	; wave barrier
	s_wait_dscnt 0x9
	s_delay_alu instid0(VALU_DEP_1) | instskip(NEXT) | instid1(VALU_DEP_1)
	v_cndmask_b32_e64 v13, v13, v15, s1
	v_cndmask_b32_e64 v81, v13, v16, s6
	s_delay_alu instid0(VALU_DEP_1) | instskip(SKIP_2) | instid1(VALU_DEP_2)
	v_and_b32_e32 v13, 0xffff, v81
	v_cmp_ne_u16_e32 vcc_lo, 0x7fff, v81
	s_wait_alu 0xfffd
	v_cndmask_b32_e32 v13, 0x8000, v13, vcc_lo
	s_delay_alu instid0(VALU_DEP_1) | instskip(NEXT) | instid1(VALU_DEP_1)
	v_and_b32_e32 v13, s8, v13
	v_and_b32_e32 v14, 1, v13
	v_lshlrev_b32_e32 v15, 30, v13
	v_lshlrev_b32_e32 v16, 29, v13
	;; [unrolled: 1-line block ×4, first 2 shown]
	v_add_co_u32 v14, s7, v14, -1
	s_wait_alu 0xf1ff
	v_cndmask_b32_e64 v83, 0, 1, s7
	v_not_b32_e32 v87, v15
	v_cmp_gt_i32_e64 s7, 0, v15
	v_not_b32_e32 v15, v16
	v_lshlrev_b32_e32 v85, 26, v13
	v_cmp_ne_u32_e32 vcc_lo, 0, v83
	v_ashrrev_i32_e32 v87, 31, v87
	v_lshlrev_b32_e32 v86, 25, v13
	v_ashrrev_i32_e32 v15, 31, v15
	v_lshlrev_b32_e32 v83, 24, v13
	s_wait_alu 0xfffd
	v_xor_b32_e32 v14, vcc_lo, v14
	v_cmp_gt_i32_e32 vcc_lo, 0, v16
	v_not_b32_e32 v16, v68
	s_wait_alu 0xf1ff
	v_xor_b32_e32 v87, s7, v87
	v_cmp_gt_i32_e64 s7, 0, v68
	v_and_b32_e32 v14, exec_lo, v14
	v_not_b32_e32 v68, v84
	v_ashrrev_i32_e32 v16, 31, v16
	s_wait_alu 0xfffd
	v_xor_b32_e32 v15, vcc_lo, v15
	v_cmp_gt_i32_e32 vcc_lo, 0, v84
	v_and_b32_e32 v14, v14, v87
	v_not_b32_e32 v84, v85
	v_ashrrev_i32_e32 v68, 31, v68
	s_wait_alu 0xf1ff
	v_xor_b32_e32 v16, s7, v16
	v_cmp_gt_i32_e64 s7, 0, v85
	v_and_b32_e32 v14, v14, v15
	v_not_b32_e32 v15, v86
	v_ashrrev_i32_e32 v84, 31, v84
	s_wait_alu 0xfffd
	v_xor_b32_e32 v68, vcc_lo, v68
	v_cmp_gt_i32_e32 vcc_lo, 0, v86
	v_and_b32_e32 v14, v14, v16
	v_not_b32_e32 v16, v83
	v_ashrrev_i32_e32 v15, 31, v15
	s_wait_alu 0xf1ff
	v_xor_b32_e32 v84, s7, v84
	v_cmp_gt_i32_e64 s7, 0, v83
	v_and_b32_e32 v14, v14, v68
	v_ashrrev_i32_e32 v16, 31, v16
	s_wait_alu 0xfffd
	v_xor_b32_e32 v15, vcc_lo, v15
	v_lshl_add_u32 v86, v13, 2, v24
	v_and_b32_e32 v14, v14, v84
	s_wait_alu 0xf1ff
	v_xor_b32_e32 v13, s7, v16
	ds_load_b32 v83, v86 offset:4
	v_and_b32_e32 v14, v14, v15
	; wave barrier
	s_delay_alu instid0(VALU_DEP_1) | instskip(NEXT) | instid1(VALU_DEP_1)
	v_and_b32_e32 v13, v14, v13
	v_mbcnt_lo_u32_b32 v84, v13, 0
	v_cmp_ne_u32_e64 s7, 0, v13
	s_delay_alu instid0(VALU_DEP_2)
	v_cmp_eq_u32_e32 vcc_lo, 0, v84
	s_and_b32 s9, s7, vcc_lo
	s_wait_alu 0xfffe
	s_and_saveexec_b32 s7, s9
	s_cbranch_execz .LBB253_30
; %bb.29:
	s_wait_dscnt 0x0
	v_bcnt_u32_b32 v13, v13, v83
	ds_store_b32 v86, v13 offset:4
.LBB253_30:
	s_wait_alu 0xfffe
	s_or_b32 exec_lo, exec_lo, s7
	v_cndmask_b32_e64 v9, v9, v10, s5
	; wave barrier
	v_and_or_b32 v90, 0xf80, v41, v44
	s_wait_dscnt 0x9
	s_delay_alu instid0(VALU_DEP_2) | instskip(NEXT) | instid1(VALU_DEP_1)
	v_cndmask_b32_e64 v9, v9, v11, s1
	v_cndmask_b32_e64 v85, v9, v12, s6
	s_delay_alu instid0(VALU_DEP_1) | instskip(SKIP_2) | instid1(VALU_DEP_2)
	v_and_b32_e32 v9, 0xffff, v85
	v_cmp_ne_u16_e32 vcc_lo, 0x7fff, v85
	s_wait_alu 0xfffd
	v_cndmask_b32_e32 v9, 0x8000, v9, vcc_lo
	s_delay_alu instid0(VALU_DEP_1) | instskip(NEXT) | instid1(VALU_DEP_1)
	v_and_b32_e32 v9, s8, v9
	v_and_b32_e32 v10, 1, v9
	v_lshlrev_b32_e32 v11, 30, v9
	v_lshlrev_b32_e32 v12, 29, v9
	;; [unrolled: 1-line block ×4, first 2 shown]
	v_add_co_u32 v10, s7, v10, -1
	s_wait_alu 0xf1ff
	v_cndmask_b32_e64 v14, 0, 1, s7
	v_not_b32_e32 v87, v11
	v_cmp_gt_i32_e64 s7, 0, v11
	v_not_b32_e32 v11, v12
	v_lshlrev_b32_e32 v16, 26, v9
	v_cmp_ne_u32_e32 vcc_lo, 0, v14
	v_ashrrev_i32_e32 v87, 31, v87
	v_lshlrev_b32_e32 v68, 25, v9
	v_ashrrev_i32_e32 v11, 31, v11
	v_lshlrev_b32_e32 v14, 24, v9
	s_wait_alu 0xfffd
	v_xor_b32_e32 v10, vcc_lo, v10
	v_cmp_gt_i32_e32 vcc_lo, 0, v12
	v_not_b32_e32 v12, v13
	s_wait_alu 0xf1ff
	v_xor_b32_e32 v87, s7, v87
	v_cmp_gt_i32_e64 s7, 0, v13
	v_and_b32_e32 v10, exec_lo, v10
	v_not_b32_e32 v13, v15
	v_ashrrev_i32_e32 v12, 31, v12
	s_wait_alu 0xfffd
	v_xor_b32_e32 v11, vcc_lo, v11
	v_cmp_gt_i32_e32 vcc_lo, 0, v15
	v_and_b32_e32 v10, v10, v87
	v_not_b32_e32 v15, v16
	v_ashrrev_i32_e32 v13, 31, v13
	s_wait_alu 0xf1ff
	v_xor_b32_e32 v12, s7, v12
	v_cmp_gt_i32_e64 s7, 0, v16
	v_and_b32_e32 v10, v10, v11
	v_not_b32_e32 v11, v68
	v_ashrrev_i32_e32 v15, 31, v15
	s_wait_alu 0xfffd
	v_xor_b32_e32 v13, vcc_lo, v13
	v_cmp_gt_i32_e32 vcc_lo, 0, v68
	v_and_b32_e32 v10, v10, v12
	v_not_b32_e32 v12, v14
	v_ashrrev_i32_e32 v11, 31, v11
	s_wait_alu 0xf1ff
	v_xor_b32_e32 v15, s7, v15
	v_cmp_gt_i32_e64 s7, 0, v14
	v_and_b32_e32 v10, v10, v13
	v_ashrrev_i32_e32 v12, 31, v12
	s_wait_alu 0xfffd
	v_xor_b32_e32 v11, vcc_lo, v11
	v_lshl_add_u32 v89, v9, 2, v24
	v_and_b32_e32 v10, v10, v15
	s_wait_alu 0xf1ff
	v_xor_b32_e32 v9, s7, v12
	ds_load_b32 v87, v89 offset:4
	v_and_b32_e32 v10, v10, v11
	; wave barrier
	s_delay_alu instid0(VALU_DEP_1) | instskip(NEXT) | instid1(VALU_DEP_1)
	v_and_b32_e32 v9, v10, v9
	v_mbcnt_lo_u32_b32 v88, v9, 0
	v_cmp_ne_u32_e64 s7, 0, v9
	s_delay_alu instid0(VALU_DEP_2)
	v_cmp_eq_u32_e32 vcc_lo, 0, v88
	s_and_b32 s8, s7, vcc_lo
	s_wait_alu 0xfffe
	s_and_saveexec_b32 s7, s8
	s_cbranch_execz .LBB253_32
; %bb.31:
	s_wait_dscnt 0x0
	v_bcnt_u32_b32 v9, v9, v87
	ds_store_b32 v89, v9 offset:4
.LBB253_32:
	s_wait_alu 0xfffe
	s_or_b32 exec_lo, exec_lo, s7
	; wave barrier
	; wave barrier
	s_wait_loadcnt_dscnt 0x0
	global_inv scope:SCOPE_SE
	ds_load_2addr_b32 v[15:16], v42 offset0:1 offset1:2
	ds_load_2addr_b32 v[13:14], v42 offset0:3 offset1:4
	;; [unrolled: 1-line block ×4, first 2 shown]
	v_and_b32_e32 v92, 16, v44
	v_cmp_eq_u32_e64 s10, 31, v21
	s_delay_alu instid0(VALU_DEP_2) | instskip(SKIP_3) | instid1(VALU_DEP_1)
	v_cmp_eq_u32_e64 s11, 0, v92
	s_wait_dscnt 0x3
	v_add_nc_u32_e32 v68, v16, v15
	s_wait_dscnt 0x2
	v_add3_u32 v68, v68, v13, v14
	s_wait_dscnt 0x1
	s_delay_alu instid0(VALU_DEP_1) | instskip(SKIP_1) | instid1(VALU_DEP_1)
	v_add3_u32 v68, v68, v11, v12
	s_wait_dscnt 0x0
	v_add3_u32 v10, v68, v9, v10
	v_and_b32_e32 v68, 15, v44
	s_delay_alu instid0(VALU_DEP_2) | instskip(NEXT) | instid1(VALU_DEP_2)
	v_mov_b32_dpp v91, v10 row_shr:1 row_mask:0xf bank_mask:0xf
	v_cmp_eq_u32_e32 vcc_lo, 0, v68
	v_cmp_lt_u32_e64 s7, 1, v68
	v_cmp_lt_u32_e64 s8, 3, v68
	;; [unrolled: 1-line block ×3, first 2 shown]
	s_wait_alu 0xfffd
	v_cndmask_b32_e64 v91, v91, 0, vcc_lo
	s_delay_alu instid0(VALU_DEP_1) | instskip(NEXT) | instid1(VALU_DEP_1)
	v_add_nc_u32_e32 v10, v91, v10
	v_mov_b32_dpp v91, v10 row_shr:2 row_mask:0xf bank_mask:0xf
	s_wait_alu 0xf1ff
	s_delay_alu instid0(VALU_DEP_1) | instskip(NEXT) | instid1(VALU_DEP_1)
	v_cndmask_b32_e64 v91, 0, v91, s7
	v_add_nc_u32_e32 v10, v10, v91
	s_delay_alu instid0(VALU_DEP_1) | instskip(NEXT) | instid1(VALU_DEP_1)
	v_mov_b32_dpp v91, v10 row_shr:4 row_mask:0xf bank_mask:0xf
	v_cndmask_b32_e64 v91, 0, v91, s8
	s_delay_alu instid0(VALU_DEP_1) | instskip(NEXT) | instid1(VALU_DEP_1)
	v_add_nc_u32_e32 v10, v10, v91
	v_mov_b32_dpp v91, v10 row_shr:8 row_mask:0xf bank_mask:0xf
	s_delay_alu instid0(VALU_DEP_1) | instskip(NEXT) | instid1(VALU_DEP_1)
	v_cndmask_b32_e64 v68, 0, v91, s9
	v_add_nc_u32_e32 v91, v10, v68
	v_bfe_i32 v68, v44, 4, 1
	ds_swizzle_b32 v10, v91 offset:swizzle(BROADCAST,32,15)
	s_wait_dscnt 0x0
	v_and_b32_e32 v93, v68, v10
	v_sub_co_u32 v68, s15, v44, 1
	v_mul_u32_u24_e32 v10, 6, v90
	s_delay_alu instid0(VALU_DEP_3)
	v_add_nc_u32_e32 v91, v91, v93
	s_and_saveexec_b32 s12, s10
; %bb.33:
	v_mov_b32_e32 v92, 0
	ds_store_b32 v92, v91
; %bb.34:
	s_wait_alu 0xfffe
	s_or_b32 exec_lo, exec_lo, s12
	v_cmp_gt_i32_e64 s12, 0, v68
	; wave barrier
	s_wait_loadcnt_dscnt 0x0
	global_inv scope:SCOPE_SE
	s_min_u32 s13, s13, 8
	s_wait_alu 0xfffe
	s_lshl_b32 s13, -1, s13
	v_cndmask_b32_e64 v68, v68, v44, s12
	v_cmp_eq_u32_e64 s12, 0, v21
	s_wait_alu 0xfffe
	s_not_b32 s13, s13
	v_lshlrev_b32_e32 v68, 2, v68
	s_or_b32 s15, s12, s15
	v_cmp_eq_u32_e64 s12, 0, v43
	ds_bpermute_b32 v91, v68, v91
	s_wait_dscnt 0x0
	s_wait_alu 0xfffe
	v_cndmask_b32_e64 v91, v91, 0, s15
	s_delay_alu instid0(VALU_DEP_1) | instskip(NEXT) | instid1(VALU_DEP_1)
	v_add_nc_u32_e32 v15, v91, v15
	v_add_nc_u32_e32 v16, v15, v16
	s_delay_alu instid0(VALU_DEP_1) | instskip(NEXT) | instid1(VALU_DEP_1)
	v_add_nc_u32_e32 v13, v16, v13
	v_add_nc_u32_e32 v14, v13, v14
	;; [unrolled: 3-line block ×3, first 2 shown]
	s_delay_alu instid0(VALU_DEP_1)
	v_add_nc_u32_e32 v9, v12, v9
	ds_store_2addr_b32 v42, v91, v15 offset0:1 offset1:2
	ds_store_2addr_b32 v42, v16, v13 offset0:3 offset1:4
	ds_store_2addr_b32 v42, v14, v11 offset0:5 offset1:6
	ds_store_2addr_b32 v42, v12, v9 offset0:7 offset1:8
	; wave barrier
	s_wait_loadcnt_dscnt 0x0
	global_inv scope:SCOPE_SE
	ds_load_b32 v9, v78 offset:4
	ds_load_b32 v11, v82 offset:4
	;; [unrolled: 1-line block ×4, first 2 shown]
	s_wait_alu 0xf1ff
	v_cndmask_b32_e64 v14, 0, v56, s12
	v_lshlrev_b32_e32 v15, 1, v90
	v_cndmask_b32_e64 v56, 0, v64, s12
	v_cndmask_b32_e64 v64, 0, v66, s12
	v_cndmask_b32_e64 v66, 0, v71, s12
	v_cndmask_b32_e64 v14, v14, v49, s5
	v_cndmask_b32_e64 v16, 0, v31, s12
	v_cndmask_b32_e64 v31, 0, v63, s12
	v_cndmask_b32_e64 v63, 0, v65, s12
	v_cndmask_b32_e64 v65, 0, v67, s12
	v_cndmask_b32_e64 v14, v14, v29, s1
	v_add_nc_u32_e32 v67, v15, v10
	; wave barrier
	s_wait_loadcnt_dscnt 0x0
	global_inv scope:SCOPE_SE
	v_cndmask_b32_e64 v16, v16, v28, s5
	v_cndmask_b32_e64 v28, v56, v57, s5
	v_add_nc_u32_e32 v29, v9, v76
	v_add3_u32 v71, v80, v79, v11
	v_add3_u32 v76, v84, v83, v12
	;; [unrolled: 1-line block ×3, first 2 shown]
	v_cndmask_b32_e64 v31, v31, v55, s5
	v_lshlrev_b32_e32 v9, 1, v29
	v_lshlrev_b32_e32 v10, 1, v71
	;; [unrolled: 1-line block ×4, first 2 shown]
	ds_store_b16 v9, v62
	ds_store_b16 v10, v77
	;; [unrolled: 1-line block ×4, first 2 shown]
	; wave barrier
	s_wait_loadcnt_dscnt 0x0
	global_inv scope:SCOPE_SE
	ds_load_u16 v49, v15
	v_cndmask_b32_e64 v16, v16, v25, s1
	v_cndmask_b32_e64 v55, v64, v61, s5
	;; [unrolled: 1-line block ×10, first 2 shown]
	ds_load_u16 v50, v15 offset:64
	ds_load_u16 v52, v15 offset:128
	;; [unrolled: 1-line block ×3, first 2 shown]
	v_cndmask_b32_e64 v15, v25, v30, s6
	v_cndmask_b32_e64 v26, v31, v54, s6
	;; [unrolled: 1-line block ×5, first 2 shown]
	; wave barrier
	s_wait_loadcnt_dscnt 0x0
	global_inv scope:SCOPE_SE
	v_cndmask_b32_e64 v55, v60, v73, s1
	v_lshrrev_b16 v27, 8, v49
	v_cmp_ne_u16_e64 s12, 0x7fff, v49
	v_cndmask_b32_e64 v25, v28, v51, s6
	v_cndmask_b32_e64 v28, v56, v72, s6
	s_wait_alu 0xf1ff
	s_delay_alu instid0(VALU_DEP_3) | instskip(SKIP_1) | instid1(VALU_DEP_2)
	v_cndmask_b32_e64 v30, 0x80, v27, s12
	v_cndmask_b32_e64 v27, v55, v70, s6
	v_and_b32_e32 v31, 0xffff, v30
	v_mad_co_u64_u32 v[29:30], null, v29, 6, v[9:10]
	v_mad_co_u64_u32 v[9:10], null, v71, 6, v[10:11]
	s_delay_alu instid0(VALU_DEP_3) | instskip(SKIP_2) | instid1(VALU_DEP_3)
	v_and_b32_e32 v30, s13, v31
	v_mad_co_u64_u32 v[10:11], null, v76, 6, v[11:12]
	v_mad_co_u64_u32 v[11:12], null, v78, 6, v[12:13]
	v_and_b32_e32 v12, 1, v30
	ds_store_b64 v29, v[13:14]
	v_lshlrev_b32_e32 v13, 30, v30
	v_lshlrev_b32_e32 v14, 29, v30
	v_lshlrev_b32_e32 v29, 28, v30
	v_add_co_u32 v12, s6, v12, -1
	s_wait_alu 0xf1ff
	v_cndmask_b32_e64 v31, 0, 1, s6
	v_not_b32_e32 v56, v13
	v_cmp_gt_i32_e64 s12, 0, v13
	v_not_b32_e32 v13, v14
	v_lshlrev_b32_e32 v51, 27, v30
	v_cmp_ne_u32_e64 s6, 0, v31
	v_ashrrev_i32_e32 v56, 31, v56
	v_lshlrev_b32_e32 v54, 26, v30
	v_ashrrev_i32_e32 v13, 31, v13
	v_lshlrev_b32_e32 v55, 25, v30
	s_wait_alu 0xf1ff
	v_xor_b32_e32 v12, s6, v12
	v_cmp_gt_i32_e64 s6, 0, v14
	v_not_b32_e32 v14, v29
	v_xor_b32_e32 v56, s12, v56
	v_cmp_gt_i32_e64 s12, 0, v29
	v_and_b32_e32 v12, exec_lo, v12
	v_not_b32_e32 v29, v51
	v_ashrrev_i32_e32 v14, 31, v14
	s_wait_alu 0xf1ff
	v_xor_b32_e32 v13, s6, v13
	v_cmp_gt_i32_e64 s6, 0, v51
	v_and_b32_e32 v12, v12, v56
	v_not_b32_e32 v51, v54
	v_ashrrev_i32_e32 v29, 31, v29
	v_xor_b32_e32 v14, s12, v14
	v_lshlrev_b32_e32 v31, 24, v30
	v_and_b32_e32 v12, v12, v13
	v_cmp_gt_i32_e64 s12, 0, v54
	v_not_b32_e32 v13, v55
	v_ashrrev_i32_e32 v51, 31, v51
	s_wait_alu 0xf1ff
	v_xor_b32_e32 v29, s6, v29
	v_and_b32_e32 v12, v12, v14
	v_cmp_gt_i32_e64 s6, 0, v55
	v_not_b32_e32 v14, v31
	v_ashrrev_i32_e32 v13, 31, v13
	v_xor_b32_e32 v51, s12, v51
	v_and_b32_e32 v12, v12, v29
	ds_store_b64 v9, v[15:16]
	v_cmp_gt_i32_e64 s12, 0, v31
	v_ashrrev_i32_e32 v9, 31, v14
	s_wait_alu 0xf1ff
	v_xor_b32_e32 v13, s6, v13
	v_and_b32_e32 v12, v12, v51
	ds_store_b64 v10, v[25:26]
	ds_store_b64 v11, v[27:28]
	s_wait_loadcnt_dscnt 0x0
	v_xor_b32_e32 v25, s12, v9
	; wave barrier
	global_inv scope:SCOPE_SE
	v_and_b32_e32 v26, v12, v13
	ds_load_2addr_b64 v[13:16], v67 offset1:32
	ds_load_2addr_b64 v[9:12], v67 offset0:64 offset1:96
	v_lshl_add_u32 v54, v30, 2, v24
	; wave barrier
	s_wait_loadcnt_dscnt 0x0
	global_inv scope:SCOPE_SE
	v_dual_mov_b32 v26, 0 :: v_dual_and_b32 v25, v26, v25
	ds_store_2addr_b32 v42, v26, v26 offset0:1 offset1:2
	ds_store_2addr_b32 v42, v26, v26 offset0:3 offset1:4
	;; [unrolled: 1-line block ×4, first 2 shown]
	v_mbcnt_lo_u32_b32 v51, v25, 0
	v_cmp_ne_u32_e64 s12, 0, v25
	; wave barrier
	s_wait_loadcnt_dscnt 0x0
	global_inv scope:SCOPE_SE
	v_cmp_eq_u32_e64 s6, 0, v51
	; wave barrier
	s_and_b32 s12, s12, s6
	s_wait_alu 0xfffe
	s_and_saveexec_b32 s6, s12
; %bb.35:
	v_bcnt_u32_b32 v25, v25, 0
	ds_store_b32 v54, v25 offset:4
; %bb.36:
	s_wait_alu 0xfffe
	s_or_b32 exec_lo, exec_lo, s6
	v_lshrrev_b16 v25, 8, v50
	v_cmp_ne_u16_e64 s6, 0x7fff, v50
	; wave barrier
	s_wait_alu 0xf1ff
	s_delay_alu instid0(VALU_DEP_1) | instskip(NEXT) | instid1(VALU_DEP_1)
	v_cndmask_b32_e64 v25, 0x80, v25, s6
	v_and_b32_e32 v25, s13, v25
	s_delay_alu instid0(VALU_DEP_1)
	v_and_b32_e32 v26, 1, v25
	v_lshlrev_b32_e32 v27, 30, v25
	v_lshlrev_b32_e32 v28, 29, v25
	;; [unrolled: 1-line block ×4, first 2 shown]
	v_add_co_u32 v26, s6, v26, -1
	s_wait_alu 0xf1ff
	v_cndmask_b32_e64 v30, 0, 1, s6
	v_not_b32_e32 v57, v27
	v_cmp_gt_i32_e64 s12, 0, v27
	v_not_b32_e32 v27, v28
	v_lshlrev_b32_e32 v55, 26, v25
	v_cmp_ne_u32_e64 s6, 0, v30
	v_ashrrev_i32_e32 v57, 31, v57
	v_lshlrev_b32_e32 v56, 25, v25
	v_ashrrev_i32_e32 v27, 31, v27
	v_lshlrev_b32_e32 v30, 24, v25
	s_wait_alu 0xf1ff
	v_xor_b32_e32 v26, s6, v26
	v_cmp_gt_i32_e64 s6, 0, v28
	v_not_b32_e32 v28, v29
	v_xor_b32_e32 v57, s12, v57
	v_cmp_gt_i32_e64 s12, 0, v29
	v_and_b32_e32 v26, exec_lo, v26
	v_not_b32_e32 v29, v31
	v_ashrrev_i32_e32 v28, 31, v28
	s_wait_alu 0xf1ff
	v_xor_b32_e32 v27, s6, v27
	v_cmp_gt_i32_e64 s6, 0, v31
	v_and_b32_e32 v26, v26, v57
	v_not_b32_e32 v31, v55
	v_ashrrev_i32_e32 v29, 31, v29
	v_xor_b32_e32 v28, s12, v28
	v_cmp_gt_i32_e64 s12, 0, v55
	v_and_b32_e32 v26, v26, v27
	v_not_b32_e32 v27, v56
	v_ashrrev_i32_e32 v31, 31, v31
	s_wait_alu 0xf1ff
	v_xor_b32_e32 v29, s6, v29
	v_cmp_gt_i32_e64 s6, 0, v56
	v_and_b32_e32 v26, v26, v28
	v_not_b32_e32 v28, v30
	v_ashrrev_i32_e32 v27, 31, v27
	v_xor_b32_e32 v31, s12, v31
	v_cmp_gt_i32_e64 s12, 0, v30
	v_and_b32_e32 v26, v26, v29
	v_ashrrev_i32_e32 v28, 31, v28
	s_wait_alu 0xf1ff
	v_xor_b32_e32 v27, s6, v27
	v_lshl_add_u32 v57, v25, 2, v24
	v_and_b32_e32 v26, v26, v31
	v_xor_b32_e32 v25, s12, v28
	ds_load_b32 v55, v57 offset:4
	v_and_b32_e32 v26, v26, v27
	; wave barrier
	s_delay_alu instid0(VALU_DEP_1) | instskip(NEXT) | instid1(VALU_DEP_1)
	v_and_b32_e32 v25, v26, v25
	v_mbcnt_lo_u32_b32 v56, v25, 0
	v_cmp_ne_u32_e64 s12, 0, v25
	s_delay_alu instid0(VALU_DEP_2)
	v_cmp_eq_u32_e64 s6, 0, v56
	s_and_b32 s12, s12, s6
	s_wait_alu 0xfffe
	s_and_saveexec_b32 s6, s12
	s_cbranch_execz .LBB253_38
; %bb.37:
	s_wait_dscnt 0x0
	v_bcnt_u32_b32 v25, v25, v55
	ds_store_b32 v57, v25 offset:4
.LBB253_38:
	s_wait_alu 0xfffe
	s_or_b32 exec_lo, exec_lo, s6
	v_lshrrev_b16 v25, 8, v52
	v_cmp_ne_u16_e64 s6, 0x7fff, v52
	; wave barrier
	s_wait_alu 0xf1ff
	s_delay_alu instid0(VALU_DEP_1) | instskip(NEXT) | instid1(VALU_DEP_1)
	v_cndmask_b32_e64 v25, 0x80, v25, s6
	v_and_b32_e32 v25, s13, v25
	s_delay_alu instid0(VALU_DEP_1)
	v_and_b32_e32 v26, 1, v25
	v_lshlrev_b32_e32 v27, 30, v25
	v_lshlrev_b32_e32 v28, 29, v25
	;; [unrolled: 1-line block ×4, first 2 shown]
	v_add_co_u32 v26, s6, v26, -1
	s_wait_alu 0xf1ff
	v_cndmask_b32_e64 v30, 0, 1, s6
	v_not_b32_e32 v60, v27
	v_cmp_gt_i32_e64 s12, 0, v27
	v_not_b32_e32 v27, v28
	v_lshlrev_b32_e32 v58, 26, v25
	v_cmp_ne_u32_e64 s6, 0, v30
	v_ashrrev_i32_e32 v60, 31, v60
	v_lshlrev_b32_e32 v59, 25, v25
	v_ashrrev_i32_e32 v27, 31, v27
	v_lshlrev_b32_e32 v30, 24, v25
	s_wait_alu 0xf1ff
	v_xor_b32_e32 v26, s6, v26
	v_cmp_gt_i32_e64 s6, 0, v28
	v_not_b32_e32 v28, v29
	v_xor_b32_e32 v60, s12, v60
	v_cmp_gt_i32_e64 s12, 0, v29
	v_and_b32_e32 v26, exec_lo, v26
	v_not_b32_e32 v29, v31
	v_ashrrev_i32_e32 v28, 31, v28
	s_wait_alu 0xf1ff
	v_xor_b32_e32 v27, s6, v27
	v_cmp_gt_i32_e64 s6, 0, v31
	v_and_b32_e32 v26, v26, v60
	v_not_b32_e32 v31, v58
	v_ashrrev_i32_e32 v29, 31, v29
	v_xor_b32_e32 v28, s12, v28
	v_cmp_gt_i32_e64 s12, 0, v58
	v_and_b32_e32 v26, v26, v27
	v_not_b32_e32 v27, v59
	v_ashrrev_i32_e32 v31, 31, v31
	s_wait_alu 0xf1ff
	v_xor_b32_e32 v29, s6, v29
	v_cmp_gt_i32_e64 s6, 0, v59
	v_and_b32_e32 v26, v26, v28
	v_not_b32_e32 v28, v30
	v_ashrrev_i32_e32 v27, 31, v27
	v_xor_b32_e32 v31, s12, v31
	v_cmp_gt_i32_e64 s12, 0, v30
	v_and_b32_e32 v26, v26, v29
	v_ashrrev_i32_e32 v28, 31, v28
	s_wait_alu 0xf1ff
	v_xor_b32_e32 v27, s6, v27
	v_lshl_add_u32 v60, v25, 2, v24
	v_and_b32_e32 v26, v26, v31
	v_xor_b32_e32 v25, s12, v28
	ds_load_b32 v58, v60 offset:4
	v_and_b32_e32 v26, v26, v27
	; wave barrier
	s_delay_alu instid0(VALU_DEP_1) | instskip(NEXT) | instid1(VALU_DEP_1)
	v_and_b32_e32 v25, v26, v25
	v_mbcnt_lo_u32_b32 v59, v25, 0
	v_cmp_ne_u32_e64 s12, 0, v25
	s_delay_alu instid0(VALU_DEP_2)
	v_cmp_eq_u32_e64 s6, 0, v59
	s_and_b32 s12, s12, s6
	s_wait_alu 0xfffe
	s_and_saveexec_b32 s6, s12
	s_cbranch_execz .LBB253_40
; %bb.39:
	s_wait_dscnt 0x0
	v_bcnt_u32_b32 v25, v25, v58
	ds_store_b32 v60, v25 offset:4
.LBB253_40:
	s_wait_alu 0xfffe
	s_or_b32 exec_lo, exec_lo, s6
	v_lshrrev_b16 v25, 8, v53
	v_cmp_ne_u16_e64 s6, 0x7fff, v53
	; wave barrier
	s_wait_alu 0xf1ff
	s_delay_alu instid0(VALU_DEP_1) | instskip(NEXT) | instid1(VALU_DEP_1)
	v_cndmask_b32_e64 v25, 0x80, v25, s6
	v_and_b32_e32 v25, s13, v25
	s_delay_alu instid0(VALU_DEP_1)
	v_and_b32_e32 v26, 1, v25
	v_lshlrev_b32_e32 v27, 30, v25
	v_lshlrev_b32_e32 v28, 29, v25
	;; [unrolled: 1-line block ×4, first 2 shown]
	v_add_co_u32 v26, s6, v26, -1
	s_wait_alu 0xf1ff
	v_cndmask_b32_e64 v30, 0, 1, s6
	v_not_b32_e32 v63, v27
	v_cmp_gt_i32_e64 s12, 0, v27
	v_not_b32_e32 v27, v28
	v_lshlrev_b32_e32 v61, 26, v25
	v_cmp_ne_u32_e64 s6, 0, v30
	v_ashrrev_i32_e32 v63, 31, v63
	v_lshlrev_b32_e32 v62, 25, v25
	v_ashrrev_i32_e32 v27, 31, v27
	v_lshlrev_b32_e32 v30, 24, v25
	s_wait_alu 0xf1ff
	v_xor_b32_e32 v26, s6, v26
	v_cmp_gt_i32_e64 s6, 0, v28
	v_not_b32_e32 v28, v29
	v_xor_b32_e32 v63, s12, v63
	v_cmp_gt_i32_e64 s12, 0, v29
	v_and_b32_e32 v26, exec_lo, v26
	v_not_b32_e32 v29, v31
	v_ashrrev_i32_e32 v28, 31, v28
	s_wait_alu 0xf1ff
	v_xor_b32_e32 v27, s6, v27
	v_cmp_gt_i32_e64 s6, 0, v31
	v_and_b32_e32 v26, v26, v63
	v_not_b32_e32 v31, v61
	v_ashrrev_i32_e32 v29, 31, v29
	v_xor_b32_e32 v28, s12, v28
	v_cmp_gt_i32_e64 s12, 0, v61
	v_and_b32_e32 v26, v26, v27
	v_not_b32_e32 v27, v62
	v_ashrrev_i32_e32 v31, 31, v31
	s_wait_alu 0xf1ff
	v_xor_b32_e32 v29, s6, v29
	v_cmp_gt_i32_e64 s6, 0, v62
	v_and_b32_e32 v26, v26, v28
	v_not_b32_e32 v28, v30
	v_ashrrev_i32_e32 v27, 31, v27
	v_xor_b32_e32 v31, s12, v31
	v_cmp_gt_i32_e64 s12, 0, v30
	v_and_b32_e32 v26, v26, v29
	v_ashrrev_i32_e32 v28, 31, v28
	s_wait_alu 0xf1ff
	v_xor_b32_e32 v27, s6, v27
	v_lshl_add_u32 v63, v25, 2, v24
	v_and_b32_e32 v26, v26, v31
	v_xor_b32_e32 v24, s12, v28
	ds_load_b32 v61, v63 offset:4
	v_and_b32_e32 v25, v26, v27
	; wave barrier
	s_delay_alu instid0(VALU_DEP_1) | instskip(NEXT) | instid1(VALU_DEP_1)
	v_and_b32_e32 v24, v25, v24
	v_mbcnt_lo_u32_b32 v62, v24, 0
	v_cmp_ne_u32_e64 s12, 0, v24
	s_delay_alu instid0(VALU_DEP_2)
	v_cmp_eq_u32_e64 s6, 0, v62
	s_and_b32 s12, s12, s6
	s_wait_alu 0xfffe
	s_and_saveexec_b32 s6, s12
	s_cbranch_execz .LBB253_42
; %bb.41:
	s_wait_dscnt 0x0
	v_bcnt_u32_b32 v24, v24, v61
	ds_store_b32 v63, v24 offset:4
.LBB253_42:
	s_wait_alu 0xfffe
	s_or_b32 exec_lo, exec_lo, s6
	; wave barrier
	; wave barrier
	s_wait_loadcnt_dscnt 0x0
	global_inv scope:SCOPE_SE
	ds_load_2addr_b32 v[30:31], v42 offset0:1 offset1:2
	ds_load_2addr_b32 v[28:29], v42 offset0:3 offset1:4
	;; [unrolled: 1-line block ×4, first 2 shown]
	s_wait_dscnt 0x3
	v_add_nc_u32_e32 v64, v31, v30
	s_wait_dscnt 0x2
	s_delay_alu instid0(VALU_DEP_1) | instskip(SKIP_1) | instid1(VALU_DEP_1)
	v_add3_u32 v64, v64, v28, v29
	s_wait_dscnt 0x1
	v_add3_u32 v64, v64, v26, v27
	s_wait_dscnt 0x0
	s_delay_alu instid0(VALU_DEP_1) | instskip(NEXT) | instid1(VALU_DEP_1)
	v_add3_u32 v25, v64, v24, v25
	v_mov_b32_dpp v64, v25 row_shr:1 row_mask:0xf bank_mask:0xf
	s_delay_alu instid0(VALU_DEP_1) | instskip(NEXT) | instid1(VALU_DEP_1)
	v_cndmask_b32_e64 v64, v64, 0, vcc_lo
	v_add_nc_u32_e32 v25, v64, v25
	s_delay_alu instid0(VALU_DEP_1) | instskip(NEXT) | instid1(VALU_DEP_1)
	v_mov_b32_dpp v64, v25 row_shr:2 row_mask:0xf bank_mask:0xf
	v_cndmask_b32_e64 v64, 0, v64, s7
	s_mov_b32 s7, 0
	s_delay_alu instid0(VALU_DEP_1) | instskip(NEXT) | instid1(VALU_DEP_1)
	v_add_nc_u32_e32 v25, v25, v64
	v_mov_b32_dpp v64, v25 row_shr:4 row_mask:0xf bank_mask:0xf
	s_delay_alu instid0(VALU_DEP_1) | instskip(NEXT) | instid1(VALU_DEP_1)
	v_cndmask_b32_e64 v64, 0, v64, s8
	v_add_nc_u32_e32 v25, v25, v64
	s_delay_alu instid0(VALU_DEP_1) | instskip(NEXT) | instid1(VALU_DEP_1)
	v_mov_b32_dpp v64, v25 row_shr:8 row_mask:0xf bank_mask:0xf
	v_cndmask_b32_e64 v64, 0, v64, s9
	s_delay_alu instid0(VALU_DEP_1) | instskip(SKIP_3) | instid1(VALU_DEP_1)
	v_add_nc_u32_e32 v25, v25, v64
	ds_swizzle_b32 v64, v25 offset:swizzle(BROADCAST,32,15)
	s_wait_dscnt 0x0
	v_cndmask_b32_e64 v64, v64, 0, s11
	v_add_nc_u32_e32 v25, v25, v64
	s_and_saveexec_b32 s6, s10
; %bb.43:
	v_mov_b32_e32 v64, 0
	ds_store_b32 v64, v25
; %bb.44:
	s_wait_alu 0xfffe
	s_or_b32 exec_lo, exec_lo, s6
	ds_bpermute_b32 v25, v68, v25
	; wave barrier
	s_wait_loadcnt_dscnt 0x0
	global_inv scope:SCOPE_SE
	v_cndmask_b32_e64 v25, v25, 0, s15
	s_delay_alu instid0(VALU_DEP_1) | instskip(NEXT) | instid1(VALU_DEP_1)
	v_add_nc_u32_e32 v30, v25, v30
	v_add_nc_u32_e32 v31, v30, v31
	s_delay_alu instid0(VALU_DEP_1) | instskip(NEXT) | instid1(VALU_DEP_1)
	v_add_nc_u32_e32 v28, v31, v28
	v_add_nc_u32_e32 v29, v28, v29
	;; [unrolled: 3-line block ×3, first 2 shown]
	s_delay_alu instid0(VALU_DEP_1)
	v_add_nc_u32_e32 v24, v27, v24
	ds_store_2addr_b32 v42, v25, v30 offset0:1 offset1:2
	ds_store_2addr_b32 v42, v31, v28 offset0:3 offset1:4
	ds_store_2addr_b32 v42, v29, v26 offset0:5 offset1:6
	ds_store_2addr_b32 v42, v27, v24 offset0:7 offset1:8
	; wave barrier
	s_wait_loadcnt_dscnt 0x0
	global_inv scope:SCOPE_SE
	ds_load_b32 v24, v54 offset:4
	ds_load_b32 v25, v57 offset:4
	;; [unrolled: 1-line block ×4, first 2 shown]
	v_lshlrev_b32_e32 v28, 1, v41
	; wave barrier
	s_wait_loadcnt_dscnt 0x0
	global_inv scope:SCOPE_SE
	v_add_nc_u32_e32 v30, v24, v51
	v_add3_u32 v51, v56, v55, v25
	v_add3_u32 v54, v59, v58, v26
	;; [unrolled: 1-line block ×3, first 2 shown]
	s_delay_alu instid0(VALU_DEP_4) | instskip(NEXT) | instid1(VALU_DEP_4)
	v_lshlrev_b32_e32 v24, 1, v30
	v_lshlrev_b32_e32 v25, 1, v51
	s_delay_alu instid0(VALU_DEP_4) | instskip(NEXT) | instid1(VALU_DEP_4)
	v_lshlrev_b32_e32 v26, 1, v54
	v_lshlrev_b32_e32 v27, 1, v55
	ds_store_b16 v24, v49
	ds_store_b16 v25, v50
	;; [unrolled: 1-line block ×4, first 2 shown]
	; wave barrier
	s_wait_loadcnt_dscnt 0x0
	global_inv scope:SCOPE_SE
	ds_load_b64 v[28:29], v28
	v_mad_co_u64_u32 v[30:31], null, v30, 6, v[24:25]
	v_mad_co_u64_u32 v[24:25], null, v51, 6, v[25:26]
	;; [unrolled: 1-line block ×3, first 2 shown]
	; wave barrier
	s_wait_loadcnt_dscnt 0x0
	global_inv scope:SCOPE_SE
	ds_store_b64 v30, v[13:14]
	ds_store_b64 v24, v[15:16]
	v_cmp_lt_i16_e32 vcc_lo, -1, v28
	v_lshrrev_b32_e32 v26, 16, v28
	v_lshrrev_b32_e32 v49, 16, v29
	s_wait_alu 0xfffd
	v_cndmask_b32_e64 v31, 0xffff8000, -1, vcc_lo
	v_cmp_lt_i16_e32 vcc_lo, -1, v29
	s_wait_alu 0xfffd
	v_cndmask_b32_e64 v50, 0xffff8000, -1, vcc_lo
	v_cmp_lt_i16_e32 vcc_lo, -1, v26
	v_mad_co_u64_u32 v[26:27], null, v55, 6, v[27:28]
	ds_store_b64 v25, v[9:10]
	ds_store_b64 v26, v[11:12]
	s_wait_alu 0xfffd
	v_cndmask_b32_e64 v51, 0xffff8000, -1, vcc_lo
	v_cmp_lt_i16_e32 vcc_lo, -1, v49
	; wave barrier
	s_wait_loadcnt_dscnt 0x0
	global_inv scope:SCOPE_SE
	v_perm_b32 v27, v51, v31, 0x5040100
	s_wait_alu 0xfffd
	v_cndmask_b32_e64 v49, 0xffff8000, -1, vcc_lo
	s_delay_alu instid0(VALU_DEP_2) | instskip(NEXT) | instid1(VALU_DEP_2)
	v_xor_b32_e32 v13, v27, v28
	v_perm_b32 v31, v49, v50, 0x5040100
	s_delay_alu instid0(VALU_DEP_1)
	v_xor_b32_e32 v14, v31, v29
.LBB253_45:
	s_and_b32 vcc_lo, exec_lo, s7
	s_wait_alu 0xfffe
	s_cbranch_vccz .LBB253_67
; %bb.46:
	v_cmp_gt_i16_e32 vcc_lo, 0, v22
	s_getpc_b64 s[6:7]
	s_wait_alu 0xfffe
	s_sext_i32_i16 s7, s7
	s_add_co_u32 s6, s6, _ZN7rocprim17ROCPRIM_400000_NS16block_radix_sortI12hip_bfloat16Lj32ELj4ElLj1ELj1ELj0ELNS0_26block_radix_rank_algorithmE1ELNS0_18block_padding_hintE2ELNS0_4arch9wavefront6targetE0EE19radix_bits_per_passE@rel32@lo+12
	s_wait_alu 0xfffe
	s_add_co_ci_u32 s7, s7, _ZN7rocprim17ROCPRIM_400000_NS16block_radix_sortI12hip_bfloat16Lj32ELj4ElLj1ELj1ELj0ELNS0_26block_radix_rank_algorithmE1ELNS0_18block_padding_hintE2ELNS0_4arch9wavefront6targetE0EE19radix_bits_per_passE@rel32@hi+24
	ds_bpermute_b32 v27, v45, v5
	s_load_b32 s13, s[6:7], 0x0
	ds_bpermute_b32 v50, v45, v5 offset:32
	v_cndmask_b32_e64 v9, 0x7fff, 0, vcc_lo
	v_cmp_gt_i16_e32 vcc_lo, 0, v48
	ds_bpermute_b32 v52, v45, v5 offset:64
	ds_bpermute_b32 v54, v45, v5 offset:96
	ds_bpermute_b32 v15, v45, v6
	v_xor_b32_e32 v9, v9, v22
	s_wait_alu 0xfffd
	v_cndmask_b32_e64 v10, 0x7fff, 0, vcc_lo
	v_cmp_gt_i16_e32 vcc_lo, 0, v23
	ds_bpermute_b32 v51, v45, v6 offset:32
	ds_bpermute_b32 v53, v45, v6 offset:64
	v_and_b32_e32 v55, 0xffff, v9
	v_xor_b32_e32 v10, v10, v48
	s_wait_alu 0xfffd
	v_cndmask_b32_e64 v11, 0x7fff, 0, vcc_lo
	v_cmp_gt_i16_e32 vcc_lo, 0, v47
	s_wait_loadcnt_dscnt 0x0
	ds_bpermute_b32 v14, v45, v55
	ds_bpermute_b32 v61, v45, v55 offset:32
	v_xor_b32_e32 v11, v11, v23
	s_wait_alu 0xfffd
	v_cndmask_b32_e64 v12, 0x7fff, 0, vcc_lo
	v_cmp_eq_u32_e32 vcc_lo, 3, v43
	s_wait_kmcnt 0x0
	s_min_u32 s7, s13, 16
	ds_bpermute_b32 v65, v45, v55 offset:64
	v_and_b32_e32 v57, 0xffff, v11
	v_xor_b32_e32 v9, v12, v47
	; wave barrier
	s_wait_dscnt 0x0
	global_inv scope:SCOPE_SE
	ds_bpermute_b32 v16, v45, v7
	ds_bpermute_b32 v26, v45, v7 offset:32
	ds_bpermute_b32 v23, v45, v57
	v_and_b32_e32 v58, 0xffff, v9
	ds_bpermute_b32 v64, v45, v57 offset:32
	ds_bpermute_b32 v69, v45, v57 offset:64
	;; [unrolled: 1-line block ×4, first 2 shown]
	ds_bpermute_b32 v29, v45, v58
	v_and_b32_e32 v56, 0xffff, v10
	ds_bpermute_b32 v66, v45, v58 offset:32
	ds_bpermute_b32 v72, v45, v58 offset:64
	ds_bpermute_b32 v13, v45, v1
	ds_bpermute_b32 v24, v45, v1 offset:32
	ds_bpermute_b32 v22, v45, v56
	ds_bpermute_b32 v12, v45, v8
	ds_bpermute_b32 v9, v45, v2
	ds_bpermute_b32 v10, v45, v3
	ds_bpermute_b32 v11, v45, v4
	ds_bpermute_b32 v28, v45, v8 offset:32
	ds_bpermute_b32 v25, v45, v2 offset:32
	ds_bpermute_b32 v47, v45, v8 offset:64
	ds_bpermute_b32 v48, v45, v4 offset:64
	s_wait_dscnt 0x8
	v_cndmask_b32_e64 v30, v14, v22, s5
	ds_bpermute_b32 v22, v45, v4 offset:32
	ds_bpermute_b32 v14, v45, v3 offset:32
	v_cndmask_b32_e64 v23, v30, v23, s1
	ds_bpermute_b32 v30, v45, v2 offset:64
	s_wait_alu 0xfffd
	v_cndmask_b32_e32 v49, v23, v29, vcc_lo
	ds_bpermute_b32 v63, v45, v56 offset:32
	ds_bpermute_b32 v67, v45, v56 offset:64
	;; [unrolled: 1-line block ×4, first 2 shown]
	v_and_b32_e32 v59, 0xffff, v49
	v_cmp_ne_u16_e64 s6, 0x8000, v49
	ds_bpermute_b32 v23, v45, v3 offset:64
	s_wait_alu 0xf1ff
	v_cndmask_b32_e64 v5, 0x7fff, v59, s6
	s_wait_alu 0xfffe
	s_lshl_b32 s6, -1, s7
	s_wait_alu 0xfffe
	s_not_b32 s8, s6
	s_wait_alu 0xfffe
	v_and_b32_e32 v62, s8, v5
	s_delay_alu instid0(VALU_DEP_1) | instskip(SKIP_2) | instid1(VALU_DEP_3)
	v_and_b32_e32 v5, 1, v62
	v_lshlrev_b32_e32 v71, 30, v62
	v_lshlrev_b32_e32 v56, 29, v62
	v_add_co_u32 v59, s6, v5, -1
	s_wait_alu 0xf1ff
	v_cndmask_b32_e64 v60, 0, 1, s6
	ds_bpermute_b32 v5, v45, v55 offset:96
	v_not_b32_e32 v55, v71
	v_cmp_gt_i32_e64 s7, 0, v71
	ds_bpermute_b32 v71, v45, v58 offset:96
	v_cmp_ne_u32_e64 s6, 0, v60
	v_not_b32_e32 v58, v56
	v_ashrrev_i32_e32 v55, 31, v55
	s_wait_alu 0xf1ff
	s_delay_alu instid0(VALU_DEP_3) | instskip(SKIP_1) | instid1(VALU_DEP_3)
	v_xor_b32_e32 v57, s6, v59
	v_lshlrev_b32_e32 v59, 28, v62
	v_xor_b32_e32 v55, s7, v55
	v_cmp_gt_i32_e64 s6, 0, v56
	v_ashrrev_i32_e32 v56, 31, v58
	v_and_b32_e32 v57, exec_lo, v57
	v_not_b32_e32 v58, v59
	s_load_b32 s7, s[22:23], 0xc
	s_delay_alu instid0(VALU_DEP_3) | instskip(NEXT) | instid1(VALU_DEP_3)
	v_xor_b32_e32 v60, s6, v56
	v_and_b32_e32 v55, v57, v55
	v_lshlrev_b32_e32 v57, 27, v62
	v_cmp_gt_i32_e64 s6, 0, v59
	v_ashrrev_i32_e32 v58, 31, v58
	ds_bpermute_b32 v56, v45, v6 offset:96
	v_and_b32_e32 v59, v55, v60
	v_not_b32_e32 v6, v57
	v_lshlrev_b32_e32 v60, 26, v62
	s_wait_alu 0xf1ff
	v_xor_b32_e32 v58, s6, v58
	v_cmp_gt_i32_e64 s6, 0, v57
	ds_bpermute_b32 v55, v45, v7 offset:96
	v_ashrrev_i32_e32 v6, 31, v6
	v_not_b32_e32 v7, v60
	v_and_b32_e32 v57, v59, v58
	v_lshlrev_b32_e32 v58, 25, v62
	s_wait_alu 0xf1ff
	v_xor_b32_e32 v6, s6, v6
	v_cmp_gt_i32_e64 s6, 0, v60
	v_ashrrev_i32_e32 v7, 31, v7
	v_not_b32_e32 v59, v58
	s_wait_kmcnt 0x0
	s_lshr_b32 s9, s7, 16
	v_and_b32_e32 v6, v57, v6
	v_lshlrev_b32_e32 v57, 24, v62
	v_xor_b32_e32 v7, s6, v7
	v_cmp_gt_i32_e64 s6, 0, v58
	v_ashrrev_i32_e32 v58, 31, v59
	s_wait_alu 0xfffe
	v_mad_u32_u24 v0, v0, s9, v46
	v_not_b32_e32 v59, v57
	v_and_b32_e32 v46, v6, v7
	s_and_b32 s7, s7, 0xffff
	v_xor_b32_e32 v58, s6, v58
	v_cmp_gt_i32_e64 s6, 0, v57
	v_ashrrev_i32_e32 v60, 31, v59
	s_wait_dscnt 0xb
	s_wait_alu 0xfffe
	v_mad_co_u64_u32 v[6:7], null, v0, s7, v[21:22]
	ds_bpermute_b32 v57, v45, v1 offset:96
	v_and_b32_e32 v0, v46, v58
	s_wait_alu 0xf1ff
	v_xor_b32_e32 v1, s6, v60
	ds_bpermute_b32 v59, v45, v8 offset:96
	ds_bpermute_b32 v58, v45, v2 offset:96
	;; [unrolled: 1-line block ×4, first 2 shown]
	v_and_b32_e32 v0, v0, v1
	v_lshrrev_b32_e32 v2, 5, v6
	v_mov_b32_e32 v1, 0
	ds_store_2addr_b32 v42, v1, v1 offset0:1 offset1:2
	ds_store_2addr_b32 v42, v1, v1 offset0:3 offset1:4
	;; [unrolled: 1-line block ×4, first 2 shown]
	v_mbcnt_lo_u32_b32 v60, v0, 0
	v_lshlrev_b32_e32 v8, 2, v2
	v_cmp_ne_u32_e64 s7, 0, v0
	; wave barrier
	s_wait_loadcnt_dscnt 0x0
	global_inv scope:SCOPE_SE
	v_cmp_eq_u32_e64 s6, 0, v60
	v_lshl_add_u32 v62, v62, 2, v8
	; wave barrier
	s_and_b32 s7, s7, s6
	s_wait_alu 0xfffe
	s_and_saveexec_b32 s6, s7
; %bb.47:
	v_bcnt_u32_b32 v0, v0, 0
	ds_store_b32 v62, v0 offset:4
; %bb.48:
	s_wait_alu 0xfffe
	s_or_b32 exec_lo, exec_lo, s6
	v_cndmask_b32_e64 v0, v61, v63, s5
	; wave barrier
	s_delay_alu instid0(VALU_DEP_1) | instskip(NEXT) | instid1(VALU_DEP_1)
	v_cndmask_b32_e64 v0, v0, v64, s1
	v_cndmask_b32_e32 v61, v0, v66, vcc_lo
	s_delay_alu instid0(VALU_DEP_1) | instskip(SKIP_2) | instid1(VALU_DEP_1)
	v_and_b32_e32 v0, 0xffff, v61
	v_cmp_ne_u16_e64 s6, 0x8000, v61
	s_wait_alu 0xf1ff
	v_cndmask_b32_e64 v0, 0x7fff, v0, s6
	s_delay_alu instid0(VALU_DEP_1) | instskip(NEXT) | instid1(VALU_DEP_1)
	v_and_b32_e32 v0, s8, v0
	v_and_b32_e32 v1, 1, v0
	v_lshlrev_b32_e32 v2, 30, v0
	v_lshlrev_b32_e32 v3, 29, v0
	;; [unrolled: 1-line block ×4, first 2 shown]
	v_add_co_u32 v1, s6, v1, -1
	s_wait_alu 0xf1ff
	v_cndmask_b32_e64 v6, 0, 1, s6
	v_not_b32_e32 v66, v2
	v_cmp_gt_i32_e64 s7, 0, v2
	v_not_b32_e32 v2, v3
	v_lshlrev_b32_e32 v63, 26, v0
	v_cmp_ne_u32_e64 s6, 0, v6
	v_ashrrev_i32_e32 v66, 31, v66
	v_lshlrev_b32_e32 v64, 25, v0
	v_ashrrev_i32_e32 v2, 31, v2
	v_lshlrev_b32_e32 v6, 24, v0
	s_wait_alu 0xf1ff
	v_xor_b32_e32 v1, s6, v1
	v_cmp_gt_i32_e64 s6, 0, v3
	v_not_b32_e32 v3, v4
	v_xor_b32_e32 v66, s7, v66
	v_cmp_gt_i32_e64 s7, 0, v4
	v_and_b32_e32 v1, exec_lo, v1
	v_not_b32_e32 v4, v7
	v_ashrrev_i32_e32 v3, 31, v3
	s_wait_alu 0xf1ff
	v_xor_b32_e32 v2, s6, v2
	v_cmp_gt_i32_e64 s6, 0, v7
	v_and_b32_e32 v1, v1, v66
	v_not_b32_e32 v7, v63
	v_ashrrev_i32_e32 v4, 31, v4
	v_xor_b32_e32 v3, s7, v3
	v_cmp_gt_i32_e64 s7, 0, v63
	v_and_b32_e32 v1, v1, v2
	v_not_b32_e32 v2, v64
	v_ashrrev_i32_e32 v7, 31, v7
	s_wait_alu 0xf1ff
	v_xor_b32_e32 v4, s6, v4
	v_cmp_gt_i32_e64 s6, 0, v64
	v_and_b32_e32 v1, v1, v3
	v_not_b32_e32 v3, v6
	v_ashrrev_i32_e32 v2, 31, v2
	v_xor_b32_e32 v7, s7, v7
	v_cmp_gt_i32_e64 s7, 0, v6
	v_and_b32_e32 v1, v1, v4
	v_ashrrev_i32_e32 v3, 31, v3
	s_wait_alu 0xf1ff
	v_xor_b32_e32 v2, s6, v2
	v_lshl_add_u32 v66, v0, 2, v8
	v_and_b32_e32 v1, v1, v7
	v_xor_b32_e32 v0, s7, v3
	ds_load_b32 v63, v66 offset:4
	v_and_b32_e32 v1, v1, v2
	; wave barrier
	s_delay_alu instid0(VALU_DEP_1) | instskip(NEXT) | instid1(VALU_DEP_1)
	v_and_b32_e32 v0, v1, v0
	v_mbcnt_lo_u32_b32 v64, v0, 0
	v_cmp_ne_u32_e64 s7, 0, v0
	s_delay_alu instid0(VALU_DEP_2)
	v_cmp_eq_u32_e64 s6, 0, v64
	s_and_b32 s7, s7, s6
	s_wait_alu 0xfffe
	s_and_saveexec_b32 s6, s7
	s_cbranch_execz .LBB253_50
; %bb.49:
	s_wait_dscnt 0x0
	v_bcnt_u32_b32 v0, v0, v63
	ds_store_b32 v66, v0 offset:4
.LBB253_50:
	s_wait_alu 0xfffe
	s_or_b32 exec_lo, exec_lo, s6
	v_cndmask_b32_e64 v0, v65, v67, s5
	; wave barrier
	s_delay_alu instid0(VALU_DEP_1) | instskip(NEXT) | instid1(VALU_DEP_1)
	v_cndmask_b32_e64 v0, v0, v69, s1
	v_cndmask_b32_e32 v65, v0, v72, vcc_lo
	s_delay_alu instid0(VALU_DEP_1) | instskip(SKIP_2) | instid1(VALU_DEP_1)
	v_and_b32_e32 v0, 0xffff, v65
	v_cmp_ne_u16_e64 s6, 0x8000, v65
	s_wait_alu 0xf1ff
	v_cndmask_b32_e64 v0, 0x7fff, v0, s6
	s_delay_alu instid0(VALU_DEP_1) | instskip(NEXT) | instid1(VALU_DEP_1)
	v_and_b32_e32 v0, s8, v0
	v_and_b32_e32 v1, 1, v0
	v_lshlrev_b32_e32 v2, 30, v0
	v_lshlrev_b32_e32 v3, 29, v0
	;; [unrolled: 1-line block ×4, first 2 shown]
	v_add_co_u32 v1, s6, v1, -1
	s_wait_alu 0xf1ff
	v_cndmask_b32_e64 v6, 0, 1, s6
	v_not_b32_e32 v72, v2
	v_cmp_gt_i32_e64 s7, 0, v2
	v_not_b32_e32 v2, v3
	v_lshlrev_b32_e32 v67, 26, v0
	v_cmp_ne_u32_e64 s6, 0, v6
	v_ashrrev_i32_e32 v72, 31, v72
	v_lshlrev_b32_e32 v69, 25, v0
	v_ashrrev_i32_e32 v2, 31, v2
	v_lshlrev_b32_e32 v6, 24, v0
	s_wait_alu 0xf1ff
	v_xor_b32_e32 v1, s6, v1
	v_cmp_gt_i32_e64 s6, 0, v3
	v_not_b32_e32 v3, v4
	v_xor_b32_e32 v72, s7, v72
	v_cmp_gt_i32_e64 s7, 0, v4
	v_and_b32_e32 v1, exec_lo, v1
	v_not_b32_e32 v4, v7
	v_ashrrev_i32_e32 v3, 31, v3
	s_wait_alu 0xf1ff
	v_xor_b32_e32 v2, s6, v2
	v_cmp_gt_i32_e64 s6, 0, v7
	v_and_b32_e32 v1, v1, v72
	v_not_b32_e32 v7, v67
	v_ashrrev_i32_e32 v4, 31, v4
	v_xor_b32_e32 v3, s7, v3
	v_cmp_gt_i32_e64 s7, 0, v67
	v_and_b32_e32 v1, v1, v2
	v_not_b32_e32 v2, v69
	v_ashrrev_i32_e32 v7, 31, v7
	s_wait_alu 0xf1ff
	v_xor_b32_e32 v4, s6, v4
	v_cmp_gt_i32_e64 s6, 0, v69
	v_and_b32_e32 v1, v1, v3
	v_not_b32_e32 v3, v6
	v_ashrrev_i32_e32 v2, 31, v2
	v_xor_b32_e32 v7, s7, v7
	v_cmp_gt_i32_e64 s7, 0, v6
	v_and_b32_e32 v1, v1, v4
	v_ashrrev_i32_e32 v3, 31, v3
	s_wait_alu 0xf1ff
	v_xor_b32_e32 v2, s6, v2
	v_lshl_add_u32 v72, v0, 2, v8
	v_and_b32_e32 v1, v1, v7
	v_xor_b32_e32 v0, s7, v3
	ds_load_b32 v67, v72 offset:4
	v_and_b32_e32 v1, v1, v2
	; wave barrier
	s_delay_alu instid0(VALU_DEP_1) | instskip(NEXT) | instid1(VALU_DEP_1)
	v_and_b32_e32 v0, v1, v0
	v_mbcnt_lo_u32_b32 v69, v0, 0
	v_cmp_ne_u32_e64 s7, 0, v0
	s_delay_alu instid0(VALU_DEP_2)
	v_cmp_eq_u32_e64 s6, 0, v69
	s_and_b32 s7, s7, s6
	s_wait_alu 0xfffe
	s_and_saveexec_b32 s6, s7
	s_cbranch_execz .LBB253_52
; %bb.51:
	s_wait_dscnt 0x0
	v_bcnt_u32_b32 v0, v0, v67
	ds_store_b32 v72, v0 offset:4
.LBB253_52:
	s_wait_alu 0xfffe
	s_or_b32 exec_lo, exec_lo, s6
	v_cndmask_b32_e64 v0, v5, v68, s5
	; wave barrier
	v_and_or_b32 v74, 0xf80, v41, v44
	s_delay_alu instid0(VALU_DEP_2) | instskip(NEXT) | instid1(VALU_DEP_1)
	v_cndmask_b32_e64 v0, v0, v70, s1
	v_cndmask_b32_e32 v68, v0, v71, vcc_lo
	s_delay_alu instid0(VALU_DEP_1) | instskip(SKIP_2) | instid1(VALU_DEP_1)
	v_and_b32_e32 v0, 0xffff, v68
	v_cmp_ne_u16_e64 s6, 0x8000, v68
	s_wait_alu 0xf1ff
	v_cndmask_b32_e64 v0, 0x7fff, v0, s6
	s_delay_alu instid0(VALU_DEP_1) | instskip(NEXT) | instid1(VALU_DEP_1)
	v_and_b32_e32 v0, s8, v0
	v_and_b32_e32 v1, 1, v0
	v_lshlrev_b32_e32 v2, 30, v0
	v_lshlrev_b32_e32 v3, 29, v0
	;; [unrolled: 1-line block ×4, first 2 shown]
	v_add_co_u32 v1, s6, v1, -1
	s_wait_alu 0xf1ff
	v_cndmask_b32_e64 v5, 0, 1, s6
	v_not_b32_e32 v71, v2
	v_cmp_gt_i32_e64 s7, 0, v2
	v_not_b32_e32 v2, v3
	v_lshlrev_b32_e32 v7, 26, v0
	v_cmp_ne_u32_e64 s6, 0, v5
	v_ashrrev_i32_e32 v71, 31, v71
	v_lshlrev_b32_e32 v70, 25, v0
	v_ashrrev_i32_e32 v2, 31, v2
	v_lshlrev_b32_e32 v5, 24, v0
	s_wait_alu 0xf1ff
	v_xor_b32_e32 v1, s6, v1
	v_cmp_gt_i32_e64 s6, 0, v3
	v_not_b32_e32 v3, v4
	v_xor_b32_e32 v71, s7, v71
	v_cmp_gt_i32_e64 s7, 0, v4
	v_and_b32_e32 v1, exec_lo, v1
	v_not_b32_e32 v4, v6
	v_ashrrev_i32_e32 v3, 31, v3
	s_wait_alu 0xf1ff
	v_xor_b32_e32 v2, s6, v2
	v_cmp_gt_i32_e64 s6, 0, v6
	v_and_b32_e32 v1, v1, v71
	v_not_b32_e32 v6, v7
	v_ashrrev_i32_e32 v4, 31, v4
	v_xor_b32_e32 v3, s7, v3
	v_cmp_gt_i32_e64 s7, 0, v7
	v_and_b32_e32 v1, v1, v2
	v_not_b32_e32 v2, v70
	v_ashrrev_i32_e32 v6, 31, v6
	s_wait_alu 0xf1ff
	v_xor_b32_e32 v4, s6, v4
	v_cmp_gt_i32_e64 s6, 0, v70
	v_and_b32_e32 v1, v1, v3
	v_not_b32_e32 v3, v5
	v_ashrrev_i32_e32 v2, 31, v2
	v_xor_b32_e32 v6, s7, v6
	v_cmp_gt_i32_e64 s7, 0, v5
	v_and_b32_e32 v1, v1, v4
	v_ashrrev_i32_e32 v3, 31, v3
	s_wait_alu 0xf1ff
	v_xor_b32_e32 v2, s6, v2
	v_lshl_add_u32 v73, v0, 2, v8
	v_and_b32_e32 v1, v1, v6
	v_xor_b32_e32 v0, s7, v3
	ds_load_b32 v70, v73 offset:4
	v_and_b32_e32 v1, v1, v2
	; wave barrier
	s_delay_alu instid0(VALU_DEP_1) | instskip(NEXT) | instid1(VALU_DEP_1)
	v_and_b32_e32 v0, v1, v0
	v_mbcnt_lo_u32_b32 v71, v0, 0
	v_cmp_ne_u32_e64 s7, 0, v0
	s_delay_alu instid0(VALU_DEP_2)
	v_cmp_eq_u32_e64 s6, 0, v71
	s_and_b32 s7, s7, s6
	s_wait_alu 0xfffe
	s_and_saveexec_b32 s6, s7
	s_cbranch_execz .LBB253_54
; %bb.53:
	s_wait_dscnt 0x0
	v_bcnt_u32_b32 v0, v0, v70
	ds_store_b32 v73, v0 offset:4
.LBB253_54:
	s_wait_alu 0xfffe
	s_or_b32 exec_lo, exec_lo, s6
	; wave barrier
	; wave barrier
	s_wait_loadcnt_dscnt 0x0
	global_inv scope:SCOPE_SE
	ds_load_2addr_b32 v[6:7], v42 offset0:1 offset1:2
	ds_load_2addr_b32 v[4:5], v42 offset0:3 offset1:4
	;; [unrolled: 1-line block ×4, first 2 shown]
	v_and_b32_e32 v77, 16, v44
	v_cmp_eq_u32_e64 s10, 31, v21
	s_delay_alu instid0(VALU_DEP_2) | instskip(SKIP_3) | instid1(VALU_DEP_1)
	v_cmp_eq_u32_e64 s11, 0, v77
	s_wait_dscnt 0x3
	v_add_nc_u32_e32 v75, v7, v6
	s_wait_dscnt 0x2
	v_add3_u32 v75, v75, v4, v5
	s_wait_dscnt 0x1
	s_delay_alu instid0(VALU_DEP_1) | instskip(SKIP_1) | instid1(VALU_DEP_1)
	v_add3_u32 v75, v75, v2, v3
	s_wait_dscnt 0x0
	v_add3_u32 v1, v75, v0, v1
	v_and_b32_e32 v75, 15, v44
	s_delay_alu instid0(VALU_DEP_2) | instskip(NEXT) | instid1(VALU_DEP_2)
	v_mov_b32_dpp v76, v1 row_shr:1 row_mask:0xf bank_mask:0xf
	v_cmp_eq_u32_e64 s6, 0, v75
	v_cmp_lt_u32_e64 s7, 1, v75
	v_cmp_lt_u32_e64 s8, 3, v75
	;; [unrolled: 1-line block ×3, first 2 shown]
	s_wait_alu 0xf1ff
	v_cndmask_b32_e64 v76, v76, 0, s6
	s_delay_alu instid0(VALU_DEP_1) | instskip(NEXT) | instid1(VALU_DEP_1)
	v_add_nc_u32_e32 v1, v76, v1
	v_mov_b32_dpp v76, v1 row_shr:2 row_mask:0xf bank_mask:0xf
	s_delay_alu instid0(VALU_DEP_1) | instskip(NEXT) | instid1(VALU_DEP_1)
	v_cndmask_b32_e64 v76, 0, v76, s7
	v_add_nc_u32_e32 v1, v1, v76
	s_delay_alu instid0(VALU_DEP_1) | instskip(NEXT) | instid1(VALU_DEP_1)
	v_mov_b32_dpp v76, v1 row_shr:4 row_mask:0xf bank_mask:0xf
	v_cndmask_b32_e64 v76, 0, v76, s8
	s_delay_alu instid0(VALU_DEP_1) | instskip(NEXT) | instid1(VALU_DEP_1)
	v_add_nc_u32_e32 v1, v1, v76
	v_mov_b32_dpp v76, v1 row_shr:8 row_mask:0xf bank_mask:0xf
	s_delay_alu instid0(VALU_DEP_1) | instskip(SKIP_1) | instid1(VALU_DEP_2)
	v_cndmask_b32_e64 v75, 0, v76, s9
	v_bfe_i32 v76, v44, 4, 1
	v_add_nc_u32_e32 v75, v1, v75
	ds_swizzle_b32 v1, v75 offset:swizzle(BROADCAST,32,15)
	s_wait_dscnt 0x0
	v_and_b32_e32 v78, v76, v1
	v_sub_co_u32 v76, s15, v44, 1
	v_mul_u32_u24_e32 v1, 6, v74
	s_delay_alu instid0(VALU_DEP_3)
	v_add_nc_u32_e32 v75, v75, v78
	s_and_saveexec_b32 s12, s10
; %bb.55:
	v_mov_b32_e32 v77, 0
	ds_store_b32 v77, v75
; %bb.56:
	s_wait_alu 0xfffe
	s_or_b32 exec_lo, exec_lo, s12
	v_cmp_gt_i32_e64 s12, 0, v76
	; wave barrier
	s_wait_loadcnt_dscnt 0x0
	global_inv scope:SCOPE_SE
	s_min_u32 s13, s13, 8
	s_wait_alu 0xfffe
	s_lshl_b32 s13, -1, s13
	v_cndmask_b32_e64 v44, v76, v44, s12
	v_cmp_eq_u32_e64 s12, 0, v21
	s_wait_alu 0xfffe
	s_not_b32 s13, s13
	v_lshlrev_b32_e32 v44, 2, v44
	s_or_b32 s15, s12, s15
	v_cmp_eq_u32_e64 s12, 0, v43
	ds_bpermute_b32 v75, v44, v75
	s_wait_alu 0xf1ff
	v_cndmask_b32_e64 v43, 0, v53, s12
	s_wait_dscnt 0x0
	s_wait_alu 0xfffe
	v_cndmask_b32_e64 v21, v75, 0, s15
	s_delay_alu instid0(VALU_DEP_1) | instskip(NEXT) | instid1(VALU_DEP_1)
	v_add_nc_u32_e32 v6, v21, v6
	v_add_nc_u32_e32 v7, v6, v7
	s_delay_alu instid0(VALU_DEP_1) | instskip(NEXT) | instid1(VALU_DEP_1)
	v_add_nc_u32_e32 v4, v7, v4
	v_add_nc_u32_e32 v5, v4, v5
	;; [unrolled: 3-line block ×3, first 2 shown]
	s_delay_alu instid0(VALU_DEP_1)
	v_add_nc_u32_e32 v0, v3, v0
	ds_store_2addr_b32 v42, v21, v6 offset0:1 offset1:2
	ds_store_2addr_b32 v42, v7, v4 offset0:3 offset1:4
	;; [unrolled: 1-line block ×4, first 2 shown]
	; wave barrier
	s_wait_loadcnt_dscnt 0x0
	global_inv scope:SCOPE_SE
	ds_load_b32 v0, v62 offset:4
	ds_load_b32 v2, v66 offset:4
	;; [unrolled: 1-line block ×4, first 2 shown]
	v_cndmask_b32_e64 v5, 0, v27, s12
	v_cndmask_b32_e64 v7, 0, v15, s12
	;; [unrolled: 1-line block ×13, first 2 shown]
	v_lshlrev_b32_e32 v6, 1, v74
	v_cndmask_b32_e64 v50, 0, v54, s12
	; wave barrier
	s_wait_loadcnt_dscnt 0x0
	global_inv scope:SCOPE_SE
	v_add3_u32 v53, v64, v63, v2
	v_add3_u32 v54, v69, v67, v3
	;; [unrolled: 1-line block ×3, first 2 shown]
	v_cndmask_b32_e32 v4, v5, v10, vcc_lo
	v_cndmask_b32_e64 v10, v12, v25, s1
	v_cndmask_b32_e64 v12, v26, v29, s1
	;; [unrolled: 1-line block ×3, first 2 shown]
	v_add_nc_u32_e32 v13, v0, v60
	v_add_nc_u32_e32 v52, v6, v1
	v_lshlrev_b32_e32 v1, 1, v53
	v_lshlrev_b32_e32 v2, 1, v54
	;; [unrolled: 1-line block ×4, first 2 shown]
	ds_store_b16 v0, v49
	ds_store_b16 v1, v61
	;; [unrolled: 1-line block ×4, first 2 shown]
	; wave barrier
	s_wait_loadcnt_dscnt 0x0
	global_inv scope:SCOPE_SE
	ds_load_u16 v16, v6
	v_cndmask_b32_e64 v21, v43, v47, s5
	v_cndmask_b32_e64 v28, v50, v55, s5
	;; [unrolled: 1-line block ×4, first 2 shown]
	s_delay_alu instid0(VALU_DEP_4) | instskip(NEXT) | instid1(VALU_DEP_4)
	v_cndmask_b32_e64 v15, v21, v30, s1
	v_cndmask_b32_e64 v25, v28, v57, s1
	s_delay_alu instid0(VALU_DEP_4)
	v_cndmask_b32_e32 v5, v7, v11, vcc_lo
	v_cndmask_b32_e32 v7, v10, v22, vcc_lo
	ds_load_u16 v21, v6 offset:64
	ds_load_u16 v22, v6 offset:128
	;; [unrolled: 1-line block ×3, first 2 shown]
	v_cndmask_b32_e32 v6, v9, v14, vcc_lo
	v_dual_cndmask_b32 v10, v15, v48 :: v_dual_cndmask_b32 v9, v12, v23
	v_cndmask_b32_e32 v12, v26, v45, vcc_lo
	; wave barrier
	s_wait_loadcnt_dscnt 0x0
	global_inv scope:SCOPE_SE
	v_lshrrev_b16 v11, 8, v16
	v_cmp_ne_u16_e64 s1, 0x8000, v16
	s_wait_alu 0xf1ff
	s_delay_alu instid0(VALU_DEP_1) | instskip(SKIP_1) | instid1(VALU_DEP_2)
	v_cndmask_b32_e64 v14, 0x7f, v11, s1
	v_cndmask_b32_e32 v11, v25, v46, vcc_lo
	v_and_b32_e32 v15, 0xffff, v14
	v_mad_co_u64_u32 v[13:14], null, v13, 6, v[0:1]
	v_mad_co_u64_u32 v[0:1], null, v53, 6, v[1:2]
	s_delay_alu instid0(VALU_DEP_3) | instskip(SKIP_2) | instid1(VALU_DEP_3)
	v_and_b32_e32 v14, s13, v15
	v_mad_co_u64_u32 v[1:2], null, v54, 6, v[2:3]
	v_mad_co_u64_u32 v[2:3], null, v56, 6, v[3:4]
	v_and_b32_e32 v3, 1, v14
	ds_store_b64 v13, v[4:5]
	v_lshlrev_b32_e32 v4, 30, v14
	v_lshlrev_b32_e32 v5, 29, v14
	v_lshlrev_b32_e32 v13, 28, v14
	v_add_co_u32 v3, s1, v3, -1
	s_wait_alu 0xf1ff
	v_cndmask_b32_e64 v15, 0, 1, s1
	v_not_b32_e32 v27, v4
	v_cmp_gt_i32_e64 s1, 0, v4
	v_not_b32_e32 v4, v5
	v_lshlrev_b32_e32 v23, 27, v14
	v_cmp_ne_u32_e32 vcc_lo, 0, v15
	v_ashrrev_i32_e32 v27, 31, v27
	v_lshlrev_b32_e32 v25, 26, v14
	v_ashrrev_i32_e32 v4, 31, v4
	v_lshlrev_b32_e32 v26, 25, v14
	s_wait_alu 0xfffd
	v_xor_b32_e32 v3, vcc_lo, v3
	v_cmp_gt_i32_e32 vcc_lo, 0, v5
	v_not_b32_e32 v5, v13
	s_wait_alu 0xf1ff
	v_xor_b32_e32 v27, s1, v27
	v_cmp_gt_i32_e64 s1, 0, v13
	v_and_b32_e32 v3, exec_lo, v3
	v_not_b32_e32 v13, v23
	v_ashrrev_i32_e32 v5, 31, v5
	s_wait_alu 0xfffd
	v_xor_b32_e32 v4, vcc_lo, v4
	v_cmp_gt_i32_e32 vcc_lo, 0, v23
	v_and_b32_e32 v3, v3, v27
	v_not_b32_e32 v23, v25
	v_ashrrev_i32_e32 v13, 31, v13
	s_wait_alu 0xf1ff
	v_xor_b32_e32 v5, s1, v5
	v_lshlrev_b32_e32 v15, 24, v14
	v_and_b32_e32 v3, v3, v4
	v_cmp_gt_i32_e64 s1, 0, v25
	v_not_b32_e32 v4, v26
	v_ashrrev_i32_e32 v23, 31, v23
	s_wait_alu 0xfffd
	v_xor_b32_e32 v13, vcc_lo, v13
	v_and_b32_e32 v3, v3, v5
	v_cmp_gt_i32_e32 vcc_lo, 0, v26
	v_not_b32_e32 v5, v15
	v_ashrrev_i32_e32 v4, 31, v4
	s_wait_alu 0xf1ff
	v_xor_b32_e32 v23, s1, v23
	v_and_b32_e32 v3, v3, v13
	ds_store_b64 v0, v[6:7]
	v_cmp_gt_i32_e64 s1, 0, v15
	v_ashrrev_i32_e32 v0, 31, v5
	s_wait_alu 0xfffd
	v_xor_b32_e32 v4, vcc_lo, v4
	v_and_b32_e32 v3, v3, v23
	ds_store_b64 v1, v[9:10]
	ds_store_b64 v2, v[11:12]
	s_wait_loadcnt_dscnt 0x0
	s_wait_alu 0xf1ff
	v_xor_b32_e32 v9, s1, v0
	; wave barrier
	global_inv scope:SCOPE_SE
	v_and_b32_e32 v10, v3, v4
	ds_load_2addr_b64 v[4:7], v52 offset1:32
	ds_load_2addr_b64 v[0:3], v52 offset0:64 offset1:96
	v_lshl_add_u32 v25, v14, 2, v8
	; wave barrier
	s_wait_loadcnt_dscnt 0x0
	global_inv scope:SCOPE_SE
	v_dual_mov_b32 v10, 0 :: v_dual_and_b32 v9, v10, v9
	ds_store_2addr_b32 v42, v10, v10 offset0:1 offset1:2
	ds_store_2addr_b32 v42, v10, v10 offset0:3 offset1:4
	;; [unrolled: 1-line block ×4, first 2 shown]
	v_mbcnt_lo_u32_b32 v23, v9, 0
	v_cmp_ne_u32_e64 s1, 0, v9
	; wave barrier
	s_wait_loadcnt_dscnt 0x0
	global_inv scope:SCOPE_SE
	v_cmp_eq_u32_e32 vcc_lo, 0, v23
	; wave barrier
	s_and_b32 s5, s1, vcc_lo
	s_wait_alu 0xfffe
	s_and_saveexec_b32 s1, s5
; %bb.57:
	v_bcnt_u32_b32 v9, v9, 0
	ds_store_b32 v25, v9 offset:4
; %bb.58:
	s_wait_alu 0xfffe
	s_or_b32 exec_lo, exec_lo, s1
	v_lshrrev_b16 v9, 8, v21
	v_cmp_ne_u16_e32 vcc_lo, 0x8000, v21
	; wave barrier
	s_wait_alu 0xfffd
	s_delay_alu instid0(VALU_DEP_2) | instskip(NEXT) | instid1(VALU_DEP_1)
	v_cndmask_b32_e32 v9, 0x7f, v9, vcc_lo
	v_and_b32_e32 v9, s13, v9
	s_delay_alu instid0(VALU_DEP_1)
	v_and_b32_e32 v10, 1, v9
	v_lshlrev_b32_e32 v11, 30, v9
	v_lshlrev_b32_e32 v12, 29, v9
	;; [unrolled: 1-line block ×4, first 2 shown]
	v_add_co_u32 v10, s1, v10, -1
	s_wait_alu 0xf1ff
	v_cndmask_b32_e64 v14, 0, 1, s1
	v_not_b32_e32 v28, v11
	v_cmp_gt_i32_e64 s1, 0, v11
	v_not_b32_e32 v11, v12
	v_lshlrev_b32_e32 v26, 26, v9
	v_cmp_ne_u32_e32 vcc_lo, 0, v14
	v_ashrrev_i32_e32 v28, 31, v28
	v_lshlrev_b32_e32 v27, 25, v9
	v_ashrrev_i32_e32 v11, 31, v11
	v_lshlrev_b32_e32 v14, 24, v9
	s_wait_alu 0xfffd
	v_xor_b32_e32 v10, vcc_lo, v10
	v_cmp_gt_i32_e32 vcc_lo, 0, v12
	v_not_b32_e32 v12, v13
	s_wait_alu 0xf1ff
	v_xor_b32_e32 v28, s1, v28
	v_cmp_gt_i32_e64 s1, 0, v13
	v_and_b32_e32 v10, exec_lo, v10
	v_not_b32_e32 v13, v15
	v_ashrrev_i32_e32 v12, 31, v12
	s_wait_alu 0xfffd
	v_xor_b32_e32 v11, vcc_lo, v11
	v_cmp_gt_i32_e32 vcc_lo, 0, v15
	v_and_b32_e32 v10, v10, v28
	v_not_b32_e32 v15, v26
	v_ashrrev_i32_e32 v13, 31, v13
	s_wait_alu 0xf1ff
	v_xor_b32_e32 v12, s1, v12
	v_cmp_gt_i32_e64 s1, 0, v26
	v_and_b32_e32 v10, v10, v11
	v_not_b32_e32 v11, v27
	v_ashrrev_i32_e32 v15, 31, v15
	s_wait_alu 0xfffd
	v_xor_b32_e32 v13, vcc_lo, v13
	v_cmp_gt_i32_e32 vcc_lo, 0, v27
	v_and_b32_e32 v10, v10, v12
	v_not_b32_e32 v12, v14
	v_ashrrev_i32_e32 v11, 31, v11
	s_wait_alu 0xf1ff
	v_xor_b32_e32 v15, s1, v15
	v_cmp_gt_i32_e64 s1, 0, v14
	v_and_b32_e32 v10, v10, v13
	v_ashrrev_i32_e32 v12, 31, v12
	s_wait_alu 0xfffd
	v_xor_b32_e32 v11, vcc_lo, v11
	v_lshl_add_u32 v28, v9, 2, v8
	v_and_b32_e32 v10, v10, v15
	s_wait_alu 0xf1ff
	v_xor_b32_e32 v9, s1, v12
	ds_load_b32 v26, v28 offset:4
	v_and_b32_e32 v10, v10, v11
	; wave barrier
	s_delay_alu instid0(VALU_DEP_1) | instskip(NEXT) | instid1(VALU_DEP_1)
	v_and_b32_e32 v9, v10, v9
	v_mbcnt_lo_u32_b32 v27, v9, 0
	v_cmp_ne_u32_e64 s1, 0, v9
	s_delay_alu instid0(VALU_DEP_2)
	v_cmp_eq_u32_e32 vcc_lo, 0, v27
	s_and_b32 s5, s1, vcc_lo
	s_wait_alu 0xfffe
	s_and_saveexec_b32 s1, s5
	s_cbranch_execz .LBB253_60
; %bb.59:
	s_wait_dscnt 0x0
	v_bcnt_u32_b32 v9, v9, v26
	ds_store_b32 v28, v9 offset:4
.LBB253_60:
	s_wait_alu 0xfffe
	s_or_b32 exec_lo, exec_lo, s1
	v_lshrrev_b16 v9, 8, v22
	v_cmp_ne_u16_e32 vcc_lo, 0x8000, v22
	; wave barrier
	s_wait_alu 0xfffd
	s_delay_alu instid0(VALU_DEP_2) | instskip(NEXT) | instid1(VALU_DEP_1)
	v_cndmask_b32_e32 v9, 0x7f, v9, vcc_lo
	v_and_b32_e32 v9, s13, v9
	s_delay_alu instid0(VALU_DEP_1)
	v_and_b32_e32 v10, 1, v9
	v_lshlrev_b32_e32 v11, 30, v9
	v_lshlrev_b32_e32 v12, 29, v9
	;; [unrolled: 1-line block ×4, first 2 shown]
	v_add_co_u32 v10, s1, v10, -1
	s_wait_alu 0xf1ff
	v_cndmask_b32_e64 v14, 0, 1, s1
	v_not_b32_e32 v31, v11
	v_cmp_gt_i32_e64 s1, 0, v11
	v_not_b32_e32 v11, v12
	v_lshlrev_b32_e32 v29, 26, v9
	v_cmp_ne_u32_e32 vcc_lo, 0, v14
	v_ashrrev_i32_e32 v31, 31, v31
	v_lshlrev_b32_e32 v30, 25, v9
	v_ashrrev_i32_e32 v11, 31, v11
	v_lshlrev_b32_e32 v14, 24, v9
	s_wait_alu 0xfffd
	v_xor_b32_e32 v10, vcc_lo, v10
	v_cmp_gt_i32_e32 vcc_lo, 0, v12
	v_not_b32_e32 v12, v13
	s_wait_alu 0xf1ff
	v_xor_b32_e32 v31, s1, v31
	v_cmp_gt_i32_e64 s1, 0, v13
	v_and_b32_e32 v10, exec_lo, v10
	v_not_b32_e32 v13, v15
	v_ashrrev_i32_e32 v12, 31, v12
	s_wait_alu 0xfffd
	v_xor_b32_e32 v11, vcc_lo, v11
	v_cmp_gt_i32_e32 vcc_lo, 0, v15
	v_and_b32_e32 v10, v10, v31
	v_not_b32_e32 v15, v29
	v_ashrrev_i32_e32 v13, 31, v13
	s_wait_alu 0xf1ff
	v_xor_b32_e32 v12, s1, v12
	v_cmp_gt_i32_e64 s1, 0, v29
	v_and_b32_e32 v10, v10, v11
	v_not_b32_e32 v11, v30
	v_ashrrev_i32_e32 v15, 31, v15
	s_wait_alu 0xfffd
	v_xor_b32_e32 v13, vcc_lo, v13
	v_cmp_gt_i32_e32 vcc_lo, 0, v30
	v_and_b32_e32 v10, v10, v12
	v_not_b32_e32 v12, v14
	v_ashrrev_i32_e32 v11, 31, v11
	s_wait_alu 0xf1ff
	v_xor_b32_e32 v15, s1, v15
	v_cmp_gt_i32_e64 s1, 0, v14
	v_and_b32_e32 v10, v10, v13
	v_ashrrev_i32_e32 v12, 31, v12
	s_wait_alu 0xfffd
	v_xor_b32_e32 v11, vcc_lo, v11
	v_lshl_add_u32 v31, v9, 2, v8
	v_and_b32_e32 v10, v10, v15
	s_wait_alu 0xf1ff
	v_xor_b32_e32 v9, s1, v12
	ds_load_b32 v29, v31 offset:4
	v_and_b32_e32 v10, v10, v11
	; wave barrier
	s_delay_alu instid0(VALU_DEP_1) | instskip(NEXT) | instid1(VALU_DEP_1)
	v_and_b32_e32 v9, v10, v9
	v_mbcnt_lo_u32_b32 v30, v9, 0
	v_cmp_ne_u32_e64 s1, 0, v9
	s_delay_alu instid0(VALU_DEP_2)
	v_cmp_eq_u32_e32 vcc_lo, 0, v30
	s_and_b32 s5, s1, vcc_lo
	s_wait_alu 0xfffe
	s_and_saveexec_b32 s1, s5
	s_cbranch_execz .LBB253_62
; %bb.61:
	s_wait_dscnt 0x0
	v_bcnt_u32_b32 v9, v9, v29
	ds_store_b32 v31, v9 offset:4
.LBB253_62:
	s_wait_alu 0xfffe
	s_or_b32 exec_lo, exec_lo, s1
	v_lshrrev_b16 v9, 8, v24
	v_cmp_ne_u16_e32 vcc_lo, 0x8000, v24
	; wave barrier
	s_wait_alu 0xfffd
	s_delay_alu instid0(VALU_DEP_2) | instskip(NEXT) | instid1(VALU_DEP_1)
	v_cndmask_b32_e32 v9, 0x7f, v9, vcc_lo
	v_and_b32_e32 v9, s13, v9
	s_delay_alu instid0(VALU_DEP_1)
	v_and_b32_e32 v10, 1, v9
	v_lshlrev_b32_e32 v11, 30, v9
	v_lshlrev_b32_e32 v12, 29, v9
	;; [unrolled: 1-line block ×4, first 2 shown]
	v_add_co_u32 v10, s1, v10, -1
	s_wait_alu 0xf1ff
	v_cndmask_b32_e64 v14, 0, 1, s1
	v_not_b32_e32 v46, v11
	v_cmp_gt_i32_e64 s1, 0, v11
	v_not_b32_e32 v11, v12
	v_lshlrev_b32_e32 v43, 26, v9
	v_cmp_ne_u32_e32 vcc_lo, 0, v14
	v_ashrrev_i32_e32 v46, 31, v46
	v_lshlrev_b32_e32 v45, 25, v9
	v_ashrrev_i32_e32 v11, 31, v11
	v_lshlrev_b32_e32 v14, 24, v9
	s_wait_alu 0xfffd
	v_xor_b32_e32 v10, vcc_lo, v10
	v_cmp_gt_i32_e32 vcc_lo, 0, v12
	v_not_b32_e32 v12, v13
	s_wait_alu 0xf1ff
	v_xor_b32_e32 v46, s1, v46
	v_cmp_gt_i32_e64 s1, 0, v13
	v_and_b32_e32 v10, exec_lo, v10
	v_not_b32_e32 v13, v15
	v_ashrrev_i32_e32 v12, 31, v12
	s_wait_alu 0xfffd
	v_xor_b32_e32 v11, vcc_lo, v11
	v_cmp_gt_i32_e32 vcc_lo, 0, v15
	v_and_b32_e32 v10, v10, v46
	v_not_b32_e32 v15, v43
	v_ashrrev_i32_e32 v13, 31, v13
	s_wait_alu 0xf1ff
	v_xor_b32_e32 v12, s1, v12
	v_cmp_gt_i32_e64 s1, 0, v43
	v_and_b32_e32 v10, v10, v11
	v_not_b32_e32 v11, v45
	v_ashrrev_i32_e32 v15, 31, v15
	s_wait_alu 0xfffd
	v_xor_b32_e32 v13, vcc_lo, v13
	v_cmp_gt_i32_e32 vcc_lo, 0, v45
	v_and_b32_e32 v10, v10, v12
	v_not_b32_e32 v12, v14
	v_ashrrev_i32_e32 v11, 31, v11
	s_wait_alu 0xf1ff
	v_xor_b32_e32 v15, s1, v15
	v_cmp_gt_i32_e64 s1, 0, v14
	v_and_b32_e32 v10, v10, v13
	v_ashrrev_i32_e32 v12, 31, v12
	s_wait_alu 0xfffd
	v_xor_b32_e32 v11, vcc_lo, v11
	v_lshl_add_u32 v46, v9, 2, v8
	v_and_b32_e32 v10, v10, v15
	s_wait_alu 0xf1ff
	v_xor_b32_e32 v8, s1, v12
	ds_load_b32 v43, v46 offset:4
	v_and_b32_e32 v9, v10, v11
	; wave barrier
	s_delay_alu instid0(VALU_DEP_1) | instskip(NEXT) | instid1(VALU_DEP_1)
	v_and_b32_e32 v8, v9, v8
	v_mbcnt_lo_u32_b32 v45, v8, 0
	v_cmp_ne_u32_e64 s1, 0, v8
	s_delay_alu instid0(VALU_DEP_2)
	v_cmp_eq_u32_e32 vcc_lo, 0, v45
	s_and_b32 s5, s1, vcc_lo
	s_wait_alu 0xfffe
	s_and_saveexec_b32 s1, s5
	s_cbranch_execz .LBB253_64
; %bb.63:
	s_wait_dscnt 0x0
	v_bcnt_u32_b32 v8, v8, v43
	ds_store_b32 v46, v8 offset:4
.LBB253_64:
	s_wait_alu 0xfffe
	s_or_b32 exec_lo, exec_lo, s1
	; wave barrier
	; wave barrier
	s_wait_loadcnt_dscnt 0x0
	global_inv scope:SCOPE_SE
	ds_load_2addr_b32 v[14:15], v42 offset0:1 offset1:2
	ds_load_2addr_b32 v[12:13], v42 offset0:3 offset1:4
	;; [unrolled: 1-line block ×4, first 2 shown]
	s_wait_dscnt 0x3
	v_add_nc_u32_e32 v47, v15, v14
	s_wait_dscnt 0x2
	s_delay_alu instid0(VALU_DEP_1) | instskip(SKIP_1) | instid1(VALU_DEP_1)
	v_add3_u32 v47, v47, v12, v13
	s_wait_dscnt 0x1
	v_add3_u32 v47, v47, v10, v11
	s_wait_dscnt 0x0
	s_delay_alu instid0(VALU_DEP_1) | instskip(NEXT) | instid1(VALU_DEP_1)
	v_add3_u32 v9, v47, v8, v9
	v_mov_b32_dpp v47, v9 row_shr:1 row_mask:0xf bank_mask:0xf
	s_delay_alu instid0(VALU_DEP_1) | instskip(NEXT) | instid1(VALU_DEP_1)
	v_cndmask_b32_e64 v47, v47, 0, s6
	v_add_nc_u32_e32 v9, v47, v9
	s_delay_alu instid0(VALU_DEP_1) | instskip(NEXT) | instid1(VALU_DEP_1)
	v_mov_b32_dpp v47, v9 row_shr:2 row_mask:0xf bank_mask:0xf
	v_cndmask_b32_e64 v47, 0, v47, s7
	s_delay_alu instid0(VALU_DEP_1) | instskip(NEXT) | instid1(VALU_DEP_1)
	v_add_nc_u32_e32 v9, v9, v47
	v_mov_b32_dpp v47, v9 row_shr:4 row_mask:0xf bank_mask:0xf
	s_delay_alu instid0(VALU_DEP_1) | instskip(NEXT) | instid1(VALU_DEP_1)
	v_cndmask_b32_e64 v47, 0, v47, s8
	v_add_nc_u32_e32 v9, v9, v47
	s_delay_alu instid0(VALU_DEP_1) | instskip(NEXT) | instid1(VALU_DEP_1)
	v_mov_b32_dpp v47, v9 row_shr:8 row_mask:0xf bank_mask:0xf
	v_cndmask_b32_e64 v47, 0, v47, s9
	s_delay_alu instid0(VALU_DEP_1) | instskip(SKIP_3) | instid1(VALU_DEP_1)
	v_add_nc_u32_e32 v9, v9, v47
	ds_swizzle_b32 v47, v9 offset:swizzle(BROADCAST,32,15)
	s_wait_dscnt 0x0
	v_cndmask_b32_e64 v47, v47, 0, s11
	v_add_nc_u32_e32 v9, v9, v47
	s_and_saveexec_b32 s1, s10
; %bb.65:
	v_mov_b32_e32 v47, 0
	ds_store_b32 v47, v9
; %bb.66:
	s_wait_alu 0xfffe
	s_or_b32 exec_lo, exec_lo, s1
	ds_bpermute_b32 v9, v44, v9
	; wave barrier
	s_wait_loadcnt_dscnt 0x0
	global_inv scope:SCOPE_SE
	v_cndmask_b32_e64 v9, v9, 0, s15
	s_delay_alu instid0(VALU_DEP_1) | instskip(NEXT) | instid1(VALU_DEP_1)
	v_add_nc_u32_e32 v14, v9, v14
	v_add_nc_u32_e32 v15, v14, v15
	s_delay_alu instid0(VALU_DEP_1) | instskip(NEXT) | instid1(VALU_DEP_1)
	v_add_nc_u32_e32 v12, v15, v12
	v_add_nc_u32_e32 v13, v12, v13
	;; [unrolled: 3-line block ×3, first 2 shown]
	s_delay_alu instid0(VALU_DEP_1)
	v_add_nc_u32_e32 v8, v11, v8
	ds_store_2addr_b32 v42, v9, v14 offset0:1 offset1:2
	ds_store_2addr_b32 v42, v15, v12 offset0:3 offset1:4
	;; [unrolled: 1-line block ×4, first 2 shown]
	; wave barrier
	s_wait_loadcnt_dscnt 0x0
	global_inv scope:SCOPE_SE
	ds_load_b32 v8, v25 offset:4
	ds_load_b32 v9, v28 offset:4
	;; [unrolled: 1-line block ×4, first 2 shown]
	v_lshlrev_b32_e32 v12, 1, v41
	; wave barrier
	s_wait_loadcnt_dscnt 0x0
	global_inv scope:SCOPE_SE
	v_add_nc_u32_e32 v15, v8, v23
	v_add3_u32 v23, v27, v26, v9
	v_add3_u32 v25, v30, v29, v10
	;; [unrolled: 1-line block ×3, first 2 shown]
	s_delay_alu instid0(VALU_DEP_4) | instskip(NEXT) | instid1(VALU_DEP_4)
	v_lshlrev_b32_e32 v8, 1, v15
	v_lshlrev_b32_e32 v9, 1, v23
	s_delay_alu instid0(VALU_DEP_4) | instskip(NEXT) | instid1(VALU_DEP_4)
	v_lshlrev_b32_e32 v10, 1, v25
	v_lshlrev_b32_e32 v11, 1, v26
	ds_store_b16 v8, v16
	ds_store_b16 v9, v21
	;; [unrolled: 1-line block ×4, first 2 shown]
	; wave barrier
	s_wait_loadcnt_dscnt 0x0
	global_inv scope:SCOPE_SE
	ds_load_b64 v[13:14], v12
	v_mad_co_u64_u32 v[15:16], null, v15, 6, v[8:9]
	v_mad_co_u64_u32 v[8:9], null, v23, 6, v[9:10]
	;; [unrolled: 1-line block ×3, first 2 shown]
	; wave barrier
	s_wait_loadcnt_dscnt 0x0
	global_inv scope:SCOPE_SE
	ds_store_b64 v15, v[4:5]
	ds_store_b64 v8, v[6:7]
	v_cmp_gt_i16_e32 vcc_lo, 0, v13
	v_lshrrev_b32_e32 v10, 16, v13
	v_lshrrev_b32_e32 v16, 16, v14
	s_wait_alu 0xfffd
	v_cndmask_b32_e64 v12, 0x7fff, 0, vcc_lo
	v_cmp_gt_i16_e32 vcc_lo, 0, v14
	s_wait_alu 0xfffd
	v_cndmask_b32_e64 v21, 0x7fff, 0, vcc_lo
	v_cmp_gt_i16_e32 vcc_lo, 0, v10
	v_mad_co_u64_u32 v[10:11], null, v26, 6, v[11:12]
	ds_store_b64 v9, v[0:1]
	ds_store_b64 v10, v[2:3]
	s_wait_alu 0xfffd
	v_cndmask_b32_e64 v22, 0x7fff, 0, vcc_lo
	v_cmp_gt_i16_e32 vcc_lo, 0, v16
	; wave barrier
	s_wait_loadcnt_dscnt 0x0
	global_inv scope:SCOPE_SE
	v_perm_b32 v11, v22, v12, 0x5040100
	s_wait_alu 0xfffd
	v_cndmask_b32_e64 v16, 0x7fff, 0, vcc_lo
	s_delay_alu instid0(VALU_DEP_2) | instskip(NEXT) | instid1(VALU_DEP_2)
	v_xor_b32_e32 v13, v11, v13
	v_perm_b32 v12, v16, v21, 0x5040100
	s_delay_alu instid0(VALU_DEP_1)
	v_xor_b32_e32 v14, v12, v14
.LBB253_67:
	ds_load_b128 v[0:3], v40
	ds_load_b128 v[4:7], v40 offset:16
	; wave barrier
	s_wait_loadcnt_dscnt 0x0
	global_inv scope:SCOPE_SE
	ds_store_2addr_b32 v35, v13, v14 offset1:1
	; wave barrier
	s_wait_loadcnt_dscnt 0x0
	global_inv scope:SCOPE_SE
	ds_load_u16 v12, v18 offset:64
	ds_load_u16 v11, v33 offset:128
	;; [unrolled: 1-line block ×3, first 2 shown]
	v_mov_b32_e32 v18, 0
	s_delay_alu instid0(VALU_DEP_1) | instskip(NEXT) | instid1(VALU_DEP_1)
	v_lshlrev_b64_e32 v[8:9], 1, v[17:18]
	v_add_co_u32 v8, vcc_lo, s18, v8
	s_wait_alu 0xfffd
	s_delay_alu instid0(VALU_DEP_2)
	v_add_co_ci_u32_e64 v9, null, s19, v9, vcc_lo
	s_and_saveexec_b32 s1, s2
	s_cbranch_execnz .LBB253_78
; %bb.68:
	s_wait_alu 0xfffe
	s_or_b32 exec_lo, exec_lo, s1
	s_and_saveexec_b32 s1, s3
	s_cbranch_execnz .LBB253_79
.LBB253_69:
	s_wait_alu 0xfffe
	s_or_b32 exec_lo, exec_lo, s1
	s_and_saveexec_b32 s1, s4
	s_cbranch_execnz .LBB253_80
.LBB253_70:
	s_wait_alu 0xfffe
	s_or_b32 exec_lo, exec_lo, s1
	s_and_saveexec_b32 s1, s0
	s_cbranch_execz .LBB253_72
.LBB253_71:
	s_mul_i32 s6, s14, 0x60
	s_mov_b32 s7, 0
	s_wait_alu 0xfffe
	s_lshl_b64 s[6:7], s[6:7], 1
	s_wait_alu 0xfffe
	v_add_co_u32 v8, vcc_lo, v8, s6
	s_wait_alu 0xfffd
	v_add_co_ci_u32_e64 v9, null, s7, v9, vcc_lo
	s_wait_dscnt 0x0
	global_store_b16 v[8:9], v10, off
.LBB253_72:
	s_wait_alu 0xfffe
	s_or_b32 exec_lo, exec_lo, s1
	s_wait_storecnt 0x0
	; wave barrier
	s_wait_loadcnt_dscnt 0x0
	global_inv scope:SCOPE_SE
	ds_store_2addr_b64 v39, v[0:1], v[2:3] offset1:1
	ds_store_2addr_b64 v39, v[4:5], v[6:7] offset0:2 offset1:3
	; wave barrier
	s_wait_loadcnt_dscnt 0x0
	global_inv scope:SCOPE_SE
	ds_load_b64 v[6:7], v20 offset:256
	ds_load_b64 v[4:5], v37 offset:512
	;; [unrolled: 1-line block ×3, first 2 shown]
	v_mov_b32_e32 v20, 0
	s_delay_alu instid0(VALU_DEP_1) | instskip(NEXT) | instid1(VALU_DEP_1)
	v_lshlrev_b64_e32 v[2:3], 3, v[19:20]
	v_add_co_u32 v2, vcc_lo, s20, v2
	s_wait_alu 0xfffd
	s_delay_alu instid0(VALU_DEP_2)
	v_add_co_ci_u32_e64 v3, null, s21, v3, vcc_lo
	s_and_saveexec_b32 s1, s2
	s_cbranch_execnz .LBB253_81
; %bb.73:
	s_wait_alu 0xfffe
	s_or_b32 exec_lo, exec_lo, s1
	s_and_saveexec_b32 s1, s3
	s_cbranch_execnz .LBB253_82
.LBB253_74:
	s_wait_alu 0xfffe
	s_or_b32 exec_lo, exec_lo, s1
	s_and_saveexec_b32 s1, s4
	s_cbranch_execnz .LBB253_83
.LBB253_75:
	s_wait_alu 0xfffe
	s_or_b32 exec_lo, exec_lo, s1
	s_and_saveexec_b32 s1, s0
	s_cbranch_execz .LBB253_77
.LBB253_76:
	s_mul_i32 s0, s16, 0x60
	s_mov_b32 s1, 0
	s_wait_alu 0xfffe
	s_lshl_b64 s[0:1], s[0:1], 3
	s_wait_alu 0xfffe
	v_add_co_u32 v2, vcc_lo, v2, s0
	s_wait_alu 0xfffd
	v_add_co_ci_u32_e64 v3, null, s1, v3, vcc_lo
	s_wait_dscnt 0x0
	global_store_b64 v[2:3], v[0:1], off
.LBB253_77:
	s_endpgm
.LBB253_78:
	ds_load_u16 v13, v32
	s_wait_dscnt 0x0
	global_store_b16 v[8:9], v13, off
	s_wait_alu 0xfffe
	s_or_b32 exec_lo, exec_lo, s1
	s_and_saveexec_b32 s1, s3
	s_cbranch_execz .LBB253_69
.LBB253_79:
	s_lshl_b32 s6, s14, 5
	s_mov_b32 s7, 0
	s_wait_alu 0xfffe
	s_lshl_b64 s[6:7], s[6:7], 1
	s_wait_alu 0xfffe
	v_add_co_u32 v13, vcc_lo, v8, s6
	s_wait_alu 0xfffd
	v_add_co_ci_u32_e64 v14, null, s7, v9, vcc_lo
	s_wait_dscnt 0x2
	global_store_b16 v[13:14], v12, off
	s_or_b32 exec_lo, exec_lo, s1
	s_and_saveexec_b32 s1, s4
	s_cbranch_execz .LBB253_70
.LBB253_80:
	s_lshl_b32 s6, s14, 6
	s_mov_b32 s7, 0
	s_wait_alu 0xfffe
	s_lshl_b64 s[6:7], s[6:7], 1
	s_wait_dscnt 0x2
	s_wait_alu 0xfffe
	v_add_co_u32 v12, vcc_lo, v8, s6
	s_wait_alu 0xfffd
	v_add_co_ci_u32_e64 v13, null, s7, v9, vcc_lo
	s_wait_dscnt 0x1
	global_store_b16 v[12:13], v11, off
	s_or_b32 exec_lo, exec_lo, s1
	s_and_saveexec_b32 s1, s0
	s_cbranch_execnz .LBB253_71
	s_branch .LBB253_72
.LBB253_81:
	ds_load_b64 v[8:9], v36
	s_wait_dscnt 0x0
	global_store_b64 v[2:3], v[8:9], off
	s_wait_alu 0xfffe
	s_or_b32 exec_lo, exec_lo, s1
	s_and_saveexec_b32 s1, s3
	s_cbranch_execz .LBB253_74
.LBB253_82:
	s_lshl_b32 s2, s16, 5
	s_mov_b32 s3, 0
	s_delay_alu instid0(SALU_CYCLE_1) | instskip(NEXT) | instid1(SALU_CYCLE_1)
	s_lshl_b64 s[2:3], s[2:3], 3
	v_add_co_u32 v8, vcc_lo, v2, s2
	s_wait_alu 0xfffd
	v_add_co_ci_u32_e64 v9, null, s3, v3, vcc_lo
	s_wait_dscnt 0x2
	global_store_b64 v[8:9], v[6:7], off
	s_wait_alu 0xfffe
	s_or_b32 exec_lo, exec_lo, s1
	s_and_saveexec_b32 s1, s4
	s_cbranch_execz .LBB253_75
.LBB253_83:
	s_lshl_b32 s2, s16, 6
	s_mov_b32 s3, 0
	s_wait_alu 0xfffe
	s_lshl_b64 s[2:3], s[2:3], 3
	s_wait_dscnt 0x2
	s_wait_alu 0xfffe
	v_add_co_u32 v6, vcc_lo, v2, s2
	s_wait_alu 0xfffd
	v_add_co_ci_u32_e64 v7, null, s3, v3, vcc_lo
	s_wait_dscnt 0x1
	global_store_b64 v[6:7], v[4:5], off
	s_or_b32 exec_lo, exec_lo, s1
	s_and_saveexec_b32 s1, s0
	s_cbranch_execnz .LBB253_76
	s_branch .LBB253_77
	.section	.rodata,"a",@progbits
	.p2align	6, 0x0
	.amdhsa_kernel _ZN2at6native18radixSortKVInPlaceILin1ELin1ELi32ELi4EN3c108BFloat16EljEEvNS_4cuda6detail10TensorInfoIT3_T5_EES8_S8_S8_NS6_IT4_S8_EES8_b
		.amdhsa_group_segment_fixed_size 1056
		.amdhsa_private_segment_fixed_size 0
		.amdhsa_kernarg_size 712
		.amdhsa_user_sgpr_count 2
		.amdhsa_user_sgpr_dispatch_ptr 0
		.amdhsa_user_sgpr_queue_ptr 0
		.amdhsa_user_sgpr_kernarg_segment_ptr 1
		.amdhsa_user_sgpr_dispatch_id 0
		.amdhsa_user_sgpr_private_segment_size 0
		.amdhsa_wavefront_size32 1
		.amdhsa_uses_dynamic_stack 0
		.amdhsa_enable_private_segment 0
		.amdhsa_system_sgpr_workgroup_id_x 1
		.amdhsa_system_sgpr_workgroup_id_y 1
		.amdhsa_system_sgpr_workgroup_id_z 1
		.amdhsa_system_sgpr_workgroup_info 0
		.amdhsa_system_vgpr_workitem_id 2
		.amdhsa_next_free_vgpr 94
		.amdhsa_next_free_sgpr 24
		.amdhsa_reserve_vcc 1
		.amdhsa_float_round_mode_32 0
		.amdhsa_float_round_mode_16_64 0
		.amdhsa_float_denorm_mode_32 3
		.amdhsa_float_denorm_mode_16_64 3
		.amdhsa_fp16_overflow 0
		.amdhsa_workgroup_processor_mode 1
		.amdhsa_memory_ordered 1
		.amdhsa_forward_progress 1
		.amdhsa_inst_pref_size 111
		.amdhsa_round_robin_scheduling 0
		.amdhsa_exception_fp_ieee_invalid_op 0
		.amdhsa_exception_fp_denorm_src 0
		.amdhsa_exception_fp_ieee_div_zero 0
		.amdhsa_exception_fp_ieee_overflow 0
		.amdhsa_exception_fp_ieee_underflow 0
		.amdhsa_exception_fp_ieee_inexact 0
		.amdhsa_exception_int_div_zero 0
	.end_amdhsa_kernel
	.section	.text._ZN2at6native18radixSortKVInPlaceILin1ELin1ELi32ELi4EN3c108BFloat16EljEEvNS_4cuda6detail10TensorInfoIT3_T5_EES8_S8_S8_NS6_IT4_S8_EES8_b,"axG",@progbits,_ZN2at6native18radixSortKVInPlaceILin1ELin1ELi32ELi4EN3c108BFloat16EljEEvNS_4cuda6detail10TensorInfoIT3_T5_EES8_S8_S8_NS6_IT4_S8_EES8_b,comdat
.Lfunc_end253:
	.size	_ZN2at6native18radixSortKVInPlaceILin1ELin1ELi32ELi4EN3c108BFloat16EljEEvNS_4cuda6detail10TensorInfoIT3_T5_EES8_S8_S8_NS6_IT4_S8_EES8_b, .Lfunc_end253-_ZN2at6native18radixSortKVInPlaceILin1ELin1ELi32ELi4EN3c108BFloat16EljEEvNS_4cuda6detail10TensorInfoIT3_T5_EES8_S8_S8_NS6_IT4_S8_EES8_b
                                        ; -- End function
	.set _ZN2at6native18radixSortKVInPlaceILin1ELin1ELi32ELi4EN3c108BFloat16EljEEvNS_4cuda6detail10TensorInfoIT3_T5_EES8_S8_S8_NS6_IT4_S8_EES8_b.num_vgpr, 94
	.set _ZN2at6native18radixSortKVInPlaceILin1ELin1ELi32ELi4EN3c108BFloat16EljEEvNS_4cuda6detail10TensorInfoIT3_T5_EES8_S8_S8_NS6_IT4_S8_EES8_b.num_agpr, 0
	.set _ZN2at6native18radixSortKVInPlaceILin1ELin1ELi32ELi4EN3c108BFloat16EljEEvNS_4cuda6detail10TensorInfoIT3_T5_EES8_S8_S8_NS6_IT4_S8_EES8_b.numbered_sgpr, 24
	.set _ZN2at6native18radixSortKVInPlaceILin1ELin1ELi32ELi4EN3c108BFloat16EljEEvNS_4cuda6detail10TensorInfoIT3_T5_EES8_S8_S8_NS6_IT4_S8_EES8_b.num_named_barrier, 0
	.set _ZN2at6native18radixSortKVInPlaceILin1ELin1ELi32ELi4EN3c108BFloat16EljEEvNS_4cuda6detail10TensorInfoIT3_T5_EES8_S8_S8_NS6_IT4_S8_EES8_b.private_seg_size, 0
	.set _ZN2at6native18radixSortKVInPlaceILin1ELin1ELi32ELi4EN3c108BFloat16EljEEvNS_4cuda6detail10TensorInfoIT3_T5_EES8_S8_S8_NS6_IT4_S8_EES8_b.uses_vcc, 1
	.set _ZN2at6native18radixSortKVInPlaceILin1ELin1ELi32ELi4EN3c108BFloat16EljEEvNS_4cuda6detail10TensorInfoIT3_T5_EES8_S8_S8_NS6_IT4_S8_EES8_b.uses_flat_scratch, 0
	.set _ZN2at6native18radixSortKVInPlaceILin1ELin1ELi32ELi4EN3c108BFloat16EljEEvNS_4cuda6detail10TensorInfoIT3_T5_EES8_S8_S8_NS6_IT4_S8_EES8_b.has_dyn_sized_stack, 0
	.set _ZN2at6native18radixSortKVInPlaceILin1ELin1ELi32ELi4EN3c108BFloat16EljEEvNS_4cuda6detail10TensorInfoIT3_T5_EES8_S8_S8_NS6_IT4_S8_EES8_b.has_recursion, 0
	.set _ZN2at6native18radixSortKVInPlaceILin1ELin1ELi32ELi4EN3c108BFloat16EljEEvNS_4cuda6detail10TensorInfoIT3_T5_EES8_S8_S8_NS6_IT4_S8_EES8_b.has_indirect_call, 0
	.section	.AMDGPU.csdata,"",@progbits
; Kernel info:
; codeLenInByte = 14184
; TotalNumSgprs: 26
; NumVgprs: 94
; ScratchSize: 0
; MemoryBound: 0
; FloatMode: 240
; IeeeMode: 1
; LDSByteSize: 1056 bytes/workgroup (compile time only)
; SGPRBlocks: 0
; VGPRBlocks: 11
; NumSGPRsForWavesPerEU: 26
; NumVGPRsForWavesPerEU: 94
; Occupancy: 16
; WaveLimiterHint : 1
; COMPUTE_PGM_RSRC2:SCRATCH_EN: 0
; COMPUTE_PGM_RSRC2:USER_SGPR: 2
; COMPUTE_PGM_RSRC2:TRAP_HANDLER: 0
; COMPUTE_PGM_RSRC2:TGID_X_EN: 1
; COMPUTE_PGM_RSRC2:TGID_Y_EN: 1
; COMPUTE_PGM_RSRC2:TGID_Z_EN: 1
; COMPUTE_PGM_RSRC2:TIDIG_COMP_CNT: 2
	.section	.text._ZN2at6native18radixSortKVInPlaceILin1ELin1ELi16ELi2EN3c108BFloat16EljEEvNS_4cuda6detail10TensorInfoIT3_T5_EES8_S8_S8_NS6_IT4_S8_EES8_b,"axG",@progbits,_ZN2at6native18radixSortKVInPlaceILin1ELin1ELi16ELi2EN3c108BFloat16EljEEvNS_4cuda6detail10TensorInfoIT3_T5_EES8_S8_S8_NS6_IT4_S8_EES8_b,comdat
	.protected	_ZN2at6native18radixSortKVInPlaceILin1ELin1ELi16ELi2EN3c108BFloat16EljEEvNS_4cuda6detail10TensorInfoIT3_T5_EES8_S8_S8_NS6_IT4_S8_EES8_b ; -- Begin function _ZN2at6native18radixSortKVInPlaceILin1ELin1ELi16ELi2EN3c108BFloat16EljEEvNS_4cuda6detail10TensorInfoIT3_T5_EES8_S8_S8_NS6_IT4_S8_EES8_b
	.globl	_ZN2at6native18radixSortKVInPlaceILin1ELin1ELi16ELi2EN3c108BFloat16EljEEvNS_4cuda6detail10TensorInfoIT3_T5_EES8_S8_S8_NS6_IT4_S8_EES8_b
	.p2align	8
	.type	_ZN2at6native18radixSortKVInPlaceILin1ELin1ELi16ELi2EN3c108BFloat16EljEEvNS_4cuda6detail10TensorInfoIT3_T5_EES8_S8_S8_NS6_IT4_S8_EES8_b,@function
_ZN2at6native18radixSortKVInPlaceILin1ELin1ELi16ELi2EN3c108BFloat16EljEEvNS_4cuda6detail10TensorInfoIT3_T5_EES8_S8_S8_NS6_IT4_S8_EES8_b: ; @_ZN2at6native18radixSortKVInPlaceILin1ELin1ELi16ELi2EN3c108BFloat16EljEEvNS_4cuda6detail10TensorInfoIT3_T5_EES8_S8_S8_NS6_IT4_S8_EES8_b
; %bb.0:
	s_clause 0x1
	s_load_b64 s[2:3], s[0:1], 0x1c8
	s_load_b96 s[8:10], s[0:1], 0xd8
	s_lshr_b32 s4, ttmp7, 16
	s_wait_kmcnt 0x0
	s_mul_i32 s3, s3, s4
	s_and_b32 s4, ttmp7, 0xffff
	s_delay_alu instid0(SALU_CYCLE_1) | instskip(NEXT) | instid1(SALU_CYCLE_1)
	s_add_co_i32 s3, s3, s4
	s_mul_i32 s2, s3, s2
	s_delay_alu instid0(SALU_CYCLE_1) | instskip(NEXT) | instid1(SALU_CYCLE_1)
	s_add_co_i32 s11, s2, ttmp9
	s_cmp_ge_u32 s11, s8
	s_cbranch_scc1 .LBB254_115
; %bb.1:
	s_load_b32 s4, s[0:1], 0xd0
	s_mov_b32 s3, 0
	s_mov_b32 s2, s11
	s_wait_kmcnt 0x0
	s_cmp_lt_i32 s4, 2
	s_cbranch_scc1 .LBB254_4
; %bb.2:
	s_add_co_i32 s2, s4, -1
	s_delay_alu instid0(SALU_CYCLE_1)
	s_lshl_b64 s[6:7], s[2:3], 2
	s_mov_b32 s2, s11
	s_add_nc_u64 s[12:13], s[0:1], s[6:7]
	s_add_co_i32 s6, s4, 1
	s_add_nc_u64 s[4:5], s[12:13], 8
.LBB254_3:                              ; =>This Inner Loop Header: Depth=1
	s_clause 0x1
	s_load_b32 s7, s[4:5], 0x0
	s_load_b32 s8, s[4:5], 0x64
	s_mov_b32 s14, s2
	s_add_nc_u64 s[4:5], s[4:5], -4
	s_wait_kmcnt 0x0
	s_cvt_f32_u32 s12, s7
	s_sub_co_i32 s13, 0, s7
	s_wait_alu 0xfffe
	s_delay_alu instid0(SALU_CYCLE_1) | instskip(NEXT) | instid1(TRANS32_DEP_1)
	v_rcp_iflag_f32_e32 v1, s12
	v_readfirstlane_b32 s12, v1
	s_mul_f32 s12, s12, 0x4f7ffffe
	s_wait_alu 0xfffe
	s_delay_alu instid0(SALU_CYCLE_2) | instskip(SKIP_1) | instid1(SALU_CYCLE_2)
	s_cvt_u32_f32 s12, s12
	s_wait_alu 0xfffe
	s_mul_i32 s13, s13, s12
	s_wait_alu 0xfffe
	s_mul_hi_u32 s13, s12, s13
	s_wait_alu 0xfffe
	s_add_co_i32 s12, s12, s13
	s_wait_alu 0xfffe
	s_mul_hi_u32 s2, s2, s12
	s_delay_alu instid0(SALU_CYCLE_1)
	s_mul_i32 s12, s2, s7
	s_add_co_i32 s13, s2, 1
	s_wait_alu 0xfffe
	s_sub_co_i32 s12, s14, s12
	s_wait_alu 0xfffe
	s_sub_co_i32 s15, s12, s7
	s_cmp_ge_u32 s12, s7
	s_cselect_b32 s2, s13, s2
	s_cselect_b32 s12, s15, s12
	s_add_co_i32 s13, s2, 1
	s_wait_alu 0xfffe
	s_cmp_ge_u32 s12, s7
	s_cselect_b32 s2, s13, s2
	s_add_co_i32 s6, s6, -1
	s_mul_i32 s7, s2, s7
	s_delay_alu instid0(SALU_CYCLE_1) | instskip(NEXT) | instid1(SALU_CYCLE_1)
	s_sub_co_i32 s7, s14, s7
	s_mul_i32 s7, s8, s7
	s_delay_alu instid0(SALU_CYCLE_1)
	s_add_co_i32 s3, s7, s3
	s_cmp_gt_u32 s6, 2
	s_cbranch_scc1 .LBB254_3
.LBB254_4:
	s_load_b32 s6, s[0:1], 0x1b8
	s_mov_b32 s5, 0
	s_wait_kmcnt 0x0
	s_cmp_lt_i32 s6, 2
	s_cbranch_scc1 .LBB254_7
; %bb.5:
	s_add_co_i32 s4, s6, -1
	s_delay_alu instid0(SALU_CYCLE_1)
	s_lshl_b64 s[12:13], s[4:5], 2
	s_add_co_i32 s4, s6, 1
	s_wait_alu 0xfffe
	s_add_nc_u64 s[12:13], s[0:1], s[12:13]
	s_wait_alu 0xfffe
	s_add_nc_u64 s[6:7], s[12:13], 0xf0
.LBB254_6:                              ; =>This Inner Loop Header: Depth=1
	s_clause 0x1
	s_load_b32 s8, s[6:7], 0x0
	s_load_b32 s12, s[6:7], 0x64
	s_mov_b32 s15, s11
	s_add_nc_u64 s[6:7], s[6:7], -4
	s_wait_kmcnt 0x0
	s_cvt_f32_u32 s13, s8
	s_sub_co_i32 s14, 0, s8
	s_wait_alu 0xfffe
	s_delay_alu instid0(SALU_CYCLE_1) | instskip(NEXT) | instid1(TRANS32_DEP_1)
	v_rcp_iflag_f32_e32 v1, s13
	v_readfirstlane_b32 s13, v1
	s_mul_f32 s13, s13, 0x4f7ffffe
	s_wait_alu 0xfffe
	s_delay_alu instid0(SALU_CYCLE_2) | instskip(SKIP_1) | instid1(SALU_CYCLE_2)
	s_cvt_u32_f32 s13, s13
	s_wait_alu 0xfffe
	s_mul_i32 s14, s14, s13
	s_delay_alu instid0(SALU_CYCLE_1) | instskip(NEXT) | instid1(SALU_CYCLE_1)
	s_mul_hi_u32 s14, s13, s14
	s_add_co_i32 s13, s13, s14
	s_wait_alu 0xfffe
	s_mul_hi_u32 s11, s11, s13
	s_delay_alu instid0(SALU_CYCLE_1)
	s_mul_i32 s13, s11, s8
	s_add_co_i32 s14, s11, 1
	s_wait_alu 0xfffe
	s_sub_co_i32 s13, s15, s13
	s_wait_alu 0xfffe
	s_sub_co_i32 s16, s13, s8
	s_cmp_ge_u32 s13, s8
	s_cselect_b32 s11, s14, s11
	s_cselect_b32 s13, s16, s13
	s_add_co_i32 s14, s11, 1
	s_wait_alu 0xfffe
	s_cmp_ge_u32 s13, s8
	s_cselect_b32 s11, s14, s11
	s_add_co_i32 s4, s4, -1
	s_mul_i32 s8, s11, s8
	s_delay_alu instid0(SALU_CYCLE_1) | instskip(NEXT) | instid1(SALU_CYCLE_1)
	s_sub_co_i32 s8, s15, s8
	s_mul_i32 s8, s12, s8
	s_delay_alu instid0(SALU_CYCLE_1)
	s_add_co_i32 s5, s8, s5
	s_cmp_gt_u32 s4, 2
	s_cbranch_scc1 .LBB254_6
.LBB254_7:
	s_clause 0x2
	s_load_b32 s4, s[0:1], 0x6c
	s_load_b64 s[12:13], s[0:1], 0x1c0
	s_load_b64 s[6:7], s[0:1], 0x0
	v_mul_lo_u32 v20, s10, v0
	s_mov_b32 s15, 0
	s_wait_kmcnt 0x0
	s_mul_i32 s2, s4, s2
	s_delay_alu instid0(SALU_CYCLE_1) | instskip(SKIP_3) | instid1(SALU_CYCLE_1)
	s_add_co_i32 s14, s2, s3
	s_bitcmp1_b32 s13, 0
	s_mov_b32 s2, 0xffff
	s_cselect_b32 s3, -1, 0
	s_and_b32 s4, s3, exec_lo
	s_cselect_b32 s8, s2, 0x7fff
	v_cmp_gt_u32_e64 s2, s9, v0
	v_mov_b32_e32 v1, s8
	s_lshl_b64 s[14:15], s[14:15], 1
	s_delay_alu instid0(SALU_CYCLE_1)
	s_add_nc_u64 s[14:15], s[6:7], s[14:15]
	s_and_saveexec_b32 s4, s2
	s_cbranch_execz .LBB254_9
; %bb.8:
	v_mov_b32_e32 v21, 0
	s_delay_alu instid0(VALU_DEP_1) | instskip(NEXT) | instid1(VALU_DEP_1)
	v_lshlrev_b64_e32 v[1:2], 1, v[20:21]
	v_add_co_u32 v1, vcc_lo, s14, v1
	s_delay_alu instid0(VALU_DEP_1)
	v_add_co_ci_u32_e64 v2, null, s15, v2, vcc_lo
	global_load_u16 v1, v[1:2], off
.LBB254_9:
	s_or_b32 exec_lo, exec_lo, s4
	s_clause 0x1
	s_load_b32 s4, s[0:1], 0x154
	s_load_b64 s[6:7], s[0:1], 0xe8
	v_or_b32_e32 v3, 16, v0
	v_mov_b32_e32 v2, s8
	s_delay_alu instid0(VALU_DEP_2)
	v_cmp_gt_u32_e64 s0, s9, v3
	s_and_saveexec_b32 s1, s0
	s_cbranch_execz .LBB254_11
; %bb.10:
	v_mul_lo_u32 v4, s10, v3
	v_mov_b32_e32 v5, 0
	s_delay_alu instid0(VALU_DEP_1) | instskip(NEXT) | instid1(VALU_DEP_1)
	v_lshlrev_b64_e32 v[4:5], 1, v[4:5]
	v_add_co_u32 v4, vcc_lo, s14, v4
	s_wait_alu 0xfffd
	s_delay_alu instid0(VALU_DEP_2)
	v_add_co_ci_u32_e64 v5, null, s15, v5, vcc_lo
	global_load_u16 v2, v[4:5], off
.LBB254_11:
	s_or_b32 exec_lo, exec_lo, s1
	v_lshlrev_b32_e32 v22, 1, v0
	v_dual_mov_b32 v18, 0 :: v_dual_lshlrev_b32 v21, 2, v0
	s_wait_kmcnt 0x0
	s_mul_i32 s1, s4, s11
	v_mul_lo_u32 v17, s12, v0
	s_wait_loadcnt 0x0
	ds_store_b16 v22, v1
	ds_store_b16 v22, v2 offset:32
	s_wait_dscnt 0x0
	; wave barrier
	global_inv scope:SCOPE_SE
	ds_load_b32 v27, v21
	s_add_co_i32 s4, s1, s5
	s_mov_b32 s5, 0
	v_mov_b32_e32 v1, 0
	v_dual_mov_b32 v2, 0 :: v_dual_mov_b32 v19, v18
	s_lshl_b64 s[4:5], s[4:5], 3
	s_wait_loadcnt_dscnt 0x0
	s_add_nc_u64 s[8:9], s[6:7], s[4:5]
	; wave barrier
	global_inv scope:SCOPE_SE
	s_and_saveexec_b32 s1, s2
	s_cbranch_execz .LBB254_13
; %bb.12:
	v_lshlrev_b64_e32 v[1:2], 3, v[17:18]
	v_mov_b32_e32 v19, v18
	s_wait_alu 0xfffe
	s_delay_alu instid0(VALU_DEP_2) | instskip(SKIP_1) | instid1(VALU_DEP_3)
	v_add_co_u32 v1, vcc_lo, s8, v1
	s_wait_alu 0xfffd
	v_add_co_ci_u32_e64 v2, null, s9, v2, vcc_lo
	global_load_b64 v[1:2], v[1:2], off
.LBB254_13:
	s_or_b32 exec_lo, exec_lo, s1
	s_xor_b32 s16, s3, -1
	s_and_saveexec_b32 s1, s0
	s_cbranch_execz .LBB254_15
; %bb.14:
	v_mul_lo_u32 v3, s12, v3
	v_mov_b32_e32 v4, 0
	s_delay_alu instid0(VALU_DEP_1) | instskip(SKIP_1) | instid1(VALU_DEP_1)
	v_lshlrev_b64_e32 v[3:4], 3, v[3:4]
	s_wait_alu 0xfffe
	v_add_co_u32 v3, vcc_lo, s8, v3
	s_wait_alu 0xfffd
	s_delay_alu instid0(VALU_DEP_2)
	v_add_co_ci_u32_e64 v4, null, s9, v4, vcc_lo
	global_load_b64 v[18:19], v[3:4], off
.LBB254_15:
	s_or_b32 exec_lo, exec_lo, s1
	v_mbcnt_lo_u32_b32 v5, -1, 0
	v_lshlrev_b32_e32 v23, 3, v0
	s_getpc_b64 s[4:5]
	s_sext_i32_i16 s5, s5
	s_add_co_u32 s4, s4, _ZN7rocprim17ROCPRIM_400000_NS16block_radix_sortI12hip_bfloat16Lj16ELj2ElLj1ELj1ELj0ELNS0_26block_radix_rank_algorithmE1ELNS0_18block_padding_hintE2ELNS0_4arch9wavefront6targetE0EE19radix_bits_per_passE@rel32@lo+8
	s_add_co_ci_u32 s5, s5, _ZN7rocprim17ROCPRIM_400000_NS16block_radix_sortI12hip_bfloat16Lj16ELj2ElLj1ELj1ELj0ELNS0_26block_radix_rank_algorithmE1ELNS0_18block_padding_hintE2ELNS0_4arch9wavefront6targetE0EE19radix_bits_per_passE@rel32@hi+16
	v_lshlrev_b32_e32 v25, 5, v0
	s_load_b32 s13, s[4:5], 0x0
	v_sub_co_u32 v7, s11, v5, 1
	v_and_b32_e32 v8, 16, v5
	s_wait_loadcnt 0x0
	ds_store_2addr_b64 v23, v[1:2], v[18:19] offset1:16
	s_wait_dscnt 0x0
	; wave barrier
	global_inv scope:SCOPE_SE
	v_and_b32_e32 v6, 15, v5
	v_cmp_lt_i32_e32 vcc_lo, v7, v8
	v_lshlrev_b32_e32 v24, 3, v22
	v_mad_i32_i24 v19, 0xffffffe4, v0, v25
	v_lshrrev_b32_e32 v28, 16, v27
	v_cmp_gt_u32_e64 s7, 0x80, v0
	s_wait_alu 0xfffd
	v_cndmask_b32_e32 v5, v7, v5, vcc_lo
	ds_load_2addr_b64 v[1:4], v24 offset1:1
	v_cmp_eq_u32_e64 s5, 0, v6
	v_cmp_lt_u32_e64 s3, 1, v6
	v_cmp_lt_u32_e64 s6, 3, v6
	;; [unrolled: 1-line block ×3, first 2 shown]
	v_cmp_eq_u32_e64 s1, 15, v0
	v_lshlrev_b32_e32 v26, 2, v5
	v_mad_u32_u24 v18, v0, 12, v19
	s_and_b32 vcc_lo, exec_lo, s16
	s_mov_b32 s16, -1
	; wave barrier
	s_wait_loadcnt_dscnt 0x0
	global_inv scope:SCOPE_SE
	s_wait_alu 0xfffe
	s_cbranch_vccz .LBB254_61
; %bb.16:
	s_and_saveexec_b32 s16, s7
	s_cbranch_execz .LBB254_25
; %bb.17:
	v_mov_b32_e32 v5, 0
	v_cmp_gt_u32_e32 vcc_lo, 0x70, v0
	ds_store_b32 v21, v5
	s_and_b32 exec_lo, exec_lo, vcc_lo
	s_cbranch_execz .LBB254_25
; %bb.18:
	v_cmp_gt_u32_e32 vcc_lo, 0x60, v0
	ds_store_b32 v21, v5 offset:64
	s_and_b32 exec_lo, exec_lo, vcc_lo
	s_cbranch_execz .LBB254_25
; %bb.19:
	v_mov_b32_e32 v5, 0
	v_cmp_gt_u32_e32 vcc_lo, 0x50, v0
	ds_store_b32 v21, v5 offset:128
	s_and_b32 exec_lo, exec_lo, vcc_lo
	s_cbranch_execz .LBB254_25
; %bb.20:
	v_cmp_gt_u32_e32 vcc_lo, 64, v0
	ds_store_b32 v21, v5 offset:192
	s_and_b32 exec_lo, exec_lo, vcc_lo
	s_cbranch_execz .LBB254_25
; %bb.21:
	v_mov_b32_e32 v5, 0
	v_cmp_gt_u32_e32 vcc_lo, 48, v0
	ds_store_b32 v21, v5 offset:256
	;; [unrolled: 11-line block ×3, first 2 shown]
	s_and_b32 exec_lo, exec_lo, vcc_lo
; %bb.24:
	ds_store_b32 v21, v5 offset:448
.LBB254_25:
	s_or_b32 exec_lo, exec_lo, s16
	v_cmp_lt_i16_e32 vcc_lo, -1, v27
	s_wait_kmcnt 0x0
	s_min_u32 s16, s13, 16
	s_delay_alu instid0(SALU_CYCLE_1) | instskip(NEXT) | instid1(SALU_CYCLE_1)
	s_lshl_b32 s16, -1, s16
	s_not_b32 s16, s16
	s_wait_alu 0xfffd
	v_cndmask_b32_e64 v5, -1, 0xffff8000, vcc_lo
	s_delay_alu instid0(VALU_DEP_1) | instskip(NEXT) | instid1(VALU_DEP_1)
	v_xor_b32_e32 v13, v5, v27
	v_cmp_ne_u16_e32 vcc_lo, 0x7fff, v13
	s_wait_alu 0xfffd
	v_cndmask_b32_e32 v5, 0xffff8000, v13, vcc_lo
	v_cmp_lt_i16_e32 vcc_lo, -1, v28
	s_delay_alu instid0(VALU_DEP_2) | instskip(SKIP_2) | instid1(VALU_DEP_2)
	v_and_b32_e32 v5, 0xffff, v5
	s_wait_alu 0xfffd
	v_cndmask_b32_e64 v7, -1, 0xffff8000, vcc_lo
	v_and_b32_e32 v5, s16, v5
	s_delay_alu instid0(VALU_DEP_2) | instskip(NEXT) | instid1(VALU_DEP_1)
	v_xor_b32_e32 v14, v7, v28
	v_cmp_ne_u16_e32 vcc_lo, 0x7fff, v14
	s_delay_alu instid0(VALU_DEP_3) | instskip(SKIP_1) | instid1(VALU_DEP_2)
	v_lshlrev_b32_e32 v6, 4, v5
	v_lshrrev_b32_e32 v5, 2, v5
	v_and_or_b32 v6, 0x70, v6, v0
	s_delay_alu instid0(VALU_DEP_2) | instskip(NEXT) | instid1(VALU_DEP_1)
	v_and_b32_e32 v5, 0x3ffe, v5
	v_lshl_add_u32 v15, v6, 2, v5
	s_wait_alu 0xfffd
	v_cndmask_b32_e32 v5, 0xffff8000, v14, vcc_lo
	ds_load_u16 v16, v15
	v_and_b32_e32 v5, 0xffff, v5
	s_delay_alu instid0(VALU_DEP_1) | instskip(NEXT) | instid1(VALU_DEP_1)
	v_and_b32_e32 v5, s16, v5
	v_lshlrev_b32_e32 v6, 4, v5
	v_lshrrev_b32_e32 v5, 2, v5
	s_delay_alu instid0(VALU_DEP_2) | instskip(NEXT) | instid1(VALU_DEP_2)
	v_and_or_b32 v6, 0x70, v6, v0
	v_and_b32_e32 v5, 0x3ffe, v5
	s_wait_dscnt 0x0
	v_add_nc_u16 v7, v16, 1
	s_delay_alu instid0(VALU_DEP_2)
	v_lshl_add_u32 v29, v6, 2, v5
	ds_store_b16 v15, v7
	ds_load_u16 v31, v29
	s_wait_dscnt 0x0
	v_add_nc_u16 v5, v31, 1
	ds_store_b16 v29, v5
	; wave barrier
	s_wait_loadcnt_dscnt 0x0
	global_inv scope:SCOPE_SE
	ds_load_b128 v[9:12], v25
	ds_load_b128 v[5:8], v25 offset:16
	s_wait_dscnt 0x1
	v_add_nc_u32_e32 v30, v10, v9
	s_delay_alu instid0(VALU_DEP_1) | instskip(SKIP_1) | instid1(VALU_DEP_1)
	v_add3_u32 v30, v30, v11, v12
	s_wait_dscnt 0x0
	v_add3_u32 v30, v30, v5, v6
	s_delay_alu instid0(VALU_DEP_1) | instskip(NEXT) | instid1(VALU_DEP_1)
	v_add3_u32 v8, v30, v7, v8
	v_mov_b32_dpp v30, v8 row_shr:1 row_mask:0xf bank_mask:0xf
	s_delay_alu instid0(VALU_DEP_1) | instskip(NEXT) | instid1(VALU_DEP_1)
	v_cndmask_b32_e64 v30, v30, 0, s5
	v_add_nc_u32_e32 v8, v30, v8
	s_delay_alu instid0(VALU_DEP_1) | instskip(NEXT) | instid1(VALU_DEP_1)
	v_mov_b32_dpp v30, v8 row_shr:2 row_mask:0xf bank_mask:0xf
	v_cndmask_b32_e64 v30, 0, v30, s3
	s_delay_alu instid0(VALU_DEP_1) | instskip(NEXT) | instid1(VALU_DEP_1)
	v_add_nc_u32_e32 v8, v8, v30
	v_mov_b32_dpp v30, v8 row_shr:4 row_mask:0xf bank_mask:0xf
	s_delay_alu instid0(VALU_DEP_1) | instskip(NEXT) | instid1(VALU_DEP_1)
	v_cndmask_b32_e64 v30, 0, v30, s6
	v_add_nc_u32_e32 v8, v8, v30
	s_delay_alu instid0(VALU_DEP_1) | instskip(NEXT) | instid1(VALU_DEP_1)
	v_mov_b32_dpp v30, v8 row_shr:8 row_mask:0xf bank_mask:0xf
	v_cndmask_b32_e64 v30, 0, v30, s4
	s_delay_alu instid0(VALU_DEP_1)
	v_add_nc_u32_e32 v8, v8, v30
	s_and_saveexec_b32 s16, s1
; %bb.26:
	v_mov_b32_e32 v30, 0
	ds_store_b32 v30, v8 offset:512
; %bb.27:
	s_wait_alu 0xfffe
	s_or_b32 exec_lo, exec_lo, s16
	ds_bpermute_b32 v8, v26, v8
	v_mov_b32_e32 v30, 0
	; wave barrier
	s_wait_loadcnt_dscnt 0x0
	global_inv scope:SCOPE_SE
	ds_load_b32 v32, v30 offset:512
	v_cndmask_b32_e64 v8, v8, 0, s11
	s_wait_dscnt 0x0
	s_delay_alu instid0(VALU_DEP_1) | instskip(NEXT) | instid1(VALU_DEP_1)
	v_lshl_add_u32 v8, v32, 16, v8
	v_add_nc_u32_e32 v9, v8, v9
	s_delay_alu instid0(VALU_DEP_1) | instskip(NEXT) | instid1(VALU_DEP_1)
	v_add_nc_u32_e32 v10, v9, v10
	v_add_nc_u32_e32 v11, v10, v11
	s_delay_alu instid0(VALU_DEP_1) | instskip(NEXT) | instid1(VALU_DEP_1)
	v_add_nc_u32_e32 v32, v11, v12
	;; [unrolled: 3-line block ×3, first 2 shown]
	v_add_nc_u32_e32 v35, v34, v7
	v_and_b32_e32 v7, 0xffff, v16
	ds_store_b128 v25, v[8:11]
	ds_store_b128 v25, v[32:35] offset:16
	; wave barrier
	s_wait_loadcnt_dscnt 0x0
	global_inv scope:SCOPE_SE
	ds_load_u16 v5, v15
	ds_load_u16 v6, v29
	v_and_b32_e32 v8, 0xffff, v31
	; wave barrier
	s_wait_loadcnt_dscnt 0x0
	global_inv scope:SCOPE_SE
	v_add_nc_u32_e32 v5, v5, v7
	v_add_nc_u32_e32 v6, v6, v8
	s_delay_alu instid0(VALU_DEP_2) | instskip(NEXT) | instid1(VALU_DEP_2)
	v_lshlrev_b32_e32 v7, 1, v5
	v_lshlrev_b32_e32 v8, 1, v6
	ds_store_b16 v7, v13
	ds_store_b16 v8, v14
	v_mad_u32_u24 v5, v5, 6, v7
	v_mad_u32_u24 v6, v6, 6, v8
	; wave barrier
	s_wait_loadcnt_dscnt 0x0
	global_inv scope:SCOPE_SE
	ds_load_b32 v29, v19
	; wave barrier
	s_wait_loadcnt_dscnt 0x0
	global_inv scope:SCOPE_SE
	ds_store_b64 v5, v[1:2]
	ds_store_b64 v6, v[3:4]
	; wave barrier
	s_wait_loadcnt_dscnt 0x0
	global_inv scope:SCOPE_SE
	ds_load_b128 v[5:8], v18
	; wave barrier
	s_wait_loadcnt_dscnt 0x0
	global_inv scope:SCOPE_SE
	s_and_saveexec_b32 s16, s7
	s_cbranch_execz .LBB254_36
; %bb.28:
	v_cmp_gt_u32_e32 vcc_lo, 0x70, v0
	ds_store_b32 v21, v30
	s_and_b32 exec_lo, exec_lo, vcc_lo
	s_cbranch_execz .LBB254_36
; %bb.29:
	v_mov_b32_e32 v9, 0
	v_cmp_gt_u32_e32 vcc_lo, 0x60, v0
	ds_store_b32 v21, v9 offset:64
	s_and_b32 exec_lo, exec_lo, vcc_lo
	s_cbranch_execz .LBB254_36
; %bb.30:
	v_cmp_gt_u32_e32 vcc_lo, 0x50, v0
	ds_store_b32 v21, v9 offset:128
	s_and_b32 exec_lo, exec_lo, vcc_lo
	s_cbranch_execz .LBB254_36
; %bb.31:
	v_mov_b32_e32 v9, 0
	v_cmp_gt_u32_e32 vcc_lo, 64, v0
	ds_store_b32 v21, v9 offset:192
	s_and_b32 exec_lo, exec_lo, vcc_lo
	s_cbranch_execz .LBB254_36
; %bb.32:
	v_cmp_gt_u32_e32 vcc_lo, 48, v0
	ds_store_b32 v21, v9 offset:256
	;; [unrolled: 11-line block ×3, first 2 shown]
	s_and_b32 exec_lo, exec_lo, vcc_lo
; %bb.35:
	v_mov_b32_e32 v9, 0
	ds_store_b32 v21, v9 offset:448
.LBB254_36:
	s_wait_alu 0xfffe
	s_or_b32 exec_lo, exec_lo, s16
	v_lshrrev_b16 v9, 4, v29
	v_cmp_ne_u16_e32 vcc_lo, 0x7fff, v29
	s_min_u32 s16, s13, 12
	v_lshrrev_b32_e32 v30, 16, v29
	s_wait_alu 0xfffe
	s_lshl_b32 s16, -1, s16
	v_lshrrev_b32_e32 v11, 20, v29
	s_wait_alu 0xfffd
	v_cndmask_b32_e32 v9, 0x800, v9, vcc_lo
	s_wait_alu 0xfffe
	s_not_b32 s16, s16
	v_cmp_ne_u16_e32 vcc_lo, 0x7fff, v30
	s_delay_alu instid0(VALU_DEP_2) | instskip(SKIP_1) | instid1(VALU_DEP_1)
	v_and_b32_e32 v9, 0xffff, v9
	s_wait_alu 0xfffe
	v_and_b32_e32 v9, s16, v9
	s_delay_alu instid0(VALU_DEP_1) | instskip(SKIP_1) | instid1(VALU_DEP_2)
	v_lshlrev_b32_e32 v10, 4, v9
	v_lshrrev_b32_e32 v9, 2, v9
	v_and_or_b32 v10, 0x70, v10, v0
	s_delay_alu instid0(VALU_DEP_2) | instskip(NEXT) | instid1(VALU_DEP_1)
	v_and_b32_e32 v9, 0x3fe, v9
	v_lshl_add_u32 v31, v10, 2, v9
	s_wait_alu 0xfffd
	v_cndmask_b32_e32 v9, 0x800, v11, vcc_lo
	ds_load_u16 v32, v31
	v_and_b32_e32 v9, 0xffff, v9
	s_delay_alu instid0(VALU_DEP_1) | instskip(NEXT) | instid1(VALU_DEP_1)
	v_and_b32_e32 v9, s16, v9
	v_lshlrev_b32_e32 v10, 4, v9
	v_lshrrev_b32_e32 v9, 2, v9
	s_delay_alu instid0(VALU_DEP_2) | instskip(NEXT) | instid1(VALU_DEP_2)
	v_and_or_b32 v10, 0x70, v10, v0
	v_and_b32_e32 v9, 0x3fe, v9
	s_wait_dscnt 0x0
	v_add_nc_u16 v11, v32, 1
	s_delay_alu instid0(VALU_DEP_2)
	v_lshl_add_u32 v33, v10, 2, v9
	ds_store_b16 v31, v11
	ds_load_u16 v34, v33
	s_wait_dscnt 0x0
	v_add_nc_u16 v9, v34, 1
	ds_store_b16 v33, v9
	; wave barrier
	s_wait_loadcnt_dscnt 0x0
	global_inv scope:SCOPE_SE
	ds_load_b128 v[13:16], v25
	ds_load_b128 v[9:12], v25 offset:16
	s_wait_dscnt 0x1
	v_add_nc_u32_e32 v35, v14, v13
	s_delay_alu instid0(VALU_DEP_1) | instskip(SKIP_1) | instid1(VALU_DEP_1)
	v_add3_u32 v35, v35, v15, v16
	s_wait_dscnt 0x0
	v_add3_u32 v35, v35, v9, v10
	s_delay_alu instid0(VALU_DEP_1) | instskip(NEXT) | instid1(VALU_DEP_1)
	v_add3_u32 v12, v35, v11, v12
	v_mov_b32_dpp v35, v12 row_shr:1 row_mask:0xf bank_mask:0xf
	s_delay_alu instid0(VALU_DEP_1) | instskip(NEXT) | instid1(VALU_DEP_1)
	v_cndmask_b32_e64 v35, v35, 0, s5
	v_add_nc_u32_e32 v12, v35, v12
	s_delay_alu instid0(VALU_DEP_1) | instskip(NEXT) | instid1(VALU_DEP_1)
	v_mov_b32_dpp v35, v12 row_shr:2 row_mask:0xf bank_mask:0xf
	v_cndmask_b32_e64 v35, 0, v35, s3
	s_delay_alu instid0(VALU_DEP_1) | instskip(NEXT) | instid1(VALU_DEP_1)
	v_add_nc_u32_e32 v12, v12, v35
	v_mov_b32_dpp v35, v12 row_shr:4 row_mask:0xf bank_mask:0xf
	s_delay_alu instid0(VALU_DEP_1) | instskip(NEXT) | instid1(VALU_DEP_1)
	v_cndmask_b32_e64 v35, 0, v35, s6
	v_add_nc_u32_e32 v12, v12, v35
	s_delay_alu instid0(VALU_DEP_1) | instskip(NEXT) | instid1(VALU_DEP_1)
	v_mov_b32_dpp v35, v12 row_shr:8 row_mask:0xf bank_mask:0xf
	v_cndmask_b32_e64 v35, 0, v35, s4
	s_delay_alu instid0(VALU_DEP_1)
	v_add_nc_u32_e32 v12, v12, v35
	s_and_saveexec_b32 s16, s1
; %bb.37:
	v_mov_b32_e32 v35, 0
	ds_store_b32 v35, v12 offset:512
; %bb.38:
	s_wait_alu 0xfffe
	s_or_b32 exec_lo, exec_lo, s16
	ds_bpermute_b32 v35, v26, v12
	v_mov_b32_e32 v12, 0
	; wave barrier
	s_wait_loadcnt_dscnt 0x0
	global_inv scope:SCOPE_SE
	ds_load_b32 v36, v12 offset:512
	v_cndmask_b32_e64 v35, v35, 0, s11
	s_wait_dscnt 0x0
	s_delay_alu instid0(VALU_DEP_1) | instskip(NEXT) | instid1(VALU_DEP_1)
	v_lshl_add_u32 v35, v36, 16, v35
	v_add_nc_u32_e32 v36, v35, v13
	s_delay_alu instid0(VALU_DEP_1) | instskip(NEXT) | instid1(VALU_DEP_1)
	v_add_nc_u32_e32 v37, v36, v14
	v_add_nc_u32_e32 v38, v37, v15
	s_delay_alu instid0(VALU_DEP_1) | instskip(NEXT) | instid1(VALU_DEP_1)
	v_add_nc_u32_e32 v13, v38, v16
	v_add_nc_u32_e32 v14, v13, v9
	s_delay_alu instid0(VALU_DEP_1) | instskip(NEXT) | instid1(VALU_DEP_1)
	v_add_nc_u32_e32 v15, v14, v10
	v_add_nc_u32_e32 v16, v15, v11
	v_and_b32_e32 v11, 0xffff, v32
	ds_store_b128 v25, v[35:38]
	ds_store_b128 v25, v[13:16] offset:16
	; wave barrier
	s_wait_loadcnt_dscnt 0x0
	global_inv scope:SCOPE_SE
	ds_load_u16 v9, v31
	ds_load_u16 v10, v33
	v_and_b32_e32 v13, 0xffff, v34
	; wave barrier
	s_wait_loadcnt_dscnt 0x0
	global_inv scope:SCOPE_SE
	v_add_nc_u32_e32 v9, v9, v11
	v_add_nc_u32_e32 v10, v10, v13
	s_delay_alu instid0(VALU_DEP_2) | instskip(NEXT) | instid1(VALU_DEP_2)
	v_lshlrev_b32_e32 v11, 1, v9
	v_lshlrev_b32_e32 v13, 1, v10
	ds_store_b16 v11, v29
	ds_store_b16 v13, v30
	v_mad_u32_u24 v9, v9, 6, v11
	v_mad_u32_u24 v10, v10, 6, v13
	; wave barrier
	s_wait_loadcnt_dscnt 0x0
	global_inv scope:SCOPE_SE
	ds_load_b32 v29, v19
	; wave barrier
	s_wait_loadcnt_dscnt 0x0
	global_inv scope:SCOPE_SE
	ds_store_b64 v9, v[5:6]
	ds_store_b64 v10, v[7:8]
	; wave barrier
	s_wait_loadcnt_dscnt 0x0
	global_inv scope:SCOPE_SE
	ds_load_b128 v[5:8], v18
	; wave barrier
	s_wait_loadcnt_dscnt 0x0
	global_inv scope:SCOPE_SE
	s_and_saveexec_b32 s16, s7
	s_cbranch_execz .LBB254_47
; %bb.39:
	v_cmp_gt_u32_e32 vcc_lo, 0x70, v0
	ds_store_b32 v21, v12
	s_and_b32 exec_lo, exec_lo, vcc_lo
	s_cbranch_execz .LBB254_47
; %bb.40:
	v_mov_b32_e32 v9, 0
	v_cmp_gt_u32_e32 vcc_lo, 0x60, v0
	ds_store_b32 v21, v9 offset:64
	s_and_b32 exec_lo, exec_lo, vcc_lo
	s_cbranch_execz .LBB254_47
; %bb.41:
	v_cmp_gt_u32_e32 vcc_lo, 0x50, v0
	ds_store_b32 v21, v9 offset:128
	s_and_b32 exec_lo, exec_lo, vcc_lo
	s_cbranch_execz .LBB254_47
; %bb.42:
	v_mov_b32_e32 v9, 0
	v_cmp_gt_u32_e32 vcc_lo, 64, v0
	ds_store_b32 v21, v9 offset:192
	s_and_b32 exec_lo, exec_lo, vcc_lo
	s_cbranch_execz .LBB254_47
; %bb.43:
	v_cmp_gt_u32_e32 vcc_lo, 48, v0
	ds_store_b32 v21, v9 offset:256
	;; [unrolled: 11-line block ×3, first 2 shown]
	s_and_b32 exec_lo, exec_lo, vcc_lo
; %bb.46:
	v_mov_b32_e32 v9, 0
	ds_store_b32 v21, v9 offset:448
.LBB254_47:
	s_wait_alu 0xfffe
	s_or_b32 exec_lo, exec_lo, s16
	v_lshrrev_b16 v9, 8, v29
	v_cmp_ne_u16_e32 vcc_lo, 0x7fff, v29
	s_min_u32 s16, s13, 8
	v_lshrrev_b32_e32 v30, 16, v29
	s_wait_alu 0xfffe
	s_lshl_b32 s16, -1, s16
	v_lshrrev_b32_e32 v11, 24, v29
	s_wait_alu 0xfffd
	v_cndmask_b32_e32 v9, 0x80, v9, vcc_lo
	s_wait_alu 0xfffe
	s_not_b32 s16, s16
	v_cmp_ne_u16_e32 vcc_lo, 0x7fff, v30
	s_delay_alu instid0(VALU_DEP_2) | instskip(SKIP_1) | instid1(VALU_DEP_1)
	v_and_b32_e32 v9, 0xffff, v9
	s_wait_alu 0xfffe
	v_and_b32_e32 v9, s16, v9
	s_delay_alu instid0(VALU_DEP_1) | instskip(SKIP_1) | instid1(VALU_DEP_2)
	v_lshlrev_b32_e32 v10, 4, v9
	v_lshrrev_b32_e32 v9, 2, v9
	v_and_or_b32 v10, 0x70, v10, v0
	s_delay_alu instid0(VALU_DEP_2) | instskip(NEXT) | instid1(VALU_DEP_1)
	v_and_b32_e32 v9, 62, v9
	v_lshl_add_u32 v31, v10, 2, v9
	s_wait_alu 0xfffd
	v_cndmask_b32_e32 v9, 0x80, v11, vcc_lo
	ds_load_u16 v32, v31
	v_and_b32_e32 v9, 0xffff, v9
	s_delay_alu instid0(VALU_DEP_1) | instskip(NEXT) | instid1(VALU_DEP_1)
	v_and_b32_e32 v9, s16, v9
	v_lshlrev_b32_e32 v10, 4, v9
	v_lshrrev_b32_e32 v9, 2, v9
	s_delay_alu instid0(VALU_DEP_2) | instskip(NEXT) | instid1(VALU_DEP_2)
	v_and_or_b32 v10, 0x70, v10, v0
	v_and_b32_e32 v9, 62, v9
	s_wait_dscnt 0x0
	v_add_nc_u16 v11, v32, 1
	s_delay_alu instid0(VALU_DEP_2)
	v_lshl_add_u32 v33, v10, 2, v9
	ds_store_b16 v31, v11
	ds_load_u16 v34, v33
	s_wait_dscnt 0x0
	v_add_nc_u16 v9, v34, 1
	ds_store_b16 v33, v9
	; wave barrier
	s_wait_loadcnt_dscnt 0x0
	global_inv scope:SCOPE_SE
	ds_load_b128 v[13:16], v25
	ds_load_b128 v[9:12], v25 offset:16
	s_wait_dscnt 0x1
	v_add_nc_u32_e32 v35, v14, v13
	s_delay_alu instid0(VALU_DEP_1) | instskip(SKIP_1) | instid1(VALU_DEP_1)
	v_add3_u32 v35, v35, v15, v16
	s_wait_dscnt 0x0
	v_add3_u32 v35, v35, v9, v10
	s_delay_alu instid0(VALU_DEP_1) | instskip(NEXT) | instid1(VALU_DEP_1)
	v_add3_u32 v12, v35, v11, v12
	v_mov_b32_dpp v35, v12 row_shr:1 row_mask:0xf bank_mask:0xf
	s_delay_alu instid0(VALU_DEP_1) | instskip(NEXT) | instid1(VALU_DEP_1)
	v_cndmask_b32_e64 v35, v35, 0, s5
	v_add_nc_u32_e32 v12, v35, v12
	s_delay_alu instid0(VALU_DEP_1) | instskip(NEXT) | instid1(VALU_DEP_1)
	v_mov_b32_dpp v35, v12 row_shr:2 row_mask:0xf bank_mask:0xf
	v_cndmask_b32_e64 v35, 0, v35, s3
	s_delay_alu instid0(VALU_DEP_1) | instskip(NEXT) | instid1(VALU_DEP_1)
	v_add_nc_u32_e32 v12, v12, v35
	v_mov_b32_dpp v35, v12 row_shr:4 row_mask:0xf bank_mask:0xf
	s_delay_alu instid0(VALU_DEP_1) | instskip(NEXT) | instid1(VALU_DEP_1)
	v_cndmask_b32_e64 v35, 0, v35, s6
	v_add_nc_u32_e32 v12, v12, v35
	s_delay_alu instid0(VALU_DEP_1) | instskip(NEXT) | instid1(VALU_DEP_1)
	v_mov_b32_dpp v35, v12 row_shr:8 row_mask:0xf bank_mask:0xf
	v_cndmask_b32_e64 v35, 0, v35, s4
	s_delay_alu instid0(VALU_DEP_1)
	v_add_nc_u32_e32 v12, v12, v35
	s_and_saveexec_b32 s16, s1
; %bb.48:
	v_mov_b32_e32 v35, 0
	ds_store_b32 v35, v12 offset:512
; %bb.49:
	s_wait_alu 0xfffe
	s_or_b32 exec_lo, exec_lo, s16
	ds_bpermute_b32 v35, v26, v12
	v_mov_b32_e32 v12, 0
	; wave barrier
	s_wait_loadcnt_dscnt 0x0
	global_inv scope:SCOPE_SE
	ds_load_b32 v36, v12 offset:512
	v_cndmask_b32_e64 v35, v35, 0, s11
	s_wait_dscnt 0x0
	s_delay_alu instid0(VALU_DEP_1) | instskip(NEXT) | instid1(VALU_DEP_1)
	v_lshl_add_u32 v35, v36, 16, v35
	v_add_nc_u32_e32 v36, v35, v13
	s_delay_alu instid0(VALU_DEP_1) | instskip(NEXT) | instid1(VALU_DEP_1)
	v_add_nc_u32_e32 v37, v36, v14
	v_add_nc_u32_e32 v38, v37, v15
	s_delay_alu instid0(VALU_DEP_1) | instskip(NEXT) | instid1(VALU_DEP_1)
	v_add_nc_u32_e32 v13, v38, v16
	v_add_nc_u32_e32 v14, v13, v9
	s_delay_alu instid0(VALU_DEP_1) | instskip(NEXT) | instid1(VALU_DEP_1)
	v_add_nc_u32_e32 v15, v14, v10
	v_add_nc_u32_e32 v16, v15, v11
	v_and_b32_e32 v11, 0xffff, v32
	ds_store_b128 v25, v[35:38]
	ds_store_b128 v25, v[13:16] offset:16
	; wave barrier
	s_wait_loadcnt_dscnt 0x0
	global_inv scope:SCOPE_SE
	ds_load_u16 v9, v31
	ds_load_u16 v10, v33
	v_and_b32_e32 v13, 0xffff, v34
	; wave barrier
	s_wait_loadcnt_dscnt 0x0
	global_inv scope:SCOPE_SE
	v_add_nc_u32_e32 v9, v9, v11
	v_add_nc_u32_e32 v10, v10, v13
	s_delay_alu instid0(VALU_DEP_2) | instskip(NEXT) | instid1(VALU_DEP_2)
	v_lshlrev_b32_e32 v11, 1, v9
	v_lshlrev_b32_e32 v13, 1, v10
	ds_store_b16 v11, v29
	ds_store_b16 v13, v30
	v_mad_u32_u24 v9, v9, 6, v11
	v_mad_u32_u24 v10, v10, 6, v13
	; wave barrier
	s_wait_loadcnt_dscnt 0x0
	global_inv scope:SCOPE_SE
	ds_load_b32 v29, v19
	; wave barrier
	s_wait_loadcnt_dscnt 0x0
	global_inv scope:SCOPE_SE
	ds_store_b64 v9, v[5:6]
	ds_store_b64 v10, v[7:8]
	; wave barrier
	s_wait_loadcnt_dscnt 0x0
	global_inv scope:SCOPE_SE
	ds_load_b128 v[5:8], v18
	; wave barrier
	s_wait_loadcnt_dscnt 0x0
	global_inv scope:SCOPE_SE
	s_and_saveexec_b32 s16, s7
	s_cbranch_execz .LBB254_58
; %bb.50:
	v_cmp_gt_u32_e32 vcc_lo, 0x70, v0
	ds_store_b32 v21, v12
	s_and_b32 exec_lo, exec_lo, vcc_lo
	s_cbranch_execz .LBB254_58
; %bb.51:
	v_mov_b32_e32 v9, 0
	v_cmp_gt_u32_e32 vcc_lo, 0x60, v0
	ds_store_b32 v21, v9 offset:64
	s_and_b32 exec_lo, exec_lo, vcc_lo
	s_cbranch_execz .LBB254_58
; %bb.52:
	v_cmp_gt_u32_e32 vcc_lo, 0x50, v0
	ds_store_b32 v21, v9 offset:128
	s_and_b32 exec_lo, exec_lo, vcc_lo
	s_cbranch_execz .LBB254_58
; %bb.53:
	v_mov_b32_e32 v9, 0
	v_cmp_gt_u32_e32 vcc_lo, 64, v0
	ds_store_b32 v21, v9 offset:192
	s_and_b32 exec_lo, exec_lo, vcc_lo
	s_cbranch_execz .LBB254_58
; %bb.54:
	v_cmp_gt_u32_e32 vcc_lo, 48, v0
	ds_store_b32 v21, v9 offset:256
	;; [unrolled: 11-line block ×3, first 2 shown]
	s_and_b32 exec_lo, exec_lo, vcc_lo
; %bb.57:
	v_mov_b32_e32 v9, 0
	ds_store_b32 v21, v9 offset:448
.LBB254_58:
	s_wait_alu 0xfffe
	s_or_b32 exec_lo, exec_lo, s16
	v_lshrrev_b16 v9, 12, v29
	v_cmp_ne_u16_e32 vcc_lo, 0x7fff, v29
	s_min_u32 s16, s13, 4
	v_lshrrev_b32_e32 v30, 16, v29
	s_wait_alu 0xfffe
	s_lshl_b32 s16, -1, s16
	v_lshrrev_b32_e32 v11, 28, v29
	s_wait_alu 0xfffd
	v_cndmask_b32_e32 v9, 8, v9, vcc_lo
	s_wait_alu 0xfffe
	s_not_b32 s16, s16
	v_cmp_ne_u16_e32 vcc_lo, 0x7fff, v30
	s_delay_alu instid0(VALU_DEP_2) | instskip(SKIP_1) | instid1(VALU_DEP_1)
	v_and_b32_e32 v9, 0xffff, v9
	s_wait_alu 0xfffe
	v_and_b32_e32 v9, s16, v9
	s_delay_alu instid0(VALU_DEP_1) | instskip(SKIP_1) | instid1(VALU_DEP_2)
	v_lshlrev_b32_e32 v10, 4, v9
	v_lshrrev_b32_e32 v9, 2, v9
	v_and_or_b32 v10, 0x70, v10, v0
	s_delay_alu instid0(VALU_DEP_2) | instskip(NEXT) | instid1(VALU_DEP_1)
	v_and_b32_e32 v9, 2, v9
	v_lshl_or_b32 v31, v10, 2, v9
	s_wait_alu 0xfffd
	v_cndmask_b32_e32 v9, 8, v11, vcc_lo
	ds_load_u16 v32, v31
	v_and_b32_e32 v9, 0xffff, v9
	s_delay_alu instid0(VALU_DEP_1) | instskip(SKIP_1) | instid1(VALU_DEP_1)
	v_and_b32_e32 v9, s16, v9
	s_mov_b32 s16, 0
	v_lshlrev_b32_e32 v10, 4, v9
	v_lshrrev_b32_e32 v9, 2, v9
	s_delay_alu instid0(VALU_DEP_2) | instskip(NEXT) | instid1(VALU_DEP_2)
	v_and_or_b32 v10, 0x70, v10, v0
	v_and_b32_e32 v9, 2, v9
	s_wait_dscnt 0x0
	v_add_nc_u16 v11, v32, 1
	s_delay_alu instid0(VALU_DEP_2)
	v_lshl_or_b32 v33, v10, 2, v9
	ds_store_b16 v31, v11
	ds_load_u16 v34, v33
	s_wait_dscnt 0x0
	v_add_nc_u16 v9, v34, 1
	ds_store_b16 v33, v9
	; wave barrier
	s_wait_loadcnt_dscnt 0x0
	global_inv scope:SCOPE_SE
	ds_load_b128 v[13:16], v25
	ds_load_b128 v[9:12], v25 offset:16
	s_wait_dscnt 0x1
	v_add_nc_u32_e32 v35, v14, v13
	s_delay_alu instid0(VALU_DEP_1) | instskip(SKIP_1) | instid1(VALU_DEP_1)
	v_add3_u32 v35, v35, v15, v16
	s_wait_dscnt 0x0
	v_add3_u32 v35, v35, v9, v10
	s_delay_alu instid0(VALU_DEP_1) | instskip(NEXT) | instid1(VALU_DEP_1)
	v_add3_u32 v12, v35, v11, v12
	v_mov_b32_dpp v35, v12 row_shr:1 row_mask:0xf bank_mask:0xf
	s_delay_alu instid0(VALU_DEP_1) | instskip(NEXT) | instid1(VALU_DEP_1)
	v_cndmask_b32_e64 v35, v35, 0, s5
	v_add_nc_u32_e32 v12, v35, v12
	s_delay_alu instid0(VALU_DEP_1) | instskip(NEXT) | instid1(VALU_DEP_1)
	v_mov_b32_dpp v35, v12 row_shr:2 row_mask:0xf bank_mask:0xf
	v_cndmask_b32_e64 v35, 0, v35, s3
	s_delay_alu instid0(VALU_DEP_1) | instskip(NEXT) | instid1(VALU_DEP_1)
	v_add_nc_u32_e32 v12, v12, v35
	v_mov_b32_dpp v35, v12 row_shr:4 row_mask:0xf bank_mask:0xf
	s_delay_alu instid0(VALU_DEP_1) | instskip(NEXT) | instid1(VALU_DEP_1)
	v_cndmask_b32_e64 v35, 0, v35, s6
	v_add_nc_u32_e32 v12, v12, v35
	s_delay_alu instid0(VALU_DEP_1) | instskip(NEXT) | instid1(VALU_DEP_1)
	v_mov_b32_dpp v35, v12 row_shr:8 row_mask:0xf bank_mask:0xf
	v_cndmask_b32_e64 v35, 0, v35, s4
	s_delay_alu instid0(VALU_DEP_1)
	v_add_nc_u32_e32 v12, v12, v35
	s_and_saveexec_b32 s17, s1
; %bb.59:
	v_mov_b32_e32 v35, 0
	ds_store_b32 v35, v12 offset:512
; %bb.60:
	s_wait_alu 0xfffe
	s_or_b32 exec_lo, exec_lo, s17
	ds_bpermute_b32 v12, v26, v12
	v_mov_b32_e32 v35, 0
	; wave barrier
	s_wait_loadcnt_dscnt 0x0
	global_inv scope:SCOPE_SE
	ds_load_b32 v35, v35 offset:512
	v_cndmask_b32_e64 v12, v12, 0, s11
	s_wait_dscnt 0x0
	s_delay_alu instid0(VALU_DEP_1) | instskip(NEXT) | instid1(VALU_DEP_1)
	v_lshl_add_u32 v12, v35, 16, v12
	v_add_nc_u32_e32 v13, v12, v13
	s_delay_alu instid0(VALU_DEP_1) | instskip(NEXT) | instid1(VALU_DEP_1)
	v_add_nc_u32_e32 v14, v13, v14
	v_add_nc_u32_e32 v15, v14, v15
	s_delay_alu instid0(VALU_DEP_1) | instskip(NEXT) | instid1(VALU_DEP_1)
	v_add_nc_u32_e32 v35, v15, v16
	;; [unrolled: 3-line block ×3, first 2 shown]
	v_add_nc_u32_e32 v38, v37, v11
	v_and_b32_e32 v11, 0xffff, v32
	ds_store_b128 v25, v[12:15]
	ds_store_b128 v25, v[35:38] offset:16
	; wave barrier
	s_wait_loadcnt_dscnt 0x0
	global_inv scope:SCOPE_SE
	ds_load_u16 v9, v31
	ds_load_u16 v10, v33
	v_and_b32_e32 v12, 0xffff, v34
	; wave barrier
	s_wait_loadcnt_dscnt 0x0
	global_inv scope:SCOPE_SE
	v_add_nc_u32_e32 v9, v9, v11
	v_add_nc_u32_e32 v10, v10, v12
	s_delay_alu instid0(VALU_DEP_2) | instskip(NEXT) | instid1(VALU_DEP_2)
	v_lshlrev_b32_e32 v11, 1, v9
	v_lshlrev_b32_e32 v12, 1, v10
	ds_store_b16 v11, v29
	ds_store_b16 v12, v30
	; wave barrier
	s_wait_loadcnt_dscnt 0x0
	global_inv scope:SCOPE_SE
	ds_load_b32 v13, v19
	v_mad_u32_u24 v9, v9, 6, v11
	v_mad_u32_u24 v10, v10, 6, v12
	; wave barrier
	s_wait_loadcnt_dscnt 0x0
	global_inv scope:SCOPE_SE
	ds_store_b64 v9, v[5:6]
	ds_store_b64 v10, v[7:8]
	; wave barrier
	s_wait_loadcnt_dscnt 0x0
	global_inv scope:SCOPE_SE
	ds_load_b128 v[5:8], v18
	v_lshrrev_b32_e32 v9, 16, v13
	v_cmp_lt_i16_e32 vcc_lo, -1, v13
	s_wait_alu 0xfffd
	v_cndmask_b32_e64 v10, 0xffff8000, -1, vcc_lo
	s_delay_alu instid0(VALU_DEP_3) | instskip(SKIP_2) | instid1(VALU_DEP_1)
	v_cmp_lt_i16_e32 vcc_lo, -1, v9
	s_wait_alu 0xfffd
	v_cndmask_b32_e64 v9, 0xffff8000, -1, vcc_lo
	v_perm_b32 v9, v9, v10, 0x5040100
	s_delay_alu instid0(VALU_DEP_1)
	v_xor_b32_e32 v9, v9, v13
	s_and_b32 vcc_lo, exec_lo, s16
	s_wait_alu 0xfffe
	s_cbranch_vccnz .LBB254_62
	s_branch .LBB254_107
.LBB254_61:
                                        ; implicit-def: $vgpr7_vgpr8
                                        ; implicit-def: $vgpr9
	s_and_b32 vcc_lo, exec_lo, s16
	s_wait_alu 0xfffe
	s_cbranch_vccz .LBB254_107
.LBB254_62:
	s_and_saveexec_b32 s16, s7
	s_cbranch_execz .LBB254_71
; %bb.63:
	s_wait_dscnt 0x0
	v_mad_i32_i24 v5, v0, -12, v18
	v_mov_b32_e32 v6, 0
	v_cmp_gt_u32_e32 vcc_lo, 0x70, v0
	ds_store_b32 v5, v6
	s_and_b32 exec_lo, exec_lo, vcc_lo
	s_cbranch_execz .LBB254_71
; %bb.64:
	v_mul_i32_i24_e32 v5, -12, v0
	v_cmp_gt_u32_e32 vcc_lo, 0x60, v0
	s_delay_alu instid0(VALU_DEP_2)
	v_add_nc_u32_e32 v5, v18, v5
	ds_store_b32 v5, v6 offset:64
	s_and_b32 exec_lo, exec_lo, vcc_lo
	s_cbranch_execz .LBB254_71
; %bb.65:
	v_mov_b32_e32 v6, 0
	v_cmp_gt_u32_e32 vcc_lo, 0x50, v0
	ds_store_b32 v5, v6 offset:128
	s_and_b32 exec_lo, exec_lo, vcc_lo
	s_cbranch_execz .LBB254_71
; %bb.66:
	v_cmp_gt_u32_e32 vcc_lo, 64, v0
	ds_store_b32 v5, v6 offset:192
	s_and_b32 exec_lo, exec_lo, vcc_lo
	s_cbranch_execz .LBB254_71
; %bb.67:
	v_mov_b32_e32 v6, 0
	v_cmp_gt_u32_e32 vcc_lo, 48, v0
	ds_store_b32 v5, v6 offset:256
	s_and_b32 exec_lo, exec_lo, vcc_lo
	s_cbranch_execz .LBB254_71
; %bb.68:
	v_cmp_gt_u32_e32 vcc_lo, 32, v0
	ds_store_b32 v5, v6 offset:320
	s_and_b32 exec_lo, exec_lo, vcc_lo
	s_cbranch_execz .LBB254_71
; %bb.69:
	v_mov_b32_e32 v6, 0
	v_cmp_gt_u32_e32 vcc_lo, 16, v0
	ds_store_b32 v5, v6 offset:384
	s_and_b32 exec_lo, exec_lo, vcc_lo
; %bb.70:
	ds_store_b32 v5, v6 offset:448
.LBB254_71:
	s_wait_alu 0xfffe
	s_or_b32 exec_lo, exec_lo, s16
	v_cmp_gt_i16_e32 vcc_lo, 0, v27
	s_wait_kmcnt 0x0
	s_min_u32 s16, s13, 16
	s_wait_alu 0xfffe
	s_lshl_b32 s16, -1, s16
	s_wait_alu 0xfffe
	s_not_b32 s16, s16
	s_wait_dscnt 0x0
	s_wait_alu 0xfffd
	v_cndmask_b32_e64 v5, 0x7fff, 0, vcc_lo
	s_delay_alu instid0(VALU_DEP_1) | instskip(NEXT) | instid1(VALU_DEP_1)
	v_xor_b32_e32 v13, v5, v27
	v_cmp_ne_u16_e32 vcc_lo, 0x8000, v13
	s_wait_alu 0xfffd
	v_cndmask_b32_e32 v5, 0x7fff, v13, vcc_lo
	v_cmp_gt_i16_e32 vcc_lo, 0, v28
	s_delay_alu instid0(VALU_DEP_2) | instskip(SKIP_3) | instid1(VALU_DEP_2)
	v_and_b32_e32 v5, 0xffff, v5
	s_wait_alu 0xfffd
	v_cndmask_b32_e64 v7, 0x7fff, 0, vcc_lo
	s_wait_alu 0xfffe
	v_and_b32_e32 v5, s16, v5
	s_delay_alu instid0(VALU_DEP_2) | instskip(NEXT) | instid1(VALU_DEP_1)
	v_xor_b32_e32 v14, v7, v28
	v_cmp_ne_u16_e32 vcc_lo, 0x8000, v14
	s_delay_alu instid0(VALU_DEP_3) | instskip(SKIP_1) | instid1(VALU_DEP_2)
	v_lshlrev_b32_e32 v6, 4, v5
	v_lshrrev_b32_e32 v5, 2, v5
	v_and_or_b32 v6, 0x70, v6, v0
	s_delay_alu instid0(VALU_DEP_2) | instskip(NEXT) | instid1(VALU_DEP_1)
	v_and_b32_e32 v5, 0x3ffe, v5
	v_lshl_add_u32 v15, v6, 2, v5
	s_wait_alu 0xfffd
	v_cndmask_b32_e32 v5, 0x7fff, v14, vcc_lo
	ds_load_u16 v16, v15
	v_and_b32_e32 v5, 0xffff, v5
	s_delay_alu instid0(VALU_DEP_1) | instskip(NEXT) | instid1(VALU_DEP_1)
	v_and_b32_e32 v5, s16, v5
	v_lshlrev_b32_e32 v6, 4, v5
	v_lshrrev_b32_e32 v5, 2, v5
	s_delay_alu instid0(VALU_DEP_2) | instskip(NEXT) | instid1(VALU_DEP_2)
	v_and_or_b32 v6, 0x70, v6, v0
	v_and_b32_e32 v5, 0x3ffe, v5
	s_wait_dscnt 0x0
	v_add_nc_u16 v7, v16, 1
	s_delay_alu instid0(VALU_DEP_2)
	v_lshl_add_u32 v27, v6, 2, v5
	ds_store_b16 v15, v7
	ds_load_u16 v28, v27
	s_wait_dscnt 0x0
	v_add_nc_u16 v5, v28, 1
	ds_store_b16 v27, v5
	; wave barrier
	s_wait_loadcnt_dscnt 0x0
	global_inv scope:SCOPE_SE
	ds_load_b128 v[9:12], v25
	ds_load_b128 v[5:8], v25 offset:16
	s_wait_dscnt 0x1
	v_add_nc_u32_e32 v29, v10, v9
	s_delay_alu instid0(VALU_DEP_1) | instskip(SKIP_1) | instid1(VALU_DEP_1)
	v_add3_u32 v29, v29, v11, v12
	s_wait_dscnt 0x0
	v_add3_u32 v29, v29, v5, v6
	s_delay_alu instid0(VALU_DEP_1) | instskip(NEXT) | instid1(VALU_DEP_1)
	v_add3_u32 v8, v29, v7, v8
	v_mov_b32_dpp v29, v8 row_shr:1 row_mask:0xf bank_mask:0xf
	s_delay_alu instid0(VALU_DEP_1) | instskip(NEXT) | instid1(VALU_DEP_1)
	v_cndmask_b32_e64 v29, v29, 0, s5
	v_add_nc_u32_e32 v8, v29, v8
	s_delay_alu instid0(VALU_DEP_1) | instskip(NEXT) | instid1(VALU_DEP_1)
	v_mov_b32_dpp v29, v8 row_shr:2 row_mask:0xf bank_mask:0xf
	v_cndmask_b32_e64 v29, 0, v29, s3
	s_delay_alu instid0(VALU_DEP_1) | instskip(NEXT) | instid1(VALU_DEP_1)
	v_add_nc_u32_e32 v8, v8, v29
	v_mov_b32_dpp v29, v8 row_shr:4 row_mask:0xf bank_mask:0xf
	s_delay_alu instid0(VALU_DEP_1) | instskip(NEXT) | instid1(VALU_DEP_1)
	v_cndmask_b32_e64 v29, 0, v29, s6
	v_add_nc_u32_e32 v8, v8, v29
	s_delay_alu instid0(VALU_DEP_1) | instskip(NEXT) | instid1(VALU_DEP_1)
	v_mov_b32_dpp v29, v8 row_shr:8 row_mask:0xf bank_mask:0xf
	v_cndmask_b32_e64 v29, 0, v29, s4
	s_delay_alu instid0(VALU_DEP_1)
	v_add_nc_u32_e32 v8, v8, v29
	s_and_saveexec_b32 s16, s1
; %bb.72:
	v_mov_b32_e32 v29, 0
	ds_store_b32 v29, v8 offset:512
; %bb.73:
	s_wait_alu 0xfffe
	s_or_b32 exec_lo, exec_lo, s16
	ds_bpermute_b32 v29, v26, v8
	v_mov_b32_e32 v8, 0
	; wave barrier
	s_wait_loadcnt_dscnt 0x0
	global_inv scope:SCOPE_SE
	ds_load_b32 v30, v8 offset:512
	v_cndmask_b32_e64 v29, v29, 0, s11
	s_wait_dscnt 0x0
	s_delay_alu instid0(VALU_DEP_1) | instskip(NEXT) | instid1(VALU_DEP_1)
	v_lshl_add_u32 v29, v30, 16, v29
	v_add_nc_u32_e32 v30, v29, v9
	s_delay_alu instid0(VALU_DEP_1) | instskip(NEXT) | instid1(VALU_DEP_1)
	v_add_nc_u32_e32 v31, v30, v10
	v_add_nc_u32_e32 v32, v31, v11
	s_delay_alu instid0(VALU_DEP_1) | instskip(NEXT) | instid1(VALU_DEP_1)
	v_add_nc_u32_e32 v9, v32, v12
	;; [unrolled: 3-line block ×3, first 2 shown]
	v_add_nc_u32_e32 v12, v11, v7
	v_and_b32_e32 v7, 0xffff, v16
	ds_store_b128 v25, v[29:32]
	ds_store_b128 v25, v[9:12] offset:16
	; wave barrier
	s_wait_loadcnt_dscnt 0x0
	global_inv scope:SCOPE_SE
	ds_load_u16 v5, v15
	ds_load_u16 v6, v27
	v_and_b32_e32 v9, 0xffff, v28
	; wave barrier
	s_wait_loadcnt_dscnt 0x0
	global_inv scope:SCOPE_SE
	v_add_nc_u32_e32 v5, v5, v7
	v_add_nc_u32_e32 v6, v6, v9
	s_delay_alu instid0(VALU_DEP_2) | instskip(NEXT) | instid1(VALU_DEP_2)
	v_lshlrev_b32_e32 v7, 1, v5
	v_lshlrev_b32_e32 v9, 1, v6
	ds_store_b16 v7, v13
	ds_store_b16 v9, v14
	v_mad_u32_u24 v5, v5, 6, v7
	v_mad_u32_u24 v6, v6, 6, v9
	; wave barrier
	s_wait_loadcnt_dscnt 0x0
	global_inv scope:SCOPE_SE
	ds_load_b32 v13, v19
	; wave barrier
	s_wait_loadcnt_dscnt 0x0
	global_inv scope:SCOPE_SE
	ds_store_b64 v5, v[1:2]
	ds_store_b64 v6, v[3:4]
	; wave barrier
	s_wait_loadcnt_dscnt 0x0
	global_inv scope:SCOPE_SE
	ds_load_b128 v[1:4], v18
	; wave barrier
	s_wait_loadcnt_dscnt 0x0
	global_inv scope:SCOPE_SE
	s_and_saveexec_b32 s16, s7
	s_cbranch_execz .LBB254_82
; %bb.74:
	v_cmp_gt_u32_e32 vcc_lo, 0x70, v0
	ds_store_b32 v21, v8
	s_and_b32 exec_lo, exec_lo, vcc_lo
	s_cbranch_execz .LBB254_82
; %bb.75:
	v_mov_b32_e32 v5, 0
	v_cmp_gt_u32_e32 vcc_lo, 0x60, v0
	ds_store_b32 v21, v5 offset:64
	s_and_b32 exec_lo, exec_lo, vcc_lo
	s_cbranch_execz .LBB254_82
; %bb.76:
	v_cmp_gt_u32_e32 vcc_lo, 0x50, v0
	ds_store_b32 v21, v5 offset:128
	s_and_b32 exec_lo, exec_lo, vcc_lo
	s_cbranch_execz .LBB254_82
; %bb.77:
	v_mov_b32_e32 v5, 0
	v_cmp_gt_u32_e32 vcc_lo, 64, v0
	ds_store_b32 v21, v5 offset:192
	s_and_b32 exec_lo, exec_lo, vcc_lo
	s_cbranch_execz .LBB254_82
; %bb.78:
	v_cmp_gt_u32_e32 vcc_lo, 48, v0
	ds_store_b32 v21, v5 offset:256
	;; [unrolled: 11-line block ×3, first 2 shown]
	s_and_b32 exec_lo, exec_lo, vcc_lo
; %bb.81:
	v_mov_b32_e32 v5, 0
	ds_store_b32 v21, v5 offset:448
.LBB254_82:
	s_wait_alu 0xfffe
	s_or_b32 exec_lo, exec_lo, s16
	v_lshrrev_b16 v5, 4, v13
	v_cmp_ne_u16_e32 vcc_lo, 0x8000, v13
	s_min_u32 s16, s13, 12
	v_lshrrev_b32_e32 v14, 16, v13
	s_wait_alu 0xfffe
	s_lshl_b32 s16, -1, s16
	v_lshrrev_b32_e32 v7, 20, v13
	s_wait_alu 0xfffd
	v_cndmask_b32_e32 v5, 0x7ff, v5, vcc_lo
	s_wait_alu 0xfffe
	s_not_b32 s16, s16
	v_cmp_ne_u16_e32 vcc_lo, 0x8000, v14
	s_delay_alu instid0(VALU_DEP_2) | instskip(SKIP_1) | instid1(VALU_DEP_1)
	v_and_b32_e32 v5, 0xffff, v5
	s_wait_alu 0xfffe
	v_and_b32_e32 v5, s16, v5
	s_delay_alu instid0(VALU_DEP_1) | instskip(SKIP_1) | instid1(VALU_DEP_2)
	v_lshlrev_b32_e32 v6, 4, v5
	v_lshrrev_b32_e32 v5, 2, v5
	v_and_or_b32 v6, 0x70, v6, v0
	s_delay_alu instid0(VALU_DEP_2) | instskip(NEXT) | instid1(VALU_DEP_1)
	v_and_b32_e32 v5, 0x3fe, v5
	v_lshl_add_u32 v15, v6, 2, v5
	s_wait_alu 0xfffd
	v_cndmask_b32_e32 v5, 0x7ff, v7, vcc_lo
	ds_load_u16 v16, v15
	v_and_b32_e32 v5, 0xffff, v5
	s_delay_alu instid0(VALU_DEP_1) | instskip(NEXT) | instid1(VALU_DEP_1)
	v_and_b32_e32 v5, s16, v5
	v_lshlrev_b32_e32 v6, 4, v5
	v_lshrrev_b32_e32 v5, 2, v5
	s_delay_alu instid0(VALU_DEP_2) | instskip(NEXT) | instid1(VALU_DEP_2)
	v_and_or_b32 v6, 0x70, v6, v0
	v_and_b32_e32 v5, 0x3fe, v5
	s_wait_dscnt 0x0
	v_add_nc_u16 v7, v16, 1
	s_delay_alu instid0(VALU_DEP_2)
	v_lshl_add_u32 v27, v6, 2, v5
	ds_store_b16 v15, v7
	ds_load_u16 v28, v27
	s_wait_dscnt 0x0
	v_add_nc_u16 v5, v28, 1
	ds_store_b16 v27, v5
	; wave barrier
	s_wait_loadcnt_dscnt 0x0
	global_inv scope:SCOPE_SE
	ds_load_b128 v[9:12], v25
	ds_load_b128 v[5:8], v25 offset:16
	s_wait_dscnt 0x1
	v_add_nc_u32_e32 v29, v10, v9
	s_delay_alu instid0(VALU_DEP_1) | instskip(SKIP_1) | instid1(VALU_DEP_1)
	v_add3_u32 v29, v29, v11, v12
	s_wait_dscnt 0x0
	v_add3_u32 v29, v29, v5, v6
	s_delay_alu instid0(VALU_DEP_1) | instskip(NEXT) | instid1(VALU_DEP_1)
	v_add3_u32 v8, v29, v7, v8
	v_mov_b32_dpp v29, v8 row_shr:1 row_mask:0xf bank_mask:0xf
	s_delay_alu instid0(VALU_DEP_1) | instskip(NEXT) | instid1(VALU_DEP_1)
	v_cndmask_b32_e64 v29, v29, 0, s5
	v_add_nc_u32_e32 v8, v29, v8
	s_delay_alu instid0(VALU_DEP_1) | instskip(NEXT) | instid1(VALU_DEP_1)
	v_mov_b32_dpp v29, v8 row_shr:2 row_mask:0xf bank_mask:0xf
	v_cndmask_b32_e64 v29, 0, v29, s3
	s_delay_alu instid0(VALU_DEP_1) | instskip(NEXT) | instid1(VALU_DEP_1)
	v_add_nc_u32_e32 v8, v8, v29
	v_mov_b32_dpp v29, v8 row_shr:4 row_mask:0xf bank_mask:0xf
	s_delay_alu instid0(VALU_DEP_1) | instskip(NEXT) | instid1(VALU_DEP_1)
	v_cndmask_b32_e64 v29, 0, v29, s6
	v_add_nc_u32_e32 v8, v8, v29
	s_delay_alu instid0(VALU_DEP_1) | instskip(NEXT) | instid1(VALU_DEP_1)
	v_mov_b32_dpp v29, v8 row_shr:8 row_mask:0xf bank_mask:0xf
	v_cndmask_b32_e64 v29, 0, v29, s4
	s_delay_alu instid0(VALU_DEP_1)
	v_add_nc_u32_e32 v8, v8, v29
	s_and_saveexec_b32 s16, s1
; %bb.83:
	v_mov_b32_e32 v29, 0
	ds_store_b32 v29, v8 offset:512
; %bb.84:
	s_wait_alu 0xfffe
	s_or_b32 exec_lo, exec_lo, s16
	ds_bpermute_b32 v29, v26, v8
	v_mov_b32_e32 v8, 0
	; wave barrier
	s_wait_loadcnt_dscnt 0x0
	global_inv scope:SCOPE_SE
	ds_load_b32 v30, v8 offset:512
	v_cndmask_b32_e64 v29, v29, 0, s11
	s_wait_dscnt 0x0
	s_delay_alu instid0(VALU_DEP_1) | instskip(NEXT) | instid1(VALU_DEP_1)
	v_lshl_add_u32 v29, v30, 16, v29
	v_add_nc_u32_e32 v30, v29, v9
	s_delay_alu instid0(VALU_DEP_1) | instskip(NEXT) | instid1(VALU_DEP_1)
	v_add_nc_u32_e32 v31, v30, v10
	v_add_nc_u32_e32 v32, v31, v11
	s_delay_alu instid0(VALU_DEP_1) | instskip(NEXT) | instid1(VALU_DEP_1)
	v_add_nc_u32_e32 v9, v32, v12
	;; [unrolled: 3-line block ×3, first 2 shown]
	v_add_nc_u32_e32 v12, v11, v7
	v_and_b32_e32 v7, 0xffff, v16
	ds_store_b128 v25, v[29:32]
	ds_store_b128 v25, v[9:12] offset:16
	; wave barrier
	s_wait_loadcnt_dscnt 0x0
	global_inv scope:SCOPE_SE
	ds_load_u16 v5, v15
	ds_load_u16 v6, v27
	v_and_b32_e32 v9, 0xffff, v28
	; wave barrier
	s_wait_loadcnt_dscnt 0x0
	global_inv scope:SCOPE_SE
	v_add_nc_u32_e32 v5, v5, v7
	v_add_nc_u32_e32 v6, v6, v9
	s_delay_alu instid0(VALU_DEP_2) | instskip(NEXT) | instid1(VALU_DEP_2)
	v_lshlrev_b32_e32 v7, 1, v5
	v_lshlrev_b32_e32 v9, 1, v6
	ds_store_b16 v7, v13
	ds_store_b16 v9, v14
	v_mad_u32_u24 v5, v5, 6, v7
	v_mad_u32_u24 v6, v6, 6, v9
	; wave barrier
	s_wait_loadcnt_dscnt 0x0
	global_inv scope:SCOPE_SE
	ds_load_b32 v13, v19
	; wave barrier
	s_wait_loadcnt_dscnt 0x0
	global_inv scope:SCOPE_SE
	ds_store_b64 v5, v[1:2]
	ds_store_b64 v6, v[3:4]
	; wave barrier
	s_wait_loadcnt_dscnt 0x0
	global_inv scope:SCOPE_SE
	ds_load_b128 v[1:4], v18
	; wave barrier
	s_wait_loadcnt_dscnt 0x0
	global_inv scope:SCOPE_SE
	s_and_saveexec_b32 s16, s7
	s_cbranch_execz .LBB254_93
; %bb.85:
	v_cmp_gt_u32_e32 vcc_lo, 0x70, v0
	ds_store_b32 v21, v8
	s_and_b32 exec_lo, exec_lo, vcc_lo
	s_cbranch_execz .LBB254_93
; %bb.86:
	v_mov_b32_e32 v5, 0
	v_cmp_gt_u32_e32 vcc_lo, 0x60, v0
	ds_store_b32 v21, v5 offset:64
	s_and_b32 exec_lo, exec_lo, vcc_lo
	s_cbranch_execz .LBB254_93
; %bb.87:
	v_cmp_gt_u32_e32 vcc_lo, 0x50, v0
	ds_store_b32 v21, v5 offset:128
	s_and_b32 exec_lo, exec_lo, vcc_lo
	s_cbranch_execz .LBB254_93
; %bb.88:
	v_mov_b32_e32 v5, 0
	v_cmp_gt_u32_e32 vcc_lo, 64, v0
	ds_store_b32 v21, v5 offset:192
	s_and_b32 exec_lo, exec_lo, vcc_lo
	s_cbranch_execz .LBB254_93
; %bb.89:
	v_cmp_gt_u32_e32 vcc_lo, 48, v0
	ds_store_b32 v21, v5 offset:256
	;; [unrolled: 11-line block ×3, first 2 shown]
	s_and_b32 exec_lo, exec_lo, vcc_lo
; %bb.92:
	v_mov_b32_e32 v5, 0
	ds_store_b32 v21, v5 offset:448
.LBB254_93:
	s_wait_alu 0xfffe
	s_or_b32 exec_lo, exec_lo, s16
	v_lshrrev_b16 v5, 8, v13
	v_cmp_ne_u16_e32 vcc_lo, 0x8000, v13
	s_min_u32 s16, s13, 8
	v_lshrrev_b32_e32 v14, 16, v13
	s_wait_alu 0xfffe
	s_lshl_b32 s16, -1, s16
	v_lshrrev_b32_e32 v7, 24, v13
	s_wait_alu 0xfffd
	v_cndmask_b32_e32 v5, 0x7f, v5, vcc_lo
	s_wait_alu 0xfffe
	s_not_b32 s16, s16
	v_cmp_ne_u16_e32 vcc_lo, 0x8000, v14
	s_delay_alu instid0(VALU_DEP_2) | instskip(SKIP_1) | instid1(VALU_DEP_1)
	v_and_b32_e32 v5, 0xffff, v5
	s_wait_alu 0xfffe
	v_and_b32_e32 v5, s16, v5
	s_delay_alu instid0(VALU_DEP_1) | instskip(SKIP_1) | instid1(VALU_DEP_2)
	v_lshlrev_b32_e32 v6, 4, v5
	v_lshrrev_b32_e32 v5, 2, v5
	v_and_or_b32 v6, 0x70, v6, v0
	s_delay_alu instid0(VALU_DEP_2) | instskip(NEXT) | instid1(VALU_DEP_1)
	v_and_b32_e32 v5, 62, v5
	v_lshl_add_u32 v15, v6, 2, v5
	s_wait_alu 0xfffd
	v_cndmask_b32_e32 v5, 0x7f, v7, vcc_lo
	ds_load_u16 v16, v15
	v_and_b32_e32 v5, 0xffff, v5
	s_delay_alu instid0(VALU_DEP_1) | instskip(NEXT) | instid1(VALU_DEP_1)
	v_and_b32_e32 v5, s16, v5
	v_lshlrev_b32_e32 v6, 4, v5
	v_lshrrev_b32_e32 v5, 2, v5
	s_delay_alu instid0(VALU_DEP_2) | instskip(NEXT) | instid1(VALU_DEP_2)
	v_and_or_b32 v6, 0x70, v6, v0
	v_and_b32_e32 v5, 62, v5
	s_wait_dscnt 0x0
	v_add_nc_u16 v7, v16, 1
	s_delay_alu instid0(VALU_DEP_2)
	v_lshl_add_u32 v27, v6, 2, v5
	ds_store_b16 v15, v7
	ds_load_u16 v28, v27
	s_wait_dscnt 0x0
	v_add_nc_u16 v5, v28, 1
	ds_store_b16 v27, v5
	; wave barrier
	s_wait_loadcnt_dscnt 0x0
	global_inv scope:SCOPE_SE
	ds_load_b128 v[9:12], v25
	ds_load_b128 v[5:8], v25 offset:16
	s_wait_dscnt 0x1
	v_add_nc_u32_e32 v29, v10, v9
	s_delay_alu instid0(VALU_DEP_1) | instskip(SKIP_1) | instid1(VALU_DEP_1)
	v_add3_u32 v29, v29, v11, v12
	s_wait_dscnt 0x0
	v_add3_u32 v29, v29, v5, v6
	s_delay_alu instid0(VALU_DEP_1) | instskip(NEXT) | instid1(VALU_DEP_1)
	v_add3_u32 v8, v29, v7, v8
	v_mov_b32_dpp v29, v8 row_shr:1 row_mask:0xf bank_mask:0xf
	s_delay_alu instid0(VALU_DEP_1) | instskip(NEXT) | instid1(VALU_DEP_1)
	v_cndmask_b32_e64 v29, v29, 0, s5
	v_add_nc_u32_e32 v8, v29, v8
	s_delay_alu instid0(VALU_DEP_1) | instskip(NEXT) | instid1(VALU_DEP_1)
	v_mov_b32_dpp v29, v8 row_shr:2 row_mask:0xf bank_mask:0xf
	v_cndmask_b32_e64 v29, 0, v29, s3
	s_delay_alu instid0(VALU_DEP_1) | instskip(NEXT) | instid1(VALU_DEP_1)
	v_add_nc_u32_e32 v8, v8, v29
	v_mov_b32_dpp v29, v8 row_shr:4 row_mask:0xf bank_mask:0xf
	s_delay_alu instid0(VALU_DEP_1) | instskip(NEXT) | instid1(VALU_DEP_1)
	v_cndmask_b32_e64 v29, 0, v29, s6
	v_add_nc_u32_e32 v8, v8, v29
	s_delay_alu instid0(VALU_DEP_1) | instskip(NEXT) | instid1(VALU_DEP_1)
	v_mov_b32_dpp v29, v8 row_shr:8 row_mask:0xf bank_mask:0xf
	v_cndmask_b32_e64 v29, 0, v29, s4
	s_delay_alu instid0(VALU_DEP_1)
	v_add_nc_u32_e32 v8, v8, v29
	s_and_saveexec_b32 s16, s1
; %bb.94:
	v_mov_b32_e32 v29, 0
	ds_store_b32 v29, v8 offset:512
; %bb.95:
	s_wait_alu 0xfffe
	s_or_b32 exec_lo, exec_lo, s16
	ds_bpermute_b32 v29, v26, v8
	v_mov_b32_e32 v8, 0
	; wave barrier
	s_wait_loadcnt_dscnt 0x0
	global_inv scope:SCOPE_SE
	ds_load_b32 v30, v8 offset:512
	v_cndmask_b32_e64 v29, v29, 0, s11
	s_wait_dscnt 0x0
	s_delay_alu instid0(VALU_DEP_1) | instskip(NEXT) | instid1(VALU_DEP_1)
	v_lshl_add_u32 v29, v30, 16, v29
	v_add_nc_u32_e32 v30, v29, v9
	s_delay_alu instid0(VALU_DEP_1) | instskip(NEXT) | instid1(VALU_DEP_1)
	v_add_nc_u32_e32 v31, v30, v10
	v_add_nc_u32_e32 v32, v31, v11
	s_delay_alu instid0(VALU_DEP_1) | instskip(NEXT) | instid1(VALU_DEP_1)
	v_add_nc_u32_e32 v9, v32, v12
	;; [unrolled: 3-line block ×3, first 2 shown]
	v_add_nc_u32_e32 v12, v11, v7
	v_and_b32_e32 v7, 0xffff, v16
	ds_store_b128 v25, v[29:32]
	ds_store_b128 v25, v[9:12] offset:16
	; wave barrier
	s_wait_loadcnt_dscnt 0x0
	global_inv scope:SCOPE_SE
	ds_load_u16 v5, v15
	ds_load_u16 v6, v27
	v_and_b32_e32 v9, 0xffff, v28
	; wave barrier
	s_wait_loadcnt_dscnt 0x0
	global_inv scope:SCOPE_SE
	v_add_nc_u32_e32 v5, v5, v7
	v_add_nc_u32_e32 v6, v6, v9
	s_delay_alu instid0(VALU_DEP_2) | instskip(NEXT) | instid1(VALU_DEP_2)
	v_lshlrev_b32_e32 v7, 1, v5
	v_lshlrev_b32_e32 v9, 1, v6
	ds_store_b16 v7, v13
	ds_store_b16 v9, v14
	v_mad_u32_u24 v5, v5, 6, v7
	v_mad_u32_u24 v6, v6, 6, v9
	; wave barrier
	s_wait_loadcnt_dscnt 0x0
	global_inv scope:SCOPE_SE
	ds_load_b32 v13, v19
	; wave barrier
	s_wait_loadcnt_dscnt 0x0
	global_inv scope:SCOPE_SE
	ds_store_b64 v5, v[1:2]
	ds_store_b64 v6, v[3:4]
	; wave barrier
	s_wait_loadcnt_dscnt 0x0
	global_inv scope:SCOPE_SE
	ds_load_b128 v[1:4], v18
	; wave barrier
	s_wait_loadcnt_dscnt 0x0
	global_inv scope:SCOPE_SE
	s_and_saveexec_b32 s16, s7
	s_cbranch_execz .LBB254_104
; %bb.96:
	v_cmp_gt_u32_e32 vcc_lo, 0x70, v0
	ds_store_b32 v21, v8
	s_and_b32 exec_lo, exec_lo, vcc_lo
	s_cbranch_execz .LBB254_104
; %bb.97:
	v_mov_b32_e32 v5, 0
	v_cmp_gt_u32_e32 vcc_lo, 0x60, v0
	ds_store_b32 v21, v5 offset:64
	s_and_b32 exec_lo, exec_lo, vcc_lo
	s_cbranch_execz .LBB254_104
; %bb.98:
	v_cmp_gt_u32_e32 vcc_lo, 0x50, v0
	ds_store_b32 v21, v5 offset:128
	s_and_b32 exec_lo, exec_lo, vcc_lo
	s_cbranch_execz .LBB254_104
; %bb.99:
	v_mov_b32_e32 v5, 0
	v_cmp_gt_u32_e32 vcc_lo, 64, v0
	ds_store_b32 v21, v5 offset:192
	s_and_b32 exec_lo, exec_lo, vcc_lo
	s_cbranch_execz .LBB254_104
; %bb.100:
	v_cmp_gt_u32_e32 vcc_lo, 48, v0
	ds_store_b32 v21, v5 offset:256
	;; [unrolled: 11-line block ×3, first 2 shown]
	s_and_b32 exec_lo, exec_lo, vcc_lo
; %bb.103:
	v_mov_b32_e32 v5, 0
	ds_store_b32 v21, v5 offset:448
.LBB254_104:
	s_wait_alu 0xfffe
	s_or_b32 exec_lo, exec_lo, s16
	v_lshrrev_b16 v5, 12, v13
	v_cmp_ne_u16_e32 vcc_lo, 0x8000, v13
	s_min_u32 s7, s13, 4
	v_lshrrev_b32_e32 v14, 16, v13
	s_wait_alu 0xfffe
	s_lshl_b32 s7, -1, s7
	v_lshrrev_b32_e32 v7, 28, v13
	s_wait_alu 0xfffd
	v_cndmask_b32_e32 v5, 7, v5, vcc_lo
	s_wait_alu 0xfffe
	s_not_b32 s7, s7
	v_cmp_ne_u16_e32 vcc_lo, 0x8000, v14
	s_delay_alu instid0(VALU_DEP_2) | instskip(SKIP_1) | instid1(VALU_DEP_1)
	v_and_b32_e32 v5, 0xffff, v5
	s_wait_alu 0xfffe
	v_and_b32_e32 v5, s7, v5
	s_delay_alu instid0(VALU_DEP_1) | instskip(SKIP_1) | instid1(VALU_DEP_2)
	v_lshlrev_b32_e32 v6, 4, v5
	v_lshrrev_b32_e32 v5, 2, v5
	v_and_or_b32 v6, 0x70, v6, v0
	s_delay_alu instid0(VALU_DEP_2) | instskip(NEXT) | instid1(VALU_DEP_1)
	v_and_b32_e32 v5, 2, v5
	v_lshl_or_b32 v15, v6, 2, v5
	s_wait_alu 0xfffd
	v_cndmask_b32_e32 v5, 7, v7, vcc_lo
	ds_load_u16 v16, v15
	v_and_b32_e32 v5, 0xffff, v5
	s_delay_alu instid0(VALU_DEP_1) | instskip(NEXT) | instid1(VALU_DEP_1)
	v_and_b32_e32 v5, s7, v5
	v_lshlrev_b32_e32 v6, 4, v5
	v_lshrrev_b32_e32 v5, 2, v5
	s_delay_alu instid0(VALU_DEP_2) | instskip(NEXT) | instid1(VALU_DEP_2)
	v_and_or_b32 v0, 0x70, v6, v0
	v_and_b32_e32 v5, 2, v5
	s_wait_dscnt 0x0
	v_add_nc_u16 v6, v16, 1
	s_delay_alu instid0(VALU_DEP_2)
	v_lshl_or_b32 v0, v0, 2, v5
	ds_store_b16 v15, v6
	ds_load_u16 v27, v0
	s_wait_dscnt 0x0
	v_add_nc_u16 v5, v27, 1
	ds_store_b16 v0, v5
	; wave barrier
	s_wait_loadcnt_dscnt 0x0
	global_inv scope:SCOPE_SE
	ds_load_b128 v[9:12], v25
	ds_load_b128 v[5:8], v25 offset:16
	s_wait_dscnt 0x1
	v_add_nc_u32_e32 v28, v10, v9
	s_delay_alu instid0(VALU_DEP_1) | instskip(SKIP_1) | instid1(VALU_DEP_1)
	v_add3_u32 v28, v28, v11, v12
	s_wait_dscnt 0x0
	v_add3_u32 v28, v28, v5, v6
	s_delay_alu instid0(VALU_DEP_1) | instskip(NEXT) | instid1(VALU_DEP_1)
	v_add3_u32 v8, v28, v7, v8
	v_mov_b32_dpp v28, v8 row_shr:1 row_mask:0xf bank_mask:0xf
	s_delay_alu instid0(VALU_DEP_1) | instskip(NEXT) | instid1(VALU_DEP_1)
	v_cndmask_b32_e64 v28, v28, 0, s5
	v_add_nc_u32_e32 v8, v28, v8
	s_delay_alu instid0(VALU_DEP_1) | instskip(NEXT) | instid1(VALU_DEP_1)
	v_mov_b32_dpp v28, v8 row_shr:2 row_mask:0xf bank_mask:0xf
	v_cndmask_b32_e64 v28, 0, v28, s3
	s_delay_alu instid0(VALU_DEP_1) | instskip(NEXT) | instid1(VALU_DEP_1)
	v_add_nc_u32_e32 v8, v8, v28
	v_mov_b32_dpp v28, v8 row_shr:4 row_mask:0xf bank_mask:0xf
	s_delay_alu instid0(VALU_DEP_1) | instskip(NEXT) | instid1(VALU_DEP_1)
	v_cndmask_b32_e64 v28, 0, v28, s6
	v_add_nc_u32_e32 v8, v8, v28
	s_delay_alu instid0(VALU_DEP_1) | instskip(NEXT) | instid1(VALU_DEP_1)
	v_mov_b32_dpp v28, v8 row_shr:8 row_mask:0xf bank_mask:0xf
	v_cndmask_b32_e64 v28, 0, v28, s4
	s_delay_alu instid0(VALU_DEP_1)
	v_add_nc_u32_e32 v8, v8, v28
	s_and_saveexec_b32 s3, s1
; %bb.105:
	v_mov_b32_e32 v28, 0
	ds_store_b32 v28, v8 offset:512
; %bb.106:
	s_wait_alu 0xfffe
	s_or_b32 exec_lo, exec_lo, s3
	ds_bpermute_b32 v8, v26, v8
	v_mov_b32_e32 v26, 0
	; wave barrier
	s_wait_loadcnt_dscnt 0x0
	global_inv scope:SCOPE_SE
	ds_load_b32 v26, v26 offset:512
	v_cndmask_b32_e64 v8, v8, 0, s11
	s_wait_dscnt 0x0
	s_delay_alu instid0(VALU_DEP_1) | instskip(NEXT) | instid1(VALU_DEP_1)
	v_lshl_add_u32 v8, v26, 16, v8
	v_add_nc_u32_e32 v9, v8, v9
	s_delay_alu instid0(VALU_DEP_1) | instskip(NEXT) | instid1(VALU_DEP_1)
	v_add_nc_u32_e32 v10, v9, v10
	v_add_nc_u32_e32 v11, v10, v11
	s_delay_alu instid0(VALU_DEP_1) | instskip(NEXT) | instid1(VALU_DEP_1)
	v_add_nc_u32_e32 v28, v11, v12
	v_add_nc_u32_e32 v29, v28, v5
	s_delay_alu instid0(VALU_DEP_1) | instskip(SKIP_1) | instid1(VALU_DEP_2)
	v_add_nc_u32_e32 v30, v29, v6
	v_and_b32_e32 v6, 0xffff, v16
	v_add_nc_u32_e32 v31, v30, v7
	v_and_b32_e32 v7, 0xffff, v27
	ds_store_b128 v25, v[8:11]
	ds_store_b128 v25, v[28:31] offset:16
	; wave barrier
	s_wait_loadcnt_dscnt 0x0
	global_inv scope:SCOPE_SE
	ds_load_u16 v5, v15
	ds_load_u16 v0, v0
	; wave barrier
	s_wait_loadcnt_dscnt 0x0
	global_inv scope:SCOPE_SE
	v_add_nc_u32_e32 v5, v5, v6
	v_add_nc_u32_e32 v0, v0, v7
	s_delay_alu instid0(VALU_DEP_2) | instskip(NEXT) | instid1(VALU_DEP_2)
	v_lshlrev_b32_e32 v6, 1, v5
	v_lshlrev_b32_e32 v7, 1, v0
	ds_store_b16 v6, v13
	ds_store_b16 v7, v14
	; wave barrier
	s_wait_loadcnt_dscnt 0x0
	global_inv scope:SCOPE_SE
	ds_load_b32 v9, v19
	v_mad_u32_u24 v5, v5, 6, v6
	v_mad_u32_u24 v0, v0, 6, v7
	; wave barrier
	s_wait_loadcnt_dscnt 0x0
	global_inv scope:SCOPE_SE
	ds_store_b64 v5, v[1:2]
	ds_store_b64 v0, v[3:4]
	; wave barrier
	s_wait_loadcnt_dscnt 0x0
	global_inv scope:SCOPE_SE
	ds_load_b128 v[5:8], v18
	v_lshrrev_b32_e32 v0, 16, v9
	v_cmp_gt_i16_e32 vcc_lo, 0, v9
	s_wait_alu 0xfffd
	v_cndmask_b32_e64 v1, 0x7fff, 0, vcc_lo
	s_delay_alu instid0(VALU_DEP_3) | instskip(SKIP_2) | instid1(VALU_DEP_1)
	v_cmp_gt_i16_e32 vcc_lo, 0, v0
	s_wait_alu 0xfffd
	v_cndmask_b32_e64 v0, 0x7fff, 0, vcc_lo
	v_perm_b32 v0, v0, v1, 0x5040100
	s_delay_alu instid0(VALU_DEP_1)
	v_xor_b32_e32 v9, v0, v9
.LBB254_107:
	; wave barrier
	s_wait_loadcnt_dscnt 0x0
	global_inv scope:SCOPE_SE
	ds_store_b32 v21, v9
	; wave barrier
	s_wait_loadcnt_dscnt 0x0
	global_inv scope:SCOPE_SE
	ds_load_u16 v2, v22 offset:32
	v_mov_b32_e32 v21, 0
	s_delay_alu instid0(VALU_DEP_1) | instskip(NEXT) | instid1(VALU_DEP_1)
	v_lshlrev_b64_e32 v[0:1], 1, v[20:21]
	v_add_co_u32 v0, vcc_lo, s14, v0
	s_wait_alu 0xfffd
	s_delay_alu instid0(VALU_DEP_2)
	v_add_co_ci_u32_e64 v1, null, s15, v1, vcc_lo
	s_and_saveexec_b32 s1, s2
	s_cbranch_execz .LBB254_109
; %bb.108:
	ds_load_u16 v3, v22
	s_wait_dscnt 0x0
	global_store_b16 v[0:1], v3, off
.LBB254_109:
	s_or_b32 exec_lo, exec_lo, s1
	s_and_saveexec_b32 s1, s0
	s_cbranch_execz .LBB254_111
; %bb.110:
	s_lshl_b32 s4, s10, 4
	s_mov_b32 s5, 0
	s_wait_alu 0xfffe
	s_lshl_b64 s[4:5], s[4:5], 1
	s_wait_alu 0xfffe
	v_add_co_u32 v0, vcc_lo, v0, s4
	s_wait_alu 0xfffd
	v_add_co_ci_u32_e64 v1, null, s5, v1, vcc_lo
	s_wait_dscnt 0x0
	global_store_b16 v[0:1], v2, off
.LBB254_111:
	s_or_b32 exec_lo, exec_lo, s1
	s_wait_storecnt 0x0
	; wave barrier
	s_wait_loadcnt_dscnt 0x0
	global_inv scope:SCOPE_SE
	ds_store_2addr_b64 v24, v[5:6], v[7:8] offset1:1
	; wave barrier
	s_wait_loadcnt_dscnt 0x0
	global_inv scope:SCOPE_SE
	ds_load_b64 v[0:1], v23 offset:128
	v_mov_b32_e32 v18, 0
	s_delay_alu instid0(VALU_DEP_1) | instskip(NEXT) | instid1(VALU_DEP_1)
	v_lshlrev_b64_e32 v[2:3], 3, v[17:18]
	v_add_co_u32 v2, vcc_lo, s8, v2
	s_wait_alu 0xfffd
	s_delay_alu instid0(VALU_DEP_2)
	v_add_co_ci_u32_e64 v3, null, s9, v3, vcc_lo
	s_and_saveexec_b32 s1, s2
	s_cbranch_execz .LBB254_113
; %bb.112:
	ds_load_b64 v[4:5], v23
	s_wait_dscnt 0x0
	global_store_b64 v[2:3], v[4:5], off
.LBB254_113:
	s_or_b32 exec_lo, exec_lo, s1
	s_and_saveexec_b32 s1, s0
	s_cbranch_execz .LBB254_115
; %bb.114:
	s_lshl_b32 s0, s12, 4
	s_mov_b32 s1, 0
	s_delay_alu instid0(SALU_CYCLE_1) | instskip(NEXT) | instid1(SALU_CYCLE_1)
	s_lshl_b64 s[0:1], s[0:1], 3
	v_add_co_u32 v2, vcc_lo, v2, s0
	s_wait_alu 0xfffd
	v_add_co_ci_u32_e64 v3, null, s1, v3, vcc_lo
	s_wait_dscnt 0x0
	global_store_b64 v[2:3], v[0:1], off
.LBB254_115:
	s_endpgm
	.section	.rodata,"a",@progbits
	.p2align	6, 0x0
	.amdhsa_kernel _ZN2at6native18radixSortKVInPlaceILin1ELin1ELi16ELi2EN3c108BFloat16EljEEvNS_4cuda6detail10TensorInfoIT3_T5_EES8_S8_S8_NS6_IT4_S8_EES8_b
		.amdhsa_group_segment_fixed_size 528
		.amdhsa_private_segment_fixed_size 0
		.amdhsa_kernarg_size 712
		.amdhsa_user_sgpr_count 2
		.amdhsa_user_sgpr_dispatch_ptr 0
		.amdhsa_user_sgpr_queue_ptr 0
		.amdhsa_user_sgpr_kernarg_segment_ptr 1
		.amdhsa_user_sgpr_dispatch_id 0
		.amdhsa_user_sgpr_private_segment_size 0
		.amdhsa_wavefront_size32 1
		.amdhsa_uses_dynamic_stack 0
		.amdhsa_enable_private_segment 0
		.amdhsa_system_sgpr_workgroup_id_x 1
		.amdhsa_system_sgpr_workgroup_id_y 1
		.amdhsa_system_sgpr_workgroup_id_z 1
		.amdhsa_system_sgpr_workgroup_info 0
		.amdhsa_system_vgpr_workitem_id 0
		.amdhsa_next_free_vgpr 39
		.amdhsa_next_free_sgpr 18
		.amdhsa_reserve_vcc 1
		.amdhsa_float_round_mode_32 0
		.amdhsa_float_round_mode_16_64 0
		.amdhsa_float_denorm_mode_32 3
		.amdhsa_float_denorm_mode_16_64 3
		.amdhsa_fp16_overflow 0
		.amdhsa_workgroup_processor_mode 1
		.amdhsa_memory_ordered 1
		.amdhsa_forward_progress 1
		.amdhsa_inst_pref_size 76
		.amdhsa_round_robin_scheduling 0
		.amdhsa_exception_fp_ieee_invalid_op 0
		.amdhsa_exception_fp_denorm_src 0
		.amdhsa_exception_fp_ieee_div_zero 0
		.amdhsa_exception_fp_ieee_overflow 0
		.amdhsa_exception_fp_ieee_underflow 0
		.amdhsa_exception_fp_ieee_inexact 0
		.amdhsa_exception_int_div_zero 0
	.end_amdhsa_kernel
	.section	.text._ZN2at6native18radixSortKVInPlaceILin1ELin1ELi16ELi2EN3c108BFloat16EljEEvNS_4cuda6detail10TensorInfoIT3_T5_EES8_S8_S8_NS6_IT4_S8_EES8_b,"axG",@progbits,_ZN2at6native18radixSortKVInPlaceILin1ELin1ELi16ELi2EN3c108BFloat16EljEEvNS_4cuda6detail10TensorInfoIT3_T5_EES8_S8_S8_NS6_IT4_S8_EES8_b,comdat
.Lfunc_end254:
	.size	_ZN2at6native18radixSortKVInPlaceILin1ELin1ELi16ELi2EN3c108BFloat16EljEEvNS_4cuda6detail10TensorInfoIT3_T5_EES8_S8_S8_NS6_IT4_S8_EES8_b, .Lfunc_end254-_ZN2at6native18radixSortKVInPlaceILin1ELin1ELi16ELi2EN3c108BFloat16EljEEvNS_4cuda6detail10TensorInfoIT3_T5_EES8_S8_S8_NS6_IT4_S8_EES8_b
                                        ; -- End function
	.set _ZN2at6native18radixSortKVInPlaceILin1ELin1ELi16ELi2EN3c108BFloat16EljEEvNS_4cuda6detail10TensorInfoIT3_T5_EES8_S8_S8_NS6_IT4_S8_EES8_b.num_vgpr, 39
	.set _ZN2at6native18radixSortKVInPlaceILin1ELin1ELi16ELi2EN3c108BFloat16EljEEvNS_4cuda6detail10TensorInfoIT3_T5_EES8_S8_S8_NS6_IT4_S8_EES8_b.num_agpr, 0
	.set _ZN2at6native18radixSortKVInPlaceILin1ELin1ELi16ELi2EN3c108BFloat16EljEEvNS_4cuda6detail10TensorInfoIT3_T5_EES8_S8_S8_NS6_IT4_S8_EES8_b.numbered_sgpr, 18
	.set _ZN2at6native18radixSortKVInPlaceILin1ELin1ELi16ELi2EN3c108BFloat16EljEEvNS_4cuda6detail10TensorInfoIT3_T5_EES8_S8_S8_NS6_IT4_S8_EES8_b.num_named_barrier, 0
	.set _ZN2at6native18radixSortKVInPlaceILin1ELin1ELi16ELi2EN3c108BFloat16EljEEvNS_4cuda6detail10TensorInfoIT3_T5_EES8_S8_S8_NS6_IT4_S8_EES8_b.private_seg_size, 0
	.set _ZN2at6native18radixSortKVInPlaceILin1ELin1ELi16ELi2EN3c108BFloat16EljEEvNS_4cuda6detail10TensorInfoIT3_T5_EES8_S8_S8_NS6_IT4_S8_EES8_b.uses_vcc, 1
	.set _ZN2at6native18radixSortKVInPlaceILin1ELin1ELi16ELi2EN3c108BFloat16EljEEvNS_4cuda6detail10TensorInfoIT3_T5_EES8_S8_S8_NS6_IT4_S8_EES8_b.uses_flat_scratch, 0
	.set _ZN2at6native18radixSortKVInPlaceILin1ELin1ELi16ELi2EN3c108BFloat16EljEEvNS_4cuda6detail10TensorInfoIT3_T5_EES8_S8_S8_NS6_IT4_S8_EES8_b.has_dyn_sized_stack, 0
	.set _ZN2at6native18radixSortKVInPlaceILin1ELin1ELi16ELi2EN3c108BFloat16EljEEvNS_4cuda6detail10TensorInfoIT3_T5_EES8_S8_S8_NS6_IT4_S8_EES8_b.has_recursion, 0
	.set _ZN2at6native18radixSortKVInPlaceILin1ELin1ELi16ELi2EN3c108BFloat16EljEEvNS_4cuda6detail10TensorInfoIT3_T5_EES8_S8_S8_NS6_IT4_S8_EES8_b.has_indirect_call, 0
	.section	.AMDGPU.csdata,"",@progbits
; Kernel info:
; codeLenInByte = 9708
; TotalNumSgprs: 20
; NumVgprs: 39
; ScratchSize: 0
; MemoryBound: 0
; FloatMode: 240
; IeeeMode: 1
; LDSByteSize: 528 bytes/workgroup (compile time only)
; SGPRBlocks: 0
; VGPRBlocks: 4
; NumSGPRsForWavesPerEU: 20
; NumVGPRsForWavesPerEU: 39
; Occupancy: 16
; WaveLimiterHint : 1
; COMPUTE_PGM_RSRC2:SCRATCH_EN: 0
; COMPUTE_PGM_RSRC2:USER_SGPR: 2
; COMPUTE_PGM_RSRC2:TRAP_HANDLER: 0
; COMPUTE_PGM_RSRC2:TGID_X_EN: 1
; COMPUTE_PGM_RSRC2:TGID_Y_EN: 1
; COMPUTE_PGM_RSRC2:TGID_Z_EN: 1
; COMPUTE_PGM_RSRC2:TIDIG_COMP_CNT: 0
	.section	.text._ZN2at6native18radixSortKVInPlaceILin1ELin1ELi512ELi8EN3c108BFloat16ElmEEvNS_4cuda6detail10TensorInfoIT3_T5_EES8_S8_S8_NS6_IT4_S8_EES8_b,"axG",@progbits,_ZN2at6native18radixSortKVInPlaceILin1ELin1ELi512ELi8EN3c108BFloat16ElmEEvNS_4cuda6detail10TensorInfoIT3_T5_EES8_S8_S8_NS6_IT4_S8_EES8_b,comdat
	.protected	_ZN2at6native18radixSortKVInPlaceILin1ELin1ELi512ELi8EN3c108BFloat16ElmEEvNS_4cuda6detail10TensorInfoIT3_T5_EES8_S8_S8_NS6_IT4_S8_EES8_b ; -- Begin function _ZN2at6native18radixSortKVInPlaceILin1ELin1ELi512ELi8EN3c108BFloat16ElmEEvNS_4cuda6detail10TensorInfoIT3_T5_EES8_S8_S8_NS6_IT4_S8_EES8_b
	.globl	_ZN2at6native18radixSortKVInPlaceILin1ELin1ELi512ELi8EN3c108BFloat16ElmEEvNS_4cuda6detail10TensorInfoIT3_T5_EES8_S8_S8_NS6_IT4_S8_EES8_b
	.p2align	8
	.type	_ZN2at6native18radixSortKVInPlaceILin1ELin1ELi512ELi8EN3c108BFloat16ElmEEvNS_4cuda6detail10TensorInfoIT3_T5_EES8_S8_S8_NS6_IT4_S8_EES8_b,@function
_ZN2at6native18radixSortKVInPlaceILin1ELin1ELi512ELi8EN3c108BFloat16ElmEEvNS_4cuda6detail10TensorInfoIT3_T5_EES8_S8_S8_NS6_IT4_S8_EES8_b: ; @_ZN2at6native18radixSortKVInPlaceILin1ELin1ELi512ELi8EN3c108BFloat16ElmEEvNS_4cuda6detail10TensorInfoIT3_T5_EES8_S8_S8_NS6_IT4_S8_EES8_b
; %bb.0:
	s_clause 0x1
	s_load_b64 s[2:3], s[0:1], 0x368
	s_load_b128 s[8:11], s[0:1], 0x1a0
	s_lshr_b32 s4, ttmp7, 16
	s_and_b32 s5, ttmp7, 0xffff
	s_wait_kmcnt 0x0
	s_mul_i32 s3, s3, s4
	s_delay_alu instid0(SALU_CYCLE_1) | instskip(NEXT) | instid1(SALU_CYCLE_1)
	s_add_co_i32 s3, s3, s5
	s_mul_i32 s2, s3, s2
	s_mov_b32 s3, 0
	s_add_co_i32 s2, s2, ttmp9
	s_delay_alu instid0(SALU_CYCLE_1)
	v_cmp_le_u64_e64 s4, s[8:9], s[2:3]
	s_and_b32 vcc_lo, exec_lo, s4
	s_cbranch_vccnz .LBB255_160
; %bb.1:
	s_clause 0x1
	s_load_b32 s9, s[0:1], 0x198
	s_load_b64 s[24:25], s[0:1], 0x1b0
	s_mov_b64 s[4:5], 0
	s_mov_b64 s[6:7], s[2:3]
	s_wait_kmcnt 0x0
	s_cmp_lt_i32 s9, 2
	s_cbranch_scc1 .LBB255_9
; %bb.2:
	s_mov_b32 s8, 0
	s_add_co_i32 s4, s9, -1
	s_wait_alu 0xfffe
	s_mov_b32 s5, s8
	s_add_co_i32 s11, s9, 1
	s_lshl_b64 s[4:5], s[4:5], 3
	s_mov_b64 s[14:15], s[2:3]
	s_add_nc_u64 s[6:7], s[0:1], s[4:5]
	s_mov_b64 s[4:5], 0
	s_add_nc_u64 s[12:13], s[6:7], 8
.LBB255_3:                              ; =>This Inner Loop Header: Depth=1
	s_load_b64 s[16:17], s[12:13], 0x0
	s_wait_kmcnt 0x0
	s_or_b64 s[6:7], s[14:15], s[16:17]
	s_wait_alu 0xfffe
	s_mov_b32 s9, s7
                                        ; implicit-def: $sgpr6_sgpr7
	s_wait_alu 0xfffe
	s_cmp_lg_u64 s[8:9], 0
	s_mov_b32 s9, -1
	s_cbranch_scc0 .LBB255_5
; %bb.4:                                ;   in Loop: Header=BB255_3 Depth=1
	s_cvt_f32_u32 s6, s16
	s_cvt_f32_u32 s7, s17
	s_sub_nc_u64 s[18:19], 0, s[16:17]
	s_mov_b32 s21, s8
	s_mov_b32 s27, s8
	s_wait_alu 0xfffe
	s_fmamk_f32 s6, s7, 0x4f800000, s6
	s_wait_alu 0xfffe
	s_delay_alu instid0(SALU_CYCLE_2) | instskip(NEXT) | instid1(TRANS32_DEP_1)
	v_s_rcp_f32 s6, s6
	s_mul_f32 s6, s6, 0x5f7ffffc
	s_wait_alu 0xfffe
	s_delay_alu instid0(SALU_CYCLE_2) | instskip(SKIP_1) | instid1(SALU_CYCLE_2)
	s_mul_f32 s7, s6, 0x2f800000
	s_wait_alu 0xfffe
	s_trunc_f32 s7, s7
	s_wait_alu 0xfffe
	s_delay_alu instid0(SALU_CYCLE_2) | instskip(SKIP_2) | instid1(SALU_CYCLE_1)
	s_fmamk_f32 s6, s7, 0xcf800000, s6
	s_cvt_u32_f32 s7, s7
	s_wait_alu 0xfffe
	s_cvt_u32_f32 s6, s6
	s_wait_alu 0xfffe
	s_delay_alu instid0(SALU_CYCLE_2) | instskip(NEXT) | instid1(SALU_CYCLE_1)
	s_mul_u64 s[22:23], s[18:19], s[6:7]
	s_mul_hi_u32 s29, s6, s23
	s_mul_i32 s28, s6, s23
	s_mul_hi_u32 s20, s6, s22
	s_mul_i32 s26, s7, s22
	s_add_nc_u64 s[20:21], s[20:21], s[28:29]
	s_mul_hi_u32 s9, s7, s22
	s_mul_hi_u32 s30, s7, s23
	s_add_co_u32 s20, s20, s26
	s_wait_alu 0xfffe
	s_add_co_ci_u32 s26, s21, s9
	s_mul_i32 s22, s7, s23
	s_add_co_ci_u32 s23, s30, 0
	s_delay_alu instid0(SALU_CYCLE_1)
	s_add_nc_u64 s[20:21], s[26:27], s[22:23]
	s_mov_b32 s23, s8
	s_add_co_u32 s6, s6, s20
	s_cselect_b32 s9, -1, 0
	s_wait_alu 0xfffe
	s_cmp_lg_u32 s9, 0
	s_add_co_ci_u32 s7, s7, s21
	s_mov_b32 s21, s8
	s_wait_alu 0xfffe
	s_mul_u64 s[18:19], s[18:19], s[6:7]
	s_delay_alu instid0(SALU_CYCLE_1)
	s_mul_hi_u32 s27, s6, s19
	s_mul_i32 s26, s6, s19
	s_mul_hi_u32 s20, s6, s18
	s_mul_i32 s22, s7, s18
	s_add_nc_u64 s[20:21], s[20:21], s[26:27]
	s_mul_hi_u32 s9, s7, s18
	s_mul_hi_u32 s28, s7, s19
	s_mul_i32 s18, s7, s19
	s_add_co_u32 s19, s20, s22
	s_wait_alu 0xfffe
	s_add_co_ci_u32 s22, s21, s9
	s_add_co_ci_u32 s19, s28, 0
	s_mov_b32 s21, s8
	s_add_nc_u64 s[18:19], s[22:23], s[18:19]
	s_delay_alu instid0(SALU_CYCLE_1)
	s_add_co_u32 s6, s6, s18
	s_cselect_b32 s9, -1, 0
	s_wait_alu 0xfffe
	s_mul_hi_u32 s20, s14, s6
	s_cmp_lg_u32 s9, 0
	s_mul_hi_u32 s9, s15, s6
	s_add_co_ci_u32 s18, s7, s19
	s_mul_i32 s19, s15, s6
	s_mul_hi_u32 s7, s14, s18
	s_mul_i32 s6, s14, s18
	s_mul_hi_u32 s26, s15, s18
	s_wait_alu 0xfffe
	s_add_nc_u64 s[6:7], s[20:21], s[6:7]
	s_mul_i32 s18, s15, s18
	s_wait_alu 0xfffe
	s_add_co_u32 s6, s6, s19
	s_add_co_ci_u32 s22, s7, s9
	s_add_co_ci_u32 s19, s26, 0
	s_delay_alu instid0(SALU_CYCLE_1) | instskip(SKIP_2) | instid1(SALU_CYCLE_1)
	s_add_nc_u64 s[6:7], s[22:23], s[18:19]
	s_wait_alu 0xfffe
	s_mul_u64 s[18:19], s[16:17], s[6:7]
	s_sub_co_u32 s9, s14, s18
	s_cselect_b32 s18, -1, 0
	s_sub_co_i32 s20, s15, s19
	s_cmp_lg_u32 s18, 0
	s_sub_co_ci_u32 s20, s20, s17
	s_wait_alu 0xfffe
	s_sub_co_u32 s21, s9, s16
	s_cselect_b32 s22, -1, 0
	s_delay_alu instid0(SALU_CYCLE_1) | instskip(SKIP_1) | instid1(SALU_CYCLE_1)
	s_cmp_lg_u32 s22, 0
	s_sub_co_ci_u32 s20, s20, 0
	s_cmp_ge_u32 s20, s17
	s_cselect_b32 s22, -1, 0
	s_cmp_ge_u32 s21, s16
	s_cselect_b32 s23, -1, 0
	s_cmp_eq_u32 s20, s17
	s_add_nc_u64 s[20:21], s[6:7], 1
	s_cselect_b32 s26, s23, s22
	s_add_nc_u64 s[22:23], s[6:7], 2
	s_cmp_lg_u32 s26, 0
	s_cselect_b32 s20, s22, s20
	s_cselect_b32 s21, s23, s21
	s_cmp_lg_u32 s18, 0
	s_sub_co_ci_u32 s18, s15, s19
	s_delay_alu instid0(SALU_CYCLE_1)
	s_cmp_ge_u32 s18, s17
	s_cselect_b32 s19, -1, 0
	s_cmp_ge_u32 s9, s16
	s_cselect_b32 s9, -1, 0
	s_cmp_eq_u32 s18, s17
	s_wait_alu 0xfffe
	s_cselect_b32 s9, s9, s19
	s_wait_alu 0xfffe
	s_cmp_lg_u32 s9, 0
	s_mov_b32 s9, 0
	s_cselect_b32 s7, s21, s7
	s_cselect_b32 s6, s20, s6
.LBB255_5:                              ;   in Loop: Header=BB255_3 Depth=1
	s_wait_alu 0xfffe
	s_and_not1_b32 vcc_lo, exec_lo, s9
	s_cbranch_vccnz .LBB255_7
; %bb.6:                                ;   in Loop: Header=BB255_3 Depth=1
	v_cvt_f32_u32_e32 v1, s16
	s_sub_co_i32 s7, 0, s16
	s_delay_alu instid0(VALU_DEP_1) | instskip(NEXT) | instid1(TRANS32_DEP_1)
	v_rcp_iflag_f32_e32 v1, v1
	v_mul_f32_e32 v1, 0x4f7ffffe, v1
	s_delay_alu instid0(VALU_DEP_1) | instskip(NEXT) | instid1(VALU_DEP_1)
	v_cvt_u32_f32_e32 v1, v1
	v_readfirstlane_b32 s6, v1
	s_wait_alu 0xfffe
	s_mul_i32 s7, s7, s6
	s_wait_alu 0xfffe
	s_mul_hi_u32 s7, s6, s7
	s_wait_alu 0xfffe
	s_add_co_i32 s6, s6, s7
	s_wait_alu 0xfffe
	s_mul_hi_u32 s6, s14, s6
	s_wait_alu 0xfffe
	s_mul_i32 s7, s6, s16
	s_add_co_i32 s9, s6, 1
	s_wait_alu 0xfffe
	s_sub_co_i32 s7, s14, s7
	s_wait_alu 0xfffe
	s_sub_co_i32 s18, s7, s16
	s_cmp_ge_u32 s7, s16
	s_cselect_b32 s6, s9, s6
	s_cselect_b32 s7, s18, s7
	s_wait_alu 0xfffe
	s_add_co_i32 s9, s6, 1
	s_cmp_ge_u32 s7, s16
	s_mov_b32 s7, s8
	s_wait_alu 0xfffe
	s_cselect_b32 s6, s9, s6
.LBB255_7:                              ;   in Loop: Header=BB255_3 Depth=1
	s_load_b64 s[18:19], s[12:13], 0xc8
	s_mul_u64 s[16:17], s[6:7], s[16:17]
	s_add_co_i32 s11, s11, -1
	s_wait_alu 0xfffe
	s_sub_nc_u64 s[14:15], s[14:15], s[16:17]
	s_cmp_gt_u32 s11, 2
	s_add_nc_u64 s[12:13], s[12:13], -8
	s_wait_kmcnt 0x0
	s_mul_u64 s[14:15], s[18:19], s[14:15]
	s_delay_alu instid0(SALU_CYCLE_1)
	s_add_nc_u64 s[4:5], s[14:15], s[4:5]
	s_cbranch_scc0 .LBB255_9
; %bb.8:                                ;   in Loop: Header=BB255_3 Depth=1
	s_mov_b64 s[14:15], s[6:7]
	s_branch .LBB255_3
.LBB255_9:
	s_load_b32 s9, s[0:1], 0x350
	s_add_nc_u64 s[34:35], s[0:1], 0x368
	s_mov_b64 s[12:13], 0
	s_wait_kmcnt 0x0
	s_cmp_lt_i32 s9, 2
	s_cbranch_scc1 .LBB255_17
; %bb.10:
	s_mov_b32 s8, 0
	s_add_co_i32 s12, s9, -1
	s_wait_alu 0xfffe
	s_mov_b32 s13, s8
	s_add_co_i32 s11, s9, 1
	s_lshl_b64 s[12:13], s[12:13], 3
	s_delay_alu instid0(SALU_CYCLE_1) | instskip(NEXT) | instid1(SALU_CYCLE_1)
	s_add_nc_u64 s[12:13], s[0:1], s[12:13]
	s_add_nc_u64 s[16:17], s[12:13], 0x1c0
	s_mov_b64 s[12:13], 0
.LBB255_11:                             ; =>This Inner Loop Header: Depth=1
	s_load_b64 s[18:19], s[16:17], 0x0
	s_wait_kmcnt 0x0
	s_or_b64 s[14:15], s[2:3], s[18:19]
	s_delay_alu instid0(SALU_CYCLE_1)
	s_mov_b32 s9, s15
                                        ; implicit-def: $sgpr14_sgpr15
	s_wait_alu 0xfffe
	s_cmp_lg_u64 s[8:9], 0
	s_mov_b32 s9, -1
	s_cbranch_scc0 .LBB255_13
; %bb.12:                               ;   in Loop: Header=BB255_11 Depth=1
	s_cvt_f32_u32 s9, s18
	s_cvt_f32_u32 s14, s19
	s_sub_nc_u64 s[20:21], 0, s[18:19]
	s_mov_b32 s23, s8
	s_mov_b32 s29, s8
	s_wait_alu 0xfffe
	s_fmamk_f32 s9, s14, 0x4f800000, s9
	s_wait_alu 0xfffe
	s_delay_alu instid0(SALU_CYCLE_2) | instskip(NEXT) | instid1(TRANS32_DEP_1)
	v_s_rcp_f32 s9, s9
	s_mul_f32 s9, s9, 0x5f7ffffc
	s_wait_alu 0xfffe
	s_delay_alu instid0(SALU_CYCLE_2) | instskip(NEXT) | instid1(SALU_CYCLE_3)
	s_mul_f32 s14, s9, 0x2f800000
	s_trunc_f32 s14, s14
	s_delay_alu instid0(SALU_CYCLE_3) | instskip(SKIP_2) | instid1(SALU_CYCLE_1)
	s_fmamk_f32 s9, s14, 0xcf800000, s9
	s_cvt_u32_f32 s15, s14
	s_wait_alu 0xfffe
	s_cvt_u32_f32 s14, s9
	s_delay_alu instid0(SALU_CYCLE_3) | instskip(NEXT) | instid1(SALU_CYCLE_1)
	s_mul_u64 s[26:27], s[20:21], s[14:15]
	s_mul_hi_u32 s31, s14, s27
	s_mul_i32 s30, s14, s27
	s_mul_hi_u32 s22, s14, s26
	s_mul_i32 s28, s15, s26
	s_add_nc_u64 s[22:23], s[22:23], s[30:31]
	s_mul_hi_u32 s9, s15, s26
	s_mul_hi_u32 s33, s15, s27
	s_add_co_u32 s22, s22, s28
	s_wait_alu 0xfffe
	s_add_co_ci_u32 s28, s23, s9
	s_mul_i32 s26, s15, s27
	s_add_co_ci_u32 s27, s33, 0
	s_delay_alu instid0(SALU_CYCLE_1)
	s_add_nc_u64 s[22:23], s[28:29], s[26:27]
	s_mov_b32 s27, s8
	s_add_co_u32 s14, s14, s22
	s_cselect_b32 s9, -1, 0
	s_wait_alu 0xfffe
	s_cmp_lg_u32 s9, 0
	s_add_co_ci_u32 s15, s15, s23
	s_mov_b32 s23, s8
	s_mul_u64 s[20:21], s[20:21], s[14:15]
	s_delay_alu instid0(SALU_CYCLE_1)
	s_mul_hi_u32 s29, s14, s21
	s_mul_i32 s28, s14, s21
	s_mul_hi_u32 s22, s14, s20
	s_mul_i32 s26, s15, s20
	s_add_nc_u64 s[22:23], s[22:23], s[28:29]
	s_mul_hi_u32 s9, s15, s20
	s_mul_hi_u32 s30, s15, s21
	s_mul_i32 s20, s15, s21
	s_add_co_u32 s21, s22, s26
	s_wait_alu 0xfffe
	s_add_co_ci_u32 s26, s23, s9
	s_add_co_ci_u32 s21, s30, 0
	s_mov_b32 s23, s8
	s_add_nc_u64 s[20:21], s[26:27], s[20:21]
	s_delay_alu instid0(SALU_CYCLE_1)
	s_add_co_u32 s9, s14, s20
	s_cselect_b32 s14, -1, 0
	s_wait_alu 0xfffe
	s_mul_hi_u32 s22, s2, s9
	s_cmp_lg_u32 s14, 0
	s_mul_hi_u32 s26, s3, s9
	s_add_co_ci_u32 s20, s15, s21
	s_mul_i32 s9, s3, s9
	s_mul_hi_u32 s15, s2, s20
	s_mul_i32 s14, s2, s20
	s_mul_hi_u32 s21, s3, s20
	s_add_nc_u64 s[14:15], s[22:23], s[14:15]
	s_mul_i32 s20, s3, s20
	s_wait_alu 0xfffe
	s_add_co_u32 s9, s14, s9
	s_add_co_ci_u32 s26, s15, s26
	s_add_co_ci_u32 s21, s21, 0
	s_delay_alu instid0(SALU_CYCLE_1) | instskip(NEXT) | instid1(SALU_CYCLE_1)
	s_add_nc_u64 s[14:15], s[26:27], s[20:21]
	s_mul_u64 s[20:21], s[18:19], s[14:15]
	s_delay_alu instid0(SALU_CYCLE_1)
	s_sub_co_u32 s9, s2, s20
	s_cselect_b32 s20, -1, 0
	s_sub_co_i32 s22, s3, s21
	s_cmp_lg_u32 s20, 0
	s_sub_co_ci_u32 s22, s22, s19
	s_wait_alu 0xfffe
	s_sub_co_u32 s23, s9, s18
	s_cselect_b32 s26, -1, 0
	s_delay_alu instid0(SALU_CYCLE_1) | instskip(SKIP_1) | instid1(SALU_CYCLE_1)
	s_cmp_lg_u32 s26, 0
	s_sub_co_ci_u32 s22, s22, 0
	s_cmp_ge_u32 s22, s19
	s_cselect_b32 s26, -1, 0
	s_cmp_ge_u32 s23, s18
	s_cselect_b32 s27, -1, 0
	s_cmp_eq_u32 s22, s19
	s_add_nc_u64 s[22:23], s[14:15], 1
	s_cselect_b32 s28, s27, s26
	s_add_nc_u64 s[26:27], s[14:15], 2
	s_cmp_lg_u32 s28, 0
	s_cselect_b32 s22, s26, s22
	s_cselect_b32 s23, s27, s23
	s_cmp_lg_u32 s20, 0
	s_sub_co_ci_u32 s20, s3, s21
	s_delay_alu instid0(SALU_CYCLE_1)
	s_cmp_ge_u32 s20, s19
	s_cselect_b32 s21, -1, 0
	s_cmp_ge_u32 s9, s18
	s_cselect_b32 s9, -1, 0
	s_cmp_eq_u32 s20, s19
	s_wait_alu 0xfffe
	s_cselect_b32 s9, s9, s21
	s_wait_alu 0xfffe
	s_cmp_lg_u32 s9, 0
	s_mov_b32 s9, 0
	s_cselect_b32 s15, s23, s15
	s_cselect_b32 s14, s22, s14
.LBB255_13:                             ;   in Loop: Header=BB255_11 Depth=1
	s_wait_alu 0xfffe
	s_and_not1_b32 vcc_lo, exec_lo, s9
	s_cbranch_vccnz .LBB255_15
; %bb.14:                               ;   in Loop: Header=BB255_11 Depth=1
	v_cvt_f32_u32_e32 v1, s18
	s_sub_co_i32 s14, 0, s18
	s_delay_alu instid0(VALU_DEP_1) | instskip(NEXT) | instid1(TRANS32_DEP_1)
	v_rcp_iflag_f32_e32 v1, v1
	v_mul_f32_e32 v1, 0x4f7ffffe, v1
	s_delay_alu instid0(VALU_DEP_1) | instskip(NEXT) | instid1(VALU_DEP_1)
	v_cvt_u32_f32_e32 v1, v1
	v_readfirstlane_b32 s9, v1
	s_mul_i32 s14, s14, s9
	s_delay_alu instid0(SALU_CYCLE_1) | instskip(NEXT) | instid1(SALU_CYCLE_1)
	s_mul_hi_u32 s14, s9, s14
	s_add_co_i32 s9, s9, s14
	s_wait_alu 0xfffe
	s_mul_hi_u32 s9, s2, s9
	s_wait_alu 0xfffe
	s_mul_i32 s14, s9, s18
	s_add_co_i32 s15, s9, 1
	s_sub_co_i32 s14, s2, s14
	s_delay_alu instid0(SALU_CYCLE_1)
	s_sub_co_i32 s20, s14, s18
	s_cmp_ge_u32 s14, s18
	s_cselect_b32 s9, s15, s9
	s_cselect_b32 s14, s20, s14
	s_wait_alu 0xfffe
	s_add_co_i32 s15, s9, 1
	s_cmp_ge_u32 s14, s18
	s_cselect_b32 s14, s15, s9
	s_mov_b32 s15, s8
.LBB255_15:                             ;   in Loop: Header=BB255_11 Depth=1
	s_load_b64 s[20:21], s[16:17], 0xc8
	s_mul_u64 s[18:19], s[14:15], s[18:19]
	s_add_co_i32 s11, s11, -1
	s_wait_alu 0xfffe
	s_sub_nc_u64 s[2:3], s[2:3], s[18:19]
	s_cmp_gt_u32 s11, 2
	s_add_nc_u64 s[16:17], s[16:17], -8
	s_wait_kmcnt 0x0
	s_wait_alu 0xfffe
	s_mul_u64 s[2:3], s[20:21], s[2:3]
	s_wait_alu 0xfffe
	s_add_nc_u64 s[12:13], s[2:3], s[12:13]
	s_cbranch_scc0 .LBB255_18
; %bb.16:                               ;   in Loop: Header=BB255_11 Depth=1
	s_mov_b64 s[2:3], s[14:15]
	s_branch .LBB255_11
.LBB255_17:
	s_mov_b64 s[14:15], s[2:3]
.LBB255_18:
	s_clause 0x2
	s_load_b64 s[2:3], s[0:1], 0xd0
	s_load_b32 s11, s[0:1], 0x360
	s_load_b64 s[8:9], s[0:1], 0x0
	v_and_b32_e32 v41, 0x3ff, v0
	s_wait_kmcnt 0x0
	s_mul_u64 s[2:3], s[2:3], s[6:7]
	s_bitcmp1_b32 s11, 0
	s_mov_b32 s6, 0xffff
	s_cselect_b32 s11, -1, 0
	s_delay_alu instid0(SALU_CYCLE_1)
	s_and_b32 s7, s11, exec_lo
	s_wait_alu 0xfffe
	s_cselect_b32 s20, s6, 0x7fff
	s_lshl_b64 s[6:7], s[2:3], 1
	v_cmp_gt_u32_e64 s2, s10, v41
	v_mov_b32_e32 v1, s20
	s_wait_alu 0xfffe
	s_add_nc_u64 s[6:7], s[8:9], s[6:7]
	s_lshl_b64 s[4:5], s[4:5], 1
	s_wait_alu 0xfffe
	s_add_nc_u64 s[28:29], s[6:7], s[4:5]
	s_and_saveexec_b32 s3, s2
	s_cbranch_execz .LBB255_20
; %bb.19:
	v_mad_co_u64_u32 v[1:2], null, s24, v41, 0
	s_delay_alu instid0(VALU_DEP_1) | instskip(NEXT) | instid1(VALU_DEP_1)
	v_mad_co_u64_u32 v[2:3], null, s25, v41, v[2:3]
	v_lshlrev_b64_e32 v[1:2], 1, v[1:2]
	s_delay_alu instid0(VALU_DEP_1) | instskip(NEXT) | instid1(VALU_DEP_1)
	v_add_co_u32 v1, vcc_lo, s28, v1
	v_add_co_ci_u32_e64 v2, null, s29, v2, vcc_lo
	global_load_u16 v1, v[1:2], off
.LBB255_20:
	s_wait_alu 0xfffe
	s_or_b32 exec_lo, exec_lo, s3
	v_dual_mov_b32 v2, s20 :: v_dual_add_nc_u32 v17, 0x200, v41
	s_delay_alu instid0(VALU_DEP_1)
	v_cmp_gt_u32_e64 s3, s10, v17
	s_and_saveexec_b32 s4, s3
	s_cbranch_execz .LBB255_22
; %bb.21:
	v_mad_co_u64_u32 v[2:3], null, s24, v17, 0
	s_delay_alu instid0(VALU_DEP_1) | instskip(NEXT) | instid1(VALU_DEP_1)
	v_mad_co_u64_u32 v[3:4], null, s25, v17, v[3:4]
	v_lshlrev_b64_e32 v[2:3], 1, v[2:3]
	s_delay_alu instid0(VALU_DEP_1) | instskip(SKIP_1) | instid1(VALU_DEP_2)
	v_add_co_u32 v2, vcc_lo, s28, v2
	s_wait_alu 0xfffd
	v_add_co_ci_u32_e64 v3, null, s29, v3, vcc_lo
	global_load_u16 v2, v[2:3], off
.LBB255_22:
	s_or_b32 exec_lo, exec_lo, s4
	v_or_b32_e32 v18, 0x400, v41
	v_mov_b32_e32 v3, s20
	s_delay_alu instid0(VALU_DEP_2)
	v_cmp_gt_u32_e64 s4, s10, v18
	s_and_saveexec_b32 s5, s4
	s_cbranch_execz .LBB255_24
; %bb.23:
	v_mad_co_u64_u32 v[3:4], null, s24, v18, 0
	s_delay_alu instid0(VALU_DEP_1) | instskip(NEXT) | instid1(VALU_DEP_1)
	v_mad_co_u64_u32 v[4:5], null, s25, v18, v[4:5]
	v_lshlrev_b64_e32 v[3:4], 1, v[3:4]
	s_delay_alu instid0(VALU_DEP_1) | instskip(SKIP_1) | instid1(VALU_DEP_2)
	v_add_co_u32 v3, vcc_lo, s28, v3
	s_wait_alu 0xfffd
	v_add_co_ci_u32_e64 v4, null, s29, v4, vcc_lo
	global_load_u16 v3, v[3:4], off
.LBB255_24:
	s_or_b32 exec_lo, exec_lo, s5
	v_dual_mov_b32 v4, s20 :: v_dual_add_nc_u32 v19, 0x600, v41
	s_delay_alu instid0(VALU_DEP_1)
	v_cmp_gt_u32_e64 s5, s10, v19
	s_and_saveexec_b32 s6, s5
	s_cbranch_execz .LBB255_26
; %bb.25:
	v_mad_co_u64_u32 v[4:5], null, s24, v19, 0
	s_delay_alu instid0(VALU_DEP_1) | instskip(NEXT) | instid1(VALU_DEP_1)
	v_mad_co_u64_u32 v[5:6], null, s25, v19, v[5:6]
	v_lshlrev_b64_e32 v[4:5], 1, v[4:5]
	s_delay_alu instid0(VALU_DEP_1) | instskip(SKIP_1) | instid1(VALU_DEP_2)
	v_add_co_u32 v4, vcc_lo, s28, v4
	s_wait_alu 0xfffd
	v_add_co_ci_u32_e64 v5, null, s29, v5, vcc_lo
	global_load_u16 v4, v[4:5], off
.LBB255_26:
	s_wait_alu 0xfffe
	s_or_b32 exec_lo, exec_lo, s6
	v_or_b32_e32 v20, 0x800, v41
	v_mov_b32_e32 v5, s20
	s_delay_alu instid0(VALU_DEP_2)
	v_cmp_gt_u32_e64 s6, s10, v20
	s_and_saveexec_b32 s7, s6
	s_cbranch_execz .LBB255_28
; %bb.27:
	v_mad_co_u64_u32 v[5:6], null, s24, v20, 0
	s_delay_alu instid0(VALU_DEP_1) | instskip(NEXT) | instid1(VALU_DEP_1)
	v_mad_co_u64_u32 v[6:7], null, s25, v20, v[6:7]
	v_lshlrev_b64_e32 v[5:6], 1, v[5:6]
	s_delay_alu instid0(VALU_DEP_1) | instskip(SKIP_1) | instid1(VALU_DEP_2)
	v_add_co_u32 v5, vcc_lo, s28, v5
	s_wait_alu 0xfffd
	v_add_co_ci_u32_e64 v6, null, s29, v6, vcc_lo
	global_load_u16 v5, v[5:6], off
.LBB255_28:
	s_wait_alu 0xfffe
	s_or_b32 exec_lo, exec_lo, s7
	v_dual_mov_b32 v6, s20 :: v_dual_add_nc_u32 v21, 0xa00, v41
	s_delay_alu instid0(VALU_DEP_1)
	v_cmp_gt_u32_e64 s7, s10, v21
	s_and_saveexec_b32 s8, s7
	s_cbranch_execz .LBB255_30
; %bb.29:
	v_mad_co_u64_u32 v[6:7], null, s24, v21, 0
	s_delay_alu instid0(VALU_DEP_1) | instskip(NEXT) | instid1(VALU_DEP_1)
	v_mad_co_u64_u32 v[7:8], null, s25, v21, v[7:8]
	v_lshlrev_b64_e32 v[6:7], 1, v[6:7]
	s_delay_alu instid0(VALU_DEP_1) | instskip(SKIP_1) | instid1(VALU_DEP_2)
	v_add_co_u32 v6, vcc_lo, s28, v6
	s_wait_alu 0xfffd
	v_add_co_ci_u32_e64 v7, null, s29, v7, vcc_lo
	global_load_u16 v6, v[6:7], off
.LBB255_30:
	s_wait_alu 0xfffe
	s_or_b32 exec_lo, exec_lo, s8
	v_or_b32_e32 v22, 0xc00, v41
	v_mov_b32_e32 v7, s20
	s_delay_alu instid0(VALU_DEP_2)
	v_cmp_gt_u32_e64 s8, s10, v22
	s_and_saveexec_b32 s9, s8
	s_cbranch_execz .LBB255_32
; %bb.31:
	v_mad_co_u64_u32 v[7:8], null, s24, v22, 0
	s_delay_alu instid0(VALU_DEP_1) | instskip(NEXT) | instid1(VALU_DEP_1)
	v_mad_co_u64_u32 v[8:9], null, s25, v22, v[8:9]
	v_lshlrev_b64_e32 v[7:8], 1, v[7:8]
	s_delay_alu instid0(VALU_DEP_1) | instskip(SKIP_1) | instid1(VALU_DEP_2)
	v_add_co_u32 v7, vcc_lo, s28, v7
	s_wait_alu 0xfffd
	v_add_co_ci_u32_e64 v8, null, s29, v8, vcc_lo
	global_load_u16 v7, v[7:8], off
.LBB255_32:
	s_wait_alu 0xfffe
	s_or_b32 exec_lo, exec_lo, s9
	s_clause 0x1
	s_load_b64 s[18:19], s[0:1], 0x288
	s_load_b64 s[16:17], s[0:1], 0x1b8
	v_dual_mov_b32 v8, s20 :: v_dual_add_nc_u32 v23, 0xe00, v41
	s_delay_alu instid0(VALU_DEP_1)
	v_cmp_gt_u32_e64 s9, s10, v23
	s_and_saveexec_b32 s10, s9
	s_cbranch_execz .LBB255_34
; %bb.33:
	v_mad_co_u64_u32 v[8:9], null, s24, v23, 0
	s_delay_alu instid0(VALU_DEP_1) | instskip(NEXT) | instid1(VALU_DEP_1)
	v_mad_co_u64_u32 v[9:10], null, s25, v23, v[9:10]
	v_lshlrev_b64_e32 v[8:9], 1, v[8:9]
	s_delay_alu instid0(VALU_DEP_1) | instskip(SKIP_1) | instid1(VALU_DEP_2)
	v_add_co_u32 v8, vcc_lo, s28, v8
	s_wait_alu 0xfffd
	v_add_co_ci_u32_e64 v9, null, s29, v9, vcc_lo
	global_load_u16 v8, v[8:9], off
.LBB255_34:
	s_wait_alu 0xfffe
	s_or_b32 exec_lo, exec_lo, s10
	v_lshrrev_b32_e32 v9, 4, v41
	v_lshrrev_b32_e32 v10, 4, v17
	;; [unrolled: 1-line block ×3, first 2 shown]
	v_lshlrev_b32_e32 v12, 1, v41
	v_lshrrev_b32_e32 v13, 4, v19
	v_and_b32_e32 v9, 60, v9
	v_and_b32_e32 v10, 0x7c, v10
	;; [unrolled: 1-line block ×3, first 2 shown]
	v_lshrrev_b32_e32 v14, 4, v23
	s_load_b64 s[26:27], s[0:1], 0x358
	v_add_nc_u32_e32 v46, v9, v12
	v_add_nc_u32_e32 v47, v10, v12
	;; [unrolled: 1-line block ×3, first 2 shown]
	v_and_b32_e32 v9, 0xfc, v13
	v_lshrrev_b32_e32 v10, 4, v20
	v_lshrrev_b32_e32 v11, 4, v21
	;; [unrolled: 1-line block ×3, first 2 shown]
	s_wait_kmcnt 0x0
	s_mul_u64 s[14:15], s[18:19], s[14:15]
	v_add_nc_u32_e32 v49, v9, v12
	v_and_b32_e32 v9, 0xbc, v10
	v_and_b32_e32 v10, 0xfc, v11
	;; [unrolled: 1-line block ×4, first 2 shown]
	v_lshrrev_b32_e32 v14, 1, v41
	v_add_nc_u32_e32 v50, v9, v12
	v_add_nc_u32_e32 v51, v10, v12
	;; [unrolled: 1-line block ×4, first 2 shown]
	v_and_b32_e32 v9, 0x1fc, v14
	v_mov_b32_e32 v11, 0
	v_mov_b32_e32 v12, 0
	s_wait_loadcnt 0x0
	ds_store_b16 v46, v1
	ds_store_b16 v47, v2 offset:1024
	ds_store_b16 v48, v3 offset:2048
	;; [unrolled: 1-line block ×7, first 2 shown]
	s_wait_dscnt 0x0
	v_lshl_add_u32 v54, v41, 4, v9
	s_barrier_signal -1
	s_barrier_wait -1
	global_inv scope:SCOPE_SE
	ds_load_2addr_b32 v[44:45], v54 offset1:1
	ds_load_2addr_b32 v[42:43], v54 offset0:2 offset1:3
	v_mov_b32_e32 v1, 0
	s_lshl_b64 s[14:15], s[14:15], 3
	s_lshl_b64 s[12:13], s[12:13], 3
	s_add_nc_u64 s[14:15], s[16:17], s[14:15]
	s_wait_loadcnt_dscnt 0x0
	v_dual_mov_b32 v2, v1 :: v_dual_mov_b32 v13, v1
	v_dual_mov_b32 v14, v1 :: v_dual_mov_b32 v15, v1
	;; [unrolled: 1-line block ×6, first 2 shown]
	v_mov_b32_e32 v10, v1
	s_add_nc_u64 s[30:31], s[14:15], s[12:13]
	s_barrier_signal -1
	s_barrier_wait -1
	global_inv scope:SCOPE_SE
	s_and_saveexec_b32 s0, s2
	s_cbranch_execnz .LBB255_90
; %bb.35:
	s_or_b32 exec_lo, exec_lo, s0
	s_and_saveexec_b32 s0, s3
	s_cbranch_execnz .LBB255_91
.LBB255_36:
	s_or_b32 exec_lo, exec_lo, s0
	s_and_saveexec_b32 s0, s4
	s_cbranch_execnz .LBB255_92
.LBB255_37:
	s_or_b32 exec_lo, exec_lo, s0
	s_and_saveexec_b32 s0, s5
	s_cbranch_execnz .LBB255_93
.LBB255_38:
	s_or_b32 exec_lo, exec_lo, s0
	s_and_saveexec_b32 s0, s6
	s_cbranch_execnz .LBB255_94
.LBB255_39:
	s_or_b32 exec_lo, exec_lo, s0
	s_and_saveexec_b32 s0, s7
	s_cbranch_execnz .LBB255_95
.LBB255_40:
	s_or_b32 exec_lo, exec_lo, s0
	s_and_saveexec_b32 s0, s8
	s_cbranch_execz .LBB255_42
.LBB255_41:
	v_mad_co_u64_u32 v[7:8], null, s26, v22, 0
	s_delay_alu instid0(VALU_DEP_1) | instskip(NEXT) | instid1(VALU_DEP_1)
	v_mad_co_u64_u32 v[24:25], null, s27, v22, v[8:9]
	v_mov_b32_e32 v8, v24
	s_delay_alu instid0(VALU_DEP_1) | instskip(NEXT) | instid1(VALU_DEP_1)
	v_lshlrev_b64_e32 v[7:8], 3, v[7:8]
	v_add_co_u32 v7, vcc_lo, s30, v7
	s_wait_alu 0xfffd
	s_delay_alu instid0(VALU_DEP_2)
	v_add_co_ci_u32_e64 v8, null, s31, v8, vcc_lo
	global_load_b64 v[7:8], v[7:8], off
.LBB255_42:
	s_or_b32 exec_lo, exec_lo, s0
	v_lshrrev_b32_e32 v66, 5, v41
	v_lshrrev_b32_e32 v27, 5, v17
	;; [unrolled: 1-line block ×8, first 2 shown]
	v_lshlrev_b32_e32 v64, 3, v41
	v_lshrrev_b32_e32 v17, 2, v41
	s_xor_b32 s0, s11, -1
	s_and_saveexec_b32 s1, s9
	s_cbranch_execz .LBB255_44
; %bb.43:
	v_mad_co_u64_u32 v[9:10], null, s26, v23, 0
	s_wait_loadcnt 0x0
	s_delay_alu instid0(VALU_DEP_1) | instskip(NEXT) | instid1(VALU_DEP_1)
	v_mad_co_u64_u32 v[21:22], null, s27, v23, v[10:11]
	v_mov_b32_e32 v10, v21
	s_delay_alu instid0(VALU_DEP_1) | instskip(NEXT) | instid1(VALU_DEP_1)
	v_lshlrev_b64_e32 v[9:10], 3, v[9:10]
	v_add_co_u32 v9, vcc_lo, s30, v9
	s_wait_alu 0xfffd
	s_delay_alu instid0(VALU_DEP_2)
	v_add_co_ci_u32_e64 v10, null, s31, v10, vcc_lo
	global_load_b64 v[9:10], v[9:10], off
.LBB255_44:
	s_or_b32 exec_lo, exec_lo, s1
	v_lshl_add_u32 v55, v66, 3, v64
	v_lshl_add_u32 v56, v27, 3, v64
	;; [unrolled: 1-line block ×5, first 2 shown]
	s_wait_loadcnt 0x0
	ds_store_b64 v55, v[11:12]
	ds_store_b64 v56, v[1:2] offset:4096
	ds_store_b64 v57, v[13:14] offset:8192
	;; [unrolled: 1-line block ×3, first 2 shown]
	v_lshlrev_b32_e32 v1, 3, v64
	v_lshl_add_u32 v60, v20, 3, v64
	v_lshl_add_u32 v61, v19, 3, v64
	v_lshl_add_u32 v62, v18, 3, v64
	ds_store_b64 v59, v[3:4] offset:16384
	ds_store_b64 v60, v[5:6] offset:20480
	;; [unrolled: 1-line block ×4, first 2 shown]
	v_lshl_add_u32 v63, v17, 3, v1
	s_wait_dscnt 0x0
	s_barrier_signal -1
	s_barrier_wait -1
	global_inv scope:SCOPE_SE
	ds_load_2addr_b64 v[13:16], v63 offset1:1
	ds_load_2addr_b64 v[9:12], v63 offset0:2 offset1:3
	ds_load_2addr_b64 v[5:8], v63 offset0:4 offset1:5
	;; [unrolled: 1-line block ×3, first 2 shown]
	v_bfe_u32 v69, v0, 10, 10
	v_bfe_u32 v70, v0, 20, 10
	v_mbcnt_lo_u32_b32 v67, -1, 0
	v_and_b32_e32 v68, 0x3e0, v41
	v_lshlrev_b32_e32 v65, 2, v64
	s_and_b32 vcc_lo, exec_lo, s0
	s_wait_loadcnt_dscnt 0x0
	s_barrier_signal -1
	s_barrier_wait -1
	global_inv scope:SCOPE_SE
	s_wait_alu 0xfffe
	s_cbranch_vccz .LBB255_96
; %bb.45:
	v_pk_ashrrev_i16 v0, 15, v44 op_sel_hi:[0,1]
	v_pk_ashrrev_i16 v17, 15, v45 op_sel_hi:[0,1]
	;; [unrolled: 1-line block ×4, first 2 shown]
	v_or_b32_e32 v21, v67, v68
	v_or_b32_e32 v0, 0x80008000, v0
	;; [unrolled: 1-line block ×5, first 2 shown]
	v_and_or_b32 v82, 0x1f00, v64, v67
	s_mov_b32 s12, 0
	v_xor_b32_e32 v17, v0, v44
	v_xor_b32_e32 v18, v20, v45
	;; [unrolled: 1-line block ×4, first 2 shown]
	s_mov_b32 s13, s12
	s_mov_b32 s14, s12
	;; [unrolled: 1-line block ×3, first 2 shown]
	v_lshlrev_b32_e32 v23, 4, v21
	v_lshlrev_b32_e32 v71, 1, v82
	s_getpc_b64 s[0:1]
	s_sext_i32_i16 s1, s1
	s_add_co_u32 s0, s0, _ZN7rocprim17ROCPRIM_400000_NS16block_radix_sortI12hip_bfloat16Lj512ELj8ElLj1ELj1ELj0ELNS0_26block_radix_rank_algorithmE1ELNS0_18block_padding_hintE2ELNS0_4arch9wavefront6targetE0EE19radix_bits_per_passE@rel32@lo+8
	s_add_co_ci_u32 s1, s1, _ZN7rocprim17ROCPRIM_400000_NS16block_radix_sortI12hip_bfloat16Lj512ELj8ElLj1ELj1ELj0ELNS0_26block_radix_rank_algorithmE1ELNS0_18block_padding_hintE2ELNS0_4arch9wavefront6targetE0EE19radix_bits_per_passE@rel32@hi+16
	s_load_b32 s17, s[0:1], 0x0
	ds_store_b128 v23, v[17:20]
	; wave barrier
	ds_load_u16 v72, v71
	v_mad_u32_u24 v0, v21, 48, v23
	ds_load_u16 v73, v71 offset:64
	ds_load_u16 v74, v71 offset:128
	;; [unrolled: 1-line block ×7, first 2 shown]
	s_wait_loadcnt_dscnt 0x0
	s_barrier_signal -1
	s_barrier_wait -1
	global_inv scope:SCOPE_SE
	ds_store_b128 v0, v[13:16]
	ds_store_b128 v0, v[9:12] offset:16
	ds_store_b128 v0, v[5:8] offset:32
	;; [unrolled: 1-line block ×3, first 2 shown]
	v_mad_u32_u24 v29, v82, 6, v71
	; wave barrier
	s_wait_kmcnt 0x0
	s_min_u32 s0, s17, 16
	s_delay_alu instid0(SALU_CYCLE_1) | instskip(SKIP_4) | instid1(VALU_DEP_1)
	s_lshl_b32 s0, -1, s0
	v_cmp_ne_u16_e32 vcc_lo, 0x7fff, v72
	s_not_b32 s1, s0
	s_wait_alu 0xfffd
	v_cndmask_b32_e32 v17, 0xffff8000, v72, vcc_lo
	v_and_b32_e32 v17, 0xffff, v17
	s_delay_alu instid0(VALU_DEP_1)
	v_and_b32_e32 v40, s1, v17
	ds_load_2addr_b64 v[17:20], v29 offset1:32
	ds_load_2addr_b64 v[25:28], v29 offset0:64 offset1:96
	ds_load_2addr_b64 v[21:24], v29 offset0:128 offset1:160
	;; [unrolled: 1-line block ×3, first 2 shown]
	s_wait_loadcnt_dscnt 0x0
	v_and_b32_e32 v0, 1, v40
	v_lshlrev_b32_e32 v33, 30, v40
	v_lshlrev_b32_e32 v36, 28, v40
	s_barrier_signal -1
	s_barrier_wait -1
	v_add_co_u32 v0, s0, v0, -1
	s_wait_alu 0xf1ff
	v_cndmask_b32_e64 v34, 0, 1, s0
	v_not_b32_e32 v35, v33
	v_cmp_gt_i32_e64 s0, 0, v33
	global_inv scope:SCOPE_SE
	v_cmp_ne_u32_e32 vcc_lo, 0, v34
	v_lshlrev_b32_e32 v34, 29, v40
	v_ashrrev_i32_e32 v33, 31, v35
	s_wait_alu 0xfffd
	v_xor_b32_e32 v0, vcc_lo, v0
	s_delay_alu instid0(VALU_DEP_3)
	v_not_b32_e32 v35, v34
	s_wait_alu 0xf1ff
	v_xor_b32_e32 v33, s0, v33
	v_cmp_gt_i32_e32 vcc_lo, 0, v34
	s_load_b32 s0, s[34:35], 0xc
	v_and_b32_e32 v0, exec_lo, v0
	v_ashrrev_i32_e32 v34, 31, v35
	v_not_b32_e32 v35, v36
	s_delay_alu instid0(VALU_DEP_3) | instskip(SKIP_1) | instid1(VALU_DEP_4)
	v_and_b32_e32 v0, v0, v33
	v_lshlrev_b32_e32 v33, 27, v40
	v_xor_b32_e32 v34, vcc_lo, v34
	v_cmp_gt_i32_e32 vcc_lo, 0, v36
	v_ashrrev_i32_e32 v35, 31, v35
	s_delay_alu instid0(VALU_DEP_4) | instskip(NEXT) | instid1(VALU_DEP_4)
	v_not_b32_e32 v36, v33
	v_and_b32_e32 v0, v0, v34
	v_lshlrev_b32_e32 v34, 26, v40
	s_wait_alu 0xfffd
	v_xor_b32_e32 v35, vcc_lo, v35
	v_cmp_gt_i32_e32 vcc_lo, 0, v33
	v_ashrrev_i32_e32 v33, 31, v36
	v_not_b32_e32 v36, v34
	s_delay_alu instid0(VALU_DEP_4)
	v_and_b32_e32 v0, v0, v35
	v_lshlrev_b32_e32 v35, 25, v40
	s_wait_alu 0xfffd
	v_xor_b32_e32 v33, vcc_lo, v33
	v_cmp_gt_i32_e32 vcc_lo, 0, v34
	v_ashrrev_i32_e32 v34, 31, v36
	s_wait_kmcnt 0x0
	s_lshr_b32 s10, s0, 16
	v_not_b32_e32 v36, v35
	v_and_b32_e32 v0, v0, v33
	v_lshlrev_b32_e32 v33, 24, v40
	s_wait_alu 0xfffd
	v_xor_b32_e32 v34, vcc_lo, v34
	v_cmp_gt_i32_e32 vcc_lo, 0, v35
	v_ashrrev_i32_e32 v35, 31, v36
	s_wait_alu 0xfffe
	v_mad_u32_u24 v37, v70, s10, v69
	v_not_b32_e32 v36, v33
	v_and_b32_e32 v0, v0, v34
	s_and_b32 s0, s0, 0xffff
	s_wait_alu 0xfffd
	v_xor_b32_e32 v34, vcc_lo, v35
	v_cmp_gt_i32_e32 vcc_lo, 0, v33
	v_ashrrev_i32_e32 v33, 31, v36
	s_wait_alu 0xfffe
	v_mad_co_u64_u32 v[38:39], null, v37, s0, v[41:42]
	v_dual_mov_b32 v37, s15 :: v_dual_and_b32 v0, v0, v34
	s_wait_alu 0xfffd
	v_xor_b32_e32 v33, vcc_lo, v33
	v_dual_mov_b32 v36, s14 :: v_dual_mov_b32 v35, s13
	v_mov_b32_e32 v34, s12
	ds_store_b128 v65, v[34:37] offset:64
	ds_store_b128 v65, v[34:37] offset:80
	v_and_b32_e32 v33, v0, v33
	v_lshrrev_b32_e32 v0, 5, v38
	v_lshlrev_b32_e32 v34, 6, v40
	s_wait_loadcnt_dscnt 0x0
	s_barrier_signal -1
	v_mbcnt_lo_u32_b32 v84, v33, 0
	v_lshlrev_b32_e32 v0, 2, v0
	v_cmp_ne_u32_e64 s0, 0, v33
	s_barrier_wait -1
	global_inv scope:SCOPE_SE
	v_cmp_eq_u32_e32 vcc_lo, 0, v84
	v_add_nc_u32_e32 v85, v0, v34
	; wave barrier
	s_and_b32 s10, s0, vcc_lo
	s_wait_alu 0xfffe
	s_and_saveexec_b32 s0, s10
; %bb.46:
	v_bcnt_u32_b32 v33, v33, 0
	ds_store_b32 v85, v33 offset:64
; %bb.47:
	s_wait_alu 0xfffe
	s_or_b32 exec_lo, exec_lo, s0
	v_cmp_ne_u16_e32 vcc_lo, 0x7fff, v73
	; wave barrier
	s_wait_alu 0xfffd
	v_cndmask_b32_e32 v33, 0xffff8000, v73, vcc_lo
	s_delay_alu instid0(VALU_DEP_1) | instskip(NEXT) | instid1(VALU_DEP_1)
	v_and_b32_e32 v33, 0xffff, v33
	v_and_b32_e32 v33, s1, v33
	s_delay_alu instid0(VALU_DEP_1)
	v_and_b32_e32 v34, 1, v33
	v_lshlrev_b32_e32 v35, 30, v33
	v_lshlrev_b32_e32 v36, 29, v33
	;; [unrolled: 1-line block ×4, first 2 shown]
	v_add_co_u32 v34, s0, v34, -1
	s_wait_alu 0xf1ff
	v_cndmask_b32_e64 v38, 0, 1, s0
	v_not_b32_e32 v81, v35
	v_cmp_gt_i32_e64 s0, 0, v35
	v_not_b32_e32 v35, v36
	v_lshlrev_b32_e32 v40, 26, v33
	v_cmp_ne_u32_e32 vcc_lo, 0, v38
	v_ashrrev_i32_e32 v81, 31, v81
	v_lshlrev_b32_e32 v80, 25, v33
	v_ashrrev_i32_e32 v35, 31, v35
	v_lshlrev_b32_e32 v38, 24, v33
	s_wait_alu 0xfffd
	v_xor_b32_e32 v34, vcc_lo, v34
	v_cmp_gt_i32_e32 vcc_lo, 0, v36
	v_not_b32_e32 v36, v37
	s_wait_alu 0xf1ff
	v_xor_b32_e32 v81, s0, v81
	v_cmp_gt_i32_e64 s0, 0, v37
	v_and_b32_e32 v34, exec_lo, v34
	v_not_b32_e32 v37, v39
	v_ashrrev_i32_e32 v36, 31, v36
	s_wait_alu 0xfffd
	v_xor_b32_e32 v35, vcc_lo, v35
	v_cmp_gt_i32_e32 vcc_lo, 0, v39
	v_and_b32_e32 v34, v34, v81
	v_not_b32_e32 v39, v40
	v_ashrrev_i32_e32 v37, 31, v37
	s_wait_alu 0xf1ff
	v_xor_b32_e32 v36, s0, v36
	v_cmp_gt_i32_e64 s0, 0, v40
	v_and_b32_e32 v34, v34, v35
	v_not_b32_e32 v35, v80
	v_ashrrev_i32_e32 v39, 31, v39
	s_wait_alu 0xfffd
	v_xor_b32_e32 v37, vcc_lo, v37
	v_cmp_gt_i32_e32 vcc_lo, 0, v80
	v_and_b32_e32 v34, v34, v36
	v_not_b32_e32 v36, v38
	v_ashrrev_i32_e32 v35, 31, v35
	s_wait_alu 0xf1ff
	v_xor_b32_e32 v39, s0, v39
	v_lshlrev_b32_e32 v33, 6, v33
	v_and_b32_e32 v34, v34, v37
	v_cmp_gt_i32_e64 s0, 0, v38
	v_ashrrev_i32_e32 v36, 31, v36
	s_wait_alu 0xfffd
	v_xor_b32_e32 v35, vcc_lo, v35
	v_add_nc_u32_e32 v88, v0, v33
	v_and_b32_e32 v34, v34, v39
	s_wait_alu 0xf1ff
	v_xor_b32_e32 v33, s0, v36
	ds_load_b32 v86, v88 offset:64
	v_and_b32_e32 v34, v34, v35
	; wave barrier
	s_delay_alu instid0(VALU_DEP_1) | instskip(NEXT) | instid1(VALU_DEP_1)
	v_and_b32_e32 v33, v34, v33
	v_mbcnt_lo_u32_b32 v87, v33, 0
	v_cmp_ne_u32_e64 s0, 0, v33
	s_delay_alu instid0(VALU_DEP_2)
	v_cmp_eq_u32_e32 vcc_lo, 0, v87
	s_and_b32 s10, s0, vcc_lo
	s_wait_alu 0xfffe
	s_and_saveexec_b32 s0, s10
	s_cbranch_execz .LBB255_49
; %bb.48:
	s_wait_dscnt 0x0
	v_bcnt_u32_b32 v33, v33, v86
	ds_store_b32 v88, v33 offset:64
.LBB255_49:
	s_wait_alu 0xfffe
	s_or_b32 exec_lo, exec_lo, s0
	v_cmp_ne_u16_e32 vcc_lo, 0x7fff, v74
	; wave barrier
	s_wait_alu 0xfffd
	v_cndmask_b32_e32 v33, 0xffff8000, v74, vcc_lo
	s_delay_alu instid0(VALU_DEP_1) | instskip(NEXT) | instid1(VALU_DEP_1)
	v_and_b32_e32 v33, 0xffff, v33
	v_and_b32_e32 v33, s1, v33
	s_delay_alu instid0(VALU_DEP_1)
	v_and_b32_e32 v34, 1, v33
	v_lshlrev_b32_e32 v35, 30, v33
	v_lshlrev_b32_e32 v36, 29, v33
	;; [unrolled: 1-line block ×4, first 2 shown]
	v_add_co_u32 v34, s0, v34, -1
	s_wait_alu 0xf1ff
	v_cndmask_b32_e64 v38, 0, 1, s0
	v_not_b32_e32 v81, v35
	v_cmp_gt_i32_e64 s0, 0, v35
	v_not_b32_e32 v35, v36
	v_lshlrev_b32_e32 v40, 26, v33
	v_cmp_ne_u32_e32 vcc_lo, 0, v38
	v_ashrrev_i32_e32 v81, 31, v81
	v_lshlrev_b32_e32 v80, 25, v33
	v_ashrrev_i32_e32 v35, 31, v35
	v_lshlrev_b32_e32 v38, 24, v33
	s_wait_alu 0xfffd
	v_xor_b32_e32 v34, vcc_lo, v34
	v_cmp_gt_i32_e32 vcc_lo, 0, v36
	v_not_b32_e32 v36, v37
	s_wait_alu 0xf1ff
	v_xor_b32_e32 v81, s0, v81
	v_cmp_gt_i32_e64 s0, 0, v37
	v_and_b32_e32 v34, exec_lo, v34
	v_not_b32_e32 v37, v39
	v_ashrrev_i32_e32 v36, 31, v36
	s_wait_alu 0xfffd
	v_xor_b32_e32 v35, vcc_lo, v35
	v_cmp_gt_i32_e32 vcc_lo, 0, v39
	v_and_b32_e32 v34, v34, v81
	v_not_b32_e32 v39, v40
	v_ashrrev_i32_e32 v37, 31, v37
	s_wait_alu 0xf1ff
	v_xor_b32_e32 v36, s0, v36
	v_cmp_gt_i32_e64 s0, 0, v40
	v_and_b32_e32 v34, v34, v35
	v_not_b32_e32 v35, v80
	v_ashrrev_i32_e32 v39, 31, v39
	s_wait_alu 0xfffd
	v_xor_b32_e32 v37, vcc_lo, v37
	v_cmp_gt_i32_e32 vcc_lo, 0, v80
	v_and_b32_e32 v34, v34, v36
	v_not_b32_e32 v36, v38
	v_ashrrev_i32_e32 v35, 31, v35
	s_wait_alu 0xf1ff
	v_xor_b32_e32 v39, s0, v39
	v_lshlrev_b32_e32 v33, 6, v33
	v_and_b32_e32 v34, v34, v37
	v_cmp_gt_i32_e64 s0, 0, v38
	v_ashrrev_i32_e32 v36, 31, v36
	s_wait_alu 0xfffd
	v_xor_b32_e32 v35, vcc_lo, v35
	v_add_nc_u32_e32 v91, v0, v33
	v_and_b32_e32 v34, v34, v39
	s_wait_alu 0xf1ff
	v_xor_b32_e32 v33, s0, v36
	ds_load_b32 v89, v91 offset:64
	v_and_b32_e32 v34, v34, v35
	; wave barrier
	s_delay_alu instid0(VALU_DEP_1) | instskip(NEXT) | instid1(VALU_DEP_1)
	v_and_b32_e32 v33, v34, v33
	v_mbcnt_lo_u32_b32 v90, v33, 0
	v_cmp_ne_u32_e64 s0, 0, v33
	s_delay_alu instid0(VALU_DEP_2)
	v_cmp_eq_u32_e32 vcc_lo, 0, v90
	s_and_b32 s10, s0, vcc_lo
	s_wait_alu 0xfffe
	s_and_saveexec_b32 s0, s10
	s_cbranch_execz .LBB255_51
; %bb.50:
	s_wait_dscnt 0x0
	v_bcnt_u32_b32 v33, v33, v89
	ds_store_b32 v91, v33 offset:64
.LBB255_51:
	s_wait_alu 0xfffe
	s_or_b32 exec_lo, exec_lo, s0
	v_cmp_ne_u16_e32 vcc_lo, 0x7fff, v75
	; wave barrier
	s_wait_alu 0xfffd
	v_cndmask_b32_e32 v33, 0xffff8000, v75, vcc_lo
	s_delay_alu instid0(VALU_DEP_1) | instskip(NEXT) | instid1(VALU_DEP_1)
	v_and_b32_e32 v33, 0xffff, v33
	v_and_b32_e32 v33, s1, v33
	s_delay_alu instid0(VALU_DEP_1)
	v_and_b32_e32 v34, 1, v33
	v_lshlrev_b32_e32 v35, 30, v33
	v_lshlrev_b32_e32 v36, 29, v33
	;; [unrolled: 1-line block ×4, first 2 shown]
	v_add_co_u32 v34, s0, v34, -1
	s_wait_alu 0xf1ff
	v_cndmask_b32_e64 v38, 0, 1, s0
	v_not_b32_e32 v81, v35
	v_cmp_gt_i32_e64 s0, 0, v35
	v_not_b32_e32 v35, v36
	v_lshlrev_b32_e32 v40, 26, v33
	v_cmp_ne_u32_e32 vcc_lo, 0, v38
	v_ashrrev_i32_e32 v81, 31, v81
	v_lshlrev_b32_e32 v80, 25, v33
	v_ashrrev_i32_e32 v35, 31, v35
	v_lshlrev_b32_e32 v38, 24, v33
	s_wait_alu 0xfffd
	v_xor_b32_e32 v34, vcc_lo, v34
	v_cmp_gt_i32_e32 vcc_lo, 0, v36
	v_not_b32_e32 v36, v37
	s_wait_alu 0xf1ff
	v_xor_b32_e32 v81, s0, v81
	v_cmp_gt_i32_e64 s0, 0, v37
	v_and_b32_e32 v34, exec_lo, v34
	v_not_b32_e32 v37, v39
	v_ashrrev_i32_e32 v36, 31, v36
	s_wait_alu 0xfffd
	v_xor_b32_e32 v35, vcc_lo, v35
	v_cmp_gt_i32_e32 vcc_lo, 0, v39
	v_and_b32_e32 v34, v34, v81
	v_not_b32_e32 v39, v40
	v_ashrrev_i32_e32 v37, 31, v37
	s_wait_alu 0xf1ff
	v_xor_b32_e32 v36, s0, v36
	v_cmp_gt_i32_e64 s0, 0, v40
	v_and_b32_e32 v34, v34, v35
	v_not_b32_e32 v35, v80
	v_ashrrev_i32_e32 v39, 31, v39
	s_wait_alu 0xfffd
	v_xor_b32_e32 v37, vcc_lo, v37
	v_cmp_gt_i32_e32 vcc_lo, 0, v80
	v_and_b32_e32 v34, v34, v36
	v_not_b32_e32 v36, v38
	v_ashrrev_i32_e32 v35, 31, v35
	s_wait_alu 0xf1ff
	v_xor_b32_e32 v39, s0, v39
	v_lshlrev_b32_e32 v33, 6, v33
	v_and_b32_e32 v34, v34, v37
	v_cmp_gt_i32_e64 s0, 0, v38
	v_ashrrev_i32_e32 v36, 31, v36
	s_wait_alu 0xfffd
	v_xor_b32_e32 v35, vcc_lo, v35
	v_add_nc_u32_e32 v94, v0, v33
	v_and_b32_e32 v34, v34, v39
	s_wait_alu 0xf1ff
	v_xor_b32_e32 v33, s0, v36
	ds_load_b32 v92, v94 offset:64
	v_and_b32_e32 v34, v34, v35
	; wave barrier
	s_delay_alu instid0(VALU_DEP_1) | instskip(NEXT) | instid1(VALU_DEP_1)
	v_and_b32_e32 v33, v34, v33
	v_mbcnt_lo_u32_b32 v93, v33, 0
	v_cmp_ne_u32_e64 s0, 0, v33
	s_delay_alu instid0(VALU_DEP_2)
	v_cmp_eq_u32_e32 vcc_lo, 0, v93
	s_and_b32 s10, s0, vcc_lo
	s_wait_alu 0xfffe
	s_and_saveexec_b32 s0, s10
	s_cbranch_execz .LBB255_53
; %bb.52:
	s_wait_dscnt 0x0
	v_bcnt_u32_b32 v33, v33, v92
	ds_store_b32 v94, v33 offset:64
.LBB255_53:
	s_wait_alu 0xfffe
	s_or_b32 exec_lo, exec_lo, s0
	v_cmp_ne_u16_e32 vcc_lo, 0x7fff, v76
	; wave barrier
	s_wait_alu 0xfffd
	v_cndmask_b32_e32 v33, 0xffff8000, v76, vcc_lo
	s_delay_alu instid0(VALU_DEP_1) | instskip(NEXT) | instid1(VALU_DEP_1)
	v_and_b32_e32 v33, 0xffff, v33
	v_and_b32_e32 v33, s1, v33
	s_delay_alu instid0(VALU_DEP_1)
	v_and_b32_e32 v34, 1, v33
	v_lshlrev_b32_e32 v35, 30, v33
	v_lshlrev_b32_e32 v36, 29, v33
	;; [unrolled: 1-line block ×4, first 2 shown]
	v_add_co_u32 v34, s0, v34, -1
	s_wait_alu 0xf1ff
	v_cndmask_b32_e64 v38, 0, 1, s0
	v_not_b32_e32 v81, v35
	v_cmp_gt_i32_e64 s0, 0, v35
	v_not_b32_e32 v35, v36
	v_lshlrev_b32_e32 v40, 26, v33
	v_cmp_ne_u32_e32 vcc_lo, 0, v38
	v_ashrrev_i32_e32 v81, 31, v81
	v_lshlrev_b32_e32 v80, 25, v33
	v_ashrrev_i32_e32 v35, 31, v35
	v_lshlrev_b32_e32 v38, 24, v33
	s_wait_alu 0xfffd
	v_xor_b32_e32 v34, vcc_lo, v34
	v_cmp_gt_i32_e32 vcc_lo, 0, v36
	v_not_b32_e32 v36, v37
	s_wait_alu 0xf1ff
	v_xor_b32_e32 v81, s0, v81
	v_cmp_gt_i32_e64 s0, 0, v37
	v_and_b32_e32 v34, exec_lo, v34
	v_not_b32_e32 v37, v39
	v_ashrrev_i32_e32 v36, 31, v36
	s_wait_alu 0xfffd
	v_xor_b32_e32 v35, vcc_lo, v35
	v_cmp_gt_i32_e32 vcc_lo, 0, v39
	v_and_b32_e32 v34, v34, v81
	v_not_b32_e32 v39, v40
	v_ashrrev_i32_e32 v37, 31, v37
	s_wait_alu 0xf1ff
	v_xor_b32_e32 v36, s0, v36
	v_cmp_gt_i32_e64 s0, 0, v40
	v_and_b32_e32 v34, v34, v35
	v_not_b32_e32 v35, v80
	v_ashrrev_i32_e32 v39, 31, v39
	s_wait_alu 0xfffd
	v_xor_b32_e32 v37, vcc_lo, v37
	v_cmp_gt_i32_e32 vcc_lo, 0, v80
	v_and_b32_e32 v34, v34, v36
	v_not_b32_e32 v36, v38
	v_ashrrev_i32_e32 v35, 31, v35
	s_wait_alu 0xf1ff
	v_xor_b32_e32 v39, s0, v39
	v_lshlrev_b32_e32 v33, 6, v33
	v_and_b32_e32 v34, v34, v37
	v_cmp_gt_i32_e64 s0, 0, v38
	v_ashrrev_i32_e32 v36, 31, v36
	s_wait_alu 0xfffd
	v_xor_b32_e32 v35, vcc_lo, v35
	v_add_nc_u32_e32 v97, v0, v33
	v_and_b32_e32 v34, v34, v39
	s_wait_alu 0xf1ff
	v_xor_b32_e32 v33, s0, v36
	ds_load_b32 v95, v97 offset:64
	v_and_b32_e32 v34, v34, v35
	; wave barrier
	s_delay_alu instid0(VALU_DEP_1) | instskip(NEXT) | instid1(VALU_DEP_1)
	v_and_b32_e32 v33, v34, v33
	v_mbcnt_lo_u32_b32 v96, v33, 0
	v_cmp_ne_u32_e64 s0, 0, v33
	s_delay_alu instid0(VALU_DEP_2)
	v_cmp_eq_u32_e32 vcc_lo, 0, v96
	s_and_b32 s10, s0, vcc_lo
	s_wait_alu 0xfffe
	s_and_saveexec_b32 s0, s10
	s_cbranch_execz .LBB255_55
; %bb.54:
	s_wait_dscnt 0x0
	v_bcnt_u32_b32 v33, v33, v95
	ds_store_b32 v97, v33 offset:64
.LBB255_55:
	s_wait_alu 0xfffe
	s_or_b32 exec_lo, exec_lo, s0
	v_cmp_ne_u16_e32 vcc_lo, 0x7fff, v77
	; wave barrier
	s_wait_alu 0xfffd
	v_cndmask_b32_e32 v33, 0xffff8000, v77, vcc_lo
	s_delay_alu instid0(VALU_DEP_1) | instskip(NEXT) | instid1(VALU_DEP_1)
	v_and_b32_e32 v33, 0xffff, v33
	v_and_b32_e32 v33, s1, v33
	s_delay_alu instid0(VALU_DEP_1)
	v_and_b32_e32 v34, 1, v33
	v_lshlrev_b32_e32 v35, 30, v33
	v_lshlrev_b32_e32 v36, 29, v33
	;; [unrolled: 1-line block ×4, first 2 shown]
	v_add_co_u32 v34, s0, v34, -1
	s_wait_alu 0xf1ff
	v_cndmask_b32_e64 v38, 0, 1, s0
	v_not_b32_e32 v81, v35
	v_cmp_gt_i32_e64 s0, 0, v35
	v_not_b32_e32 v35, v36
	v_lshlrev_b32_e32 v40, 26, v33
	v_cmp_ne_u32_e32 vcc_lo, 0, v38
	v_ashrrev_i32_e32 v81, 31, v81
	v_lshlrev_b32_e32 v80, 25, v33
	v_ashrrev_i32_e32 v35, 31, v35
	v_lshlrev_b32_e32 v38, 24, v33
	s_wait_alu 0xfffd
	v_xor_b32_e32 v34, vcc_lo, v34
	v_cmp_gt_i32_e32 vcc_lo, 0, v36
	v_not_b32_e32 v36, v37
	s_wait_alu 0xf1ff
	v_xor_b32_e32 v81, s0, v81
	v_cmp_gt_i32_e64 s0, 0, v37
	v_and_b32_e32 v34, exec_lo, v34
	v_not_b32_e32 v37, v39
	v_ashrrev_i32_e32 v36, 31, v36
	s_wait_alu 0xfffd
	v_xor_b32_e32 v35, vcc_lo, v35
	v_cmp_gt_i32_e32 vcc_lo, 0, v39
	v_and_b32_e32 v34, v34, v81
	v_not_b32_e32 v39, v40
	v_ashrrev_i32_e32 v37, 31, v37
	s_wait_alu 0xf1ff
	v_xor_b32_e32 v36, s0, v36
	v_cmp_gt_i32_e64 s0, 0, v40
	v_and_b32_e32 v34, v34, v35
	v_not_b32_e32 v35, v80
	v_ashrrev_i32_e32 v39, 31, v39
	s_wait_alu 0xfffd
	v_xor_b32_e32 v37, vcc_lo, v37
	v_cmp_gt_i32_e32 vcc_lo, 0, v80
	v_and_b32_e32 v34, v34, v36
	v_not_b32_e32 v36, v38
	v_ashrrev_i32_e32 v35, 31, v35
	s_wait_alu 0xf1ff
	v_xor_b32_e32 v39, s0, v39
	v_lshlrev_b32_e32 v33, 6, v33
	v_and_b32_e32 v34, v34, v37
	v_cmp_gt_i32_e64 s0, 0, v38
	v_ashrrev_i32_e32 v36, 31, v36
	s_wait_alu 0xfffd
	v_xor_b32_e32 v35, vcc_lo, v35
	v_add_nc_u32_e32 v100, v0, v33
	v_and_b32_e32 v34, v34, v39
	s_wait_alu 0xf1ff
	v_xor_b32_e32 v33, s0, v36
	ds_load_b32 v98, v100 offset:64
	v_and_b32_e32 v34, v34, v35
	; wave barrier
	s_delay_alu instid0(VALU_DEP_1) | instskip(NEXT) | instid1(VALU_DEP_1)
	v_and_b32_e32 v33, v34, v33
	v_mbcnt_lo_u32_b32 v99, v33, 0
	v_cmp_ne_u32_e64 s0, 0, v33
	s_delay_alu instid0(VALU_DEP_2)
	v_cmp_eq_u32_e32 vcc_lo, 0, v99
	s_and_b32 s10, s0, vcc_lo
	s_wait_alu 0xfffe
	s_and_saveexec_b32 s0, s10
	s_cbranch_execz .LBB255_57
; %bb.56:
	s_wait_dscnt 0x0
	v_bcnt_u32_b32 v33, v33, v98
	ds_store_b32 v100, v33 offset:64
.LBB255_57:
	s_wait_alu 0xfffe
	s_or_b32 exec_lo, exec_lo, s0
	v_cmp_ne_u16_e32 vcc_lo, 0x7fff, v78
	; wave barrier
	s_wait_alu 0xfffd
	v_cndmask_b32_e32 v33, 0xffff8000, v78, vcc_lo
	s_delay_alu instid0(VALU_DEP_1) | instskip(NEXT) | instid1(VALU_DEP_1)
	v_and_b32_e32 v33, 0xffff, v33
	v_and_b32_e32 v33, s1, v33
	s_delay_alu instid0(VALU_DEP_1)
	v_and_b32_e32 v34, 1, v33
	v_lshlrev_b32_e32 v35, 30, v33
	v_lshlrev_b32_e32 v36, 29, v33
	;; [unrolled: 1-line block ×4, first 2 shown]
	v_add_co_u32 v34, s0, v34, -1
	s_wait_alu 0xf1ff
	v_cndmask_b32_e64 v38, 0, 1, s0
	v_not_b32_e32 v81, v35
	v_cmp_gt_i32_e64 s0, 0, v35
	v_not_b32_e32 v35, v36
	v_lshlrev_b32_e32 v40, 26, v33
	v_cmp_ne_u32_e32 vcc_lo, 0, v38
	v_ashrrev_i32_e32 v81, 31, v81
	v_lshlrev_b32_e32 v80, 25, v33
	v_ashrrev_i32_e32 v35, 31, v35
	v_lshlrev_b32_e32 v38, 24, v33
	s_wait_alu 0xfffd
	v_xor_b32_e32 v34, vcc_lo, v34
	v_cmp_gt_i32_e32 vcc_lo, 0, v36
	v_not_b32_e32 v36, v37
	s_wait_alu 0xf1ff
	v_xor_b32_e32 v81, s0, v81
	v_cmp_gt_i32_e64 s0, 0, v37
	v_and_b32_e32 v34, exec_lo, v34
	v_not_b32_e32 v37, v39
	v_ashrrev_i32_e32 v36, 31, v36
	s_wait_alu 0xfffd
	v_xor_b32_e32 v35, vcc_lo, v35
	v_cmp_gt_i32_e32 vcc_lo, 0, v39
	v_and_b32_e32 v34, v34, v81
	v_not_b32_e32 v39, v40
	v_ashrrev_i32_e32 v37, 31, v37
	s_wait_alu 0xf1ff
	v_xor_b32_e32 v36, s0, v36
	v_cmp_gt_i32_e64 s0, 0, v40
	v_and_b32_e32 v34, v34, v35
	v_not_b32_e32 v35, v80
	v_ashrrev_i32_e32 v39, 31, v39
	s_wait_alu 0xfffd
	v_xor_b32_e32 v37, vcc_lo, v37
	v_cmp_gt_i32_e32 vcc_lo, 0, v80
	v_and_b32_e32 v34, v34, v36
	v_not_b32_e32 v36, v38
	v_ashrrev_i32_e32 v35, 31, v35
	s_wait_alu 0xf1ff
	v_xor_b32_e32 v39, s0, v39
	v_lshlrev_b32_e32 v33, 6, v33
	v_and_b32_e32 v34, v34, v37
	v_cmp_gt_i32_e64 s0, 0, v38
	v_ashrrev_i32_e32 v36, 31, v36
	s_wait_alu 0xfffd
	v_xor_b32_e32 v35, vcc_lo, v35
	v_add_nc_u32_e32 v103, v0, v33
	v_and_b32_e32 v34, v34, v39
	s_wait_alu 0xf1ff
	v_xor_b32_e32 v33, s0, v36
	ds_load_b32 v101, v103 offset:64
	v_and_b32_e32 v34, v34, v35
	; wave barrier
	s_delay_alu instid0(VALU_DEP_1) | instskip(NEXT) | instid1(VALU_DEP_1)
	v_and_b32_e32 v33, v34, v33
	v_mbcnt_lo_u32_b32 v102, v33, 0
	v_cmp_ne_u32_e64 s0, 0, v33
	s_delay_alu instid0(VALU_DEP_2)
	v_cmp_eq_u32_e32 vcc_lo, 0, v102
	s_and_b32 s10, s0, vcc_lo
	s_wait_alu 0xfffe
	s_and_saveexec_b32 s0, s10
	s_cbranch_execz .LBB255_59
; %bb.58:
	s_wait_dscnt 0x0
	v_bcnt_u32_b32 v33, v33, v101
	ds_store_b32 v103, v33 offset:64
.LBB255_59:
	s_wait_alu 0xfffe
	s_or_b32 exec_lo, exec_lo, s0
	v_cmp_ne_u16_e32 vcc_lo, 0x7fff, v79
	; wave barrier
	s_wait_alu 0xfffd
	v_cndmask_b32_e32 v33, 0xffff8000, v79, vcc_lo
	s_delay_alu instid0(VALU_DEP_1) | instskip(NEXT) | instid1(VALU_DEP_1)
	v_and_b32_e32 v33, 0xffff, v33
	v_and_b32_e32 v33, s1, v33
	s_delay_alu instid0(VALU_DEP_1)
	v_and_b32_e32 v34, 1, v33
	v_lshlrev_b32_e32 v35, 30, v33
	v_lshlrev_b32_e32 v36, 29, v33
	;; [unrolled: 1-line block ×4, first 2 shown]
	v_add_co_u32 v34, s0, v34, -1
	s_wait_alu 0xf1ff
	v_cndmask_b32_e64 v38, 0, 1, s0
	v_not_b32_e32 v81, v35
	v_cmp_gt_i32_e64 s0, 0, v35
	v_not_b32_e32 v35, v36
	v_lshlrev_b32_e32 v40, 26, v33
	v_cmp_ne_u32_e32 vcc_lo, 0, v38
	v_ashrrev_i32_e32 v81, 31, v81
	v_lshlrev_b32_e32 v80, 25, v33
	v_ashrrev_i32_e32 v35, 31, v35
	v_lshlrev_b32_e32 v38, 24, v33
	s_wait_alu 0xfffd
	v_xor_b32_e32 v34, vcc_lo, v34
	v_cmp_gt_i32_e32 vcc_lo, 0, v36
	v_not_b32_e32 v36, v37
	s_wait_alu 0xf1ff
	v_xor_b32_e32 v81, s0, v81
	v_cmp_gt_i32_e64 s0, 0, v37
	v_and_b32_e32 v34, exec_lo, v34
	v_not_b32_e32 v37, v39
	v_ashrrev_i32_e32 v36, 31, v36
	s_wait_alu 0xfffd
	v_xor_b32_e32 v35, vcc_lo, v35
	v_cmp_gt_i32_e32 vcc_lo, 0, v39
	v_and_b32_e32 v34, v34, v81
	v_not_b32_e32 v39, v40
	v_ashrrev_i32_e32 v37, 31, v37
	s_wait_alu 0xf1ff
	v_xor_b32_e32 v36, s0, v36
	v_cmp_gt_i32_e64 s0, 0, v40
	v_and_b32_e32 v34, v34, v35
	v_not_b32_e32 v35, v80
	v_ashrrev_i32_e32 v39, 31, v39
	s_wait_alu 0xfffd
	v_xor_b32_e32 v37, vcc_lo, v37
	v_cmp_gt_i32_e32 vcc_lo, 0, v80
	v_and_b32_e32 v34, v34, v36
	v_not_b32_e32 v36, v38
	v_ashrrev_i32_e32 v35, 31, v35
	s_wait_alu 0xf1ff
	v_xor_b32_e32 v39, s0, v39
	v_lshlrev_b32_e32 v33, 6, v33
	v_and_b32_e32 v34, v34, v37
	v_cmp_gt_i32_e64 s0, 0, v38
	v_ashrrev_i32_e32 v36, 31, v36
	s_wait_alu 0xfffd
	v_xor_b32_e32 v35, vcc_lo, v35
	v_add_nc_u32_e32 v106, v0, v33
	v_and_b32_e32 v34, v34, v39
	v_min_u32_e32 v80, 0x1e0, v68
	s_wait_alu 0xf1ff
	v_xor_b32_e32 v33, s0, v36
	ds_load_b32 v104, v106 offset:64
	v_and_b32_e32 v34, v34, v35
	; wave barrier
	s_delay_alu instid0(VALU_DEP_1) | instskip(NEXT) | instid1(VALU_DEP_1)
	v_and_b32_e32 v33, v34, v33
	v_mbcnt_lo_u32_b32 v105, v33, 0
	v_cmp_ne_u32_e64 s0, 0, v33
	s_delay_alu instid0(VALU_DEP_2)
	v_cmp_eq_u32_e32 vcc_lo, 0, v105
	s_and_b32 s1, s0, vcc_lo
	s_wait_alu 0xfffe
	s_and_saveexec_b32 s0, s1
	s_cbranch_execz .LBB255_61
; %bb.60:
	s_wait_dscnt 0x0
	v_bcnt_u32_b32 v33, v33, v104
	ds_store_b32 v106, v33 offset:64
.LBB255_61:
	s_wait_alu 0xfffe
	s_or_b32 exec_lo, exec_lo, s0
	; wave barrier
	s_wait_loadcnt_dscnt 0x0
	s_barrier_signal -1
	s_barrier_wait -1
	global_inv scope:SCOPE_SE
	ds_load_b128 v[37:40], v65 offset:64
	ds_load_b128 v[33:36], v65 offset:80
	v_and_b32_e32 v107, 16, v67
	v_or_b32_e32 v80, 31, v80
	s_delay_alu instid0(VALU_DEP_2) | instskip(NEXT) | instid1(VALU_DEP_2)
	v_cmp_eq_u32_e64 s15, 0, v107
	v_cmp_eq_u32_e64 s13, v41, v80
	s_wait_dscnt 0x1
	v_add_nc_u32_e32 v81, v38, v37
	s_delay_alu instid0(VALU_DEP_1) | instskip(SKIP_1) | instid1(VALU_DEP_1)
	v_add3_u32 v81, v81, v39, v40
	s_wait_dscnt 0x0
	v_add3_u32 v81, v81, v33, v34
	s_delay_alu instid0(VALU_DEP_1) | instskip(SKIP_1) | instid1(VALU_DEP_2)
	v_add3_u32 v36, v81, v35, v36
	v_and_b32_e32 v81, 15, v67
	v_mov_b32_dpp v83, v36 row_shr:1 row_mask:0xf bank_mask:0xf
	s_delay_alu instid0(VALU_DEP_2)
	v_cmp_eq_u32_e32 vcc_lo, 0, v81
	v_cmp_lt_u32_e64 s0, 1, v81
	v_cmp_lt_u32_e64 s1, 3, v81
	;; [unrolled: 1-line block ×3, first 2 shown]
	s_wait_alu 0xfffd
	v_cndmask_b32_e64 v83, v83, 0, vcc_lo
	s_delay_alu instid0(VALU_DEP_1) | instskip(NEXT) | instid1(VALU_DEP_1)
	v_add_nc_u32_e32 v36, v83, v36
	v_mov_b32_dpp v83, v36 row_shr:2 row_mask:0xf bank_mask:0xf
	s_wait_alu 0xf1ff
	s_delay_alu instid0(VALU_DEP_1) | instskip(NEXT) | instid1(VALU_DEP_1)
	v_cndmask_b32_e64 v83, 0, v83, s0
	v_add_nc_u32_e32 v36, v36, v83
	s_delay_alu instid0(VALU_DEP_1) | instskip(NEXT) | instid1(VALU_DEP_1)
	v_mov_b32_dpp v83, v36 row_shr:4 row_mask:0xf bank_mask:0xf
	v_cndmask_b32_e64 v83, 0, v83, s1
	s_delay_alu instid0(VALU_DEP_1) | instskip(NEXT) | instid1(VALU_DEP_1)
	v_add_nc_u32_e32 v36, v36, v83
	v_mov_b32_dpp v83, v36 row_shr:8 row_mask:0xf bank_mask:0xf
	s_delay_alu instid0(VALU_DEP_1) | instskip(NEXT) | instid1(VALU_DEP_1)
	v_cndmask_b32_e64 v81, 0, v83, s10
	v_add_nc_u32_e32 v83, v36, v81
	v_bfe_i32 v81, v67, 4, 1
	ds_swizzle_b32 v36, v83 offset:swizzle(BROADCAST,32,15)
	s_wait_dscnt 0x0
	v_and_b32_e32 v108, v81, v36
	v_mul_i32_i24_e32 v36, 0xffffffe4, v41
	v_lshlrev_b32_e32 v81, 2, v66
	s_delay_alu instid0(VALU_DEP_3)
	v_add_nc_u32_e32 v83, v83, v108
	s_and_saveexec_b32 s11, s13
; %bb.62:
	ds_store_b32 v81, v83
; %bb.63:
	s_wait_alu 0xfffe
	s_or_b32 exec_lo, exec_lo, s11
	v_cmp_gt_u32_e64 s12, 16, v41
	v_add_nc_u32_e32 v80, v65, v36
	s_wait_loadcnt_dscnt 0x0
	s_barrier_signal -1
	s_barrier_wait -1
	global_inv scope:SCOPE_SE
	s_and_saveexec_b32 s11, s12
	s_cbranch_execz .LBB255_65
; %bb.64:
	ds_load_b32 v36, v80
	s_wait_dscnt 0x0
	v_mov_b32_dpp v107, v36 row_shr:1 row_mask:0xf bank_mask:0xf
	s_delay_alu instid0(VALU_DEP_1) | instskip(NEXT) | instid1(VALU_DEP_1)
	v_cndmask_b32_e64 v107, v107, 0, vcc_lo
	v_add_nc_u32_e32 v36, v107, v36
	s_delay_alu instid0(VALU_DEP_1) | instskip(NEXT) | instid1(VALU_DEP_1)
	v_mov_b32_dpp v107, v36 row_shr:2 row_mask:0xf bank_mask:0xf
	v_cndmask_b32_e64 v107, 0, v107, s0
	s_delay_alu instid0(VALU_DEP_1) | instskip(NEXT) | instid1(VALU_DEP_1)
	v_add_nc_u32_e32 v36, v36, v107
	v_mov_b32_dpp v107, v36 row_shr:4 row_mask:0xf bank_mask:0xf
	s_delay_alu instid0(VALU_DEP_1) | instskip(NEXT) | instid1(VALU_DEP_1)
	v_cndmask_b32_e64 v107, 0, v107, s1
	v_add_nc_u32_e32 v36, v36, v107
	s_delay_alu instid0(VALU_DEP_1) | instskip(NEXT) | instid1(VALU_DEP_1)
	v_mov_b32_dpp v107, v36 row_shr:8 row_mask:0xf bank_mask:0xf
	v_cndmask_b32_e64 v107, 0, v107, s10
	s_delay_alu instid0(VALU_DEP_1)
	v_add_nc_u32_e32 v36, v36, v107
	ds_store_b32 v80, v36
.LBB255_65:
	s_wait_alu 0xfffe
	s_or_b32 exec_lo, exec_lo, s11
	v_mul_u32_u24_e32 v36, 6, v82
	v_sub_co_u32 v107, s11, v67, 1
	v_cmp_lt_u32_e64 s14, 31, v41
	v_add_nc_u32_e32 v82, -4, v81
	v_mov_b32_e32 v108, 0
	s_wait_loadcnt_dscnt 0x0
	s_barrier_signal -1
	s_barrier_wait -1
	global_inv scope:SCOPE_SE
	s_and_saveexec_b32 s16, s14
; %bb.66:
	ds_load_b32 v108, v82
; %bb.67:
	s_wait_alu 0xfffe
	s_or_b32 exec_lo, exec_lo, s16
	v_cmp_gt_i32_e64 s16, 0, v107
	s_mov_b32 s20, 0
	s_min_u32 s17, s17, 8
	s_wait_alu 0xfffe
	s_mov_b32 s21, s20
	s_mov_b32 s22, s20
	v_cndmask_b32_e64 v107, v107, v67, s16
	s_mov_b32 s23, s20
	s_wait_dscnt 0x0
	v_add_nc_u32_e32 v109, v108, v83
	v_cmp_eq_u32_e64 s16, 0, v41
	s_lshl_b32 s17, -1, s17
	v_lshlrev_b32_e32 v83, 2, v107
	s_wait_alu 0xfffe
	s_not_b32 s19, s17
	ds_bpermute_b32 v107, v83, v109
	s_wait_dscnt 0x0
	v_cndmask_b32_e64 v107, v107, v108, s11
	s_delay_alu instid0(VALU_DEP_1) | instskip(NEXT) | instid1(VALU_DEP_1)
	v_cndmask_b32_e64 v107, v107, 0, s16
	v_add_nc_u32_e32 v108, v107, v37
	s_delay_alu instid0(VALU_DEP_1) | instskip(NEXT) | instid1(VALU_DEP_1)
	v_add_nc_u32_e32 v109, v108, v38
	v_add_nc_u32_e32 v110, v109, v39
	s_delay_alu instid0(VALU_DEP_1) | instskip(NEXT) | instid1(VALU_DEP_1)
	v_add_nc_u32_e32 v37, v110, v40
	;; [unrolled: 3-line block ×3, first 2 shown]
	v_add_nc_u32_e32 v40, v39, v35
	ds_store_b128 v65, v[107:110] offset:64
	ds_store_b128 v65, v[37:40] offset:80
	s_wait_loadcnt_dscnt 0x0
	s_barrier_signal -1
	s_barrier_wait -1
	global_inv scope:SCOPE_SE
	ds_load_b32 v33, v85 offset:64
	ds_load_b32 v34, v88 offset:64
	;; [unrolled: 1-line block ×8, first 2 shown]
	v_add_nc_u32_e32 v88, v71, v36
	s_wait_loadcnt_dscnt 0x0
	s_barrier_signal -1
	s_barrier_wait -1
	global_inv scope:SCOPE_SE
	v_add_nc_u32_e32 v84, v33, v84
	v_add3_u32 v86, v87, v86, v34
	v_add3_u32 v87, v90, v89, v35
	;; [unrolled: 1-line block ×7, first 2 shown]
	v_lshlrev_b32_e32 v33, 1, v84
	v_lshlrev_b32_e32 v34, 1, v86
	;; [unrolled: 1-line block ×8, first 2 shown]
	ds_store_b16 v33, v72
	ds_store_b16 v34, v73
	;; [unrolled: 1-line block ×8, first 2 shown]
	s_wait_loadcnt_dscnt 0x0
	s_barrier_signal -1
	s_barrier_wait -1
	global_inv scope:SCOPE_SE
	ds_load_u16 v72, v71
	ds_load_u16 v73, v71 offset:64
	ds_load_u16 v74, v71 offset:128
	;; [unrolled: 1-line block ×7, first 2 shown]
	v_mad_co_u64_u32 v[84:85], null, v84, 6, v[33:34]
	v_mad_co_u64_u32 v[33:34], null, v86, 6, v[34:35]
	;; [unrolled: 1-line block ×3, first 2 shown]
	s_wait_loadcnt_dscnt 0x0
	s_barrier_signal -1
	s_barrier_wait -1
	global_inv scope:SCOPE_SE
	v_mad_co_u64_u32 v[35:36], null, v89, 6, v[36:37]
	v_lshrrev_b16 v79, 8, v72
	v_cmp_ne_u16_e64 s17, 0x7fff, v72
	ds_store_b64 v84, v[17:18]
	v_mad_co_u64_u32 v[36:37], null, v90, 6, v[37:38]
	v_mad_co_u64_u32 v[37:38], null, v91, 6, v[38:39]
	s_wait_alu 0xf1ff
	v_cndmask_b32_e64 v79, 0x80, v79, s17
	v_mad_co_u64_u32 v[38:39], null, v92, 6, v[39:40]
	v_mad_co_u64_u32 v[39:40], null, v93, 6, v[40:41]
	s_delay_alu instid0(VALU_DEP_3)
	v_and_b32_e32 v17, 0xffff, v79
	ds_store_b64 v33, v[19:20]
	ds_store_b64 v34, v[25:26]
	;; [unrolled: 1-line block ×7, first 2 shown]
	s_wait_alu 0xfffe
	v_and_b32_e32 v40, s19, v17
	s_wait_loadcnt_dscnt 0x0
	s_barrier_signal -1
	s_barrier_wait -1
	global_inv scope:SCOPE_SE
	v_and_b32_e32 v17, 1, v40
	v_lshlrev_b32_e32 v18, 30, v40
	v_lshlrev_b32_e32 v19, 29, v40
	;; [unrolled: 1-line block ×4, first 2 shown]
	v_add_co_u32 v17, s17, v17, -1
	s_wait_alu 0xf1ff
	v_cndmask_b32_e64 v21, 0, 1, s17
	v_not_b32_e32 v25, v18
	v_cmp_gt_i32_e64 s18, 0, v18
	v_not_b32_e32 v18, v19
	v_lshlrev_b32_e32 v23, 26, v40
	v_cmp_ne_u32_e64 s17, 0, v21
	v_ashrrev_i32_e32 v25, 31, v25
	v_lshlrev_b32_e32 v24, 25, v40
	v_ashrrev_i32_e32 v18, 31, v18
	v_lshlrev_b32_e32 v21, 24, v40
	s_wait_alu 0xf1ff
	v_xor_b32_e32 v17, s17, v17
	v_cmp_gt_i32_e64 s17, 0, v19
	v_not_b32_e32 v19, v20
	v_xor_b32_e32 v25, s18, v25
	v_cmp_gt_i32_e64 s18, 0, v20
	v_and_b32_e32 v17, exec_lo, v17
	v_not_b32_e32 v20, v22
	v_ashrrev_i32_e32 v19, 31, v19
	s_wait_alu 0xf1ff
	v_xor_b32_e32 v18, s17, v18
	v_cmp_gt_i32_e64 s17, 0, v22
	v_and_b32_e32 v17, v17, v25
	v_not_b32_e32 v22, v23
	v_ashrrev_i32_e32 v20, 31, v20
	v_xor_b32_e32 v19, s18, v19
	v_cmp_gt_i32_e64 s18, 0, v23
	v_and_b32_e32 v17, v17, v18
	v_not_b32_e32 v18, v24
	v_ashrrev_i32_e32 v22, 31, v22
	s_wait_alu 0xf1ff
	v_xor_b32_e32 v20, s17, v20
	v_cmp_gt_i32_e64 s17, 0, v24
	v_and_b32_e32 v17, v17, v19
	v_not_b32_e32 v19, v21
	v_ashrrev_i32_e32 v18, 31, v18
	v_xor_b32_e32 v22, s18, v22
	v_cmp_gt_i32_e64 s18, 0, v21
	v_and_b32_e32 v17, v17, v20
	v_ashrrev_i32_e32 v19, 31, v19
	s_wait_alu 0xf1ff
	v_xor_b32_e32 v18, s17, v18
	v_dual_mov_b32 v37, s23 :: v_dual_mov_b32 v36, s22
	v_and_b32_e32 v17, v17, v22
	v_xor_b32_e32 v33, s18, v19
	ds_load_2addr_b64 v[21:24], v88 offset1:32
	v_dual_mov_b32 v35, s21 :: v_dual_mov_b32 v34, s20
	v_and_b32_e32 v38, v17, v18
	ds_load_2addr_b64 v[29:32], v88 offset0:64 offset1:96
	ds_load_2addr_b64 v[25:28], v88 offset0:128 offset1:160
	;; [unrolled: 1-line block ×3, first 2 shown]
	v_lshl_add_u32 v84, v40, 6, v0
	s_wait_loadcnt_dscnt 0x0
	s_barrier_signal -1
	v_and_b32_e32 v33, v38, v33
	s_barrier_wait -1
	global_inv scope:SCOPE_SE
	ds_store_b128 v65, v[34:37] offset:64
	ds_store_b128 v65, v[34:37] offset:80
	s_wait_loadcnt_dscnt 0x0
	v_mbcnt_lo_u32_b32 v79, v33, 0
	v_cmp_ne_u32_e64 s18, 0, v33
	s_barrier_signal -1
	s_barrier_wait -1
	global_inv scope:SCOPE_SE
	v_cmp_eq_u32_e64 s17, 0, v79
	; wave barrier
	s_and_b32 s18, s18, s17
	s_wait_alu 0xfffe
	s_and_saveexec_b32 s17, s18
; %bb.68:
	v_bcnt_u32_b32 v33, v33, 0
	ds_store_b32 v84, v33 offset:64
; %bb.69:
	s_wait_alu 0xfffe
	s_or_b32 exec_lo, exec_lo, s17
	v_lshrrev_b16 v33, 8, v73
	v_cmp_ne_u16_e64 s17, 0x7fff, v73
	; wave barrier
	s_wait_alu 0xf1ff
	s_delay_alu instid0(VALU_DEP_1) | instskip(NEXT) | instid1(VALU_DEP_1)
	v_cndmask_b32_e64 v33, 0x80, v33, s17
	v_and_b32_e32 v33, s19, v33
	s_delay_alu instid0(VALU_DEP_1)
	v_and_b32_e32 v34, 1, v33
	v_lshlrev_b32_e32 v35, 30, v33
	v_lshlrev_b32_e32 v36, 29, v33
	;; [unrolled: 1-line block ×4, first 2 shown]
	v_add_co_u32 v34, s17, v34, -1
	s_wait_alu 0xf1ff
	v_cndmask_b32_e64 v38, 0, 1, s17
	v_not_b32_e32 v86, v35
	v_cmp_gt_i32_e64 s18, 0, v35
	v_not_b32_e32 v35, v36
	v_lshlrev_b32_e32 v40, 26, v33
	v_cmp_ne_u32_e64 s17, 0, v38
	v_ashrrev_i32_e32 v86, 31, v86
	v_lshlrev_b32_e32 v85, 25, v33
	v_ashrrev_i32_e32 v35, 31, v35
	v_lshlrev_b32_e32 v38, 24, v33
	s_wait_alu 0xf1ff
	v_xor_b32_e32 v34, s17, v34
	v_cmp_gt_i32_e64 s17, 0, v36
	v_not_b32_e32 v36, v37
	v_xor_b32_e32 v86, s18, v86
	v_cmp_gt_i32_e64 s18, 0, v37
	v_and_b32_e32 v34, exec_lo, v34
	v_not_b32_e32 v37, v39
	v_ashrrev_i32_e32 v36, 31, v36
	s_wait_alu 0xf1ff
	v_xor_b32_e32 v35, s17, v35
	v_cmp_gt_i32_e64 s17, 0, v39
	v_and_b32_e32 v34, v34, v86
	v_not_b32_e32 v39, v40
	v_ashrrev_i32_e32 v37, 31, v37
	v_xor_b32_e32 v36, s18, v36
	v_cmp_gt_i32_e64 s18, 0, v40
	v_and_b32_e32 v34, v34, v35
	v_not_b32_e32 v35, v85
	v_ashrrev_i32_e32 v39, 31, v39
	s_wait_alu 0xf1ff
	v_xor_b32_e32 v37, s17, v37
	v_cmp_gt_i32_e64 s17, 0, v85
	v_and_b32_e32 v34, v34, v36
	v_not_b32_e32 v36, v38
	v_ashrrev_i32_e32 v35, 31, v35
	v_xor_b32_e32 v39, s18, v39
	v_cmp_gt_i32_e64 s18, 0, v38
	v_and_b32_e32 v34, v34, v37
	v_ashrrev_i32_e32 v36, 31, v36
	s_wait_alu 0xf1ff
	v_xor_b32_e32 v35, s17, v35
	v_lshl_add_u32 v87, v33, 6, v0
	v_and_b32_e32 v34, v34, v39
	v_xor_b32_e32 v33, s18, v36
	ds_load_b32 v85, v87 offset:64
	v_and_b32_e32 v34, v34, v35
	; wave barrier
	s_delay_alu instid0(VALU_DEP_1) | instskip(NEXT) | instid1(VALU_DEP_1)
	v_and_b32_e32 v33, v34, v33
	v_mbcnt_lo_u32_b32 v86, v33, 0
	v_cmp_ne_u32_e64 s18, 0, v33
	s_delay_alu instid0(VALU_DEP_2)
	v_cmp_eq_u32_e64 s17, 0, v86
	s_and_b32 s18, s18, s17
	s_wait_alu 0xfffe
	s_and_saveexec_b32 s17, s18
	s_cbranch_execz .LBB255_71
; %bb.70:
	s_wait_dscnt 0x0
	v_bcnt_u32_b32 v33, v33, v85
	ds_store_b32 v87, v33 offset:64
.LBB255_71:
	s_wait_alu 0xfffe
	s_or_b32 exec_lo, exec_lo, s17
	v_lshrrev_b16 v33, 8, v74
	v_cmp_ne_u16_e64 s17, 0x7fff, v74
	; wave barrier
	s_wait_alu 0xf1ff
	s_delay_alu instid0(VALU_DEP_1) | instskip(NEXT) | instid1(VALU_DEP_1)
	v_cndmask_b32_e64 v33, 0x80, v33, s17
	v_and_b32_e32 v33, s19, v33
	s_delay_alu instid0(VALU_DEP_1)
	v_and_b32_e32 v34, 1, v33
	v_lshlrev_b32_e32 v35, 30, v33
	v_lshlrev_b32_e32 v36, 29, v33
	;; [unrolled: 1-line block ×4, first 2 shown]
	v_add_co_u32 v34, s17, v34, -1
	s_wait_alu 0xf1ff
	v_cndmask_b32_e64 v38, 0, 1, s17
	v_not_b32_e32 v89, v35
	v_cmp_gt_i32_e64 s18, 0, v35
	v_not_b32_e32 v35, v36
	v_lshlrev_b32_e32 v40, 26, v33
	v_cmp_ne_u32_e64 s17, 0, v38
	v_ashrrev_i32_e32 v89, 31, v89
	v_lshlrev_b32_e32 v88, 25, v33
	v_ashrrev_i32_e32 v35, 31, v35
	v_lshlrev_b32_e32 v38, 24, v33
	s_wait_alu 0xf1ff
	v_xor_b32_e32 v34, s17, v34
	v_cmp_gt_i32_e64 s17, 0, v36
	v_not_b32_e32 v36, v37
	v_xor_b32_e32 v89, s18, v89
	v_cmp_gt_i32_e64 s18, 0, v37
	v_and_b32_e32 v34, exec_lo, v34
	v_not_b32_e32 v37, v39
	v_ashrrev_i32_e32 v36, 31, v36
	s_wait_alu 0xf1ff
	v_xor_b32_e32 v35, s17, v35
	v_cmp_gt_i32_e64 s17, 0, v39
	v_and_b32_e32 v34, v34, v89
	v_not_b32_e32 v39, v40
	v_ashrrev_i32_e32 v37, 31, v37
	v_xor_b32_e32 v36, s18, v36
	v_cmp_gt_i32_e64 s18, 0, v40
	v_and_b32_e32 v34, v34, v35
	v_not_b32_e32 v35, v88
	v_ashrrev_i32_e32 v39, 31, v39
	s_wait_alu 0xf1ff
	v_xor_b32_e32 v37, s17, v37
	v_cmp_gt_i32_e64 s17, 0, v88
	v_and_b32_e32 v34, v34, v36
	v_not_b32_e32 v36, v38
	v_ashrrev_i32_e32 v35, 31, v35
	v_xor_b32_e32 v39, s18, v39
	v_cmp_gt_i32_e64 s18, 0, v38
	v_and_b32_e32 v34, v34, v37
	v_ashrrev_i32_e32 v36, 31, v36
	s_wait_alu 0xf1ff
	v_xor_b32_e32 v35, s17, v35
	v_lshl_add_u32 v90, v33, 6, v0
	v_and_b32_e32 v34, v34, v39
	v_xor_b32_e32 v33, s18, v36
	ds_load_b32 v88, v90 offset:64
	v_and_b32_e32 v34, v34, v35
	; wave barrier
	s_delay_alu instid0(VALU_DEP_1) | instskip(NEXT) | instid1(VALU_DEP_1)
	v_and_b32_e32 v33, v34, v33
	v_mbcnt_lo_u32_b32 v89, v33, 0
	v_cmp_ne_u32_e64 s18, 0, v33
	s_delay_alu instid0(VALU_DEP_2)
	v_cmp_eq_u32_e64 s17, 0, v89
	s_and_b32 s18, s18, s17
	s_wait_alu 0xfffe
	s_and_saveexec_b32 s17, s18
	s_cbranch_execz .LBB255_73
; %bb.72:
	s_wait_dscnt 0x0
	v_bcnt_u32_b32 v33, v33, v88
	ds_store_b32 v90, v33 offset:64
.LBB255_73:
	s_wait_alu 0xfffe
	s_or_b32 exec_lo, exec_lo, s17
	v_lshrrev_b16 v33, 8, v75
	v_cmp_ne_u16_e64 s17, 0x7fff, v75
	; wave barrier
	s_wait_alu 0xf1ff
	s_delay_alu instid0(VALU_DEP_1) | instskip(NEXT) | instid1(VALU_DEP_1)
	v_cndmask_b32_e64 v33, 0x80, v33, s17
	v_and_b32_e32 v33, s19, v33
	s_delay_alu instid0(VALU_DEP_1)
	v_and_b32_e32 v34, 1, v33
	v_lshlrev_b32_e32 v35, 30, v33
	v_lshlrev_b32_e32 v36, 29, v33
	;; [unrolled: 1-line block ×4, first 2 shown]
	v_add_co_u32 v34, s17, v34, -1
	s_wait_alu 0xf1ff
	v_cndmask_b32_e64 v38, 0, 1, s17
	v_not_b32_e32 v92, v35
	v_cmp_gt_i32_e64 s18, 0, v35
	v_not_b32_e32 v35, v36
	v_lshlrev_b32_e32 v40, 26, v33
	v_cmp_ne_u32_e64 s17, 0, v38
	v_ashrrev_i32_e32 v92, 31, v92
	v_lshlrev_b32_e32 v91, 25, v33
	v_ashrrev_i32_e32 v35, 31, v35
	v_lshlrev_b32_e32 v38, 24, v33
	s_wait_alu 0xf1ff
	v_xor_b32_e32 v34, s17, v34
	v_cmp_gt_i32_e64 s17, 0, v36
	v_not_b32_e32 v36, v37
	v_xor_b32_e32 v92, s18, v92
	v_cmp_gt_i32_e64 s18, 0, v37
	v_and_b32_e32 v34, exec_lo, v34
	v_not_b32_e32 v37, v39
	v_ashrrev_i32_e32 v36, 31, v36
	s_wait_alu 0xf1ff
	v_xor_b32_e32 v35, s17, v35
	v_cmp_gt_i32_e64 s17, 0, v39
	v_and_b32_e32 v34, v34, v92
	v_not_b32_e32 v39, v40
	v_ashrrev_i32_e32 v37, 31, v37
	v_xor_b32_e32 v36, s18, v36
	v_cmp_gt_i32_e64 s18, 0, v40
	v_and_b32_e32 v34, v34, v35
	v_not_b32_e32 v35, v91
	v_ashrrev_i32_e32 v39, 31, v39
	s_wait_alu 0xf1ff
	v_xor_b32_e32 v37, s17, v37
	v_cmp_gt_i32_e64 s17, 0, v91
	v_and_b32_e32 v34, v34, v36
	v_not_b32_e32 v36, v38
	v_ashrrev_i32_e32 v35, 31, v35
	v_xor_b32_e32 v39, s18, v39
	v_cmp_gt_i32_e64 s18, 0, v38
	v_and_b32_e32 v34, v34, v37
	v_ashrrev_i32_e32 v36, 31, v36
	s_wait_alu 0xf1ff
	v_xor_b32_e32 v35, s17, v35
	v_lshl_add_u32 v93, v33, 6, v0
	v_and_b32_e32 v34, v34, v39
	v_xor_b32_e32 v33, s18, v36
	ds_load_b32 v91, v93 offset:64
	v_and_b32_e32 v34, v34, v35
	; wave barrier
	s_delay_alu instid0(VALU_DEP_1) | instskip(NEXT) | instid1(VALU_DEP_1)
	v_and_b32_e32 v33, v34, v33
	v_mbcnt_lo_u32_b32 v92, v33, 0
	v_cmp_ne_u32_e64 s18, 0, v33
	s_delay_alu instid0(VALU_DEP_2)
	v_cmp_eq_u32_e64 s17, 0, v92
	s_and_b32 s18, s18, s17
	s_wait_alu 0xfffe
	s_and_saveexec_b32 s17, s18
	s_cbranch_execz .LBB255_75
; %bb.74:
	s_wait_dscnt 0x0
	v_bcnt_u32_b32 v33, v33, v91
	ds_store_b32 v93, v33 offset:64
.LBB255_75:
	s_wait_alu 0xfffe
	s_or_b32 exec_lo, exec_lo, s17
	v_lshrrev_b16 v33, 8, v76
	v_cmp_ne_u16_e64 s17, 0x7fff, v76
	; wave barrier
	s_wait_alu 0xf1ff
	s_delay_alu instid0(VALU_DEP_1) | instskip(NEXT) | instid1(VALU_DEP_1)
	v_cndmask_b32_e64 v33, 0x80, v33, s17
	v_and_b32_e32 v33, s19, v33
	s_delay_alu instid0(VALU_DEP_1)
	v_and_b32_e32 v34, 1, v33
	v_lshlrev_b32_e32 v35, 30, v33
	v_lshlrev_b32_e32 v36, 29, v33
	v_lshlrev_b32_e32 v37, 28, v33
	v_lshlrev_b32_e32 v39, 27, v33
	v_add_co_u32 v34, s17, v34, -1
	s_wait_alu 0xf1ff
	v_cndmask_b32_e64 v38, 0, 1, s17
	v_not_b32_e32 v95, v35
	v_cmp_gt_i32_e64 s18, 0, v35
	v_not_b32_e32 v35, v36
	v_lshlrev_b32_e32 v40, 26, v33
	v_cmp_ne_u32_e64 s17, 0, v38
	v_ashrrev_i32_e32 v95, 31, v95
	v_lshlrev_b32_e32 v94, 25, v33
	v_ashrrev_i32_e32 v35, 31, v35
	v_lshlrev_b32_e32 v38, 24, v33
	s_wait_alu 0xf1ff
	v_xor_b32_e32 v34, s17, v34
	v_cmp_gt_i32_e64 s17, 0, v36
	v_not_b32_e32 v36, v37
	v_xor_b32_e32 v95, s18, v95
	v_cmp_gt_i32_e64 s18, 0, v37
	v_and_b32_e32 v34, exec_lo, v34
	v_not_b32_e32 v37, v39
	v_ashrrev_i32_e32 v36, 31, v36
	s_wait_alu 0xf1ff
	v_xor_b32_e32 v35, s17, v35
	v_cmp_gt_i32_e64 s17, 0, v39
	v_and_b32_e32 v34, v34, v95
	v_not_b32_e32 v39, v40
	v_ashrrev_i32_e32 v37, 31, v37
	v_xor_b32_e32 v36, s18, v36
	v_cmp_gt_i32_e64 s18, 0, v40
	v_and_b32_e32 v34, v34, v35
	v_not_b32_e32 v35, v94
	v_ashrrev_i32_e32 v39, 31, v39
	s_wait_alu 0xf1ff
	v_xor_b32_e32 v37, s17, v37
	v_cmp_gt_i32_e64 s17, 0, v94
	v_and_b32_e32 v34, v34, v36
	v_not_b32_e32 v36, v38
	v_ashrrev_i32_e32 v35, 31, v35
	v_xor_b32_e32 v39, s18, v39
	v_cmp_gt_i32_e64 s18, 0, v38
	v_and_b32_e32 v34, v34, v37
	v_ashrrev_i32_e32 v36, 31, v36
	s_wait_alu 0xf1ff
	v_xor_b32_e32 v35, s17, v35
	v_lshl_add_u32 v96, v33, 6, v0
	v_and_b32_e32 v34, v34, v39
	v_xor_b32_e32 v33, s18, v36
	ds_load_b32 v94, v96 offset:64
	v_and_b32_e32 v34, v34, v35
	; wave barrier
	s_delay_alu instid0(VALU_DEP_1) | instskip(NEXT) | instid1(VALU_DEP_1)
	v_and_b32_e32 v33, v34, v33
	v_mbcnt_lo_u32_b32 v95, v33, 0
	v_cmp_ne_u32_e64 s18, 0, v33
	s_delay_alu instid0(VALU_DEP_2)
	v_cmp_eq_u32_e64 s17, 0, v95
	s_and_b32 s18, s18, s17
	s_wait_alu 0xfffe
	s_and_saveexec_b32 s17, s18
	s_cbranch_execz .LBB255_77
; %bb.76:
	s_wait_dscnt 0x0
	v_bcnt_u32_b32 v33, v33, v94
	ds_store_b32 v96, v33 offset:64
.LBB255_77:
	s_wait_alu 0xfffe
	s_or_b32 exec_lo, exec_lo, s17
	v_lshrrev_b16 v33, 8, v77
	v_cmp_ne_u16_e64 s17, 0x7fff, v77
	; wave barrier
	s_wait_alu 0xf1ff
	s_delay_alu instid0(VALU_DEP_1) | instskip(NEXT) | instid1(VALU_DEP_1)
	v_cndmask_b32_e64 v33, 0x80, v33, s17
	v_and_b32_e32 v33, s19, v33
	s_delay_alu instid0(VALU_DEP_1)
	v_and_b32_e32 v34, 1, v33
	v_lshlrev_b32_e32 v35, 30, v33
	v_lshlrev_b32_e32 v36, 29, v33
	;; [unrolled: 1-line block ×4, first 2 shown]
	v_add_co_u32 v34, s17, v34, -1
	s_wait_alu 0xf1ff
	v_cndmask_b32_e64 v38, 0, 1, s17
	v_not_b32_e32 v98, v35
	v_cmp_gt_i32_e64 s18, 0, v35
	v_not_b32_e32 v35, v36
	v_lshlrev_b32_e32 v40, 26, v33
	v_cmp_ne_u32_e64 s17, 0, v38
	v_ashrrev_i32_e32 v98, 31, v98
	v_lshlrev_b32_e32 v97, 25, v33
	v_ashrrev_i32_e32 v35, 31, v35
	v_lshlrev_b32_e32 v38, 24, v33
	s_wait_alu 0xf1ff
	v_xor_b32_e32 v34, s17, v34
	v_cmp_gt_i32_e64 s17, 0, v36
	v_not_b32_e32 v36, v37
	v_xor_b32_e32 v98, s18, v98
	v_cmp_gt_i32_e64 s18, 0, v37
	v_and_b32_e32 v34, exec_lo, v34
	v_not_b32_e32 v37, v39
	v_ashrrev_i32_e32 v36, 31, v36
	s_wait_alu 0xf1ff
	v_xor_b32_e32 v35, s17, v35
	v_cmp_gt_i32_e64 s17, 0, v39
	v_and_b32_e32 v34, v34, v98
	v_not_b32_e32 v39, v40
	v_ashrrev_i32_e32 v37, 31, v37
	v_xor_b32_e32 v36, s18, v36
	v_cmp_gt_i32_e64 s18, 0, v40
	v_and_b32_e32 v34, v34, v35
	v_not_b32_e32 v35, v97
	v_ashrrev_i32_e32 v39, 31, v39
	s_wait_alu 0xf1ff
	v_xor_b32_e32 v37, s17, v37
	v_cmp_gt_i32_e64 s17, 0, v97
	v_and_b32_e32 v34, v34, v36
	v_not_b32_e32 v36, v38
	v_ashrrev_i32_e32 v35, 31, v35
	v_xor_b32_e32 v39, s18, v39
	v_cmp_gt_i32_e64 s18, 0, v38
	v_and_b32_e32 v34, v34, v37
	v_ashrrev_i32_e32 v36, 31, v36
	s_wait_alu 0xf1ff
	v_xor_b32_e32 v35, s17, v35
	v_lshl_add_u32 v99, v33, 6, v0
	v_and_b32_e32 v34, v34, v39
	v_xor_b32_e32 v33, s18, v36
	ds_load_b32 v97, v99 offset:64
	v_and_b32_e32 v34, v34, v35
	; wave barrier
	s_delay_alu instid0(VALU_DEP_1) | instskip(NEXT) | instid1(VALU_DEP_1)
	v_and_b32_e32 v33, v34, v33
	v_mbcnt_lo_u32_b32 v98, v33, 0
	v_cmp_ne_u32_e64 s18, 0, v33
	s_delay_alu instid0(VALU_DEP_2)
	v_cmp_eq_u32_e64 s17, 0, v98
	s_and_b32 s18, s18, s17
	s_wait_alu 0xfffe
	s_and_saveexec_b32 s17, s18
	s_cbranch_execz .LBB255_79
; %bb.78:
	s_wait_dscnt 0x0
	v_bcnt_u32_b32 v33, v33, v97
	ds_store_b32 v99, v33 offset:64
.LBB255_79:
	s_wait_alu 0xfffe
	s_or_b32 exec_lo, exec_lo, s17
	v_lshrrev_b16 v33, 8, v78
	v_cmp_ne_u16_e64 s17, 0x7fff, v78
	; wave barrier
	s_wait_alu 0xf1ff
	s_delay_alu instid0(VALU_DEP_1) | instskip(NEXT) | instid1(VALU_DEP_1)
	v_cndmask_b32_e64 v33, 0x80, v33, s17
	v_and_b32_e32 v33, s19, v33
	s_delay_alu instid0(VALU_DEP_1)
	v_and_b32_e32 v34, 1, v33
	v_lshlrev_b32_e32 v35, 30, v33
	v_lshlrev_b32_e32 v36, 29, v33
	;; [unrolled: 1-line block ×4, first 2 shown]
	v_add_co_u32 v34, s17, v34, -1
	s_wait_alu 0xf1ff
	v_cndmask_b32_e64 v38, 0, 1, s17
	v_not_b32_e32 v101, v35
	v_cmp_gt_i32_e64 s18, 0, v35
	v_not_b32_e32 v35, v36
	v_lshlrev_b32_e32 v40, 26, v33
	v_cmp_ne_u32_e64 s17, 0, v38
	v_ashrrev_i32_e32 v101, 31, v101
	v_lshlrev_b32_e32 v100, 25, v33
	v_ashrrev_i32_e32 v35, 31, v35
	v_lshlrev_b32_e32 v38, 24, v33
	s_wait_alu 0xf1ff
	v_xor_b32_e32 v34, s17, v34
	v_cmp_gt_i32_e64 s17, 0, v36
	v_not_b32_e32 v36, v37
	v_xor_b32_e32 v101, s18, v101
	v_cmp_gt_i32_e64 s18, 0, v37
	v_and_b32_e32 v34, exec_lo, v34
	v_not_b32_e32 v37, v39
	v_ashrrev_i32_e32 v36, 31, v36
	s_wait_alu 0xf1ff
	v_xor_b32_e32 v35, s17, v35
	v_cmp_gt_i32_e64 s17, 0, v39
	v_and_b32_e32 v34, v34, v101
	v_not_b32_e32 v39, v40
	v_ashrrev_i32_e32 v37, 31, v37
	v_xor_b32_e32 v36, s18, v36
	v_cmp_gt_i32_e64 s18, 0, v40
	v_and_b32_e32 v34, v34, v35
	v_not_b32_e32 v35, v100
	v_ashrrev_i32_e32 v39, 31, v39
	s_wait_alu 0xf1ff
	v_xor_b32_e32 v37, s17, v37
	v_cmp_gt_i32_e64 s17, 0, v100
	v_and_b32_e32 v34, v34, v36
	v_not_b32_e32 v36, v38
	v_ashrrev_i32_e32 v35, 31, v35
	v_xor_b32_e32 v39, s18, v39
	v_cmp_gt_i32_e64 s18, 0, v38
	v_and_b32_e32 v34, v34, v37
	v_ashrrev_i32_e32 v36, 31, v36
	s_wait_alu 0xf1ff
	v_xor_b32_e32 v35, s17, v35
	v_lshl_add_u32 v102, v33, 6, v0
	v_and_b32_e32 v34, v34, v39
	v_xor_b32_e32 v33, s18, v36
	ds_load_b32 v100, v102 offset:64
	v_and_b32_e32 v34, v34, v35
	; wave barrier
	s_delay_alu instid0(VALU_DEP_1) | instskip(NEXT) | instid1(VALU_DEP_1)
	v_and_b32_e32 v33, v34, v33
	v_mbcnt_lo_u32_b32 v101, v33, 0
	v_cmp_ne_u32_e64 s18, 0, v33
	s_delay_alu instid0(VALU_DEP_2)
	v_cmp_eq_u32_e64 s17, 0, v101
	s_and_b32 s18, s18, s17
	s_wait_alu 0xfffe
	s_and_saveexec_b32 s17, s18
	s_cbranch_execz .LBB255_81
; %bb.80:
	s_wait_dscnt 0x0
	v_bcnt_u32_b32 v33, v33, v100
	ds_store_b32 v102, v33 offset:64
.LBB255_81:
	s_wait_alu 0xfffe
	s_or_b32 exec_lo, exec_lo, s17
	v_lshrrev_b16 v33, 8, v71
	v_cmp_ne_u16_e64 s17, 0x7fff, v71
	; wave barrier
	s_wait_alu 0xf1ff
	s_delay_alu instid0(VALU_DEP_1) | instskip(NEXT) | instid1(VALU_DEP_1)
	v_cndmask_b32_e64 v33, 0x80, v33, s17
	v_and_b32_e32 v33, s19, v33
	s_delay_alu instid0(VALU_DEP_1)
	v_and_b32_e32 v34, 1, v33
	v_lshlrev_b32_e32 v35, 30, v33
	v_lshlrev_b32_e32 v36, 29, v33
	;; [unrolled: 1-line block ×4, first 2 shown]
	v_add_co_u32 v34, s17, v34, -1
	s_wait_alu 0xf1ff
	v_cndmask_b32_e64 v38, 0, 1, s17
	v_not_b32_e32 v104, v35
	v_cmp_gt_i32_e64 s18, 0, v35
	v_not_b32_e32 v35, v36
	v_lshlrev_b32_e32 v40, 26, v33
	v_cmp_ne_u32_e64 s17, 0, v38
	v_ashrrev_i32_e32 v104, 31, v104
	v_lshlrev_b32_e32 v103, 25, v33
	v_ashrrev_i32_e32 v35, 31, v35
	v_lshlrev_b32_e32 v38, 24, v33
	s_wait_alu 0xf1ff
	v_xor_b32_e32 v34, s17, v34
	v_cmp_gt_i32_e64 s17, 0, v36
	v_not_b32_e32 v36, v37
	v_xor_b32_e32 v104, s18, v104
	v_cmp_gt_i32_e64 s18, 0, v37
	v_and_b32_e32 v34, exec_lo, v34
	v_not_b32_e32 v37, v39
	v_ashrrev_i32_e32 v36, 31, v36
	s_wait_alu 0xf1ff
	v_xor_b32_e32 v35, s17, v35
	v_cmp_gt_i32_e64 s17, 0, v39
	v_and_b32_e32 v34, v34, v104
	v_not_b32_e32 v39, v40
	v_ashrrev_i32_e32 v37, 31, v37
	v_xor_b32_e32 v36, s18, v36
	v_cmp_gt_i32_e64 s18, 0, v40
	v_and_b32_e32 v34, v34, v35
	v_not_b32_e32 v35, v103
	v_ashrrev_i32_e32 v39, 31, v39
	s_wait_alu 0xf1ff
	v_xor_b32_e32 v37, s17, v37
	v_cmp_gt_i32_e64 s17, 0, v103
	v_and_b32_e32 v34, v34, v36
	v_not_b32_e32 v36, v38
	v_ashrrev_i32_e32 v35, 31, v35
	v_xor_b32_e32 v39, s18, v39
	v_cmp_gt_i32_e64 s18, 0, v38
	v_and_b32_e32 v34, v34, v37
	v_ashrrev_i32_e32 v36, 31, v36
	s_wait_alu 0xf1ff
	v_xor_b32_e32 v35, s17, v35
	v_lshl_add_u32 v104, v33, 6, v0
	v_and_b32_e32 v34, v34, v39
	v_xor_b32_e32 v33, s18, v36
	ds_load_b32 v0, v104 offset:64
	v_and_b32_e32 v34, v34, v35
	; wave barrier
	s_delay_alu instid0(VALU_DEP_1) | instskip(NEXT) | instid1(VALU_DEP_1)
	v_and_b32_e32 v33, v34, v33
	v_mbcnt_lo_u32_b32 v103, v33, 0
	v_cmp_ne_u32_e64 s18, 0, v33
	s_delay_alu instid0(VALU_DEP_2)
	v_cmp_eq_u32_e64 s17, 0, v103
	s_and_b32 s18, s18, s17
	s_wait_alu 0xfffe
	s_and_saveexec_b32 s17, s18
	s_cbranch_execz .LBB255_83
; %bb.82:
	s_wait_dscnt 0x0
	v_bcnt_u32_b32 v33, v33, v0
	ds_store_b32 v104, v33 offset:64
.LBB255_83:
	s_wait_alu 0xfffe
	s_or_b32 exec_lo, exec_lo, s17
	; wave barrier
	s_wait_loadcnt_dscnt 0x0
	s_barrier_signal -1
	s_barrier_wait -1
	global_inv scope:SCOPE_SE
	ds_load_b128 v[37:40], v65 offset:64
	ds_load_b128 v[33:36], v65 offset:80
	s_wait_dscnt 0x1
	v_add_nc_u32_e32 v105, v38, v37
	s_delay_alu instid0(VALU_DEP_1) | instskip(SKIP_1) | instid1(VALU_DEP_1)
	v_add3_u32 v105, v105, v39, v40
	s_wait_dscnt 0x0
	v_add3_u32 v105, v105, v33, v34
	s_delay_alu instid0(VALU_DEP_1) | instskip(NEXT) | instid1(VALU_DEP_1)
	v_add3_u32 v36, v105, v35, v36
	v_mov_b32_dpp v105, v36 row_shr:1 row_mask:0xf bank_mask:0xf
	s_delay_alu instid0(VALU_DEP_1) | instskip(NEXT) | instid1(VALU_DEP_1)
	v_cndmask_b32_e64 v105, v105, 0, vcc_lo
	v_add_nc_u32_e32 v36, v105, v36
	s_delay_alu instid0(VALU_DEP_1) | instskip(NEXT) | instid1(VALU_DEP_1)
	v_mov_b32_dpp v105, v36 row_shr:2 row_mask:0xf bank_mask:0xf
	v_cndmask_b32_e64 v105, 0, v105, s0
	s_delay_alu instid0(VALU_DEP_1) | instskip(NEXT) | instid1(VALU_DEP_1)
	v_add_nc_u32_e32 v36, v36, v105
	v_mov_b32_dpp v105, v36 row_shr:4 row_mask:0xf bank_mask:0xf
	s_delay_alu instid0(VALU_DEP_1) | instskip(NEXT) | instid1(VALU_DEP_1)
	v_cndmask_b32_e64 v105, 0, v105, s1
	v_add_nc_u32_e32 v36, v36, v105
	s_delay_alu instid0(VALU_DEP_1) | instskip(NEXT) | instid1(VALU_DEP_1)
	v_mov_b32_dpp v105, v36 row_shr:8 row_mask:0xf bank_mask:0xf
	v_cndmask_b32_e64 v105, 0, v105, s10
	s_delay_alu instid0(VALU_DEP_1) | instskip(SKIP_3) | instid1(VALU_DEP_1)
	v_add_nc_u32_e32 v36, v36, v105
	ds_swizzle_b32 v105, v36 offset:swizzle(BROADCAST,32,15)
	s_wait_dscnt 0x0
	v_cndmask_b32_e64 v105, v105, 0, s15
	v_add_nc_u32_e32 v36, v36, v105
	s_and_saveexec_b32 s15, s13
; %bb.84:
	ds_store_b32 v81, v36
; %bb.85:
	s_wait_alu 0xfffe
	s_or_b32 exec_lo, exec_lo, s15
	s_wait_loadcnt_dscnt 0x0
	s_barrier_signal -1
	s_barrier_wait -1
	global_inv scope:SCOPE_SE
	s_and_saveexec_b32 s13, s12
	s_cbranch_execz .LBB255_87
; %bb.86:
	ds_load_b32 v81, v80
	s_wait_dscnt 0x0
	v_mov_b32_dpp v105, v81 row_shr:1 row_mask:0xf bank_mask:0xf
	s_delay_alu instid0(VALU_DEP_1) | instskip(NEXT) | instid1(VALU_DEP_1)
	v_cndmask_b32_e64 v105, v105, 0, vcc_lo
	v_add_nc_u32_e32 v81, v105, v81
	s_delay_alu instid0(VALU_DEP_1) | instskip(NEXT) | instid1(VALU_DEP_1)
	v_mov_b32_dpp v105, v81 row_shr:2 row_mask:0xf bank_mask:0xf
	v_cndmask_b32_e64 v105, 0, v105, s0
	s_delay_alu instid0(VALU_DEP_1) | instskip(NEXT) | instid1(VALU_DEP_1)
	v_add_nc_u32_e32 v81, v81, v105
	v_mov_b32_dpp v105, v81 row_shr:4 row_mask:0xf bank_mask:0xf
	s_delay_alu instid0(VALU_DEP_1) | instskip(NEXT) | instid1(VALU_DEP_1)
	v_cndmask_b32_e64 v105, 0, v105, s1
	v_add_nc_u32_e32 v81, v81, v105
	s_delay_alu instid0(VALU_DEP_1) | instskip(NEXT) | instid1(VALU_DEP_1)
	v_mov_b32_dpp v105, v81 row_shr:8 row_mask:0xf bank_mask:0xf
	v_cndmask_b32_e64 v105, 0, v105, s10
	s_delay_alu instid0(VALU_DEP_1)
	v_add_nc_u32_e32 v81, v81, v105
	ds_store_b32 v80, v81
.LBB255_87:
	s_wait_alu 0xfffe
	s_or_b32 exec_lo, exec_lo, s13
	v_mov_b32_e32 v80, 0
	s_wait_loadcnt_dscnt 0x0
	s_barrier_signal -1
	s_barrier_wait -1
	global_inv scope:SCOPE_SE
	s_and_saveexec_b32 s0, s14
; %bb.88:
	ds_load_b32 v80, v82
; %bb.89:
	s_wait_alu 0xfffe
	s_or_b32 exec_lo, exec_lo, s0
	s_wait_dscnt 0x0
	v_add_nc_u32_e32 v36, v80, v36
	ds_bpermute_b32 v36, v83, v36
	s_wait_dscnt 0x0
	v_cndmask_b32_e64 v36, v36, v80, s11
	s_delay_alu instid0(VALU_DEP_1) | instskip(NEXT) | instid1(VALU_DEP_1)
	v_cndmask_b32_e64 v36, v36, 0, s16
	v_add_nc_u32_e32 v37, v36, v37
	s_delay_alu instid0(VALU_DEP_1) | instskip(NEXT) | instid1(VALU_DEP_1)
	v_add_nc_u32_e32 v38, v37, v38
	v_add_nc_u32_e32 v39, v38, v39
	s_delay_alu instid0(VALU_DEP_1) | instskip(NEXT) | instid1(VALU_DEP_1)
	v_add_nc_u32_e32 v80, v39, v40
	;; [unrolled: 3-line block ×3, first 2 shown]
	v_add_nc_u32_e32 v83, v82, v35
	ds_store_b128 v65, v[36:39] offset:64
	ds_store_b128 v65, v[80:83] offset:80
	s_wait_loadcnt_dscnt 0x0
	s_barrier_signal -1
	s_barrier_wait -1
	global_inv scope:SCOPE_SE
	ds_load_b32 v33, v104 offset:64
	ds_load_b32 v34, v102 offset:64
	ds_load_b32 v35, v99 offset:64
	ds_load_b32 v36, v84 offset:64
	ds_load_b32 v37, v87 offset:64
	ds_load_b32 v38, v90 offset:64
	ds_load_b32 v39, v93 offset:64
	ds_load_b32 v40, v96 offset:64
	v_lshlrev_b32_e32 v80, 1, v64
	s_wait_loadcnt_dscnt 0x0
	s_barrier_signal -1
	s_barrier_wait -1
	global_inv scope:SCOPE_SE
	v_mad_u32_u24 v81, v41, 48, v80
	v_add3_u32 v82, v103, v0, v33
	v_add3_u32 v83, v101, v100, v34
	;; [unrolled: 1-line block ×3, first 2 shown]
	v_add_nc_u32_e32 v79, v36, v79
	v_add3_u32 v85, v86, v85, v37
	v_add3_u32 v86, v89, v88, v38
	;; [unrolled: 1-line block ×4, first 2 shown]
	v_lshlrev_b32_e32 v0, 1, v79
	v_lshlrev_b32_e32 v33, 1, v85
	;; [unrolled: 1-line block ×8, first 2 shown]
	ds_store_b16 v0, v72
	ds_store_b16 v33, v73
	;; [unrolled: 1-line block ×8, first 2 shown]
	v_mad_co_u64_u32 v[71:72], null, v79, 6, v[0:1]
	v_mad_co_u64_u32 v[72:73], null, v85, 6, v[33:34]
	;; [unrolled: 1-line block ×4, first 2 shown]
	s_wait_loadcnt_dscnt 0x0
	s_barrier_signal -1
	s_barrier_wait -1
	global_inv scope:SCOPE_SE
	v_mad_co_u64_u32 v[75:76], null, v40, 6, v[36:37]
	ds_load_b128 v[33:36], v80
	v_mad_co_u64_u32 v[76:77], null, v84, 6, v[37:38]
	v_mad_co_u64_u32 v[37:38], null, v83, 6, v[38:39]
	;; [unrolled: 1-line block ×3, first 2 shown]
	s_wait_loadcnt_dscnt 0x0
	s_barrier_signal -1
	s_barrier_wait -1
	global_inv scope:SCOPE_SE
	ds_store_b64 v71, v[21:22]
	ds_store_b64 v72, v[23:24]
	;; [unrolled: 1-line block ×8, first 2 shown]
	s_wait_loadcnt_dscnt 0x0
	s_barrier_signal -1
	s_barrier_wait -1
	global_inv scope:SCOPE_SE
	ds_load_b128 v[29:32], v81
	ds_load_b128 v[25:28], v81 offset:16
	ds_load_b128 v[21:24], v81 offset:32
	;; [unrolled: 1-line block ×3, first 2 shown]
	v_cmp_lt_i16_e32 vcc_lo, -1, v33
	v_lshrrev_b32_e32 v0, 16, v33
	v_lshrrev_b32_e32 v38, 16, v34
	v_lshrrev_b32_e32 v40, 16, v35
	v_lshrrev_b32_e32 v72, 16, v36
	s_wait_alu 0xfffd
	v_cndmask_b32_e64 v37, 0xffff8000, -1, vcc_lo
	v_cmp_lt_i16_e32 vcc_lo, -1, v34
	s_wait_alu 0xfffd
	v_cndmask_b32_e64 v39, 0xffff8000, -1, vcc_lo
	v_cmp_lt_i16_e32 vcc_lo, -1, v35
	s_wait_alu 0xfffd
	v_cndmask_b32_e64 v71, 0xffff8000, -1, vcc_lo
	v_cmp_lt_i16_e32 vcc_lo, -1, v36
	s_wait_alu 0xfffd
	v_cndmask_b32_e64 v73, 0xffff8000, -1, vcc_lo
	v_cmp_lt_i16_e32 vcc_lo, -1, v0
	s_wait_alu 0xfffd
	v_cndmask_b32_e64 v0, 0xffff8000, -1, vcc_lo
	v_cmp_lt_i16_e32 vcc_lo, -1, v38
	s_delay_alu instid0(VALU_DEP_2) | instskip(SKIP_3) | instid1(VALU_DEP_3)
	v_perm_b32 v0, v0, v37, 0x5040100
	s_wait_alu 0xfffd
	v_cndmask_b32_e64 v38, 0xffff8000, -1, vcc_lo
	v_cmp_lt_i16_e32 vcc_lo, -1, v40
	v_xor_b32_e32 v0, v0, v33
	s_delay_alu instid0(VALU_DEP_3) | instskip(SKIP_3) | instid1(VALU_DEP_3)
	v_perm_b32 v37, v38, v39, 0x5040100
	s_wait_alu 0xfffd
	v_cndmask_b32_e64 v40, 0xffff8000, -1, vcc_lo
	v_cmp_lt_i16_e32 vcc_lo, -1, v72
	v_xor_b32_e32 v34, v37, v34
	s_delay_alu instid0(VALU_DEP_3) | instskip(SKIP_2) | instid1(VALU_DEP_2)
	v_perm_b32 v38, v40, v71, 0x5040100
	s_wait_alu 0xfffd
	v_cndmask_b32_e64 v72, 0xffff8000, -1, vcc_lo
	v_xor_b32_e32 v33, v38, v35
	s_delay_alu instid0(VALU_DEP_2) | instskip(NEXT) | instid1(VALU_DEP_1)
	v_perm_b32 v39, v72, v73, 0x5040100
	v_xor_b32_e32 v35, v39, v36
	s_branch .LBB255_142
.LBB255_90:
	v_mad_co_u64_u32 v[2:3], null, s26, v41, 0
	v_dual_mov_b32 v14, v1 :: v_dual_mov_b32 v15, v1
	v_mov_b32_e32 v16, v1
	v_dual_mov_b32 v6, v1 :: v_dual_mov_b32 v7, v1
	v_dual_mov_b32 v8, v1 :: v_dual_mov_b32 v9, v1
	v_mad_co_u64_u32 v[3:4], null, s27, v41, v[3:4]
	v_dual_mov_b32 v4, v1 :: v_dual_mov_b32 v5, v1
	v_dual_mov_b32 v10, v1 :: v_dual_mov_b32 v13, v1
	s_delay_alu instid0(VALU_DEP_3) | instskip(NEXT) | instid1(VALU_DEP_1)
	v_lshlrev_b64_e32 v[2:3], 3, v[2:3]
	v_add_co_u32 v2, vcc_lo, s30, v2
	s_wait_alu 0xfffd
	s_delay_alu instid0(VALU_DEP_2)
	v_add_co_ci_u32_e64 v3, null, s31, v3, vcc_lo
	global_load_b64 v[11:12], v[2:3], off
	v_dual_mov_b32 v2, v1 :: v_dual_mov_b32 v3, v1
	s_or_b32 exec_lo, exec_lo, s0
	s_and_saveexec_b32 s0, s3
	s_cbranch_execz .LBB255_36
.LBB255_91:
	v_mad_co_u64_u32 v[1:2], null, s26, v17, 0
	s_delay_alu instid0(VALU_DEP_1) | instskip(NEXT) | instid1(VALU_DEP_1)
	v_mad_co_u64_u32 v[24:25], null, s27, v17, v[2:3]
	v_mov_b32_e32 v2, v24
	s_delay_alu instid0(VALU_DEP_1) | instskip(NEXT) | instid1(VALU_DEP_1)
	v_lshlrev_b64_e32 v[1:2], 3, v[1:2]
	v_add_co_u32 v1, vcc_lo, s30, v1
	s_wait_alu 0xfffd
	s_delay_alu instid0(VALU_DEP_2)
	v_add_co_ci_u32_e64 v2, null, s31, v2, vcc_lo
	global_load_b64 v[1:2], v[1:2], off
	s_or_b32 exec_lo, exec_lo, s0
	s_and_saveexec_b32 s0, s4
	s_cbranch_execz .LBB255_37
.LBB255_92:
	v_mad_co_u64_u32 v[13:14], null, s26, v18, 0
	s_delay_alu instid0(VALU_DEP_1) | instskip(NEXT) | instid1(VALU_DEP_1)
	v_mad_co_u64_u32 v[24:25], null, s27, v18, v[14:15]
	v_mov_b32_e32 v14, v24
	s_delay_alu instid0(VALU_DEP_1) | instskip(NEXT) | instid1(VALU_DEP_1)
	v_lshlrev_b64_e32 v[13:14], 3, v[13:14]
	v_add_co_u32 v13, vcc_lo, s30, v13
	s_wait_alu 0xfffd
	s_delay_alu instid0(VALU_DEP_2)
	v_add_co_ci_u32_e64 v14, null, s31, v14, vcc_lo
	global_load_b64 v[13:14], v[13:14], off
	s_or_b32 exec_lo, exec_lo, s0
	s_and_saveexec_b32 s0, s5
	s_cbranch_execz .LBB255_38
.LBB255_93:
	v_mad_co_u64_u32 v[15:16], null, s26, v19, 0
	s_delay_alu instid0(VALU_DEP_1) | instskip(NEXT) | instid1(VALU_DEP_1)
	v_mad_co_u64_u32 v[24:25], null, s27, v19, v[16:17]
	v_mov_b32_e32 v16, v24
	s_delay_alu instid0(VALU_DEP_1) | instskip(NEXT) | instid1(VALU_DEP_1)
	v_lshlrev_b64_e32 v[15:16], 3, v[15:16]
	v_add_co_u32 v15, vcc_lo, s30, v15
	s_wait_alu 0xfffd
	s_delay_alu instid0(VALU_DEP_2)
	v_add_co_ci_u32_e64 v16, null, s31, v16, vcc_lo
	global_load_b64 v[15:16], v[15:16], off
	s_or_b32 exec_lo, exec_lo, s0
	s_and_saveexec_b32 s0, s6
	s_cbranch_execz .LBB255_39
.LBB255_94:
	v_mad_co_u64_u32 v[3:4], null, s26, v20, 0
	s_delay_alu instid0(VALU_DEP_1) | instskip(NEXT) | instid1(VALU_DEP_1)
	v_mad_co_u64_u32 v[24:25], null, s27, v20, v[4:5]
	v_mov_b32_e32 v4, v24
	s_delay_alu instid0(VALU_DEP_1) | instskip(NEXT) | instid1(VALU_DEP_1)
	v_lshlrev_b64_e32 v[3:4], 3, v[3:4]
	v_add_co_u32 v3, vcc_lo, s30, v3
	s_wait_alu 0xfffd
	s_delay_alu instid0(VALU_DEP_2)
	v_add_co_ci_u32_e64 v4, null, s31, v4, vcc_lo
	global_load_b64 v[3:4], v[3:4], off
	s_or_b32 exec_lo, exec_lo, s0
	s_and_saveexec_b32 s0, s7
	s_cbranch_execz .LBB255_40
.LBB255_95:
	v_mad_co_u64_u32 v[5:6], null, s26, v21, 0
	s_delay_alu instid0(VALU_DEP_1) | instskip(NEXT) | instid1(VALU_DEP_1)
	v_mad_co_u64_u32 v[24:25], null, s27, v21, v[6:7]
	v_mov_b32_e32 v6, v24
	s_delay_alu instid0(VALU_DEP_1) | instskip(NEXT) | instid1(VALU_DEP_1)
	v_lshlrev_b64_e32 v[5:6], 3, v[5:6]
	v_add_co_u32 v5, vcc_lo, s30, v5
	s_wait_alu 0xfffd
	s_delay_alu instid0(VALU_DEP_2)
	v_add_co_ci_u32_e64 v6, null, s31, v6, vcc_lo
	global_load_b64 v[5:6], v[5:6], off
	s_or_b32 exec_lo, exec_lo, s0
	s_and_saveexec_b32 s0, s8
	s_cbranch_execnz .LBB255_41
	s_branch .LBB255_42
.LBB255_96:
                                        ; implicit-def: $vgpr19_vgpr20
                                        ; implicit-def: $vgpr23_vgpr24
                                        ; implicit-def: $vgpr27_vgpr28
                                        ; implicit-def: $vgpr31_vgpr32
                                        ; implicit-def: $vgpr35
                                        ; implicit-def: $vgpr33
                                        ; implicit-def: $vgpr34
                                        ; implicit-def: $vgpr0
	s_cbranch_execz .LBB255_142
; %bb.97:
	v_lshrrev_b32_e32 v0, 16, v44
	v_cmp_gt_i16_e32 vcc_lo, 0, v44
	s_wait_dscnt 0x0
	v_lshrrev_b32_e32 v17, 16, v45
	v_lshrrev_b32_e32 v18, 16, v42
	;; [unrolled: 1-line block ×3, first 2 shown]
	v_or_b32_e32 v21, v67, v68
	s_wait_alu 0xfffd
	v_cndmask_b32_e64 v20, 0x7fff, 0, vcc_lo
	v_cmp_gt_i16_e32 vcc_lo, 0, v0
	v_and_or_b32 v36, 0x1f00, v64, v67
	s_mov_b32 s12, 0
	s_getpc_b64 s[0:1]
	s_sext_i32_i16 s1, s1
	s_add_co_u32 s0, s0, _ZN7rocprim17ROCPRIM_400000_NS16block_radix_sortI12hip_bfloat16Lj512ELj8ElLj1ELj1ELj0ELNS0_26block_radix_rank_algorithmE1ELNS0_18block_padding_hintE2ELNS0_4arch9wavefront6targetE0EE19radix_bits_per_passE@rel32@lo+8
	s_add_co_ci_u32 s1, s1, _ZN7rocprim17ROCPRIM_400000_NS16block_radix_sortI12hip_bfloat16Lj512ELj8ElLj1ELj1ELj0ELNS0_26block_radix_rank_algorithmE1ELNS0_18block_padding_hintE2ELNS0_4arch9wavefront6targetE0EE19radix_bits_per_passE@rel32@hi+16
	s_mov_b32 s13, s12
	s_wait_alu 0xfffd
	v_cndmask_b32_e64 v0, 0x7fff, 0, vcc_lo
	v_cmp_gt_i16_e32 vcc_lo, 0, v45
	s_mov_b32 s14, s12
	s_mov_b32 s15, s12
	v_lshlrev_b32_e32 v25, 1, v36
	v_perm_b32 v0, v0, v20, 0x5040100
	s_wait_alu 0xfffd
	v_cndmask_b32_e64 v22, 0x7fff, 0, vcc_lo
	v_cmp_gt_i16_e32 vcc_lo, 0, v17
	s_load_b32 s17, s[0:1], 0x0
	v_cndmask_b32_e64 v17, 0x7fff, 0, vcc_lo
	v_cmp_gt_i16_e32 vcc_lo, 0, v42
	s_delay_alu instid0(VALU_DEP_2)
	v_perm_b32 v20, v17, v22, 0x5040100
	s_wait_alu 0xfffd
	v_cndmask_b32_e64 v23, 0x7fff, 0, vcc_lo
	v_cmp_gt_i16_e32 vcc_lo, 0, v18
	v_xor_b32_e32 v17, v0, v44
	s_wait_alu 0xfffd
	v_cndmask_b32_e64 v18, 0x7fff, 0, vcc_lo
	v_cmp_gt_i16_e32 vcc_lo, 0, v43
	s_wait_kmcnt 0x0
	s_min_u32 s0, s17, 16
	s_delay_alu instid0(VALU_DEP_2)
	v_perm_b32 v22, v18, v23, 0x5040100
	s_wait_alu 0xfffd
	v_cndmask_b32_e64 v24, 0x7fff, 0, vcc_lo
	v_cmp_gt_i16_e32 vcc_lo, 0, v19
	v_lshlrev_b32_e32 v23, 4, v21
	v_xor_b32_e32 v18, v20, v45
	s_lshl_b32 s0, -1, s0
	s_wait_alu 0xfffd
	v_cndmask_b32_e64 v19, 0x7fff, 0, vcc_lo
	s_not_b32 s1, s0
	s_delay_alu instid0(VALU_DEP_1) | instskip(SKIP_1) | instid1(VALU_DEP_2)
	v_perm_b32 v24, v19, v24, 0x5040100
	v_xor_b32_e32 v19, v22, v42
	v_xor_b32_e32 v20, v24, v43
	ds_store_b128 v23, v[17:20]
	; wave barrier
	ds_load_u16 v26, v25
	ds_load_u16 v27, v25 offset:64
	ds_load_u16 v28, v25 offset:128
	;; [unrolled: 1-line block ×7, first 2 shown]
	s_wait_loadcnt_dscnt 0x0
	s_barrier_signal -1
	s_barrier_wait -1
	global_inv scope:SCOPE_SE
	v_cmp_ne_u16_e32 vcc_lo, 0x8000, v26
	s_wait_alu 0xfffd
	v_cndmask_b32_e32 v0, 0x7fff, v26, vcc_lo
	v_mad_u32_u24 v17, v21, 48, v23
	ds_store_b128 v17, v[13:16]
	ds_store_b128 v17, v[9:12] offset:16
	v_and_b32_e32 v0, 0xffff, v0
	ds_store_b128 v17, v[5:8] offset:32
	ds_store_b128 v17, v[1:4] offset:48
	v_mad_u32_u24 v12, v36, 6, v25
	; wave barrier
	v_and_b32_e32 v23, s1, v0
	ds_load_2addr_b64 v[8:11], v12 offset1:32
	ds_load_2addr_b64 v[0:3], v12 offset0:64 offset1:96
	v_and_b32_e32 v4, 1, v23
	v_lshlrev_b32_e32 v18, 30, v23
	v_lshlrev_b32_e32 v19, 29, v23
	;; [unrolled: 1-line block ×3, first 2 shown]
	s_delay_alu instid0(VALU_DEP_4)
	v_add_co_u32 v16, s0, v4, -1
	s_wait_alu 0xf1ff
	v_cndmask_b32_e64 v17, 0, 1, s0
	ds_load_2addr_b64 v[4:7], v12 offset0:128 offset1:160
	ds_load_2addr_b64 v[12:15], v12 offset0:192 offset1:224
	s_wait_loadcnt_dscnt 0x0
	s_barrier_signal -1
	v_cmp_ne_u32_e32 vcc_lo, 0, v17
	v_not_b32_e32 v17, v18
	s_barrier_wait -1
	global_inv scope:SCOPE_SE
	s_load_b32 s0, s[34:35], 0xc
	v_xor_b32_e32 v16, vcc_lo, v16
	v_cmp_gt_i32_e32 vcc_lo, 0, v18
	v_ashrrev_i32_e32 v17, 31, v17
	v_not_b32_e32 v18, v19
	s_delay_alu instid0(VALU_DEP_4) | instskip(SKIP_1) | instid1(VALU_DEP_3)
	v_and_b32_e32 v16, exec_lo, v16
	s_wait_alu 0xfffd
	v_xor_b32_e32 v17, vcc_lo, v17
	v_cmp_gt_i32_e32 vcc_lo, 0, v19
	v_ashrrev_i32_e32 v18, 31, v18
	v_not_b32_e32 v19, v20
	s_delay_alu instid0(VALU_DEP_4)
	v_and_b32_e32 v16, v16, v17
	v_lshlrev_b32_e32 v17, 27, v23
	s_wait_alu 0xfffd
	v_xor_b32_e32 v18, vcc_lo, v18
	v_cmp_gt_i32_e32 vcc_lo, 0, v20
	v_ashrrev_i32_e32 v19, 31, v19
	v_not_b32_e32 v20, v17
	s_delay_alu instid0(VALU_DEP_4)
	v_and_b32_e32 v16, v16, v18
	v_lshlrev_b32_e32 v18, 26, v23
	s_wait_alu 0xfffd
	v_xor_b32_e32 v19, vcc_lo, v19
	v_cmp_gt_i32_e32 vcc_lo, 0, v17
	v_ashrrev_i32_e32 v17, 31, v20
	s_wait_kmcnt 0x0
	s_lshr_b32 s10, s0, 16
	v_not_b32_e32 v20, v18
	v_and_b32_e32 v16, v16, v19
	v_lshlrev_b32_e32 v19, 25, v23
	s_wait_alu 0xfffd
	v_xor_b32_e32 v17, vcc_lo, v17
	v_cmp_gt_i32_e32 vcc_lo, 0, v18
	v_ashrrev_i32_e32 v18, 31, v20
	s_wait_alu 0xfffe
	v_mad_u32_u24 v21, v70, s10, v69
	v_not_b32_e32 v20, v19
	v_and_b32_e32 v16, v16, v17
	v_lshlrev_b32_e32 v17, 24, v23
	s_wait_alu 0xfffd
	v_xor_b32_e32 v18, vcc_lo, v18
	v_cmp_gt_i32_e32 vcc_lo, 0, v19
	v_ashrrev_i32_e32 v19, 31, v20
	s_and_b32 s0, s0, 0xffff
	v_not_b32_e32 v20, v17
	v_and_b32_e32 v16, v16, v18
	s_wait_alu 0xfffe
	v_mad_co_u64_u32 v[21:22], null, v21, s0, v[41:42]
	s_wait_alu 0xfffd
	v_xor_b32_e32 v18, vcc_lo, v19
	v_cmp_gt_i32_e32 vcc_lo, 0, v17
	v_ashrrev_i32_e32 v17, 31, v20
	s_delay_alu instid0(VALU_DEP_3) | instskip(SKIP_2) | instid1(VALU_DEP_3)
	v_and_b32_e32 v16, v16, v18
	v_lshrrev_b32_e32 v21, 5, v21
	s_wait_alu 0xfffd
	v_xor_b32_e32 v22, vcc_lo, v17
	v_dual_mov_b32 v20, s15 :: v_dual_mov_b32 v19, s14
	v_dual_mov_b32 v18, s13 :: v_dual_mov_b32 v17, s12
	s_delay_alu instid0(VALU_DEP_3)
	v_and_b32_e32 v16, v16, v22
	ds_store_b128 v65, v[17:20] offset:64
	ds_store_b128 v65, v[17:20] offset:80
	v_mbcnt_lo_u32_b32 v38, v16, 0
	v_lshlrev_b32_e32 v24, 2, v21
	v_lshlrev_b32_e32 v17, 6, v23
	v_cmp_ne_u32_e64 s0, 0, v16
	s_wait_loadcnt_dscnt 0x0
	v_cmp_eq_u32_e32 vcc_lo, 0, v38
	s_barrier_signal -1
	v_add_nc_u32_e32 v39, v24, v17
	s_barrier_wait -1
	global_inv scope:SCOPE_SE
	s_and_b32 s10, s0, vcc_lo
	; wave barrier
	s_wait_alu 0xfffe
	s_and_saveexec_b32 s0, s10
; %bb.98:
	v_bcnt_u32_b32 v16, v16, 0
	ds_store_b32 v39, v16 offset:64
; %bb.99:
	s_wait_alu 0xfffe
	s_or_b32 exec_lo, exec_lo, s0
	v_cmp_ne_u16_e32 vcc_lo, 0x8000, v27
	; wave barrier
	s_wait_alu 0xfffd
	v_cndmask_b32_e32 v16, 0x7fff, v27, vcc_lo
	s_delay_alu instid0(VALU_DEP_1) | instskip(NEXT) | instid1(VALU_DEP_1)
	v_and_b32_e32 v16, 0xffff, v16
	v_and_b32_e32 v16, s1, v16
	s_delay_alu instid0(VALU_DEP_1)
	v_and_b32_e32 v17, 1, v16
	v_lshlrev_b32_e32 v18, 30, v16
	v_lshlrev_b32_e32 v19, 29, v16
	v_lshlrev_b32_e32 v20, 28, v16
	v_lshlrev_b32_e32 v22, 27, v16
	v_add_co_u32 v17, s0, v17, -1
	s_wait_alu 0xf1ff
	v_cndmask_b32_e64 v21, 0, 1, s0
	v_not_b32_e32 v35, v18
	v_cmp_gt_i32_e64 s0, 0, v18
	v_not_b32_e32 v18, v19
	v_lshlrev_b32_e32 v23, 26, v16
	v_cmp_ne_u32_e32 vcc_lo, 0, v21
	v_ashrrev_i32_e32 v35, 31, v35
	v_lshlrev_b32_e32 v34, 25, v16
	v_ashrrev_i32_e32 v18, 31, v18
	v_lshlrev_b32_e32 v21, 24, v16
	s_wait_alu 0xfffd
	v_xor_b32_e32 v17, vcc_lo, v17
	v_cmp_gt_i32_e32 vcc_lo, 0, v19
	v_not_b32_e32 v19, v20
	s_wait_alu 0xf1ff
	v_xor_b32_e32 v35, s0, v35
	v_cmp_gt_i32_e64 s0, 0, v20
	v_and_b32_e32 v17, exec_lo, v17
	v_not_b32_e32 v20, v22
	v_ashrrev_i32_e32 v19, 31, v19
	s_wait_alu 0xfffd
	v_xor_b32_e32 v18, vcc_lo, v18
	v_cmp_gt_i32_e32 vcc_lo, 0, v22
	v_and_b32_e32 v17, v17, v35
	v_not_b32_e32 v22, v23
	v_ashrrev_i32_e32 v20, 31, v20
	s_wait_alu 0xf1ff
	v_xor_b32_e32 v19, s0, v19
	v_cmp_gt_i32_e64 s0, 0, v23
	v_and_b32_e32 v17, v17, v18
	v_not_b32_e32 v18, v34
	v_ashrrev_i32_e32 v22, 31, v22
	s_wait_alu 0xfffd
	v_xor_b32_e32 v20, vcc_lo, v20
	v_cmp_gt_i32_e32 vcc_lo, 0, v34
	v_and_b32_e32 v17, v17, v19
	v_not_b32_e32 v19, v21
	v_ashrrev_i32_e32 v18, 31, v18
	s_wait_alu 0xf1ff
	v_xor_b32_e32 v22, s0, v22
	v_lshlrev_b32_e32 v16, 6, v16
	v_and_b32_e32 v17, v17, v20
	v_cmp_gt_i32_e64 s0, 0, v21
	v_ashrrev_i32_e32 v19, 31, v19
	s_wait_alu 0xfffd
	v_xor_b32_e32 v18, vcc_lo, v18
	v_add_nc_u32_e32 v43, v24, v16
	v_and_b32_e32 v17, v17, v22
	s_wait_alu 0xf1ff
	v_xor_b32_e32 v16, s0, v19
	ds_load_b32 v40, v43 offset:64
	v_and_b32_e32 v17, v17, v18
	; wave barrier
	s_delay_alu instid0(VALU_DEP_1) | instskip(NEXT) | instid1(VALU_DEP_1)
	v_and_b32_e32 v16, v17, v16
	v_mbcnt_lo_u32_b32 v42, v16, 0
	v_cmp_ne_u32_e64 s0, 0, v16
	s_delay_alu instid0(VALU_DEP_2)
	v_cmp_eq_u32_e32 vcc_lo, 0, v42
	s_and_b32 s10, s0, vcc_lo
	s_wait_alu 0xfffe
	s_and_saveexec_b32 s0, s10
	s_cbranch_execz .LBB255_101
; %bb.100:
	s_wait_dscnt 0x0
	v_bcnt_u32_b32 v16, v16, v40
	ds_store_b32 v43, v16 offset:64
.LBB255_101:
	s_wait_alu 0xfffe
	s_or_b32 exec_lo, exec_lo, s0
	v_cmp_ne_u16_e32 vcc_lo, 0x8000, v28
	; wave barrier
	s_wait_alu 0xfffd
	v_cndmask_b32_e32 v16, 0x7fff, v28, vcc_lo
	s_delay_alu instid0(VALU_DEP_1) | instskip(NEXT) | instid1(VALU_DEP_1)
	v_and_b32_e32 v16, 0xffff, v16
	v_and_b32_e32 v16, s1, v16
	s_delay_alu instid0(VALU_DEP_1)
	v_and_b32_e32 v17, 1, v16
	v_lshlrev_b32_e32 v18, 30, v16
	v_lshlrev_b32_e32 v19, 29, v16
	;; [unrolled: 1-line block ×4, first 2 shown]
	v_add_co_u32 v17, s0, v17, -1
	s_wait_alu 0xf1ff
	v_cndmask_b32_e64 v21, 0, 1, s0
	v_not_b32_e32 v35, v18
	v_cmp_gt_i32_e64 s0, 0, v18
	v_not_b32_e32 v18, v19
	v_lshlrev_b32_e32 v23, 26, v16
	v_cmp_ne_u32_e32 vcc_lo, 0, v21
	v_ashrrev_i32_e32 v35, 31, v35
	v_lshlrev_b32_e32 v34, 25, v16
	v_ashrrev_i32_e32 v18, 31, v18
	v_lshlrev_b32_e32 v21, 24, v16
	s_wait_alu 0xfffd
	v_xor_b32_e32 v17, vcc_lo, v17
	v_cmp_gt_i32_e32 vcc_lo, 0, v19
	v_not_b32_e32 v19, v20
	s_wait_alu 0xf1ff
	v_xor_b32_e32 v35, s0, v35
	v_cmp_gt_i32_e64 s0, 0, v20
	v_and_b32_e32 v17, exec_lo, v17
	v_not_b32_e32 v20, v22
	v_ashrrev_i32_e32 v19, 31, v19
	s_wait_alu 0xfffd
	v_xor_b32_e32 v18, vcc_lo, v18
	v_cmp_gt_i32_e32 vcc_lo, 0, v22
	v_and_b32_e32 v17, v17, v35
	v_not_b32_e32 v22, v23
	v_ashrrev_i32_e32 v20, 31, v20
	s_wait_alu 0xf1ff
	v_xor_b32_e32 v19, s0, v19
	v_cmp_gt_i32_e64 s0, 0, v23
	v_and_b32_e32 v17, v17, v18
	v_not_b32_e32 v18, v34
	v_ashrrev_i32_e32 v22, 31, v22
	s_wait_alu 0xfffd
	v_xor_b32_e32 v20, vcc_lo, v20
	v_cmp_gt_i32_e32 vcc_lo, 0, v34
	v_and_b32_e32 v17, v17, v19
	v_not_b32_e32 v19, v21
	v_ashrrev_i32_e32 v18, 31, v18
	s_wait_alu 0xf1ff
	v_xor_b32_e32 v22, s0, v22
	v_lshlrev_b32_e32 v16, 6, v16
	v_and_b32_e32 v17, v17, v20
	v_cmp_gt_i32_e64 s0, 0, v21
	v_ashrrev_i32_e32 v19, 31, v19
	s_wait_alu 0xfffd
	v_xor_b32_e32 v18, vcc_lo, v18
	v_add_nc_u32_e32 v69, v24, v16
	v_and_b32_e32 v17, v17, v22
	s_wait_alu 0xf1ff
	v_xor_b32_e32 v16, s0, v19
	ds_load_b32 v44, v69 offset:64
	v_and_b32_e32 v17, v17, v18
	; wave barrier
	s_delay_alu instid0(VALU_DEP_1) | instskip(NEXT) | instid1(VALU_DEP_1)
	v_and_b32_e32 v16, v17, v16
	v_mbcnt_lo_u32_b32 v45, v16, 0
	v_cmp_ne_u32_e64 s0, 0, v16
	s_delay_alu instid0(VALU_DEP_2)
	v_cmp_eq_u32_e32 vcc_lo, 0, v45
	s_and_b32 s10, s0, vcc_lo
	s_wait_alu 0xfffe
	s_and_saveexec_b32 s0, s10
	s_cbranch_execz .LBB255_103
; %bb.102:
	s_wait_dscnt 0x0
	v_bcnt_u32_b32 v16, v16, v44
	ds_store_b32 v69, v16 offset:64
.LBB255_103:
	s_wait_alu 0xfffe
	s_or_b32 exec_lo, exec_lo, s0
	v_cmp_ne_u16_e32 vcc_lo, 0x8000, v29
	; wave barrier
	s_wait_alu 0xfffd
	v_cndmask_b32_e32 v16, 0x7fff, v29, vcc_lo
	s_delay_alu instid0(VALU_DEP_1) | instskip(NEXT) | instid1(VALU_DEP_1)
	v_and_b32_e32 v16, 0xffff, v16
	v_and_b32_e32 v16, s1, v16
	s_delay_alu instid0(VALU_DEP_1)
	v_and_b32_e32 v17, 1, v16
	v_lshlrev_b32_e32 v18, 30, v16
	v_lshlrev_b32_e32 v19, 29, v16
	;; [unrolled: 1-line block ×4, first 2 shown]
	v_add_co_u32 v17, s0, v17, -1
	s_wait_alu 0xf1ff
	v_cndmask_b32_e64 v21, 0, 1, s0
	v_not_b32_e32 v35, v18
	v_cmp_gt_i32_e64 s0, 0, v18
	v_not_b32_e32 v18, v19
	v_lshlrev_b32_e32 v23, 26, v16
	v_cmp_ne_u32_e32 vcc_lo, 0, v21
	v_ashrrev_i32_e32 v35, 31, v35
	v_lshlrev_b32_e32 v34, 25, v16
	v_ashrrev_i32_e32 v18, 31, v18
	v_lshlrev_b32_e32 v21, 24, v16
	s_wait_alu 0xfffd
	v_xor_b32_e32 v17, vcc_lo, v17
	v_cmp_gt_i32_e32 vcc_lo, 0, v19
	v_not_b32_e32 v19, v20
	s_wait_alu 0xf1ff
	v_xor_b32_e32 v35, s0, v35
	v_cmp_gt_i32_e64 s0, 0, v20
	v_and_b32_e32 v17, exec_lo, v17
	v_not_b32_e32 v20, v22
	v_ashrrev_i32_e32 v19, 31, v19
	s_wait_alu 0xfffd
	v_xor_b32_e32 v18, vcc_lo, v18
	v_cmp_gt_i32_e32 vcc_lo, 0, v22
	v_and_b32_e32 v17, v17, v35
	v_not_b32_e32 v22, v23
	v_ashrrev_i32_e32 v20, 31, v20
	s_wait_alu 0xf1ff
	v_xor_b32_e32 v19, s0, v19
	v_cmp_gt_i32_e64 s0, 0, v23
	v_and_b32_e32 v17, v17, v18
	v_not_b32_e32 v18, v34
	v_ashrrev_i32_e32 v22, 31, v22
	s_wait_alu 0xfffd
	v_xor_b32_e32 v20, vcc_lo, v20
	v_cmp_gt_i32_e32 vcc_lo, 0, v34
	v_and_b32_e32 v17, v17, v19
	v_not_b32_e32 v19, v21
	v_ashrrev_i32_e32 v18, 31, v18
	s_wait_alu 0xf1ff
	v_xor_b32_e32 v22, s0, v22
	v_lshlrev_b32_e32 v16, 6, v16
	v_and_b32_e32 v17, v17, v20
	v_cmp_gt_i32_e64 s0, 0, v21
	v_ashrrev_i32_e32 v19, 31, v19
	s_wait_alu 0xfffd
	v_xor_b32_e32 v18, vcc_lo, v18
	v_add_nc_u32_e32 v72, v24, v16
	v_and_b32_e32 v17, v17, v22
	s_wait_alu 0xf1ff
	v_xor_b32_e32 v16, s0, v19
	ds_load_b32 v70, v72 offset:64
	v_and_b32_e32 v17, v17, v18
	; wave barrier
	s_delay_alu instid0(VALU_DEP_1) | instskip(NEXT) | instid1(VALU_DEP_1)
	v_and_b32_e32 v16, v17, v16
	v_mbcnt_lo_u32_b32 v71, v16, 0
	v_cmp_ne_u32_e64 s0, 0, v16
	s_delay_alu instid0(VALU_DEP_2)
	v_cmp_eq_u32_e32 vcc_lo, 0, v71
	s_and_b32 s10, s0, vcc_lo
	s_wait_alu 0xfffe
	s_and_saveexec_b32 s0, s10
	s_cbranch_execz .LBB255_105
; %bb.104:
	s_wait_dscnt 0x0
	v_bcnt_u32_b32 v16, v16, v70
	ds_store_b32 v72, v16 offset:64
.LBB255_105:
	s_wait_alu 0xfffe
	s_or_b32 exec_lo, exec_lo, s0
	v_cmp_ne_u16_e32 vcc_lo, 0x8000, v30
	; wave barrier
	s_wait_alu 0xfffd
	v_cndmask_b32_e32 v16, 0x7fff, v30, vcc_lo
	s_delay_alu instid0(VALU_DEP_1) | instskip(NEXT) | instid1(VALU_DEP_1)
	v_and_b32_e32 v16, 0xffff, v16
	v_and_b32_e32 v16, s1, v16
	s_delay_alu instid0(VALU_DEP_1)
	v_and_b32_e32 v17, 1, v16
	v_lshlrev_b32_e32 v18, 30, v16
	v_lshlrev_b32_e32 v19, 29, v16
	;; [unrolled: 1-line block ×4, first 2 shown]
	v_add_co_u32 v17, s0, v17, -1
	s_wait_alu 0xf1ff
	v_cndmask_b32_e64 v21, 0, 1, s0
	v_not_b32_e32 v35, v18
	v_cmp_gt_i32_e64 s0, 0, v18
	v_not_b32_e32 v18, v19
	v_lshlrev_b32_e32 v23, 26, v16
	v_cmp_ne_u32_e32 vcc_lo, 0, v21
	v_ashrrev_i32_e32 v35, 31, v35
	v_lshlrev_b32_e32 v34, 25, v16
	v_ashrrev_i32_e32 v18, 31, v18
	v_lshlrev_b32_e32 v21, 24, v16
	s_wait_alu 0xfffd
	v_xor_b32_e32 v17, vcc_lo, v17
	v_cmp_gt_i32_e32 vcc_lo, 0, v19
	v_not_b32_e32 v19, v20
	s_wait_alu 0xf1ff
	v_xor_b32_e32 v35, s0, v35
	v_cmp_gt_i32_e64 s0, 0, v20
	v_and_b32_e32 v17, exec_lo, v17
	v_not_b32_e32 v20, v22
	v_ashrrev_i32_e32 v19, 31, v19
	s_wait_alu 0xfffd
	v_xor_b32_e32 v18, vcc_lo, v18
	v_cmp_gt_i32_e32 vcc_lo, 0, v22
	v_and_b32_e32 v17, v17, v35
	v_not_b32_e32 v22, v23
	v_ashrrev_i32_e32 v20, 31, v20
	s_wait_alu 0xf1ff
	v_xor_b32_e32 v19, s0, v19
	v_cmp_gt_i32_e64 s0, 0, v23
	v_and_b32_e32 v17, v17, v18
	v_not_b32_e32 v18, v34
	v_ashrrev_i32_e32 v22, 31, v22
	s_wait_alu 0xfffd
	v_xor_b32_e32 v20, vcc_lo, v20
	v_cmp_gt_i32_e32 vcc_lo, 0, v34
	v_and_b32_e32 v17, v17, v19
	v_not_b32_e32 v19, v21
	v_ashrrev_i32_e32 v18, 31, v18
	s_wait_alu 0xf1ff
	v_xor_b32_e32 v22, s0, v22
	v_lshlrev_b32_e32 v16, 6, v16
	v_and_b32_e32 v17, v17, v20
	v_cmp_gt_i32_e64 s0, 0, v21
	v_ashrrev_i32_e32 v19, 31, v19
	s_wait_alu 0xfffd
	v_xor_b32_e32 v18, vcc_lo, v18
	v_add_nc_u32_e32 v75, v24, v16
	v_and_b32_e32 v17, v17, v22
	s_wait_alu 0xf1ff
	v_xor_b32_e32 v16, s0, v19
	ds_load_b32 v73, v75 offset:64
	v_and_b32_e32 v17, v17, v18
	; wave barrier
	s_delay_alu instid0(VALU_DEP_1) | instskip(NEXT) | instid1(VALU_DEP_1)
	v_and_b32_e32 v16, v17, v16
	v_mbcnt_lo_u32_b32 v74, v16, 0
	v_cmp_ne_u32_e64 s0, 0, v16
	s_delay_alu instid0(VALU_DEP_2)
	v_cmp_eq_u32_e32 vcc_lo, 0, v74
	s_and_b32 s10, s0, vcc_lo
	s_wait_alu 0xfffe
	s_and_saveexec_b32 s0, s10
	s_cbranch_execz .LBB255_107
; %bb.106:
	s_wait_dscnt 0x0
	v_bcnt_u32_b32 v16, v16, v73
	ds_store_b32 v75, v16 offset:64
.LBB255_107:
	s_wait_alu 0xfffe
	s_or_b32 exec_lo, exec_lo, s0
	v_cmp_ne_u16_e32 vcc_lo, 0x8000, v31
	; wave barrier
	s_wait_alu 0xfffd
	v_cndmask_b32_e32 v16, 0x7fff, v31, vcc_lo
	s_delay_alu instid0(VALU_DEP_1) | instskip(NEXT) | instid1(VALU_DEP_1)
	v_and_b32_e32 v16, 0xffff, v16
	v_and_b32_e32 v16, s1, v16
	s_delay_alu instid0(VALU_DEP_1)
	v_and_b32_e32 v17, 1, v16
	v_lshlrev_b32_e32 v18, 30, v16
	v_lshlrev_b32_e32 v19, 29, v16
	;; [unrolled: 1-line block ×4, first 2 shown]
	v_add_co_u32 v17, s0, v17, -1
	s_wait_alu 0xf1ff
	v_cndmask_b32_e64 v21, 0, 1, s0
	v_not_b32_e32 v35, v18
	v_cmp_gt_i32_e64 s0, 0, v18
	v_not_b32_e32 v18, v19
	v_lshlrev_b32_e32 v23, 26, v16
	v_cmp_ne_u32_e32 vcc_lo, 0, v21
	v_ashrrev_i32_e32 v35, 31, v35
	v_lshlrev_b32_e32 v34, 25, v16
	v_ashrrev_i32_e32 v18, 31, v18
	v_lshlrev_b32_e32 v21, 24, v16
	s_wait_alu 0xfffd
	v_xor_b32_e32 v17, vcc_lo, v17
	v_cmp_gt_i32_e32 vcc_lo, 0, v19
	v_not_b32_e32 v19, v20
	s_wait_alu 0xf1ff
	v_xor_b32_e32 v35, s0, v35
	v_cmp_gt_i32_e64 s0, 0, v20
	v_and_b32_e32 v17, exec_lo, v17
	v_not_b32_e32 v20, v22
	v_ashrrev_i32_e32 v19, 31, v19
	s_wait_alu 0xfffd
	v_xor_b32_e32 v18, vcc_lo, v18
	v_cmp_gt_i32_e32 vcc_lo, 0, v22
	v_and_b32_e32 v17, v17, v35
	v_not_b32_e32 v22, v23
	v_ashrrev_i32_e32 v20, 31, v20
	s_wait_alu 0xf1ff
	v_xor_b32_e32 v19, s0, v19
	v_cmp_gt_i32_e64 s0, 0, v23
	v_and_b32_e32 v17, v17, v18
	v_not_b32_e32 v18, v34
	v_ashrrev_i32_e32 v22, 31, v22
	s_wait_alu 0xfffd
	v_xor_b32_e32 v20, vcc_lo, v20
	v_cmp_gt_i32_e32 vcc_lo, 0, v34
	v_and_b32_e32 v17, v17, v19
	v_not_b32_e32 v19, v21
	v_ashrrev_i32_e32 v18, 31, v18
	s_wait_alu 0xf1ff
	v_xor_b32_e32 v22, s0, v22
	v_lshlrev_b32_e32 v16, 6, v16
	v_and_b32_e32 v17, v17, v20
	v_cmp_gt_i32_e64 s0, 0, v21
	v_ashrrev_i32_e32 v19, 31, v19
	s_wait_alu 0xfffd
	v_xor_b32_e32 v18, vcc_lo, v18
	v_add_nc_u32_e32 v78, v24, v16
	v_and_b32_e32 v17, v17, v22
	s_wait_alu 0xf1ff
	v_xor_b32_e32 v16, s0, v19
	ds_load_b32 v76, v78 offset:64
	v_and_b32_e32 v17, v17, v18
	; wave barrier
	s_delay_alu instid0(VALU_DEP_1) | instskip(NEXT) | instid1(VALU_DEP_1)
	v_and_b32_e32 v16, v17, v16
	v_mbcnt_lo_u32_b32 v77, v16, 0
	v_cmp_ne_u32_e64 s0, 0, v16
	s_delay_alu instid0(VALU_DEP_2)
	v_cmp_eq_u32_e32 vcc_lo, 0, v77
	s_and_b32 s10, s0, vcc_lo
	s_wait_alu 0xfffe
	s_and_saveexec_b32 s0, s10
	s_cbranch_execz .LBB255_109
; %bb.108:
	s_wait_dscnt 0x0
	v_bcnt_u32_b32 v16, v16, v76
	ds_store_b32 v78, v16 offset:64
.LBB255_109:
	s_wait_alu 0xfffe
	s_or_b32 exec_lo, exec_lo, s0
	v_cmp_ne_u16_e32 vcc_lo, 0x8000, v32
	; wave barrier
	s_wait_alu 0xfffd
	v_cndmask_b32_e32 v16, 0x7fff, v32, vcc_lo
	s_delay_alu instid0(VALU_DEP_1) | instskip(NEXT) | instid1(VALU_DEP_1)
	v_and_b32_e32 v16, 0xffff, v16
	v_and_b32_e32 v16, s1, v16
	s_delay_alu instid0(VALU_DEP_1)
	v_and_b32_e32 v17, 1, v16
	v_lshlrev_b32_e32 v18, 30, v16
	v_lshlrev_b32_e32 v19, 29, v16
	;; [unrolled: 1-line block ×4, first 2 shown]
	v_add_co_u32 v17, s0, v17, -1
	s_wait_alu 0xf1ff
	v_cndmask_b32_e64 v21, 0, 1, s0
	v_not_b32_e32 v35, v18
	v_cmp_gt_i32_e64 s0, 0, v18
	v_not_b32_e32 v18, v19
	v_lshlrev_b32_e32 v23, 26, v16
	v_cmp_ne_u32_e32 vcc_lo, 0, v21
	v_ashrrev_i32_e32 v35, 31, v35
	v_lshlrev_b32_e32 v34, 25, v16
	v_ashrrev_i32_e32 v18, 31, v18
	v_lshlrev_b32_e32 v21, 24, v16
	s_wait_alu 0xfffd
	v_xor_b32_e32 v17, vcc_lo, v17
	v_cmp_gt_i32_e32 vcc_lo, 0, v19
	v_not_b32_e32 v19, v20
	s_wait_alu 0xf1ff
	v_xor_b32_e32 v35, s0, v35
	v_cmp_gt_i32_e64 s0, 0, v20
	v_and_b32_e32 v17, exec_lo, v17
	v_not_b32_e32 v20, v22
	v_ashrrev_i32_e32 v19, 31, v19
	s_wait_alu 0xfffd
	v_xor_b32_e32 v18, vcc_lo, v18
	v_cmp_gt_i32_e32 vcc_lo, 0, v22
	v_and_b32_e32 v17, v17, v35
	v_not_b32_e32 v22, v23
	v_ashrrev_i32_e32 v20, 31, v20
	s_wait_alu 0xf1ff
	v_xor_b32_e32 v19, s0, v19
	v_cmp_gt_i32_e64 s0, 0, v23
	v_and_b32_e32 v17, v17, v18
	v_not_b32_e32 v18, v34
	v_ashrrev_i32_e32 v22, 31, v22
	s_wait_alu 0xfffd
	v_xor_b32_e32 v20, vcc_lo, v20
	v_cmp_gt_i32_e32 vcc_lo, 0, v34
	v_and_b32_e32 v17, v17, v19
	v_not_b32_e32 v19, v21
	v_ashrrev_i32_e32 v18, 31, v18
	s_wait_alu 0xf1ff
	v_xor_b32_e32 v22, s0, v22
	v_lshlrev_b32_e32 v16, 6, v16
	v_and_b32_e32 v17, v17, v20
	v_cmp_gt_i32_e64 s0, 0, v21
	v_ashrrev_i32_e32 v19, 31, v19
	s_wait_alu 0xfffd
	v_xor_b32_e32 v18, vcc_lo, v18
	v_add_nc_u32_e32 v81, v24, v16
	v_and_b32_e32 v17, v17, v22
	s_wait_alu 0xf1ff
	v_xor_b32_e32 v16, s0, v19
	ds_load_b32 v79, v81 offset:64
	v_and_b32_e32 v17, v17, v18
	; wave barrier
	s_delay_alu instid0(VALU_DEP_1) | instskip(NEXT) | instid1(VALU_DEP_1)
	v_and_b32_e32 v16, v17, v16
	v_mbcnt_lo_u32_b32 v80, v16, 0
	v_cmp_ne_u32_e64 s0, 0, v16
	s_delay_alu instid0(VALU_DEP_2)
	v_cmp_eq_u32_e32 vcc_lo, 0, v80
	s_and_b32 s10, s0, vcc_lo
	s_wait_alu 0xfffe
	s_and_saveexec_b32 s0, s10
	s_cbranch_execz .LBB255_111
; %bb.110:
	s_wait_dscnt 0x0
	v_bcnt_u32_b32 v16, v16, v79
	ds_store_b32 v81, v16 offset:64
.LBB255_111:
	s_wait_alu 0xfffe
	s_or_b32 exec_lo, exec_lo, s0
	v_cmp_ne_u16_e32 vcc_lo, 0x8000, v33
	; wave barrier
	s_wait_alu 0xfffd
	v_cndmask_b32_e32 v16, 0x7fff, v33, vcc_lo
	s_delay_alu instid0(VALU_DEP_1) | instskip(NEXT) | instid1(VALU_DEP_1)
	v_and_b32_e32 v16, 0xffff, v16
	v_and_b32_e32 v16, s1, v16
	s_delay_alu instid0(VALU_DEP_1)
	v_and_b32_e32 v17, 1, v16
	v_lshlrev_b32_e32 v18, 30, v16
	v_lshlrev_b32_e32 v19, 29, v16
	;; [unrolled: 1-line block ×4, first 2 shown]
	v_add_co_u32 v17, s0, v17, -1
	s_wait_alu 0xf1ff
	v_cndmask_b32_e64 v21, 0, 1, s0
	v_not_b32_e32 v35, v18
	v_cmp_gt_i32_e64 s0, 0, v18
	v_not_b32_e32 v18, v19
	v_lshlrev_b32_e32 v23, 26, v16
	v_cmp_ne_u32_e32 vcc_lo, 0, v21
	v_ashrrev_i32_e32 v35, 31, v35
	v_lshlrev_b32_e32 v34, 25, v16
	v_ashrrev_i32_e32 v18, 31, v18
	v_lshlrev_b32_e32 v21, 24, v16
	s_wait_alu 0xfffd
	v_xor_b32_e32 v17, vcc_lo, v17
	v_cmp_gt_i32_e32 vcc_lo, 0, v19
	v_not_b32_e32 v19, v20
	s_wait_alu 0xf1ff
	v_xor_b32_e32 v35, s0, v35
	v_cmp_gt_i32_e64 s0, 0, v20
	v_and_b32_e32 v17, exec_lo, v17
	v_not_b32_e32 v20, v22
	v_ashrrev_i32_e32 v19, 31, v19
	s_wait_alu 0xfffd
	v_xor_b32_e32 v18, vcc_lo, v18
	v_cmp_gt_i32_e32 vcc_lo, 0, v22
	v_and_b32_e32 v17, v17, v35
	v_not_b32_e32 v22, v23
	v_ashrrev_i32_e32 v20, 31, v20
	s_wait_alu 0xf1ff
	v_xor_b32_e32 v19, s0, v19
	v_cmp_gt_i32_e64 s0, 0, v23
	v_and_b32_e32 v17, v17, v18
	v_not_b32_e32 v18, v34
	v_ashrrev_i32_e32 v22, 31, v22
	s_wait_alu 0xfffd
	v_xor_b32_e32 v20, vcc_lo, v20
	v_cmp_gt_i32_e32 vcc_lo, 0, v34
	v_and_b32_e32 v17, v17, v19
	v_not_b32_e32 v19, v21
	v_ashrrev_i32_e32 v18, 31, v18
	s_wait_alu 0xf1ff
	v_xor_b32_e32 v22, s0, v22
	v_lshlrev_b32_e32 v16, 6, v16
	v_and_b32_e32 v17, v17, v20
	v_cmp_gt_i32_e64 s0, 0, v21
	v_ashrrev_i32_e32 v19, 31, v19
	s_wait_alu 0xfffd
	v_xor_b32_e32 v18, vcc_lo, v18
	v_add_nc_u32_e32 v84, v24, v16
	v_and_b32_e32 v17, v17, v22
	v_min_u32_e32 v34, 0x1e0, v68
	s_wait_alu 0xf1ff
	v_xor_b32_e32 v16, s0, v19
	ds_load_b32 v82, v84 offset:64
	v_and_b32_e32 v17, v17, v18
	; wave barrier
	s_delay_alu instid0(VALU_DEP_1) | instskip(NEXT) | instid1(VALU_DEP_1)
	v_and_b32_e32 v16, v17, v16
	v_mbcnt_lo_u32_b32 v83, v16, 0
	v_cmp_ne_u32_e64 s0, 0, v16
	s_delay_alu instid0(VALU_DEP_2)
	v_cmp_eq_u32_e32 vcc_lo, 0, v83
	s_and_b32 s1, s0, vcc_lo
	s_wait_alu 0xfffe
	s_and_saveexec_b32 s0, s1
	s_cbranch_execz .LBB255_113
; %bb.112:
	s_wait_dscnt 0x0
	v_bcnt_u32_b32 v16, v16, v82
	ds_store_b32 v84, v16 offset:64
.LBB255_113:
	s_wait_alu 0xfffe
	s_or_b32 exec_lo, exec_lo, s0
	; wave barrier
	s_wait_loadcnt_dscnt 0x0
	s_barrier_signal -1
	s_barrier_wait -1
	global_inv scope:SCOPE_SE
	ds_load_b128 v[20:23], v65 offset:64
	ds_load_b128 v[16:19], v65 offset:80
	v_and_b32_e32 v68, 16, v67
	v_or_b32_e32 v34, 31, v34
	s_delay_alu instid0(VALU_DEP_2) | instskip(NEXT) | instid1(VALU_DEP_2)
	v_cmp_eq_u32_e64 s15, 0, v68
	v_cmp_eq_u32_e64 s13, v41, v34
	s_wait_dscnt 0x1
	v_add_nc_u32_e32 v35, v21, v20
	s_delay_alu instid0(VALU_DEP_1) | instskip(SKIP_1) | instid1(VALU_DEP_1)
	v_add3_u32 v35, v35, v22, v23
	s_wait_dscnt 0x0
	v_add3_u32 v35, v35, v16, v17
	s_delay_alu instid0(VALU_DEP_1) | instskip(SKIP_1) | instid1(VALU_DEP_2)
	v_add3_u32 v19, v35, v18, v19
	v_and_b32_e32 v35, 15, v67
	v_mov_b32_dpp v37, v19 row_shr:1 row_mask:0xf bank_mask:0xf
	s_delay_alu instid0(VALU_DEP_2)
	v_cmp_eq_u32_e32 vcc_lo, 0, v35
	v_cmp_lt_u32_e64 s0, 1, v35
	v_cmp_lt_u32_e64 s1, 3, v35
	;; [unrolled: 1-line block ×3, first 2 shown]
	s_wait_alu 0xfffd
	v_cndmask_b32_e64 v37, v37, 0, vcc_lo
	s_delay_alu instid0(VALU_DEP_1) | instskip(NEXT) | instid1(VALU_DEP_1)
	v_add_nc_u32_e32 v19, v37, v19
	v_mov_b32_dpp v37, v19 row_shr:2 row_mask:0xf bank_mask:0xf
	s_wait_alu 0xf1ff
	s_delay_alu instid0(VALU_DEP_1) | instskip(NEXT) | instid1(VALU_DEP_1)
	v_cndmask_b32_e64 v37, 0, v37, s0
	v_add_nc_u32_e32 v19, v19, v37
	s_delay_alu instid0(VALU_DEP_1) | instskip(NEXT) | instid1(VALU_DEP_1)
	v_mov_b32_dpp v37, v19 row_shr:4 row_mask:0xf bank_mask:0xf
	v_cndmask_b32_e64 v37, 0, v37, s1
	s_delay_alu instid0(VALU_DEP_1) | instskip(NEXT) | instid1(VALU_DEP_1)
	v_add_nc_u32_e32 v19, v19, v37
	v_mov_b32_dpp v37, v19 row_shr:8 row_mask:0xf bank_mask:0xf
	s_delay_alu instid0(VALU_DEP_1) | instskip(NEXT) | instid1(VALU_DEP_1)
	v_cndmask_b32_e64 v35, 0, v37, s10
	v_add_nc_u32_e32 v37, v19, v35
	v_bfe_i32 v35, v67, 4, 1
	ds_swizzle_b32 v19, v37 offset:swizzle(BROADCAST,32,15)
	s_wait_dscnt 0x0
	v_and_b32_e32 v85, v35, v19
	v_mul_i32_i24_e32 v19, 0xffffffe4, v41
	v_lshlrev_b32_e32 v35, 2, v66
	s_delay_alu instid0(VALU_DEP_3)
	v_add_nc_u32_e32 v37, v37, v85
	s_and_saveexec_b32 s11, s13
; %bb.114:
	ds_store_b32 v35, v37
; %bb.115:
	s_wait_alu 0xfffe
	s_or_b32 exec_lo, exec_lo, s11
	v_cmp_gt_u32_e64 s12, 16, v41
	v_add_nc_u32_e32 v34, v65, v19
	s_wait_loadcnt_dscnt 0x0
	s_barrier_signal -1
	s_barrier_wait -1
	global_inv scope:SCOPE_SE
	s_and_saveexec_b32 s11, s12
	s_cbranch_execz .LBB255_117
; %bb.116:
	ds_load_b32 v19, v34
	s_wait_dscnt 0x0
	v_mov_b32_dpp v66, v19 row_shr:1 row_mask:0xf bank_mask:0xf
	s_delay_alu instid0(VALU_DEP_1) | instskip(NEXT) | instid1(VALU_DEP_1)
	v_cndmask_b32_e64 v66, v66, 0, vcc_lo
	v_add_nc_u32_e32 v19, v66, v19
	s_delay_alu instid0(VALU_DEP_1) | instskip(NEXT) | instid1(VALU_DEP_1)
	v_mov_b32_dpp v66, v19 row_shr:2 row_mask:0xf bank_mask:0xf
	v_cndmask_b32_e64 v66, 0, v66, s0
	s_delay_alu instid0(VALU_DEP_1) | instskip(NEXT) | instid1(VALU_DEP_1)
	v_add_nc_u32_e32 v19, v19, v66
	v_mov_b32_dpp v66, v19 row_shr:4 row_mask:0xf bank_mask:0xf
	s_delay_alu instid0(VALU_DEP_1) | instskip(NEXT) | instid1(VALU_DEP_1)
	v_cndmask_b32_e64 v66, 0, v66, s1
	v_add_nc_u32_e32 v19, v19, v66
	s_delay_alu instid0(VALU_DEP_1) | instskip(NEXT) | instid1(VALU_DEP_1)
	v_mov_b32_dpp v66, v19 row_shr:8 row_mask:0xf bank_mask:0xf
	v_cndmask_b32_e64 v66, 0, v66, s10
	s_delay_alu instid0(VALU_DEP_1)
	v_add_nc_u32_e32 v19, v19, v66
	ds_store_b32 v34, v19
.LBB255_117:
	s_wait_alu 0xfffe
	s_or_b32 exec_lo, exec_lo, s11
	v_mul_u32_u24_e32 v19, 6, v36
	v_sub_co_u32 v66, s11, v67, 1
	v_cmp_lt_u32_e64 s14, 31, v41
	v_add_nc_u32_e32 v36, -4, v35
	v_mov_b32_e32 v68, 0
	s_wait_loadcnt_dscnt 0x0
	s_barrier_signal -1
	s_barrier_wait -1
	global_inv scope:SCOPE_SE
	s_and_saveexec_b32 s16, s14
; %bb.118:
	ds_load_b32 v68, v36
; %bb.119:
	s_wait_alu 0xfffe
	s_or_b32 exec_lo, exec_lo, s16
	v_cmp_gt_i32_e64 s16, 0, v66
	s_mov_b32 s20, 0
	s_min_u32 s17, s17, 8
	s_wait_alu 0xfffe
	s_mov_b32 s21, s20
	s_mov_b32 s22, s20
	v_cndmask_b32_e64 v66, v66, v67, s16
	s_mov_b32 s23, s20
	s_wait_dscnt 0x0
	v_add_nc_u32_e32 v67, v68, v37
	v_cmp_eq_u32_e64 s16, 0, v41
	s_lshl_b32 s17, -1, s17
	v_lshlrev_b32_e32 v37, 2, v66
	s_wait_alu 0xfffe
	s_not_b32 s19, s17
	ds_bpermute_b32 v66, v37, v67
	s_wait_dscnt 0x0
	v_cndmask_b32_e64 v66, v66, v68, s11
	s_delay_alu instid0(VALU_DEP_1) | instskip(NEXT) | instid1(VALU_DEP_1)
	v_cndmask_b32_e64 v85, v66, 0, s16
	v_add_nc_u32_e32 v86, v85, v20
	s_delay_alu instid0(VALU_DEP_1) | instskip(NEXT) | instid1(VALU_DEP_1)
	v_add_nc_u32_e32 v87, v86, v21
	v_add_nc_u32_e32 v88, v87, v22
	s_delay_alu instid0(VALU_DEP_1) | instskip(NEXT) | instid1(VALU_DEP_1)
	v_add_nc_u32_e32 v20, v88, v23
	;; [unrolled: 3-line block ×3, first 2 shown]
	v_add_nc_u32_e32 v23, v22, v18
	ds_store_b128 v65, v[85:88] offset:64
	ds_store_b128 v65, v[20:23] offset:80
	s_wait_loadcnt_dscnt 0x0
	s_barrier_signal -1
	s_barrier_wait -1
	global_inv scope:SCOPE_SE
	ds_load_b32 v16, v39 offset:64
	ds_load_b32 v17, v43 offset:64
	;; [unrolled: 1-line block ×8, first 2 shown]
	v_add_nc_u32_e32 v43, v25, v19
	s_wait_loadcnt_dscnt 0x0
	s_barrier_signal -1
	s_barrier_wait -1
	global_inv scope:SCOPE_SE
	v_add_nc_u32_e32 v38, v16, v38
	v_add3_u32 v40, v42, v40, v17
	v_add3_u32 v42, v45, v44, v18
	;; [unrolled: 1-line block ×7, first 2 shown]
	v_lshlrev_b32_e32 v16, 1, v38
	v_lshlrev_b32_e32 v17, 1, v40
	;; [unrolled: 1-line block ×8, first 2 shown]
	ds_store_b16 v16, v26
	ds_store_b16 v17, v27
	;; [unrolled: 1-line block ×8, first 2 shown]
	s_wait_loadcnt_dscnt 0x0
	s_barrier_signal -1
	s_barrier_wait -1
	global_inv scope:SCOPE_SE
	ds_load_u16 v26, v25
	ds_load_u16 v27, v25 offset:64
	ds_load_u16 v28, v25 offset:128
	;; [unrolled: 1-line block ×7, first 2 shown]
	v_mad_co_u64_u32 v[38:39], null, v38, 6, v[16:17]
	v_mad_co_u64_u32 v[16:17], null, v40, 6, v[17:18]
	;; [unrolled: 1-line block ×3, first 2 shown]
	s_wait_loadcnt_dscnt 0x0
	s_barrier_signal -1
	s_barrier_wait -1
	global_inv scope:SCOPE_SE
	v_mad_co_u64_u32 v[18:19], null, v44, 6, v[19:20]
	v_lshrrev_b16 v33, 8, v26
	v_cmp_ne_u16_e64 s17, 0x8000, v26
	ds_store_b64 v38, v[8:9]
	v_mad_co_u64_u32 v[19:20], null, v45, 6, v[20:21]
	v_mad_co_u64_u32 v[20:21], null, v66, 6, v[21:22]
	s_wait_alu 0xf1ff
	v_cndmask_b32_e64 v33, 0x7f, v33, s17
	v_mad_co_u64_u32 v[21:22], null, v67, 6, v[22:23]
	v_mad_co_u64_u32 v[22:23], null, v68, 6, v[23:24]
	s_delay_alu instid0(VALU_DEP_3)
	v_and_b32_e32 v8, 0xffff, v33
	ds_store_b64 v16, v[10:11]
	ds_store_b64 v17, v[0:1]
	;; [unrolled: 1-line block ×7, first 2 shown]
	s_wait_alu 0xfffe
	v_and_b32_e32 v23, s19, v8
	s_wait_loadcnt_dscnt 0x0
	s_barrier_signal -1
	s_barrier_wait -1
	global_inv scope:SCOPE_SE
	v_and_b32_e32 v0, 1, v23
	v_lshlrev_b32_e32 v1, 30, v23
	v_lshlrev_b32_e32 v2, 29, v23
	;; [unrolled: 1-line block ×4, first 2 shown]
	v_add_co_u32 v0, s17, v0, -1
	s_wait_alu 0xf1ff
	v_cndmask_b32_e64 v4, 0, 1, s17
	v_not_b32_e32 v8, v1
	v_cmp_gt_i32_e64 s18, 0, v1
	v_not_b32_e32 v1, v2
	v_lshlrev_b32_e32 v6, 26, v23
	v_cmp_ne_u32_e64 s17, 0, v4
	v_ashrrev_i32_e32 v8, 31, v8
	v_lshlrev_b32_e32 v7, 25, v23
	v_ashrrev_i32_e32 v1, 31, v1
	v_lshlrev_b32_e32 v4, 24, v23
	s_wait_alu 0xf1ff
	v_xor_b32_e32 v0, s17, v0
	v_cmp_gt_i32_e64 s17, 0, v2
	v_not_b32_e32 v2, v3
	v_xor_b32_e32 v8, s18, v8
	v_cmp_gt_i32_e64 s18, 0, v3
	v_and_b32_e32 v0, exec_lo, v0
	v_not_b32_e32 v3, v5
	v_ashrrev_i32_e32 v2, 31, v2
	s_wait_alu 0xf1ff
	v_xor_b32_e32 v1, s17, v1
	v_cmp_gt_i32_e64 s17, 0, v5
	v_and_b32_e32 v0, v0, v8
	v_not_b32_e32 v5, v6
	v_ashrrev_i32_e32 v3, 31, v3
	v_xor_b32_e32 v2, s18, v2
	v_cmp_gt_i32_e64 s18, 0, v6
	v_and_b32_e32 v0, v0, v1
	v_not_b32_e32 v1, v7
	v_ashrrev_i32_e32 v5, 31, v5
	s_wait_alu 0xf1ff
	v_xor_b32_e32 v3, s17, v3
	v_cmp_gt_i32_e64 s17, 0, v7
	v_and_b32_e32 v0, v0, v2
	v_not_b32_e32 v2, v4
	v_ashrrev_i32_e32 v1, 31, v1
	v_xor_b32_e32 v5, s18, v5
	v_cmp_gt_i32_e64 s18, 0, v4
	v_and_b32_e32 v0, v0, v3
	v_ashrrev_i32_e32 v2, 31, v2
	s_wait_alu 0xf1ff
	v_xor_b32_e32 v1, s17, v1
	v_dual_mov_b32 v17, s20 :: v_dual_mov_b32 v18, s21
	v_and_b32_e32 v0, v0, v5
	v_xor_b32_e32 v16, s18, v2
	ds_load_2addr_b64 v[4:7], v43 offset1:32
	v_dual_mov_b32 v19, s22 :: v_dual_mov_b32 v20, s23
	v_and_b32_e32 v21, v0, v1
	ds_load_2addr_b64 v[12:15], v43 offset0:64 offset1:96
	ds_load_2addr_b64 v[8:11], v43 offset0:128 offset1:160
	;; [unrolled: 1-line block ×3, first 2 shown]
	v_lshl_add_u32 v38, v23, 6, v24
	s_wait_loadcnt_dscnt 0x0
	s_barrier_signal -1
	v_and_b32_e32 v16, v21, v16
	s_barrier_wait -1
	global_inv scope:SCOPE_SE
	ds_store_b128 v65, v[17:20] offset:64
	ds_store_b128 v65, v[17:20] offset:80
	s_wait_loadcnt_dscnt 0x0
	v_mbcnt_lo_u32_b32 v33, v16, 0
	v_cmp_ne_u32_e64 s18, 0, v16
	s_barrier_signal -1
	s_barrier_wait -1
	global_inv scope:SCOPE_SE
	v_cmp_eq_u32_e64 s17, 0, v33
	; wave barrier
	s_and_b32 s18, s18, s17
	s_wait_alu 0xfffe
	s_and_saveexec_b32 s17, s18
; %bb.120:
	v_bcnt_u32_b32 v16, v16, 0
	ds_store_b32 v38, v16 offset:64
; %bb.121:
	s_wait_alu 0xfffe
	s_or_b32 exec_lo, exec_lo, s17
	v_lshrrev_b16 v16, 8, v27
	v_cmp_ne_u16_e64 s17, 0x8000, v27
	; wave barrier
	s_wait_alu 0xf1ff
	s_delay_alu instid0(VALU_DEP_1) | instskip(NEXT) | instid1(VALU_DEP_1)
	v_cndmask_b32_e64 v16, 0x7f, v16, s17
	v_and_b32_e32 v16, s19, v16
	s_delay_alu instid0(VALU_DEP_1)
	v_and_b32_e32 v17, 1, v16
	v_lshlrev_b32_e32 v18, 30, v16
	v_lshlrev_b32_e32 v19, 29, v16
	;; [unrolled: 1-line block ×4, first 2 shown]
	v_add_co_u32 v17, s17, v17, -1
	s_wait_alu 0xf1ff
	v_cndmask_b32_e64 v21, 0, 1, s17
	v_not_b32_e32 v40, v18
	v_cmp_gt_i32_e64 s18, 0, v18
	v_not_b32_e32 v18, v19
	v_lshlrev_b32_e32 v23, 26, v16
	v_cmp_ne_u32_e64 s17, 0, v21
	v_ashrrev_i32_e32 v40, 31, v40
	v_lshlrev_b32_e32 v39, 25, v16
	v_ashrrev_i32_e32 v18, 31, v18
	v_lshlrev_b32_e32 v21, 24, v16
	s_wait_alu 0xf1ff
	v_xor_b32_e32 v17, s17, v17
	v_cmp_gt_i32_e64 s17, 0, v19
	v_not_b32_e32 v19, v20
	v_xor_b32_e32 v40, s18, v40
	v_cmp_gt_i32_e64 s18, 0, v20
	v_and_b32_e32 v17, exec_lo, v17
	v_not_b32_e32 v20, v22
	v_ashrrev_i32_e32 v19, 31, v19
	s_wait_alu 0xf1ff
	v_xor_b32_e32 v18, s17, v18
	v_cmp_gt_i32_e64 s17, 0, v22
	v_and_b32_e32 v17, v17, v40
	v_not_b32_e32 v22, v23
	v_ashrrev_i32_e32 v20, 31, v20
	v_xor_b32_e32 v19, s18, v19
	v_cmp_gt_i32_e64 s18, 0, v23
	v_and_b32_e32 v17, v17, v18
	v_not_b32_e32 v18, v39
	v_ashrrev_i32_e32 v22, 31, v22
	s_wait_alu 0xf1ff
	v_xor_b32_e32 v20, s17, v20
	v_cmp_gt_i32_e64 s17, 0, v39
	v_and_b32_e32 v17, v17, v19
	v_not_b32_e32 v19, v21
	v_ashrrev_i32_e32 v18, 31, v18
	v_xor_b32_e32 v22, s18, v22
	v_cmp_gt_i32_e64 s18, 0, v21
	v_and_b32_e32 v17, v17, v20
	v_ashrrev_i32_e32 v19, 31, v19
	s_wait_alu 0xf1ff
	v_xor_b32_e32 v18, s17, v18
	v_lshl_add_u32 v42, v16, 6, v24
	v_and_b32_e32 v17, v17, v22
	v_xor_b32_e32 v16, s18, v19
	ds_load_b32 v39, v42 offset:64
	v_and_b32_e32 v17, v17, v18
	; wave barrier
	s_delay_alu instid0(VALU_DEP_1) | instskip(NEXT) | instid1(VALU_DEP_1)
	v_and_b32_e32 v16, v17, v16
	v_mbcnt_lo_u32_b32 v40, v16, 0
	v_cmp_ne_u32_e64 s18, 0, v16
	s_delay_alu instid0(VALU_DEP_2)
	v_cmp_eq_u32_e64 s17, 0, v40
	s_and_b32 s18, s18, s17
	s_wait_alu 0xfffe
	s_and_saveexec_b32 s17, s18
	s_cbranch_execz .LBB255_123
; %bb.122:
	s_wait_dscnt 0x0
	v_bcnt_u32_b32 v16, v16, v39
	ds_store_b32 v42, v16 offset:64
.LBB255_123:
	s_wait_alu 0xfffe
	s_or_b32 exec_lo, exec_lo, s17
	v_lshrrev_b16 v16, 8, v28
	v_cmp_ne_u16_e64 s17, 0x8000, v28
	; wave barrier
	s_wait_alu 0xf1ff
	s_delay_alu instid0(VALU_DEP_1) | instskip(NEXT) | instid1(VALU_DEP_1)
	v_cndmask_b32_e64 v16, 0x7f, v16, s17
	v_and_b32_e32 v16, s19, v16
	s_delay_alu instid0(VALU_DEP_1)
	v_and_b32_e32 v17, 1, v16
	v_lshlrev_b32_e32 v18, 30, v16
	v_lshlrev_b32_e32 v19, 29, v16
	;; [unrolled: 1-line block ×4, first 2 shown]
	v_add_co_u32 v17, s17, v17, -1
	s_wait_alu 0xf1ff
	v_cndmask_b32_e64 v21, 0, 1, s17
	v_not_b32_e32 v44, v18
	v_cmp_gt_i32_e64 s18, 0, v18
	v_not_b32_e32 v18, v19
	v_lshlrev_b32_e32 v23, 26, v16
	v_cmp_ne_u32_e64 s17, 0, v21
	v_ashrrev_i32_e32 v44, 31, v44
	v_lshlrev_b32_e32 v43, 25, v16
	v_ashrrev_i32_e32 v18, 31, v18
	v_lshlrev_b32_e32 v21, 24, v16
	s_wait_alu 0xf1ff
	v_xor_b32_e32 v17, s17, v17
	v_cmp_gt_i32_e64 s17, 0, v19
	v_not_b32_e32 v19, v20
	v_xor_b32_e32 v44, s18, v44
	v_cmp_gt_i32_e64 s18, 0, v20
	v_and_b32_e32 v17, exec_lo, v17
	v_not_b32_e32 v20, v22
	v_ashrrev_i32_e32 v19, 31, v19
	s_wait_alu 0xf1ff
	v_xor_b32_e32 v18, s17, v18
	v_cmp_gt_i32_e64 s17, 0, v22
	v_and_b32_e32 v17, v17, v44
	v_not_b32_e32 v22, v23
	v_ashrrev_i32_e32 v20, 31, v20
	v_xor_b32_e32 v19, s18, v19
	v_cmp_gt_i32_e64 s18, 0, v23
	v_and_b32_e32 v17, v17, v18
	v_not_b32_e32 v18, v43
	v_ashrrev_i32_e32 v22, 31, v22
	s_wait_alu 0xf1ff
	v_xor_b32_e32 v20, s17, v20
	v_cmp_gt_i32_e64 s17, 0, v43
	v_and_b32_e32 v17, v17, v19
	v_not_b32_e32 v19, v21
	v_ashrrev_i32_e32 v18, 31, v18
	v_xor_b32_e32 v22, s18, v22
	v_cmp_gt_i32_e64 s18, 0, v21
	v_and_b32_e32 v17, v17, v20
	v_ashrrev_i32_e32 v19, 31, v19
	s_wait_alu 0xf1ff
	v_xor_b32_e32 v18, s17, v18
	v_lshl_add_u32 v45, v16, 6, v24
	v_and_b32_e32 v17, v17, v22
	v_xor_b32_e32 v16, s18, v19
	ds_load_b32 v43, v45 offset:64
	v_and_b32_e32 v17, v17, v18
	; wave barrier
	s_delay_alu instid0(VALU_DEP_1) | instskip(NEXT) | instid1(VALU_DEP_1)
	v_and_b32_e32 v16, v17, v16
	v_mbcnt_lo_u32_b32 v44, v16, 0
	v_cmp_ne_u32_e64 s18, 0, v16
	s_delay_alu instid0(VALU_DEP_2)
	v_cmp_eq_u32_e64 s17, 0, v44
	s_and_b32 s18, s18, s17
	s_wait_alu 0xfffe
	s_and_saveexec_b32 s17, s18
	s_cbranch_execz .LBB255_125
; %bb.124:
	s_wait_dscnt 0x0
	v_bcnt_u32_b32 v16, v16, v43
	ds_store_b32 v45, v16 offset:64
.LBB255_125:
	s_wait_alu 0xfffe
	s_or_b32 exec_lo, exec_lo, s17
	v_lshrrev_b16 v16, 8, v29
	v_cmp_ne_u16_e64 s17, 0x8000, v29
	; wave barrier
	s_wait_alu 0xf1ff
	s_delay_alu instid0(VALU_DEP_1) | instskip(NEXT) | instid1(VALU_DEP_1)
	v_cndmask_b32_e64 v16, 0x7f, v16, s17
	v_and_b32_e32 v16, s19, v16
	s_delay_alu instid0(VALU_DEP_1)
	v_and_b32_e32 v17, 1, v16
	v_lshlrev_b32_e32 v18, 30, v16
	v_lshlrev_b32_e32 v19, 29, v16
	;; [unrolled: 1-line block ×4, first 2 shown]
	v_add_co_u32 v17, s17, v17, -1
	s_wait_alu 0xf1ff
	v_cndmask_b32_e64 v21, 0, 1, s17
	v_not_b32_e32 v67, v18
	v_cmp_gt_i32_e64 s18, 0, v18
	v_not_b32_e32 v18, v19
	v_lshlrev_b32_e32 v23, 26, v16
	v_cmp_ne_u32_e64 s17, 0, v21
	v_ashrrev_i32_e32 v67, 31, v67
	v_lshlrev_b32_e32 v66, 25, v16
	v_ashrrev_i32_e32 v18, 31, v18
	v_lshlrev_b32_e32 v21, 24, v16
	s_wait_alu 0xf1ff
	v_xor_b32_e32 v17, s17, v17
	v_cmp_gt_i32_e64 s17, 0, v19
	v_not_b32_e32 v19, v20
	v_xor_b32_e32 v67, s18, v67
	v_cmp_gt_i32_e64 s18, 0, v20
	v_and_b32_e32 v17, exec_lo, v17
	v_not_b32_e32 v20, v22
	v_ashrrev_i32_e32 v19, 31, v19
	s_wait_alu 0xf1ff
	v_xor_b32_e32 v18, s17, v18
	v_cmp_gt_i32_e64 s17, 0, v22
	v_and_b32_e32 v17, v17, v67
	v_not_b32_e32 v22, v23
	v_ashrrev_i32_e32 v20, 31, v20
	v_xor_b32_e32 v19, s18, v19
	v_cmp_gt_i32_e64 s18, 0, v23
	v_and_b32_e32 v17, v17, v18
	v_not_b32_e32 v18, v66
	v_ashrrev_i32_e32 v22, 31, v22
	s_wait_alu 0xf1ff
	v_xor_b32_e32 v20, s17, v20
	v_cmp_gt_i32_e64 s17, 0, v66
	v_and_b32_e32 v17, v17, v19
	v_not_b32_e32 v19, v21
	v_ashrrev_i32_e32 v18, 31, v18
	v_xor_b32_e32 v22, s18, v22
	v_cmp_gt_i32_e64 s18, 0, v21
	v_and_b32_e32 v17, v17, v20
	v_ashrrev_i32_e32 v19, 31, v19
	s_wait_alu 0xf1ff
	v_xor_b32_e32 v18, s17, v18
	v_lshl_add_u32 v68, v16, 6, v24
	v_and_b32_e32 v17, v17, v22
	v_xor_b32_e32 v16, s18, v19
	ds_load_b32 v66, v68 offset:64
	v_and_b32_e32 v17, v17, v18
	; wave barrier
	s_delay_alu instid0(VALU_DEP_1) | instskip(NEXT) | instid1(VALU_DEP_1)
	v_and_b32_e32 v16, v17, v16
	v_mbcnt_lo_u32_b32 v67, v16, 0
	v_cmp_ne_u32_e64 s18, 0, v16
	s_delay_alu instid0(VALU_DEP_2)
	v_cmp_eq_u32_e64 s17, 0, v67
	s_and_b32 s18, s18, s17
	s_wait_alu 0xfffe
	s_and_saveexec_b32 s17, s18
	s_cbranch_execz .LBB255_127
; %bb.126:
	s_wait_dscnt 0x0
	v_bcnt_u32_b32 v16, v16, v66
	ds_store_b32 v68, v16 offset:64
.LBB255_127:
	s_wait_alu 0xfffe
	s_or_b32 exec_lo, exec_lo, s17
	v_lshrrev_b16 v16, 8, v30
	v_cmp_ne_u16_e64 s17, 0x8000, v30
	; wave barrier
	s_wait_alu 0xf1ff
	s_delay_alu instid0(VALU_DEP_1) | instskip(NEXT) | instid1(VALU_DEP_1)
	v_cndmask_b32_e64 v16, 0x7f, v16, s17
	v_and_b32_e32 v16, s19, v16
	s_delay_alu instid0(VALU_DEP_1)
	v_and_b32_e32 v17, 1, v16
	v_lshlrev_b32_e32 v18, 30, v16
	v_lshlrev_b32_e32 v19, 29, v16
	;; [unrolled: 1-line block ×4, first 2 shown]
	v_add_co_u32 v17, s17, v17, -1
	s_wait_alu 0xf1ff
	v_cndmask_b32_e64 v21, 0, 1, s17
	v_not_b32_e32 v70, v18
	v_cmp_gt_i32_e64 s18, 0, v18
	v_not_b32_e32 v18, v19
	v_lshlrev_b32_e32 v23, 26, v16
	v_cmp_ne_u32_e64 s17, 0, v21
	v_ashrrev_i32_e32 v70, 31, v70
	v_lshlrev_b32_e32 v69, 25, v16
	v_ashrrev_i32_e32 v18, 31, v18
	v_lshlrev_b32_e32 v21, 24, v16
	s_wait_alu 0xf1ff
	v_xor_b32_e32 v17, s17, v17
	v_cmp_gt_i32_e64 s17, 0, v19
	v_not_b32_e32 v19, v20
	v_xor_b32_e32 v70, s18, v70
	v_cmp_gt_i32_e64 s18, 0, v20
	v_and_b32_e32 v17, exec_lo, v17
	v_not_b32_e32 v20, v22
	v_ashrrev_i32_e32 v19, 31, v19
	s_wait_alu 0xf1ff
	v_xor_b32_e32 v18, s17, v18
	v_cmp_gt_i32_e64 s17, 0, v22
	v_and_b32_e32 v17, v17, v70
	v_not_b32_e32 v22, v23
	v_ashrrev_i32_e32 v20, 31, v20
	v_xor_b32_e32 v19, s18, v19
	v_cmp_gt_i32_e64 s18, 0, v23
	v_and_b32_e32 v17, v17, v18
	v_not_b32_e32 v18, v69
	v_ashrrev_i32_e32 v22, 31, v22
	s_wait_alu 0xf1ff
	v_xor_b32_e32 v20, s17, v20
	v_cmp_gt_i32_e64 s17, 0, v69
	v_and_b32_e32 v17, v17, v19
	v_not_b32_e32 v19, v21
	v_ashrrev_i32_e32 v18, 31, v18
	v_xor_b32_e32 v22, s18, v22
	v_cmp_gt_i32_e64 s18, 0, v21
	v_and_b32_e32 v17, v17, v20
	v_ashrrev_i32_e32 v19, 31, v19
	s_wait_alu 0xf1ff
	v_xor_b32_e32 v18, s17, v18
	v_lshl_add_u32 v71, v16, 6, v24
	v_and_b32_e32 v17, v17, v22
	v_xor_b32_e32 v16, s18, v19
	ds_load_b32 v69, v71 offset:64
	v_and_b32_e32 v17, v17, v18
	; wave barrier
	s_delay_alu instid0(VALU_DEP_1) | instskip(NEXT) | instid1(VALU_DEP_1)
	v_and_b32_e32 v16, v17, v16
	v_mbcnt_lo_u32_b32 v70, v16, 0
	v_cmp_ne_u32_e64 s18, 0, v16
	s_delay_alu instid0(VALU_DEP_2)
	v_cmp_eq_u32_e64 s17, 0, v70
	s_and_b32 s18, s18, s17
	s_wait_alu 0xfffe
	s_and_saveexec_b32 s17, s18
	s_cbranch_execz .LBB255_129
; %bb.128:
	s_wait_dscnt 0x0
	v_bcnt_u32_b32 v16, v16, v69
	ds_store_b32 v71, v16 offset:64
.LBB255_129:
	s_wait_alu 0xfffe
	s_or_b32 exec_lo, exec_lo, s17
	v_lshrrev_b16 v16, 8, v31
	v_cmp_ne_u16_e64 s17, 0x8000, v31
	; wave barrier
	s_wait_alu 0xf1ff
	s_delay_alu instid0(VALU_DEP_1) | instskip(NEXT) | instid1(VALU_DEP_1)
	v_cndmask_b32_e64 v16, 0x7f, v16, s17
	v_and_b32_e32 v16, s19, v16
	s_delay_alu instid0(VALU_DEP_1)
	v_and_b32_e32 v17, 1, v16
	v_lshlrev_b32_e32 v18, 30, v16
	v_lshlrev_b32_e32 v19, 29, v16
	;; [unrolled: 1-line block ×4, first 2 shown]
	v_add_co_u32 v17, s17, v17, -1
	s_wait_alu 0xf1ff
	v_cndmask_b32_e64 v21, 0, 1, s17
	v_not_b32_e32 v73, v18
	v_cmp_gt_i32_e64 s18, 0, v18
	v_not_b32_e32 v18, v19
	v_lshlrev_b32_e32 v23, 26, v16
	v_cmp_ne_u32_e64 s17, 0, v21
	v_ashrrev_i32_e32 v73, 31, v73
	v_lshlrev_b32_e32 v72, 25, v16
	v_ashrrev_i32_e32 v18, 31, v18
	v_lshlrev_b32_e32 v21, 24, v16
	s_wait_alu 0xf1ff
	v_xor_b32_e32 v17, s17, v17
	v_cmp_gt_i32_e64 s17, 0, v19
	v_not_b32_e32 v19, v20
	v_xor_b32_e32 v73, s18, v73
	v_cmp_gt_i32_e64 s18, 0, v20
	v_and_b32_e32 v17, exec_lo, v17
	v_not_b32_e32 v20, v22
	v_ashrrev_i32_e32 v19, 31, v19
	s_wait_alu 0xf1ff
	v_xor_b32_e32 v18, s17, v18
	v_cmp_gt_i32_e64 s17, 0, v22
	v_and_b32_e32 v17, v17, v73
	v_not_b32_e32 v22, v23
	v_ashrrev_i32_e32 v20, 31, v20
	v_xor_b32_e32 v19, s18, v19
	v_cmp_gt_i32_e64 s18, 0, v23
	v_and_b32_e32 v17, v17, v18
	v_not_b32_e32 v18, v72
	v_ashrrev_i32_e32 v22, 31, v22
	s_wait_alu 0xf1ff
	v_xor_b32_e32 v20, s17, v20
	v_cmp_gt_i32_e64 s17, 0, v72
	v_and_b32_e32 v17, v17, v19
	v_not_b32_e32 v19, v21
	v_ashrrev_i32_e32 v18, 31, v18
	v_xor_b32_e32 v22, s18, v22
	v_cmp_gt_i32_e64 s18, 0, v21
	v_and_b32_e32 v17, v17, v20
	v_ashrrev_i32_e32 v19, 31, v19
	s_wait_alu 0xf1ff
	v_xor_b32_e32 v18, s17, v18
	v_lshl_add_u32 v74, v16, 6, v24
	v_and_b32_e32 v17, v17, v22
	v_xor_b32_e32 v16, s18, v19
	ds_load_b32 v72, v74 offset:64
	v_and_b32_e32 v17, v17, v18
	; wave barrier
	s_delay_alu instid0(VALU_DEP_1) | instskip(NEXT) | instid1(VALU_DEP_1)
	v_and_b32_e32 v16, v17, v16
	v_mbcnt_lo_u32_b32 v73, v16, 0
	v_cmp_ne_u32_e64 s18, 0, v16
	s_delay_alu instid0(VALU_DEP_2)
	v_cmp_eq_u32_e64 s17, 0, v73
	s_and_b32 s18, s18, s17
	s_wait_alu 0xfffe
	s_and_saveexec_b32 s17, s18
	s_cbranch_execz .LBB255_131
; %bb.130:
	s_wait_dscnt 0x0
	v_bcnt_u32_b32 v16, v16, v72
	ds_store_b32 v74, v16 offset:64
.LBB255_131:
	s_wait_alu 0xfffe
	s_or_b32 exec_lo, exec_lo, s17
	v_lshrrev_b16 v16, 8, v32
	v_cmp_ne_u16_e64 s17, 0x8000, v32
	; wave barrier
	s_wait_alu 0xf1ff
	s_delay_alu instid0(VALU_DEP_1) | instskip(NEXT) | instid1(VALU_DEP_1)
	v_cndmask_b32_e64 v16, 0x7f, v16, s17
	v_and_b32_e32 v16, s19, v16
	s_delay_alu instid0(VALU_DEP_1)
	v_and_b32_e32 v17, 1, v16
	v_lshlrev_b32_e32 v18, 30, v16
	v_lshlrev_b32_e32 v19, 29, v16
	;; [unrolled: 1-line block ×4, first 2 shown]
	v_add_co_u32 v17, s17, v17, -1
	s_wait_alu 0xf1ff
	v_cndmask_b32_e64 v21, 0, 1, s17
	v_not_b32_e32 v76, v18
	v_cmp_gt_i32_e64 s18, 0, v18
	v_not_b32_e32 v18, v19
	v_lshlrev_b32_e32 v23, 26, v16
	v_cmp_ne_u32_e64 s17, 0, v21
	v_ashrrev_i32_e32 v76, 31, v76
	v_lshlrev_b32_e32 v75, 25, v16
	v_ashrrev_i32_e32 v18, 31, v18
	v_lshlrev_b32_e32 v21, 24, v16
	s_wait_alu 0xf1ff
	v_xor_b32_e32 v17, s17, v17
	v_cmp_gt_i32_e64 s17, 0, v19
	v_not_b32_e32 v19, v20
	v_xor_b32_e32 v76, s18, v76
	v_cmp_gt_i32_e64 s18, 0, v20
	v_and_b32_e32 v17, exec_lo, v17
	v_not_b32_e32 v20, v22
	v_ashrrev_i32_e32 v19, 31, v19
	s_wait_alu 0xf1ff
	v_xor_b32_e32 v18, s17, v18
	v_cmp_gt_i32_e64 s17, 0, v22
	v_and_b32_e32 v17, v17, v76
	v_not_b32_e32 v22, v23
	v_ashrrev_i32_e32 v20, 31, v20
	v_xor_b32_e32 v19, s18, v19
	v_cmp_gt_i32_e64 s18, 0, v23
	v_and_b32_e32 v17, v17, v18
	v_not_b32_e32 v18, v75
	v_ashrrev_i32_e32 v22, 31, v22
	s_wait_alu 0xf1ff
	v_xor_b32_e32 v20, s17, v20
	v_cmp_gt_i32_e64 s17, 0, v75
	v_and_b32_e32 v17, v17, v19
	v_not_b32_e32 v19, v21
	v_ashrrev_i32_e32 v18, 31, v18
	v_xor_b32_e32 v22, s18, v22
	v_cmp_gt_i32_e64 s18, 0, v21
	v_and_b32_e32 v17, v17, v20
	v_ashrrev_i32_e32 v19, 31, v19
	s_wait_alu 0xf1ff
	v_xor_b32_e32 v18, s17, v18
	v_lshl_add_u32 v77, v16, 6, v24
	v_and_b32_e32 v17, v17, v22
	v_xor_b32_e32 v16, s18, v19
	ds_load_b32 v75, v77 offset:64
	v_and_b32_e32 v17, v17, v18
	; wave barrier
	s_delay_alu instid0(VALU_DEP_1) | instskip(NEXT) | instid1(VALU_DEP_1)
	v_and_b32_e32 v16, v17, v16
	v_mbcnt_lo_u32_b32 v76, v16, 0
	v_cmp_ne_u32_e64 s18, 0, v16
	s_delay_alu instid0(VALU_DEP_2)
	v_cmp_eq_u32_e64 s17, 0, v76
	s_and_b32 s18, s18, s17
	s_wait_alu 0xfffe
	s_and_saveexec_b32 s17, s18
	s_cbranch_execz .LBB255_133
; %bb.132:
	s_wait_dscnt 0x0
	v_bcnt_u32_b32 v16, v16, v75
	ds_store_b32 v77, v16 offset:64
.LBB255_133:
	s_wait_alu 0xfffe
	s_or_b32 exec_lo, exec_lo, s17
	v_lshrrev_b16 v16, 8, v25
	v_cmp_ne_u16_e64 s17, 0x8000, v25
	; wave barrier
	s_wait_alu 0xf1ff
	s_delay_alu instid0(VALU_DEP_1) | instskip(NEXT) | instid1(VALU_DEP_1)
	v_cndmask_b32_e64 v16, 0x7f, v16, s17
	v_and_b32_e32 v16, s19, v16
	s_delay_alu instid0(VALU_DEP_1)
	v_and_b32_e32 v17, 1, v16
	v_lshlrev_b32_e32 v18, 30, v16
	v_lshlrev_b32_e32 v19, 29, v16
	;; [unrolled: 1-line block ×4, first 2 shown]
	v_add_co_u32 v17, s17, v17, -1
	s_wait_alu 0xf1ff
	v_cndmask_b32_e64 v21, 0, 1, s17
	v_not_b32_e32 v79, v18
	v_cmp_gt_i32_e64 s18, 0, v18
	v_not_b32_e32 v18, v19
	v_lshlrev_b32_e32 v23, 26, v16
	v_cmp_ne_u32_e64 s17, 0, v21
	v_ashrrev_i32_e32 v79, 31, v79
	v_lshlrev_b32_e32 v78, 25, v16
	v_ashrrev_i32_e32 v18, 31, v18
	v_lshlrev_b32_e32 v21, 24, v16
	s_wait_alu 0xf1ff
	v_xor_b32_e32 v17, s17, v17
	v_cmp_gt_i32_e64 s17, 0, v19
	v_not_b32_e32 v19, v20
	v_xor_b32_e32 v79, s18, v79
	v_cmp_gt_i32_e64 s18, 0, v20
	v_and_b32_e32 v17, exec_lo, v17
	v_not_b32_e32 v20, v22
	v_ashrrev_i32_e32 v19, 31, v19
	s_wait_alu 0xf1ff
	v_xor_b32_e32 v18, s17, v18
	v_cmp_gt_i32_e64 s17, 0, v22
	v_and_b32_e32 v17, v17, v79
	v_not_b32_e32 v22, v23
	v_ashrrev_i32_e32 v20, 31, v20
	v_xor_b32_e32 v19, s18, v19
	v_cmp_gt_i32_e64 s18, 0, v23
	v_and_b32_e32 v17, v17, v18
	v_not_b32_e32 v18, v78
	v_ashrrev_i32_e32 v22, 31, v22
	s_wait_alu 0xf1ff
	v_xor_b32_e32 v20, s17, v20
	v_cmp_gt_i32_e64 s17, 0, v78
	v_and_b32_e32 v17, v17, v19
	v_not_b32_e32 v19, v21
	v_ashrrev_i32_e32 v18, 31, v18
	v_xor_b32_e32 v22, s18, v22
	v_cmp_gt_i32_e64 s18, 0, v21
	v_and_b32_e32 v17, v17, v20
	v_ashrrev_i32_e32 v19, 31, v19
	s_wait_alu 0xf1ff
	v_xor_b32_e32 v18, s17, v18
	v_lshl_add_u32 v79, v16, 6, v24
	v_and_b32_e32 v17, v17, v22
	v_xor_b32_e32 v16, s18, v19
	ds_load_b32 v24, v79 offset:64
	v_and_b32_e32 v17, v17, v18
	; wave barrier
	s_delay_alu instid0(VALU_DEP_1) | instskip(NEXT) | instid1(VALU_DEP_1)
	v_and_b32_e32 v16, v17, v16
	v_mbcnt_lo_u32_b32 v78, v16, 0
	v_cmp_ne_u32_e64 s18, 0, v16
	s_delay_alu instid0(VALU_DEP_2)
	v_cmp_eq_u32_e64 s17, 0, v78
	s_and_b32 s18, s18, s17
	s_wait_alu 0xfffe
	s_and_saveexec_b32 s17, s18
	s_cbranch_execz .LBB255_135
; %bb.134:
	s_wait_dscnt 0x0
	v_bcnt_u32_b32 v16, v16, v24
	ds_store_b32 v79, v16 offset:64
.LBB255_135:
	s_wait_alu 0xfffe
	s_or_b32 exec_lo, exec_lo, s17
	; wave barrier
	s_wait_loadcnt_dscnt 0x0
	s_barrier_signal -1
	s_barrier_wait -1
	global_inv scope:SCOPE_SE
	ds_load_b128 v[20:23], v65 offset:64
	ds_load_b128 v[16:19], v65 offset:80
	s_wait_dscnt 0x1
	v_add_nc_u32_e32 v80, v21, v20
	s_delay_alu instid0(VALU_DEP_1) | instskip(SKIP_1) | instid1(VALU_DEP_1)
	v_add3_u32 v80, v80, v22, v23
	s_wait_dscnt 0x0
	v_add3_u32 v80, v80, v16, v17
	s_delay_alu instid0(VALU_DEP_1) | instskip(NEXT) | instid1(VALU_DEP_1)
	v_add3_u32 v19, v80, v18, v19
	v_mov_b32_dpp v80, v19 row_shr:1 row_mask:0xf bank_mask:0xf
	s_delay_alu instid0(VALU_DEP_1) | instskip(NEXT) | instid1(VALU_DEP_1)
	v_cndmask_b32_e64 v80, v80, 0, vcc_lo
	v_add_nc_u32_e32 v19, v80, v19
	s_delay_alu instid0(VALU_DEP_1) | instskip(NEXT) | instid1(VALU_DEP_1)
	v_mov_b32_dpp v80, v19 row_shr:2 row_mask:0xf bank_mask:0xf
	v_cndmask_b32_e64 v80, 0, v80, s0
	s_delay_alu instid0(VALU_DEP_1) | instskip(NEXT) | instid1(VALU_DEP_1)
	v_add_nc_u32_e32 v19, v19, v80
	v_mov_b32_dpp v80, v19 row_shr:4 row_mask:0xf bank_mask:0xf
	s_delay_alu instid0(VALU_DEP_1) | instskip(NEXT) | instid1(VALU_DEP_1)
	v_cndmask_b32_e64 v80, 0, v80, s1
	v_add_nc_u32_e32 v19, v19, v80
	s_delay_alu instid0(VALU_DEP_1) | instskip(NEXT) | instid1(VALU_DEP_1)
	v_mov_b32_dpp v80, v19 row_shr:8 row_mask:0xf bank_mask:0xf
	v_cndmask_b32_e64 v80, 0, v80, s10
	s_delay_alu instid0(VALU_DEP_1) | instskip(SKIP_3) | instid1(VALU_DEP_1)
	v_add_nc_u32_e32 v19, v19, v80
	ds_swizzle_b32 v80, v19 offset:swizzle(BROADCAST,32,15)
	s_wait_dscnt 0x0
	v_cndmask_b32_e64 v80, v80, 0, s15
	v_add_nc_u32_e32 v19, v19, v80
	s_and_saveexec_b32 s15, s13
; %bb.136:
	ds_store_b32 v35, v19
; %bb.137:
	s_wait_alu 0xfffe
	s_or_b32 exec_lo, exec_lo, s15
	s_wait_loadcnt_dscnt 0x0
	s_barrier_signal -1
	s_barrier_wait -1
	global_inv scope:SCOPE_SE
	s_and_saveexec_b32 s13, s12
	s_cbranch_execz .LBB255_139
; %bb.138:
	ds_load_b32 v35, v34
	s_wait_dscnt 0x0
	v_mov_b32_dpp v80, v35 row_shr:1 row_mask:0xf bank_mask:0xf
	s_delay_alu instid0(VALU_DEP_1) | instskip(NEXT) | instid1(VALU_DEP_1)
	v_cndmask_b32_e64 v80, v80, 0, vcc_lo
	v_add_nc_u32_e32 v35, v80, v35
	s_delay_alu instid0(VALU_DEP_1) | instskip(NEXT) | instid1(VALU_DEP_1)
	v_mov_b32_dpp v80, v35 row_shr:2 row_mask:0xf bank_mask:0xf
	v_cndmask_b32_e64 v80, 0, v80, s0
	s_delay_alu instid0(VALU_DEP_1) | instskip(NEXT) | instid1(VALU_DEP_1)
	v_add_nc_u32_e32 v35, v35, v80
	v_mov_b32_dpp v80, v35 row_shr:4 row_mask:0xf bank_mask:0xf
	s_delay_alu instid0(VALU_DEP_1) | instskip(NEXT) | instid1(VALU_DEP_1)
	v_cndmask_b32_e64 v80, 0, v80, s1
	v_add_nc_u32_e32 v35, v35, v80
	s_delay_alu instid0(VALU_DEP_1) | instskip(NEXT) | instid1(VALU_DEP_1)
	v_mov_b32_dpp v80, v35 row_shr:8 row_mask:0xf bank_mask:0xf
	v_cndmask_b32_e64 v80, 0, v80, s10
	s_delay_alu instid0(VALU_DEP_1)
	v_add_nc_u32_e32 v35, v35, v80
	ds_store_b32 v34, v35
.LBB255_139:
	s_wait_alu 0xfffe
	s_or_b32 exec_lo, exec_lo, s13
	v_mov_b32_e32 v34, 0
	s_wait_loadcnt_dscnt 0x0
	s_barrier_signal -1
	s_barrier_wait -1
	global_inv scope:SCOPE_SE
	s_and_saveexec_b32 s0, s14
; %bb.140:
	ds_load_b32 v34, v36
; %bb.141:
	s_wait_alu 0xfffe
	s_or_b32 exec_lo, exec_lo, s0
	s_wait_dscnt 0x0
	v_add_nc_u32_e32 v19, v34, v19
	ds_bpermute_b32 v19, v37, v19
	s_wait_dscnt 0x0
	v_cndmask_b32_e64 v19, v19, v34, s11
	s_delay_alu instid0(VALU_DEP_1) | instskip(NEXT) | instid1(VALU_DEP_1)
	v_cndmask_b32_e64 v19, v19, 0, s16
	v_add_nc_u32_e32 v20, v19, v20
	s_delay_alu instid0(VALU_DEP_1) | instskip(NEXT) | instid1(VALU_DEP_1)
	v_add_nc_u32_e32 v21, v20, v21
	v_add_nc_u32_e32 v22, v21, v22
	s_delay_alu instid0(VALU_DEP_1) | instskip(NEXT) | instid1(VALU_DEP_1)
	v_add_nc_u32_e32 v34, v22, v23
	v_add_nc_u32_e32 v35, v34, v16
	s_delay_alu instid0(VALU_DEP_1) | instskip(NEXT) | instid1(VALU_DEP_1)
	v_add_nc_u32_e32 v36, v35, v17
	v_add_nc_u32_e32 v37, v36, v18
	ds_store_b128 v65, v[19:22] offset:64
	ds_store_b128 v65, v[34:37] offset:80
	s_wait_loadcnt_dscnt 0x0
	s_barrier_signal -1
	s_barrier_wait -1
	global_inv scope:SCOPE_SE
	ds_load_b32 v16, v79 offset:64
	ds_load_b32 v17, v77 offset:64
	;; [unrolled: 1-line block ×8, first 2 shown]
	s_wait_loadcnt_dscnt 0x0
	s_barrier_signal -1
	s_barrier_wait -1
	global_inv scope:SCOPE_SE
	v_lshlrev_b32_e32 v34, 1, v64
	s_delay_alu instid0(VALU_DEP_1)
	v_mad_u32_u24 v37, v41, 48, v34
	v_add3_u32 v35, v78, v24, v16
	v_add3_u32 v36, v76, v75, v17
	;; [unrolled: 1-line block ×3, first 2 shown]
	v_add_nc_u32_e32 v24, v19, v33
	v_add3_u32 v33, v40, v39, v20
	v_add3_u32 v39, v44, v43, v21
	v_add3_u32 v40, v67, v66, v22
	v_add3_u32 v42, v70, v69, v23
	v_lshlrev_b32_e32 v16, 1, v24
	v_lshlrev_b32_e32 v17, 1, v33
	;; [unrolled: 1-line block ×8, first 2 shown]
	ds_store_b16 v16, v26
	ds_store_b16 v17, v27
	;; [unrolled: 1-line block ×8, first 2 shown]
	v_mad_co_u64_u32 v[24:25], null, v24, 6, v[16:17]
	v_mad_co_u64_u32 v[16:17], null, v33, 6, v[17:18]
	;; [unrolled: 1-line block ×7, first 2 shown]
	s_wait_loadcnt_dscnt 0x0
	s_barrier_signal -1
	s_barrier_wait -1
	global_inv scope:SCOPE_SE
	v_mad_co_u64_u32 v[22:23], null, v35, 6, v[23:24]
	ds_load_b128 v[33:36], v34
	s_wait_loadcnt_dscnt 0x0
	s_barrier_signal -1
	s_barrier_wait -1
	global_inv scope:SCOPE_SE
	ds_store_b64 v24, v[4:5]
	ds_store_b64 v16, v[6:7]
	;; [unrolled: 1-line block ×8, first 2 shown]
	s_wait_loadcnt_dscnt 0x0
	s_barrier_signal -1
	s_barrier_wait -1
	global_inv scope:SCOPE_SE
	ds_load_b128 v[29:32], v37
	ds_load_b128 v[25:28], v37 offset:16
	ds_load_b128 v[21:24], v37 offset:32
	;; [unrolled: 1-line block ×3, first 2 shown]
	v_cmp_gt_i16_e32 vcc_lo, 0, v33
	v_lshrrev_b32_e32 v0, 16, v33
	v_lshrrev_b32_e32 v2, 16, v34
	v_lshrrev_b32_e32 v4, 16, v35
	v_lshrrev_b32_e32 v6, 16, v36
	s_wait_alu 0xfffd
	v_cndmask_b32_e64 v1, 0x7fff, 0, vcc_lo
	v_cmp_gt_i16_e32 vcc_lo, 0, v34
	s_wait_alu 0xfffd
	v_cndmask_b32_e64 v3, 0x7fff, 0, vcc_lo
	v_cmp_gt_i16_e32 vcc_lo, 0, v35
	;; [unrolled: 3-line block ×5, first 2 shown]
	s_delay_alu instid0(VALU_DEP_2) | instskip(SKIP_3) | instid1(VALU_DEP_3)
	v_perm_b32 v0, v0, v1, 0x5040100
	s_wait_alu 0xfffd
	v_cndmask_b32_e64 v2, 0x7fff, 0, vcc_lo
	v_cmp_gt_i16_e32 vcc_lo, 0, v4
	v_xor_b32_e32 v0, v0, v33
	s_delay_alu instid0(VALU_DEP_3) | instskip(SKIP_3) | instid1(VALU_DEP_3)
	v_perm_b32 v1, v2, v3, 0x5040100
	s_wait_alu 0xfffd
	v_cndmask_b32_e64 v4, 0x7fff, 0, vcc_lo
	v_cmp_gt_i16_e32 vcc_lo, 0, v6
	v_xor_b32_e32 v34, v1, v34
	s_delay_alu instid0(VALU_DEP_3) | instskip(SKIP_2) | instid1(VALU_DEP_2)
	v_perm_b32 v2, v4, v5, 0x5040100
	s_wait_alu 0xfffd
	v_cndmask_b32_e64 v6, 0x7fff, 0, vcc_lo
	v_xor_b32_e32 v33, v2, v35
	s_delay_alu instid0(VALU_DEP_2) | instskip(NEXT) | instid1(VALU_DEP_1)
	v_perm_b32 v3, v6, v7, 0x5040100
	v_xor_b32_e32 v35, v3, v36
.LBB255_142:
	v_mad_co_u64_u32 v[9:10], null, s24, v41, 0
	s_wait_loadcnt_dscnt 0x0
	s_barrier_signal -1
	s_barrier_wait -1
	global_inv scope:SCOPE_SE
	ds_store_2addr_b32 v54, v0, v34 offset1:1
	ds_store_2addr_b32 v54, v33, v35 offset0:2 offset1:3
	s_wait_loadcnt_dscnt 0x0
	v_mov_b32_e32 v0, v10
	s_barrier_signal -1
	s_barrier_wait -1
	global_inv scope:SCOPE_SE
	ds_load_u16 v8, v47 offset:1024
	ds_load_u16 v7, v48 offset:2048
	;; [unrolled: 1-line block ×7, first 2 shown]
	v_mad_co_u64_u32 v[0:1], null, s25, v41, v[0:1]
	s_delay_alu instid0(VALU_DEP_1) | instskip(NEXT) | instid1(VALU_DEP_1)
	v_mov_b32_e32 v10, v0
	v_lshlrev_b64_e32 v[0:1], 1, v[9:10]
	s_delay_alu instid0(VALU_DEP_1) | instskip(SKIP_1) | instid1(VALU_DEP_2)
	v_add_co_u32 v0, vcc_lo, s28, v0
	s_wait_alu 0xfffd
	v_add_co_ci_u32_e64 v1, null, s29, v1, vcc_lo
	s_and_saveexec_b32 s0, s2
	s_cbranch_execnz .LBB255_161
; %bb.143:
	s_wait_alu 0xfffe
	s_or_b32 exec_lo, exec_lo, s0
	s_and_saveexec_b32 s0, s3
	s_cbranch_execnz .LBB255_162
.LBB255_144:
	s_wait_alu 0xfffe
	s_or_b32 exec_lo, exec_lo, s0
	s_and_saveexec_b32 s0, s4
	s_cbranch_execnz .LBB255_163
.LBB255_145:
	s_wait_alu 0xfffe
	s_or_b32 exec_lo, exec_lo, s0
	s_and_saveexec_b32 s0, s5
	s_cbranch_execnz .LBB255_164
.LBB255_146:
	s_wait_alu 0xfffe
	s_or_b32 exec_lo, exec_lo, s0
	s_and_saveexec_b32 s0, s6
	s_cbranch_execnz .LBB255_165
.LBB255_147:
	s_wait_alu 0xfffe
	s_or_b32 exec_lo, exec_lo, s0
	s_and_saveexec_b32 s0, s7
	s_cbranch_execnz .LBB255_166
.LBB255_148:
	s_wait_alu 0xfffe
	s_or_b32 exec_lo, exec_lo, s0
	s_and_saveexec_b32 s0, s8
	s_cbranch_execnz .LBB255_167
.LBB255_149:
	s_wait_alu 0xfffe
	s_or_b32 exec_lo, exec_lo, s0
	s_and_saveexec_b32 s0, s9
	s_cbranch_execz .LBB255_151
.LBB255_150:
	v_mad_co_u64_u32 v[0:1], null, 0x1c00, s24, v[0:1]
	s_wait_dscnt 0x0
	s_delay_alu instid0(VALU_DEP_1) | instskip(NEXT) | instid1(VALU_DEP_1)
	v_mad_co_u64_u32 v[3:4], null, 0x1c00, s25, v[1:2]
	v_mov_b32_e32 v1, v3
	global_store_b16 v[0:1], v2, off
.LBB255_151:
	s_wait_alu 0xfffe
	s_or_b32 exec_lo, exec_lo, s0
	s_wait_dscnt 0x0
	v_mad_co_u64_u32 v[2:3], null, s26, v41, 0
	s_wait_loadcnt 0x0
	s_wait_storecnt 0x0
	s_barrier_signal -1
	s_barrier_wait -1
	global_inv scope:SCOPE_SE
	ds_store_2addr_b64 v63, v[29:30], v[31:32] offset1:1
	ds_store_2addr_b64 v63, v[25:26], v[27:28] offset0:2 offset1:3
	ds_store_2addr_b64 v63, v[21:22], v[23:24] offset0:4 offset1:5
	;; [unrolled: 1-line block ×3, first 2 shown]
	s_wait_loadcnt_dscnt 0x0
	v_mov_b32_e32 v0, v3
	s_barrier_signal -1
	s_barrier_wait -1
	global_inv scope:SCOPE_SE
	v_mad_co_u64_u32 v[3:4], null, s27, v41, v[0:1]
	ds_load_b64 v[14:15], v56 offset:4096
	ds_load_b64 v[12:13], v57 offset:8192
	;; [unrolled: 1-line block ×7, first 2 shown]
	v_lshlrev_b64_e32 v[2:3], 3, v[2:3]
	s_delay_alu instid0(VALU_DEP_1) | instskip(SKIP_1) | instid1(VALU_DEP_2)
	v_add_co_u32 v2, vcc_lo, s30, v2
	s_wait_alu 0xfffd
	v_add_co_ci_u32_e64 v3, null, s31, v3, vcc_lo
	s_and_saveexec_b32 s0, s2
	s_cbranch_execnz .LBB255_168
; %bb.152:
	s_wait_alu 0xfffe
	s_or_b32 exec_lo, exec_lo, s0
	s_and_saveexec_b32 s0, s3
	s_cbranch_execnz .LBB255_169
.LBB255_153:
	s_wait_alu 0xfffe
	s_or_b32 exec_lo, exec_lo, s0
	s_and_saveexec_b32 s0, s4
	s_cbranch_execnz .LBB255_170
.LBB255_154:
	s_wait_alu 0xfffe
	s_or_b32 exec_lo, exec_lo, s0
	s_and_saveexec_b32 s0, s5
	s_cbranch_execnz .LBB255_171
.LBB255_155:
	s_wait_alu 0xfffe
	s_or_b32 exec_lo, exec_lo, s0
	s_and_saveexec_b32 s0, s6
	s_cbranch_execnz .LBB255_172
.LBB255_156:
	s_wait_alu 0xfffe
	s_or_b32 exec_lo, exec_lo, s0
	s_and_saveexec_b32 s0, s7
	s_cbranch_execnz .LBB255_173
.LBB255_157:
	s_wait_alu 0xfffe
	s_or_b32 exec_lo, exec_lo, s0
	s_and_saveexec_b32 s0, s8
	s_cbranch_execnz .LBB255_174
.LBB255_158:
	s_wait_alu 0xfffe
	s_or_b32 exec_lo, exec_lo, s0
	s_and_saveexec_b32 s0, s9
	s_cbranch_execz .LBB255_160
.LBB255_159:
	v_mad_co_u64_u32 v[2:3], null, 0x7000, s26, v[2:3]
	s_wait_dscnt 0x1
	s_delay_alu instid0(VALU_DEP_1)
	v_mad_co_u64_u32 v[3:4], null, 0x7000, s27, v[3:4]
	s_wait_dscnt 0x0
	global_store_b64 v[2:3], v[0:1], off
.LBB255_160:
	s_nop 0
	s_sendmsg sendmsg(MSG_DEALLOC_VGPRS)
	s_endpgm
.LBB255_161:
	ds_load_u16 v9, v46
	s_wait_dscnt 0x0
	global_store_b16 v[0:1], v9, off
	s_wait_alu 0xfffe
	s_or_b32 exec_lo, exec_lo, s0
	s_and_saveexec_b32 s0, s3
	s_cbranch_execz .LBB255_144
.LBB255_162:
	s_lshl_b64 s[10:11], s[24:25], 10
	s_wait_alu 0xfffe
	v_add_co_u32 v9, vcc_lo, v0, s10
	s_wait_alu 0xfffd
	v_add_co_ci_u32_e64 v10, null, s11, v1, vcc_lo
	s_wait_dscnt 0x6
	global_store_b16 v[9:10], v8, off
	s_or_b32 exec_lo, exec_lo, s0
	s_and_saveexec_b32 s0, s4
	s_cbranch_execz .LBB255_145
.LBB255_163:
	s_lshl_b64 s[10:11], s[24:25], 11
	s_wait_dscnt 0x6
	s_wait_alu 0xfffe
	v_add_co_u32 v8, vcc_lo, v0, s10
	s_wait_alu 0xfffd
	v_add_co_ci_u32_e64 v9, null, s11, v1, vcc_lo
	s_wait_dscnt 0x5
	global_store_b16 v[8:9], v7, off
	s_or_b32 exec_lo, exec_lo, s0
	s_and_saveexec_b32 s0, s5
	s_cbranch_execz .LBB255_146
.LBB255_164:
	s_wait_dscnt 0x5
	v_mad_co_u64_u32 v[7:8], null, 0xc00, s24, v[0:1]
	s_delay_alu instid0(VALU_DEP_1)
	v_mad_co_u64_u32 v[8:9], null, 0xc00, s25, v[8:9]
	s_wait_dscnt 0x4
	global_store_b16 v[7:8], v6, off
	s_wait_alu 0xfffe
	s_or_b32 exec_lo, exec_lo, s0
	s_and_saveexec_b32 s0, s6
	s_cbranch_execz .LBB255_147
.LBB255_165:
	s_lshl_b64 s[10:11], s[24:25], 12
	s_wait_dscnt 0x4
	s_wait_alu 0xfffe
	v_add_co_u32 v6, vcc_lo, v0, s10
	s_wait_alu 0xfffd
	v_add_co_ci_u32_e64 v7, null, s11, v1, vcc_lo
	s_wait_dscnt 0x3
	global_store_b16 v[6:7], v5, off
	s_or_b32 exec_lo, exec_lo, s0
	s_and_saveexec_b32 s0, s7
	s_cbranch_execz .LBB255_148
.LBB255_166:
	s_wait_dscnt 0x3
	v_mad_co_u64_u32 v[5:6], null, 0x1400, s24, v[0:1]
	s_delay_alu instid0(VALU_DEP_1)
	v_mad_co_u64_u32 v[6:7], null, 0x1400, s25, v[6:7]
	s_wait_dscnt 0x2
	global_store_b16 v[5:6], v4, off
	s_wait_alu 0xfffe
	s_or_b32 exec_lo, exec_lo, s0
	s_and_saveexec_b32 s0, s8
	s_cbranch_execz .LBB255_149
.LBB255_167:
	s_wait_dscnt 0x2
	v_mad_co_u64_u32 v[4:5], null, 0x1800, s24, v[0:1]
	s_delay_alu instid0(VALU_DEP_1)
	v_mad_co_u64_u32 v[5:6], null, 0x1800, s25, v[5:6]
	s_wait_dscnt 0x1
	global_store_b16 v[4:5], v3, off
	s_wait_alu 0xfffe
	s_or_b32 exec_lo, exec_lo, s0
	s_and_saveexec_b32 s0, s9
	s_cbranch_execnz .LBB255_150
	s_branch .LBB255_151
.LBB255_168:
	ds_load_b64 v[16:17], v55
	s_wait_dscnt 0x0
	global_store_b64 v[2:3], v[16:17], off
	s_wait_alu 0xfffe
	s_or_b32 exec_lo, exec_lo, s0
	s_and_saveexec_b32 s0, s3
	s_cbranch_execz .LBB255_153
.LBB255_169:
	s_lshl_b64 s[2:3], s[26:27], 12
	s_wait_alu 0xfffe
	v_add_co_u32 v16, vcc_lo, v2, s2
	s_wait_alu 0xfffd
	v_add_co_ci_u32_e64 v17, null, s3, v3, vcc_lo
	s_wait_dscnt 0x6
	global_store_b64 v[16:17], v[14:15], off
	s_or_b32 exec_lo, exec_lo, s0
	s_and_saveexec_b32 s0, s4
	s_cbranch_execz .LBB255_154
.LBB255_170:
	s_lshl_b64 s[2:3], s[26:27], 13
	s_wait_dscnt 0x6
	s_wait_alu 0xfffe
	v_add_co_u32 v14, vcc_lo, v2, s2
	s_wait_alu 0xfffd
	v_add_co_ci_u32_e64 v15, null, s3, v3, vcc_lo
	s_wait_dscnt 0x5
	global_store_b64 v[14:15], v[12:13], off
	s_or_b32 exec_lo, exec_lo, s0
	s_and_saveexec_b32 s0, s5
	s_cbranch_execz .LBB255_155
.LBB255_171:
	s_wait_dscnt 0x5
	v_mad_co_u64_u32 v[12:13], null, 0x3000, s26, v[2:3]
	s_delay_alu instid0(VALU_DEP_1)
	v_mad_co_u64_u32 v[13:14], null, 0x3000, s27, v[13:14]
	s_wait_dscnt 0x4
	global_store_b64 v[12:13], v[10:11], off
	s_wait_alu 0xfffe
	s_or_b32 exec_lo, exec_lo, s0
	s_and_saveexec_b32 s0, s6
	s_cbranch_execz .LBB255_156
.LBB255_172:
	s_lshl_b64 s[2:3], s[26:27], 14
	s_wait_dscnt 0x4
	s_wait_alu 0xfffe
	v_add_co_u32 v10, vcc_lo, v2, s2
	s_wait_alu 0xfffd
	v_add_co_ci_u32_e64 v11, null, s3, v3, vcc_lo
	s_wait_dscnt 0x3
	global_store_b64 v[10:11], v[8:9], off
	s_or_b32 exec_lo, exec_lo, s0
	s_and_saveexec_b32 s0, s7
	s_cbranch_execz .LBB255_157
.LBB255_173:
	s_wait_dscnt 0x3
	v_mad_co_u64_u32 v[8:9], null, 0x5000, s26, v[2:3]
	s_delay_alu instid0(VALU_DEP_1)
	v_mad_co_u64_u32 v[9:10], null, 0x5000, s27, v[9:10]
	s_wait_dscnt 0x2
	global_store_b64 v[8:9], v[6:7], off
	s_wait_alu 0xfffe
	s_or_b32 exec_lo, exec_lo, s0
	s_and_saveexec_b32 s0, s8
	s_cbranch_execz .LBB255_158
.LBB255_174:
	s_wait_dscnt 0x2
	v_mad_co_u64_u32 v[6:7], null, 0x6000, s26, v[2:3]
	s_delay_alu instid0(VALU_DEP_1)
	v_mad_co_u64_u32 v[7:8], null, 0x6000, s27, v[7:8]
	s_wait_dscnt 0x1
	global_store_b64 v[6:7], v[4:5], off
	s_wait_alu 0xfffe
	s_or_b32 exec_lo, exec_lo, s0
	s_and_saveexec_b32 s0, s9
	s_cbranch_execnz .LBB255_159
	s_branch .LBB255_160
	.section	.rodata,"a",@progbits
	.p2align	6, 0x0
	.amdhsa_kernel _ZN2at6native18radixSortKVInPlaceILin1ELin1ELi512ELi8EN3c108BFloat16ElmEEvNS_4cuda6detail10TensorInfoIT3_T5_EES8_S8_S8_NS6_IT4_S8_EES8_b
		.amdhsa_group_segment_fixed_size 33792
		.amdhsa_private_segment_fixed_size 0
		.amdhsa_kernarg_size 1128
		.amdhsa_user_sgpr_count 2
		.amdhsa_user_sgpr_dispatch_ptr 0
		.amdhsa_user_sgpr_queue_ptr 0
		.amdhsa_user_sgpr_kernarg_segment_ptr 1
		.amdhsa_user_sgpr_dispatch_id 0
		.amdhsa_user_sgpr_private_segment_size 0
		.amdhsa_wavefront_size32 1
		.amdhsa_uses_dynamic_stack 0
		.amdhsa_enable_private_segment 0
		.amdhsa_system_sgpr_workgroup_id_x 1
		.amdhsa_system_sgpr_workgroup_id_y 1
		.amdhsa_system_sgpr_workgroup_id_z 1
		.amdhsa_system_sgpr_workgroup_info 0
		.amdhsa_system_vgpr_workitem_id 2
		.amdhsa_next_free_vgpr 111
		.amdhsa_next_free_sgpr 36
		.amdhsa_reserve_vcc 1
		.amdhsa_float_round_mode_32 0
		.amdhsa_float_round_mode_16_64 0
		.amdhsa_float_denorm_mode_32 3
		.amdhsa_float_denorm_mode_16_64 3
		.amdhsa_fp16_overflow 0
		.amdhsa_workgroup_processor_mode 1
		.amdhsa_memory_ordered 1
		.amdhsa_forward_progress 1
		.amdhsa_inst_pref_size 191
		.amdhsa_round_robin_scheduling 0
		.amdhsa_exception_fp_ieee_invalid_op 0
		.amdhsa_exception_fp_denorm_src 0
		.amdhsa_exception_fp_ieee_div_zero 0
		.amdhsa_exception_fp_ieee_overflow 0
		.amdhsa_exception_fp_ieee_underflow 0
		.amdhsa_exception_fp_ieee_inexact 0
		.amdhsa_exception_int_div_zero 0
	.end_amdhsa_kernel
	.section	.text._ZN2at6native18radixSortKVInPlaceILin1ELin1ELi512ELi8EN3c108BFloat16ElmEEvNS_4cuda6detail10TensorInfoIT3_T5_EES8_S8_S8_NS6_IT4_S8_EES8_b,"axG",@progbits,_ZN2at6native18radixSortKVInPlaceILin1ELin1ELi512ELi8EN3c108BFloat16ElmEEvNS_4cuda6detail10TensorInfoIT3_T5_EES8_S8_S8_NS6_IT4_S8_EES8_b,comdat
.Lfunc_end255:
	.size	_ZN2at6native18radixSortKVInPlaceILin1ELin1ELi512ELi8EN3c108BFloat16ElmEEvNS_4cuda6detail10TensorInfoIT3_T5_EES8_S8_S8_NS6_IT4_S8_EES8_b, .Lfunc_end255-_ZN2at6native18radixSortKVInPlaceILin1ELin1ELi512ELi8EN3c108BFloat16ElmEEvNS_4cuda6detail10TensorInfoIT3_T5_EES8_S8_S8_NS6_IT4_S8_EES8_b
                                        ; -- End function
	.set _ZN2at6native18radixSortKVInPlaceILin1ELin1ELi512ELi8EN3c108BFloat16ElmEEvNS_4cuda6detail10TensorInfoIT3_T5_EES8_S8_S8_NS6_IT4_S8_EES8_b.num_vgpr, 111
	.set _ZN2at6native18radixSortKVInPlaceILin1ELin1ELi512ELi8EN3c108BFloat16ElmEEvNS_4cuda6detail10TensorInfoIT3_T5_EES8_S8_S8_NS6_IT4_S8_EES8_b.num_agpr, 0
	.set _ZN2at6native18radixSortKVInPlaceILin1ELin1ELi512ELi8EN3c108BFloat16ElmEEvNS_4cuda6detail10TensorInfoIT3_T5_EES8_S8_S8_NS6_IT4_S8_EES8_b.numbered_sgpr, 36
	.set _ZN2at6native18radixSortKVInPlaceILin1ELin1ELi512ELi8EN3c108BFloat16ElmEEvNS_4cuda6detail10TensorInfoIT3_T5_EES8_S8_S8_NS6_IT4_S8_EES8_b.num_named_barrier, 0
	.set _ZN2at6native18radixSortKVInPlaceILin1ELin1ELi512ELi8EN3c108BFloat16ElmEEvNS_4cuda6detail10TensorInfoIT3_T5_EES8_S8_S8_NS6_IT4_S8_EES8_b.private_seg_size, 0
	.set _ZN2at6native18radixSortKVInPlaceILin1ELin1ELi512ELi8EN3c108BFloat16ElmEEvNS_4cuda6detail10TensorInfoIT3_T5_EES8_S8_S8_NS6_IT4_S8_EES8_b.uses_vcc, 1
	.set _ZN2at6native18radixSortKVInPlaceILin1ELin1ELi512ELi8EN3c108BFloat16ElmEEvNS_4cuda6detail10TensorInfoIT3_T5_EES8_S8_S8_NS6_IT4_S8_EES8_b.uses_flat_scratch, 0
	.set _ZN2at6native18radixSortKVInPlaceILin1ELin1ELi512ELi8EN3c108BFloat16ElmEEvNS_4cuda6detail10TensorInfoIT3_T5_EES8_S8_S8_NS6_IT4_S8_EES8_b.has_dyn_sized_stack, 0
	.set _ZN2at6native18radixSortKVInPlaceILin1ELin1ELi512ELi8EN3c108BFloat16ElmEEvNS_4cuda6detail10TensorInfoIT3_T5_EES8_S8_S8_NS6_IT4_S8_EES8_b.has_recursion, 0
	.set _ZN2at6native18radixSortKVInPlaceILin1ELin1ELi512ELi8EN3c108BFloat16ElmEEvNS_4cuda6detail10TensorInfoIT3_T5_EES8_S8_S8_NS6_IT4_S8_EES8_b.has_indirect_call, 0
	.section	.AMDGPU.csdata,"",@progbits
; Kernel info:
; codeLenInByte = 24436
; TotalNumSgprs: 38
; NumVgprs: 111
; ScratchSize: 0
; MemoryBound: 0
; FloatMode: 240
; IeeeMode: 1
; LDSByteSize: 33792 bytes/workgroup (compile time only)
; SGPRBlocks: 0
; VGPRBlocks: 13
; NumSGPRsForWavesPerEU: 38
; NumVGPRsForWavesPerEU: 111
; Occupancy: 12
; WaveLimiterHint : 1
; COMPUTE_PGM_RSRC2:SCRATCH_EN: 0
; COMPUTE_PGM_RSRC2:USER_SGPR: 2
; COMPUTE_PGM_RSRC2:TRAP_HANDLER: 0
; COMPUTE_PGM_RSRC2:TGID_X_EN: 1
; COMPUTE_PGM_RSRC2:TGID_Y_EN: 1
; COMPUTE_PGM_RSRC2:TGID_Z_EN: 1
; COMPUTE_PGM_RSRC2:TIDIG_COMP_CNT: 2
	.section	.text._ZN2at6native18radixSortKVInPlaceILin1ELin1ELi256ELi8EN3c108BFloat16ElmEEvNS_4cuda6detail10TensorInfoIT3_T5_EES8_S8_S8_NS6_IT4_S8_EES8_b,"axG",@progbits,_ZN2at6native18radixSortKVInPlaceILin1ELin1ELi256ELi8EN3c108BFloat16ElmEEvNS_4cuda6detail10TensorInfoIT3_T5_EES8_S8_S8_NS6_IT4_S8_EES8_b,comdat
	.protected	_ZN2at6native18radixSortKVInPlaceILin1ELin1ELi256ELi8EN3c108BFloat16ElmEEvNS_4cuda6detail10TensorInfoIT3_T5_EES8_S8_S8_NS6_IT4_S8_EES8_b ; -- Begin function _ZN2at6native18radixSortKVInPlaceILin1ELin1ELi256ELi8EN3c108BFloat16ElmEEvNS_4cuda6detail10TensorInfoIT3_T5_EES8_S8_S8_NS6_IT4_S8_EES8_b
	.globl	_ZN2at6native18radixSortKVInPlaceILin1ELin1ELi256ELi8EN3c108BFloat16ElmEEvNS_4cuda6detail10TensorInfoIT3_T5_EES8_S8_S8_NS6_IT4_S8_EES8_b
	.p2align	8
	.type	_ZN2at6native18radixSortKVInPlaceILin1ELin1ELi256ELi8EN3c108BFloat16ElmEEvNS_4cuda6detail10TensorInfoIT3_T5_EES8_S8_S8_NS6_IT4_S8_EES8_b,@function
_ZN2at6native18radixSortKVInPlaceILin1ELin1ELi256ELi8EN3c108BFloat16ElmEEvNS_4cuda6detail10TensorInfoIT3_T5_EES8_S8_S8_NS6_IT4_S8_EES8_b: ; @_ZN2at6native18radixSortKVInPlaceILin1ELin1ELi256ELi8EN3c108BFloat16ElmEEvNS_4cuda6detail10TensorInfoIT3_T5_EES8_S8_S8_NS6_IT4_S8_EES8_b
; %bb.0:
	s_clause 0x1
	s_load_b64 s[2:3], s[0:1], 0x368
	s_load_b128 s[8:11], s[0:1], 0x1a0
	s_lshr_b32 s4, ttmp7, 16
	s_and_b32 s5, ttmp7, 0xffff
	s_wait_kmcnt 0x0
	s_mul_i32 s3, s3, s4
	s_delay_alu instid0(SALU_CYCLE_1) | instskip(NEXT) | instid1(SALU_CYCLE_1)
	s_add_co_i32 s3, s3, s5
	s_mul_i32 s2, s3, s2
	s_mov_b32 s3, 0
	s_add_co_i32 s2, s2, ttmp9
	s_delay_alu instid0(SALU_CYCLE_1)
	v_cmp_le_u64_e64 s4, s[8:9], s[2:3]
	s_and_b32 vcc_lo, exec_lo, s4
	s_cbranch_vccnz .LBB256_160
; %bb.1:
	s_clause 0x1
	s_load_b32 s9, s[0:1], 0x198
	s_load_b64 s[22:23], s[0:1], 0x1b0
	s_mov_b64 s[4:5], 0
	s_mov_b64 s[6:7], s[2:3]
	s_wait_kmcnt 0x0
	s_cmp_lt_i32 s9, 2
	s_cbranch_scc1 .LBB256_9
; %bb.2:
	s_mov_b32 s8, 0
	s_add_co_i32 s4, s9, -1
	s_wait_alu 0xfffe
	s_mov_b32 s5, s8
	s_add_co_i32 s11, s9, 1
	s_lshl_b64 s[4:5], s[4:5], 3
	s_mov_b64 s[14:15], s[2:3]
	s_add_nc_u64 s[6:7], s[0:1], s[4:5]
	s_mov_b64 s[4:5], 0
	s_add_nc_u64 s[12:13], s[6:7], 8
.LBB256_3:                              ; =>This Inner Loop Header: Depth=1
	s_load_b64 s[16:17], s[12:13], 0x0
	s_wait_kmcnt 0x0
	s_or_b64 s[6:7], s[14:15], s[16:17]
	s_wait_alu 0xfffe
	s_mov_b32 s9, s7
                                        ; implicit-def: $sgpr6_sgpr7
	s_wait_alu 0xfffe
	s_cmp_lg_u64 s[8:9], 0
	s_mov_b32 s9, -1
	s_cbranch_scc0 .LBB256_5
; %bb.4:                                ;   in Loop: Header=BB256_3 Depth=1
	s_cvt_f32_u32 s6, s16
	s_cvt_f32_u32 s7, s17
	s_sub_nc_u64 s[18:19], 0, s[16:17]
	s_mov_b32 s21, s8
	s_mov_b32 s27, s8
	s_wait_alu 0xfffe
	s_fmamk_f32 s6, s7, 0x4f800000, s6
	s_wait_alu 0xfffe
	s_delay_alu instid0(SALU_CYCLE_2) | instskip(NEXT) | instid1(TRANS32_DEP_1)
	v_s_rcp_f32 s6, s6
	s_mul_f32 s6, s6, 0x5f7ffffc
	s_wait_alu 0xfffe
	s_delay_alu instid0(SALU_CYCLE_2) | instskip(SKIP_1) | instid1(SALU_CYCLE_2)
	s_mul_f32 s7, s6, 0x2f800000
	s_wait_alu 0xfffe
	s_trunc_f32 s7, s7
	s_wait_alu 0xfffe
	s_delay_alu instid0(SALU_CYCLE_2) | instskip(SKIP_2) | instid1(SALU_CYCLE_1)
	s_fmamk_f32 s6, s7, 0xcf800000, s6
	s_cvt_u32_f32 s7, s7
	s_wait_alu 0xfffe
	s_cvt_u32_f32 s6, s6
	s_wait_alu 0xfffe
	s_delay_alu instid0(SALU_CYCLE_2) | instskip(NEXT) | instid1(SALU_CYCLE_1)
	s_mul_u64 s[24:25], s[18:19], s[6:7]
	s_mul_hi_u32 s29, s6, s25
	s_mul_i32 s28, s6, s25
	s_mul_hi_u32 s20, s6, s24
	s_mul_i32 s26, s7, s24
	s_add_nc_u64 s[20:21], s[20:21], s[28:29]
	s_mul_hi_u32 s9, s7, s24
	s_mul_hi_u32 s30, s7, s25
	s_add_co_u32 s20, s20, s26
	s_wait_alu 0xfffe
	s_add_co_ci_u32 s26, s21, s9
	s_mul_i32 s24, s7, s25
	s_add_co_ci_u32 s25, s30, 0
	s_delay_alu instid0(SALU_CYCLE_1)
	s_add_nc_u64 s[20:21], s[26:27], s[24:25]
	s_mov_b32 s25, s8
	s_add_co_u32 s6, s6, s20
	s_cselect_b32 s9, -1, 0
	s_wait_alu 0xfffe
	s_cmp_lg_u32 s9, 0
	s_add_co_ci_u32 s7, s7, s21
	s_mov_b32 s21, s8
	s_wait_alu 0xfffe
	s_mul_u64 s[18:19], s[18:19], s[6:7]
	s_delay_alu instid0(SALU_CYCLE_1)
	s_mul_hi_u32 s27, s6, s19
	s_mul_i32 s26, s6, s19
	s_mul_hi_u32 s20, s6, s18
	s_mul_i32 s24, s7, s18
	s_add_nc_u64 s[20:21], s[20:21], s[26:27]
	s_mul_hi_u32 s9, s7, s18
	s_mul_hi_u32 s28, s7, s19
	s_mul_i32 s18, s7, s19
	s_add_co_u32 s19, s20, s24
	s_wait_alu 0xfffe
	s_add_co_ci_u32 s24, s21, s9
	s_add_co_ci_u32 s19, s28, 0
	s_mov_b32 s21, s8
	s_add_nc_u64 s[18:19], s[24:25], s[18:19]
	s_delay_alu instid0(SALU_CYCLE_1)
	s_add_co_u32 s6, s6, s18
	s_cselect_b32 s9, -1, 0
	s_wait_alu 0xfffe
	s_mul_hi_u32 s20, s14, s6
	s_cmp_lg_u32 s9, 0
	s_mul_hi_u32 s9, s15, s6
	s_add_co_ci_u32 s18, s7, s19
	s_mul_i32 s19, s15, s6
	s_mul_hi_u32 s7, s14, s18
	s_mul_i32 s6, s14, s18
	s_mul_hi_u32 s26, s15, s18
	s_wait_alu 0xfffe
	s_add_nc_u64 s[6:7], s[20:21], s[6:7]
	s_mul_i32 s18, s15, s18
	s_wait_alu 0xfffe
	s_add_co_u32 s6, s6, s19
	s_add_co_ci_u32 s24, s7, s9
	s_add_co_ci_u32 s19, s26, 0
	s_delay_alu instid0(SALU_CYCLE_1) | instskip(SKIP_2) | instid1(SALU_CYCLE_1)
	s_add_nc_u64 s[6:7], s[24:25], s[18:19]
	s_wait_alu 0xfffe
	s_mul_u64 s[18:19], s[16:17], s[6:7]
	s_sub_co_u32 s9, s14, s18
	s_cselect_b32 s18, -1, 0
	s_sub_co_i32 s20, s15, s19
	s_cmp_lg_u32 s18, 0
	s_sub_co_ci_u32 s20, s20, s17
	s_wait_alu 0xfffe
	s_sub_co_u32 s21, s9, s16
	s_cselect_b32 s24, -1, 0
	s_delay_alu instid0(SALU_CYCLE_1) | instskip(SKIP_1) | instid1(SALU_CYCLE_1)
	s_cmp_lg_u32 s24, 0
	s_sub_co_ci_u32 s20, s20, 0
	s_cmp_ge_u32 s20, s17
	s_cselect_b32 s24, -1, 0
	s_cmp_ge_u32 s21, s16
	s_cselect_b32 s25, -1, 0
	s_cmp_eq_u32 s20, s17
	s_add_nc_u64 s[20:21], s[6:7], 1
	s_cselect_b32 s26, s25, s24
	s_add_nc_u64 s[24:25], s[6:7], 2
	s_cmp_lg_u32 s26, 0
	s_cselect_b32 s20, s24, s20
	s_cselect_b32 s21, s25, s21
	s_cmp_lg_u32 s18, 0
	s_sub_co_ci_u32 s18, s15, s19
	s_delay_alu instid0(SALU_CYCLE_1)
	s_cmp_ge_u32 s18, s17
	s_cselect_b32 s19, -1, 0
	s_cmp_ge_u32 s9, s16
	s_cselect_b32 s9, -1, 0
	s_cmp_eq_u32 s18, s17
	s_wait_alu 0xfffe
	s_cselect_b32 s9, s9, s19
	s_wait_alu 0xfffe
	s_cmp_lg_u32 s9, 0
	s_mov_b32 s9, 0
	s_cselect_b32 s7, s21, s7
	s_cselect_b32 s6, s20, s6
.LBB256_5:                              ;   in Loop: Header=BB256_3 Depth=1
	s_wait_alu 0xfffe
	s_and_not1_b32 vcc_lo, exec_lo, s9
	s_cbranch_vccnz .LBB256_7
; %bb.6:                                ;   in Loop: Header=BB256_3 Depth=1
	v_cvt_f32_u32_e32 v1, s16
	s_sub_co_i32 s7, 0, s16
	s_delay_alu instid0(VALU_DEP_1) | instskip(NEXT) | instid1(TRANS32_DEP_1)
	v_rcp_iflag_f32_e32 v1, v1
	v_mul_f32_e32 v1, 0x4f7ffffe, v1
	s_delay_alu instid0(VALU_DEP_1) | instskip(NEXT) | instid1(VALU_DEP_1)
	v_cvt_u32_f32_e32 v1, v1
	v_readfirstlane_b32 s6, v1
	s_wait_alu 0xfffe
	s_mul_i32 s7, s7, s6
	s_wait_alu 0xfffe
	s_mul_hi_u32 s7, s6, s7
	s_wait_alu 0xfffe
	s_add_co_i32 s6, s6, s7
	s_wait_alu 0xfffe
	s_mul_hi_u32 s6, s14, s6
	s_wait_alu 0xfffe
	s_mul_i32 s7, s6, s16
	s_add_co_i32 s9, s6, 1
	s_wait_alu 0xfffe
	s_sub_co_i32 s7, s14, s7
	s_wait_alu 0xfffe
	s_sub_co_i32 s18, s7, s16
	s_cmp_ge_u32 s7, s16
	s_cselect_b32 s6, s9, s6
	s_cselect_b32 s7, s18, s7
	s_wait_alu 0xfffe
	s_add_co_i32 s9, s6, 1
	s_cmp_ge_u32 s7, s16
	s_mov_b32 s7, s8
	s_wait_alu 0xfffe
	s_cselect_b32 s6, s9, s6
.LBB256_7:                              ;   in Loop: Header=BB256_3 Depth=1
	s_load_b64 s[18:19], s[12:13], 0xc8
	s_mul_u64 s[16:17], s[6:7], s[16:17]
	s_add_co_i32 s11, s11, -1
	s_wait_alu 0xfffe
	s_sub_nc_u64 s[14:15], s[14:15], s[16:17]
	s_cmp_gt_u32 s11, 2
	s_add_nc_u64 s[12:13], s[12:13], -8
	s_wait_kmcnt 0x0
	s_mul_u64 s[14:15], s[18:19], s[14:15]
	s_delay_alu instid0(SALU_CYCLE_1)
	s_add_nc_u64 s[4:5], s[14:15], s[4:5]
	s_cbranch_scc0 .LBB256_9
; %bb.8:                                ;   in Loop: Header=BB256_3 Depth=1
	s_mov_b64 s[14:15], s[6:7]
	s_branch .LBB256_3
.LBB256_9:
	s_load_b32 s9, s[0:1], 0x350
	s_add_nc_u64 s[36:37], s[0:1], 0x368
	s_mov_b64 s[12:13], 0
	s_wait_kmcnt 0x0
	s_cmp_lt_i32 s9, 2
	s_cbranch_scc1 .LBB256_17
; %bb.10:
	s_mov_b32 s8, 0
	s_add_co_i32 s12, s9, -1
	s_wait_alu 0xfffe
	s_mov_b32 s13, s8
	s_add_co_i32 s11, s9, 1
	s_lshl_b64 s[12:13], s[12:13], 3
	s_delay_alu instid0(SALU_CYCLE_1) | instskip(NEXT) | instid1(SALU_CYCLE_1)
	s_add_nc_u64 s[12:13], s[0:1], s[12:13]
	s_add_nc_u64 s[16:17], s[12:13], 0x1c0
	s_mov_b64 s[12:13], 0
.LBB256_11:                             ; =>This Inner Loop Header: Depth=1
	s_load_b64 s[18:19], s[16:17], 0x0
	s_wait_kmcnt 0x0
	s_or_b64 s[14:15], s[2:3], s[18:19]
	s_delay_alu instid0(SALU_CYCLE_1)
	s_mov_b32 s9, s15
                                        ; implicit-def: $sgpr14_sgpr15
	s_wait_alu 0xfffe
	s_cmp_lg_u64 s[8:9], 0
	s_mov_b32 s9, -1
	s_cbranch_scc0 .LBB256_13
; %bb.12:                               ;   in Loop: Header=BB256_11 Depth=1
	s_cvt_f32_u32 s9, s18
	s_cvt_f32_u32 s14, s19
	s_sub_nc_u64 s[20:21], 0, s[18:19]
	s_mov_b32 s25, s8
	s_mov_b32 s29, s8
	s_wait_alu 0xfffe
	s_fmamk_f32 s9, s14, 0x4f800000, s9
	s_wait_alu 0xfffe
	s_delay_alu instid0(SALU_CYCLE_2) | instskip(NEXT) | instid1(TRANS32_DEP_1)
	v_s_rcp_f32 s9, s9
	s_mul_f32 s9, s9, 0x5f7ffffc
	s_wait_alu 0xfffe
	s_delay_alu instid0(SALU_CYCLE_2) | instskip(NEXT) | instid1(SALU_CYCLE_3)
	s_mul_f32 s14, s9, 0x2f800000
	s_trunc_f32 s14, s14
	s_delay_alu instid0(SALU_CYCLE_3) | instskip(SKIP_2) | instid1(SALU_CYCLE_1)
	s_fmamk_f32 s9, s14, 0xcf800000, s9
	s_cvt_u32_f32 s15, s14
	s_wait_alu 0xfffe
	s_cvt_u32_f32 s14, s9
	s_delay_alu instid0(SALU_CYCLE_3) | instskip(NEXT) | instid1(SALU_CYCLE_1)
	s_mul_u64 s[26:27], s[20:21], s[14:15]
	s_mul_hi_u32 s31, s14, s27
	s_mul_i32 s30, s14, s27
	s_mul_hi_u32 s24, s14, s26
	s_mul_i32 s28, s15, s26
	s_add_nc_u64 s[24:25], s[24:25], s[30:31]
	s_mul_hi_u32 s9, s15, s26
	s_mul_hi_u32 s33, s15, s27
	s_add_co_u32 s24, s24, s28
	s_wait_alu 0xfffe
	s_add_co_ci_u32 s28, s25, s9
	s_mul_i32 s26, s15, s27
	s_add_co_ci_u32 s27, s33, 0
	s_delay_alu instid0(SALU_CYCLE_1)
	s_add_nc_u64 s[24:25], s[28:29], s[26:27]
	s_mov_b32 s27, s8
	s_add_co_u32 s14, s14, s24
	s_cselect_b32 s9, -1, 0
	s_wait_alu 0xfffe
	s_cmp_lg_u32 s9, 0
	s_add_co_ci_u32 s15, s15, s25
	s_mov_b32 s25, s8
	s_mul_u64 s[20:21], s[20:21], s[14:15]
	s_delay_alu instid0(SALU_CYCLE_1)
	s_mul_hi_u32 s29, s14, s21
	s_mul_i32 s28, s14, s21
	s_mul_hi_u32 s24, s14, s20
	s_mul_i32 s26, s15, s20
	s_add_nc_u64 s[24:25], s[24:25], s[28:29]
	s_mul_hi_u32 s9, s15, s20
	s_mul_hi_u32 s30, s15, s21
	s_mul_i32 s20, s15, s21
	s_add_co_u32 s21, s24, s26
	s_wait_alu 0xfffe
	s_add_co_ci_u32 s26, s25, s9
	s_add_co_ci_u32 s21, s30, 0
	s_mov_b32 s25, s8
	s_add_nc_u64 s[20:21], s[26:27], s[20:21]
	s_delay_alu instid0(SALU_CYCLE_1)
	s_add_co_u32 s9, s14, s20
	s_cselect_b32 s14, -1, 0
	s_wait_alu 0xfffe
	s_mul_hi_u32 s24, s2, s9
	s_cmp_lg_u32 s14, 0
	s_mul_hi_u32 s26, s3, s9
	s_add_co_ci_u32 s20, s15, s21
	s_mul_i32 s9, s3, s9
	s_mul_hi_u32 s15, s2, s20
	s_mul_i32 s14, s2, s20
	s_mul_hi_u32 s21, s3, s20
	s_add_nc_u64 s[14:15], s[24:25], s[14:15]
	s_mul_i32 s20, s3, s20
	s_wait_alu 0xfffe
	s_add_co_u32 s9, s14, s9
	s_add_co_ci_u32 s26, s15, s26
	s_add_co_ci_u32 s21, s21, 0
	s_delay_alu instid0(SALU_CYCLE_1) | instskip(NEXT) | instid1(SALU_CYCLE_1)
	s_add_nc_u64 s[14:15], s[26:27], s[20:21]
	s_mul_u64 s[20:21], s[18:19], s[14:15]
	s_delay_alu instid0(SALU_CYCLE_1)
	s_sub_co_u32 s9, s2, s20
	s_cselect_b32 s20, -1, 0
	s_sub_co_i32 s24, s3, s21
	s_cmp_lg_u32 s20, 0
	s_sub_co_ci_u32 s24, s24, s19
	s_wait_alu 0xfffe
	s_sub_co_u32 s25, s9, s18
	s_cselect_b32 s26, -1, 0
	s_delay_alu instid0(SALU_CYCLE_1) | instskip(SKIP_1) | instid1(SALU_CYCLE_1)
	s_cmp_lg_u32 s26, 0
	s_sub_co_ci_u32 s24, s24, 0
	s_cmp_ge_u32 s24, s19
	s_cselect_b32 s26, -1, 0
	s_cmp_ge_u32 s25, s18
	s_cselect_b32 s27, -1, 0
	s_cmp_eq_u32 s24, s19
	s_add_nc_u64 s[24:25], s[14:15], 1
	s_cselect_b32 s28, s27, s26
	s_add_nc_u64 s[26:27], s[14:15], 2
	s_cmp_lg_u32 s28, 0
	s_cselect_b32 s24, s26, s24
	s_cselect_b32 s25, s27, s25
	s_cmp_lg_u32 s20, 0
	s_sub_co_ci_u32 s20, s3, s21
	s_delay_alu instid0(SALU_CYCLE_1)
	s_cmp_ge_u32 s20, s19
	s_cselect_b32 s21, -1, 0
	s_cmp_ge_u32 s9, s18
	s_cselect_b32 s9, -1, 0
	s_cmp_eq_u32 s20, s19
	s_wait_alu 0xfffe
	s_cselect_b32 s9, s9, s21
	s_wait_alu 0xfffe
	s_cmp_lg_u32 s9, 0
	s_mov_b32 s9, 0
	s_cselect_b32 s15, s25, s15
	s_cselect_b32 s14, s24, s14
.LBB256_13:                             ;   in Loop: Header=BB256_11 Depth=1
	s_wait_alu 0xfffe
	s_and_not1_b32 vcc_lo, exec_lo, s9
	s_cbranch_vccnz .LBB256_15
; %bb.14:                               ;   in Loop: Header=BB256_11 Depth=1
	v_cvt_f32_u32_e32 v1, s18
	s_sub_co_i32 s14, 0, s18
	s_delay_alu instid0(VALU_DEP_1) | instskip(NEXT) | instid1(TRANS32_DEP_1)
	v_rcp_iflag_f32_e32 v1, v1
	v_mul_f32_e32 v1, 0x4f7ffffe, v1
	s_delay_alu instid0(VALU_DEP_1) | instskip(NEXT) | instid1(VALU_DEP_1)
	v_cvt_u32_f32_e32 v1, v1
	v_readfirstlane_b32 s9, v1
	s_mul_i32 s14, s14, s9
	s_delay_alu instid0(SALU_CYCLE_1) | instskip(NEXT) | instid1(SALU_CYCLE_1)
	s_mul_hi_u32 s14, s9, s14
	s_add_co_i32 s9, s9, s14
	s_wait_alu 0xfffe
	s_mul_hi_u32 s9, s2, s9
	s_wait_alu 0xfffe
	s_mul_i32 s14, s9, s18
	s_add_co_i32 s15, s9, 1
	s_sub_co_i32 s14, s2, s14
	s_delay_alu instid0(SALU_CYCLE_1)
	s_sub_co_i32 s20, s14, s18
	s_cmp_ge_u32 s14, s18
	s_cselect_b32 s9, s15, s9
	s_cselect_b32 s14, s20, s14
	s_wait_alu 0xfffe
	s_add_co_i32 s15, s9, 1
	s_cmp_ge_u32 s14, s18
	s_cselect_b32 s14, s15, s9
	s_mov_b32 s15, s8
.LBB256_15:                             ;   in Loop: Header=BB256_11 Depth=1
	s_load_b64 s[20:21], s[16:17], 0xc8
	s_mul_u64 s[18:19], s[14:15], s[18:19]
	s_add_co_i32 s11, s11, -1
	s_wait_alu 0xfffe
	s_sub_nc_u64 s[2:3], s[2:3], s[18:19]
	s_cmp_gt_u32 s11, 2
	s_add_nc_u64 s[16:17], s[16:17], -8
	s_wait_kmcnt 0x0
	s_wait_alu 0xfffe
	s_mul_u64 s[2:3], s[20:21], s[2:3]
	s_wait_alu 0xfffe
	s_add_nc_u64 s[12:13], s[2:3], s[12:13]
	s_cbranch_scc0 .LBB256_18
; %bb.16:                               ;   in Loop: Header=BB256_11 Depth=1
	s_mov_b64 s[2:3], s[14:15]
	s_branch .LBB256_11
.LBB256_17:
	s_mov_b64 s[14:15], s[2:3]
.LBB256_18:
	s_clause 0x2
	s_load_b64 s[2:3], s[0:1], 0xd0
	s_load_b32 s11, s[0:1], 0x360
	s_load_b64 s[8:9], s[0:1], 0x0
	v_and_b32_e32 v41, 0x3ff, v0
	s_wait_kmcnt 0x0
	s_mul_u64 s[2:3], s[2:3], s[6:7]
	s_bitcmp1_b32 s11, 0
	s_mov_b32 s6, 0xffff
	s_cselect_b32 s11, -1, 0
	s_delay_alu instid0(SALU_CYCLE_1)
	s_and_b32 s7, s11, exec_lo
	s_wait_alu 0xfffe
	s_cselect_b32 s20, s6, 0x7fff
	s_lshl_b64 s[6:7], s[2:3], 1
	v_cmp_gt_u32_e64 s2, s10, v41
	v_mov_b32_e32 v1, s20
	s_wait_alu 0xfffe
	s_add_nc_u64 s[6:7], s[8:9], s[6:7]
	s_lshl_b64 s[4:5], s[4:5], 1
	s_wait_alu 0xfffe
	s_add_nc_u64 s[30:31], s[6:7], s[4:5]
	s_and_saveexec_b32 s3, s2
	s_cbranch_execz .LBB256_20
; %bb.19:
	v_mad_co_u64_u32 v[1:2], null, s22, v41, 0
	s_delay_alu instid0(VALU_DEP_1) | instskip(NEXT) | instid1(VALU_DEP_1)
	v_mad_co_u64_u32 v[2:3], null, s23, v41, v[2:3]
	v_lshlrev_b64_e32 v[1:2], 1, v[1:2]
	s_delay_alu instid0(VALU_DEP_1) | instskip(NEXT) | instid1(VALU_DEP_1)
	v_add_co_u32 v1, vcc_lo, s30, v1
	v_add_co_ci_u32_e64 v2, null, s31, v2, vcc_lo
	global_load_u16 v1, v[1:2], off
.LBB256_20:
	s_wait_alu 0xfffe
	s_or_b32 exec_lo, exec_lo, s3
	v_dual_mov_b32 v2, s20 :: v_dual_add_nc_u32 v17, 0x100, v41
	s_delay_alu instid0(VALU_DEP_1)
	v_cmp_gt_u32_e64 s3, s10, v17
	s_and_saveexec_b32 s4, s3
	s_cbranch_execz .LBB256_22
; %bb.21:
	v_mad_co_u64_u32 v[2:3], null, s22, v17, 0
	s_delay_alu instid0(VALU_DEP_1) | instskip(NEXT) | instid1(VALU_DEP_1)
	v_mad_co_u64_u32 v[3:4], null, s23, v17, v[3:4]
	v_lshlrev_b64_e32 v[2:3], 1, v[2:3]
	s_delay_alu instid0(VALU_DEP_1) | instskip(SKIP_1) | instid1(VALU_DEP_2)
	v_add_co_u32 v2, vcc_lo, s30, v2
	s_wait_alu 0xfffd
	v_add_co_ci_u32_e64 v3, null, s31, v3, vcc_lo
	global_load_u16 v2, v[2:3], off
.LBB256_22:
	s_or_b32 exec_lo, exec_lo, s4
	v_dual_mov_b32 v3, s20 :: v_dual_add_nc_u32 v18, 0x200, v41
	s_delay_alu instid0(VALU_DEP_1)
	v_cmp_gt_u32_e64 s4, s10, v18
	s_and_saveexec_b32 s5, s4
	s_cbranch_execz .LBB256_24
; %bb.23:
	v_mad_co_u64_u32 v[3:4], null, s22, v18, 0
	s_delay_alu instid0(VALU_DEP_1) | instskip(NEXT) | instid1(VALU_DEP_1)
	v_mad_co_u64_u32 v[4:5], null, s23, v18, v[4:5]
	v_lshlrev_b64_e32 v[3:4], 1, v[3:4]
	s_delay_alu instid0(VALU_DEP_1) | instskip(SKIP_1) | instid1(VALU_DEP_2)
	v_add_co_u32 v3, vcc_lo, s30, v3
	s_wait_alu 0xfffd
	v_add_co_ci_u32_e64 v4, null, s31, v4, vcc_lo
	global_load_u16 v3, v[3:4], off
.LBB256_24:
	;; [unrolled: 17-line block ×3, first 2 shown]
	s_wait_alu 0xfffe
	s_or_b32 exec_lo, exec_lo, s6
	v_or_b32_e32 v20, 0x400, v41
	v_mov_b32_e32 v5, s20
	s_delay_alu instid0(VALU_DEP_2)
	v_cmp_gt_u32_e64 s6, s10, v20
	s_and_saveexec_b32 s7, s6
	s_cbranch_execz .LBB256_28
; %bb.27:
	v_mad_co_u64_u32 v[5:6], null, s22, v20, 0
	s_delay_alu instid0(VALU_DEP_1) | instskip(NEXT) | instid1(VALU_DEP_1)
	v_mad_co_u64_u32 v[6:7], null, s23, v20, v[6:7]
	v_lshlrev_b64_e32 v[5:6], 1, v[5:6]
	s_delay_alu instid0(VALU_DEP_1) | instskip(SKIP_1) | instid1(VALU_DEP_2)
	v_add_co_u32 v5, vcc_lo, s30, v5
	s_wait_alu 0xfffd
	v_add_co_ci_u32_e64 v6, null, s31, v6, vcc_lo
	global_load_u16 v5, v[5:6], off
.LBB256_28:
	s_wait_alu 0xfffe
	s_or_b32 exec_lo, exec_lo, s7
	v_dual_mov_b32 v6, s20 :: v_dual_add_nc_u32 v21, 0x500, v41
	s_delay_alu instid0(VALU_DEP_1)
	v_cmp_gt_u32_e64 s7, s10, v21
	s_and_saveexec_b32 s8, s7
	s_cbranch_execz .LBB256_30
; %bb.29:
	v_mad_co_u64_u32 v[6:7], null, s22, v21, 0
	s_delay_alu instid0(VALU_DEP_1) | instskip(NEXT) | instid1(VALU_DEP_1)
	v_mad_co_u64_u32 v[7:8], null, s23, v21, v[7:8]
	v_lshlrev_b64_e32 v[6:7], 1, v[6:7]
	s_delay_alu instid0(VALU_DEP_1) | instskip(SKIP_1) | instid1(VALU_DEP_2)
	v_add_co_u32 v6, vcc_lo, s30, v6
	s_wait_alu 0xfffd
	v_add_co_ci_u32_e64 v7, null, s31, v7, vcc_lo
	global_load_u16 v6, v[6:7], off
.LBB256_30:
	s_wait_alu 0xfffe
	s_or_b32 exec_lo, exec_lo, s8
	v_dual_mov_b32 v7, s20 :: v_dual_add_nc_u32 v22, 0x600, v41
	s_delay_alu instid0(VALU_DEP_1)
	v_cmp_gt_u32_e64 s8, s10, v22
	s_and_saveexec_b32 s9, s8
	s_cbranch_execz .LBB256_32
; %bb.31:
	v_mad_co_u64_u32 v[7:8], null, s22, v22, 0
	s_delay_alu instid0(VALU_DEP_1) | instskip(NEXT) | instid1(VALU_DEP_1)
	v_mad_co_u64_u32 v[8:9], null, s23, v22, v[8:9]
	v_lshlrev_b64_e32 v[7:8], 1, v[7:8]
	s_delay_alu instid0(VALU_DEP_1) | instskip(SKIP_1) | instid1(VALU_DEP_2)
	v_add_co_u32 v7, vcc_lo, s30, v7
	s_wait_alu 0xfffd
	v_add_co_ci_u32_e64 v8, null, s31, v8, vcc_lo
	global_load_u16 v7, v[7:8], off
.LBB256_32:
	s_wait_alu 0xfffe
	s_or_b32 exec_lo, exec_lo, s9
	s_clause 0x1
	s_load_b64 s[18:19], s[0:1], 0x288
	s_load_b64 s[16:17], s[0:1], 0x1b8
	v_dual_mov_b32 v8, s20 :: v_dual_add_nc_u32 v23, 0x700, v41
	s_delay_alu instid0(VALU_DEP_1)
	v_cmp_gt_u32_e64 s9, s10, v23
	s_and_saveexec_b32 s10, s9
	s_cbranch_execz .LBB256_34
; %bb.33:
	v_mad_co_u64_u32 v[8:9], null, s22, v23, 0
	s_delay_alu instid0(VALU_DEP_1) | instskip(NEXT) | instid1(VALU_DEP_1)
	v_mad_co_u64_u32 v[9:10], null, s23, v23, v[9:10]
	v_lshlrev_b64_e32 v[8:9], 1, v[8:9]
	s_delay_alu instid0(VALU_DEP_1) | instskip(SKIP_1) | instid1(VALU_DEP_2)
	v_add_co_u32 v8, vcc_lo, s30, v8
	s_wait_alu 0xfffd
	v_add_co_ci_u32_e64 v9, null, s31, v9, vcc_lo
	global_load_u16 v8, v[8:9], off
.LBB256_34:
	s_wait_alu 0xfffe
	s_or_b32 exec_lo, exec_lo, s10
	v_lshrrev_b32_e32 v9, 4, v41
	v_lshrrev_b32_e32 v10, 4, v17
	;; [unrolled: 1-line block ×3, first 2 shown]
	v_lshlrev_b32_e32 v12, 1, v41
	v_lshrrev_b32_e32 v13, 4, v19
	v_and_b32_e32 v9, 60, v9
	v_and_b32_e32 v10, 0x7c, v10
	;; [unrolled: 1-line block ×3, first 2 shown]
	v_lshrrev_b32_e32 v14, 4, v23
	s_load_b64 s[28:29], s[0:1], 0x358
	v_add_nc_u32_e32 v46, v9, v12
	v_add_nc_u32_e32 v47, v10, v12
	;; [unrolled: 1-line block ×3, first 2 shown]
	v_and_b32_e32 v9, 0x7c, v13
	v_lshrrev_b32_e32 v10, 4, v20
	v_lshrrev_b32_e32 v11, 4, v21
	;; [unrolled: 1-line block ×3, first 2 shown]
	s_wait_kmcnt 0x0
	s_mul_u64 s[14:15], s[18:19], s[14:15]
	v_add_nc_u32_e32 v49, v9, v12
	v_and_b32_e32 v9, 0x7c, v10
	v_and_b32_e32 v10, 0xfc, v11
	;; [unrolled: 1-line block ×4, first 2 shown]
	v_lshrrev_b32_e32 v14, 1, v41
	v_add_nc_u32_e32 v50, v9, v12
	v_add_nc_u32_e32 v51, v10, v12
	;; [unrolled: 1-line block ×4, first 2 shown]
	v_and_b32_e32 v9, 0x1fc, v14
	v_mov_b32_e32 v11, 0
	v_mov_b32_e32 v12, 0
	s_wait_loadcnt 0x0
	ds_store_b16 v46, v1
	ds_store_b16 v47, v2 offset:512
	ds_store_b16 v48, v3 offset:1024
	;; [unrolled: 1-line block ×7, first 2 shown]
	s_wait_dscnt 0x0
	v_lshl_add_u32 v54, v41, 4, v9
	s_barrier_signal -1
	s_barrier_wait -1
	global_inv scope:SCOPE_SE
	ds_load_2addr_b32 v[44:45], v54 offset1:1
	ds_load_2addr_b32 v[42:43], v54 offset0:2 offset1:3
	v_mov_b32_e32 v1, 0
	s_lshl_b64 s[14:15], s[14:15], 3
	s_lshl_b64 s[12:13], s[12:13], 3
	s_add_nc_u64 s[14:15], s[16:17], s[14:15]
	s_wait_loadcnt_dscnt 0x0
	v_dual_mov_b32 v2, v1 :: v_dual_mov_b32 v13, v1
	v_dual_mov_b32 v14, v1 :: v_dual_mov_b32 v15, v1
	;; [unrolled: 1-line block ×6, first 2 shown]
	v_mov_b32_e32 v10, v1
	s_add_nc_u64 s[34:35], s[14:15], s[12:13]
	s_barrier_signal -1
	s_barrier_wait -1
	global_inv scope:SCOPE_SE
	s_and_saveexec_b32 s0, s2
	s_cbranch_execnz .LBB256_90
; %bb.35:
	s_or_b32 exec_lo, exec_lo, s0
	s_and_saveexec_b32 s0, s3
	s_cbranch_execnz .LBB256_91
.LBB256_36:
	s_or_b32 exec_lo, exec_lo, s0
	s_and_saveexec_b32 s0, s4
	s_cbranch_execnz .LBB256_92
.LBB256_37:
	s_or_b32 exec_lo, exec_lo, s0
	s_and_saveexec_b32 s0, s5
	s_cbranch_execnz .LBB256_93
.LBB256_38:
	s_or_b32 exec_lo, exec_lo, s0
	s_and_saveexec_b32 s0, s6
	s_cbranch_execnz .LBB256_94
.LBB256_39:
	s_or_b32 exec_lo, exec_lo, s0
	s_and_saveexec_b32 s0, s7
	s_cbranch_execnz .LBB256_95
.LBB256_40:
	s_or_b32 exec_lo, exec_lo, s0
	s_and_saveexec_b32 s0, s8
	s_cbranch_execz .LBB256_42
.LBB256_41:
	v_mad_co_u64_u32 v[7:8], null, s28, v22, 0
	s_delay_alu instid0(VALU_DEP_1) | instskip(NEXT) | instid1(VALU_DEP_1)
	v_mad_co_u64_u32 v[24:25], null, s29, v22, v[8:9]
	v_mov_b32_e32 v8, v24
	s_delay_alu instid0(VALU_DEP_1) | instskip(NEXT) | instid1(VALU_DEP_1)
	v_lshlrev_b64_e32 v[7:8], 3, v[7:8]
	v_add_co_u32 v7, vcc_lo, s34, v7
	s_wait_alu 0xfffd
	s_delay_alu instid0(VALU_DEP_2)
	v_add_co_ci_u32_e64 v8, null, s35, v8, vcc_lo
	global_load_b64 v[7:8], v[7:8], off
.LBB256_42:
	s_or_b32 exec_lo, exec_lo, s0
	v_lshrrev_b32_e32 v66, 5, v41
	v_lshrrev_b32_e32 v27, 5, v17
	;; [unrolled: 1-line block ×8, first 2 shown]
	v_lshlrev_b32_e32 v64, 3, v41
	v_lshrrev_b32_e32 v17, 2, v41
	s_xor_b32 s0, s11, -1
	s_and_saveexec_b32 s1, s9
	s_cbranch_execz .LBB256_44
; %bb.43:
	v_mad_co_u64_u32 v[9:10], null, s28, v23, 0
	s_wait_loadcnt 0x0
	s_delay_alu instid0(VALU_DEP_1) | instskip(NEXT) | instid1(VALU_DEP_1)
	v_mad_co_u64_u32 v[21:22], null, s29, v23, v[10:11]
	v_mov_b32_e32 v10, v21
	s_delay_alu instid0(VALU_DEP_1) | instskip(NEXT) | instid1(VALU_DEP_1)
	v_lshlrev_b64_e32 v[9:10], 3, v[9:10]
	v_add_co_u32 v9, vcc_lo, s34, v9
	s_wait_alu 0xfffd
	s_delay_alu instid0(VALU_DEP_2)
	v_add_co_ci_u32_e64 v10, null, s35, v10, vcc_lo
	global_load_b64 v[9:10], v[9:10], off
.LBB256_44:
	s_or_b32 exec_lo, exec_lo, s1
	v_lshl_add_u32 v55, v66, 3, v64
	v_lshl_add_u32 v56, v27, 3, v64
	;; [unrolled: 1-line block ×5, first 2 shown]
	s_wait_loadcnt 0x0
	ds_store_b64 v55, v[11:12]
	ds_store_b64 v56, v[1:2] offset:2048
	ds_store_b64 v57, v[13:14] offset:4096
	;; [unrolled: 1-line block ×3, first 2 shown]
	v_lshlrev_b32_e32 v1, 3, v64
	v_lshl_add_u32 v60, v20, 3, v64
	v_lshl_add_u32 v61, v19, 3, v64
	v_lshl_add_u32 v62, v18, 3, v64
	ds_store_b64 v59, v[3:4] offset:8192
	ds_store_b64 v60, v[5:6] offset:10240
	;; [unrolled: 1-line block ×4, first 2 shown]
	v_lshl_add_u32 v63, v17, 3, v1
	s_wait_dscnt 0x0
	s_barrier_signal -1
	s_barrier_wait -1
	global_inv scope:SCOPE_SE
	ds_load_2addr_b64 v[13:16], v63 offset1:1
	ds_load_2addr_b64 v[9:12], v63 offset0:2 offset1:3
	ds_load_2addr_b64 v[5:8], v63 offset0:4 offset1:5
	;; [unrolled: 1-line block ×3, first 2 shown]
	v_bfe_u32 v69, v0, 10, 10
	v_bfe_u32 v70, v0, 20, 10
	v_mbcnt_lo_u32_b32 v67, -1, 0
	v_and_b32_e32 v68, 0x3e0, v41
	v_lshlrev_b32_e32 v65, 2, v64
	s_and_b32 vcc_lo, exec_lo, s0
	s_wait_loadcnt_dscnt 0x0
	s_barrier_signal -1
	s_barrier_wait -1
	global_inv scope:SCOPE_SE
	s_wait_alu 0xfffe
	s_cbranch_vccz .LBB256_96
; %bb.45:
	v_pk_ashrrev_i16 v0, 15, v44 op_sel_hi:[0,1]
	v_pk_ashrrev_i16 v17, 15, v45 op_sel_hi:[0,1]
	v_pk_ashrrev_i16 v18, 15, v42 op_sel_hi:[0,1]
	v_pk_ashrrev_i16 v19, 15, v43 op_sel_hi:[0,1]
	v_or_b32_e32 v21, v67, v68
	v_or_b32_e32 v0, 0x80008000, v0
	;; [unrolled: 1-line block ×5, first 2 shown]
	v_and_or_b32 v82, 0x1f00, v64, v67
	s_mov_b32 s12, 0
	v_xor_b32_e32 v17, v0, v44
	v_xor_b32_e32 v18, v20, v45
	;; [unrolled: 1-line block ×4, first 2 shown]
	s_mov_b32 s13, s12
	s_mov_b32 s14, s12
	;; [unrolled: 1-line block ×3, first 2 shown]
	v_lshlrev_b32_e32 v23, 4, v21
	v_lshlrev_b32_e32 v71, 1, v82
	s_getpc_b64 s[0:1]
	s_sext_i32_i16 s1, s1
	s_add_co_u32 s0, s0, _ZN7rocprim17ROCPRIM_400000_NS16block_radix_sortI12hip_bfloat16Lj256ELj8ElLj1ELj1ELj0ELNS0_26block_radix_rank_algorithmE1ELNS0_18block_padding_hintE2ELNS0_4arch9wavefront6targetE0EE19radix_bits_per_passE@rel32@lo+8
	s_add_co_ci_u32 s1, s1, _ZN7rocprim17ROCPRIM_400000_NS16block_radix_sortI12hip_bfloat16Lj256ELj8ElLj1ELj1ELj0ELNS0_26block_radix_rank_algorithmE1ELNS0_18block_padding_hintE2ELNS0_4arch9wavefront6targetE0EE19radix_bits_per_passE@rel32@hi+16
	s_load_b32 s20, s[0:1], 0x0
	ds_store_b128 v23, v[17:20]
	; wave barrier
	ds_load_u16 v72, v71
	v_mad_u32_u24 v0, v21, 48, v23
	ds_load_u16 v73, v71 offset:64
	ds_load_u16 v74, v71 offset:128
	;; [unrolled: 1-line block ×7, first 2 shown]
	s_wait_loadcnt_dscnt 0x0
	s_barrier_signal -1
	s_barrier_wait -1
	global_inv scope:SCOPE_SE
	ds_store_b128 v0, v[13:16]
	ds_store_b128 v0, v[9:12] offset:16
	ds_store_b128 v0, v[5:8] offset:32
	ds_store_b128 v0, v[1:4] offset:48
	v_mad_u32_u24 v29, v82, 6, v71
	; wave barrier
	s_wait_kmcnt 0x0
	s_min_u32 s0, s20, 16
	s_delay_alu instid0(SALU_CYCLE_1) | instskip(SKIP_4) | instid1(VALU_DEP_1)
	s_lshl_b32 s0, -1, s0
	v_cmp_ne_u16_e32 vcc_lo, 0x7fff, v72
	s_not_b32 s1, s0
	s_wait_alu 0xfffd
	v_cndmask_b32_e32 v17, 0xffff8000, v72, vcc_lo
	v_and_b32_e32 v17, 0xffff, v17
	s_delay_alu instid0(VALU_DEP_1)
	v_and_b32_e32 v40, s1, v17
	ds_load_2addr_b64 v[17:20], v29 offset1:32
	ds_load_2addr_b64 v[25:28], v29 offset0:64 offset1:96
	ds_load_2addr_b64 v[21:24], v29 offset0:128 offset1:160
	;; [unrolled: 1-line block ×3, first 2 shown]
	s_wait_loadcnt_dscnt 0x0
	v_and_b32_e32 v0, 1, v40
	v_lshlrev_b32_e32 v33, 30, v40
	v_lshlrev_b32_e32 v36, 28, v40
	s_barrier_signal -1
	s_barrier_wait -1
	v_add_co_u32 v0, s0, v0, -1
	s_wait_alu 0xf1ff
	v_cndmask_b32_e64 v34, 0, 1, s0
	v_not_b32_e32 v35, v33
	v_cmp_gt_i32_e64 s0, 0, v33
	global_inv scope:SCOPE_SE
	v_cmp_ne_u32_e32 vcc_lo, 0, v34
	v_lshlrev_b32_e32 v34, 29, v40
	v_ashrrev_i32_e32 v33, 31, v35
	s_wait_alu 0xfffd
	v_xor_b32_e32 v0, vcc_lo, v0
	s_delay_alu instid0(VALU_DEP_3)
	v_not_b32_e32 v35, v34
	s_wait_alu 0xf1ff
	v_xor_b32_e32 v33, s0, v33
	v_cmp_gt_i32_e32 vcc_lo, 0, v34
	s_load_b32 s0, s[36:37], 0xc
	v_and_b32_e32 v0, exec_lo, v0
	v_ashrrev_i32_e32 v34, 31, v35
	v_not_b32_e32 v35, v36
	s_delay_alu instid0(VALU_DEP_3) | instskip(SKIP_1) | instid1(VALU_DEP_4)
	v_and_b32_e32 v0, v0, v33
	v_lshlrev_b32_e32 v33, 27, v40
	v_xor_b32_e32 v34, vcc_lo, v34
	v_cmp_gt_i32_e32 vcc_lo, 0, v36
	v_ashrrev_i32_e32 v35, 31, v35
	s_delay_alu instid0(VALU_DEP_4) | instskip(NEXT) | instid1(VALU_DEP_4)
	v_not_b32_e32 v36, v33
	v_and_b32_e32 v0, v0, v34
	v_lshlrev_b32_e32 v34, 26, v40
	s_wait_alu 0xfffd
	v_xor_b32_e32 v35, vcc_lo, v35
	v_cmp_gt_i32_e32 vcc_lo, 0, v33
	v_ashrrev_i32_e32 v33, 31, v36
	v_not_b32_e32 v36, v34
	s_delay_alu instid0(VALU_DEP_4)
	v_and_b32_e32 v0, v0, v35
	v_lshlrev_b32_e32 v35, 25, v40
	s_wait_alu 0xfffd
	v_xor_b32_e32 v33, vcc_lo, v33
	v_cmp_gt_i32_e32 vcc_lo, 0, v34
	v_ashrrev_i32_e32 v34, 31, v36
	s_wait_kmcnt 0x0
	s_lshr_b32 s10, s0, 16
	v_not_b32_e32 v36, v35
	v_and_b32_e32 v0, v0, v33
	v_lshlrev_b32_e32 v33, 24, v40
	s_wait_alu 0xfffd
	v_xor_b32_e32 v34, vcc_lo, v34
	v_cmp_gt_i32_e32 vcc_lo, 0, v35
	v_ashrrev_i32_e32 v35, 31, v36
	s_wait_alu 0xfffe
	v_mad_u32_u24 v37, v70, s10, v69
	v_not_b32_e32 v36, v33
	v_and_b32_e32 v0, v0, v34
	s_and_b32 s0, s0, 0xffff
	s_wait_alu 0xfffd
	v_xor_b32_e32 v34, vcc_lo, v35
	v_cmp_gt_i32_e32 vcc_lo, 0, v33
	v_ashrrev_i32_e32 v33, 31, v36
	s_wait_alu 0xfffe
	v_mad_co_u64_u32 v[38:39], null, v37, s0, v[41:42]
	v_dual_mov_b32 v37, s15 :: v_dual_and_b32 v0, v0, v34
	s_wait_alu 0xfffd
	v_xor_b32_e32 v33, vcc_lo, v33
	v_dual_mov_b32 v36, s14 :: v_dual_mov_b32 v35, s13
	v_mov_b32_e32 v34, s12
	ds_store_b128 v65, v[34:37] offset:32
	ds_store_b128 v65, v[34:37] offset:48
	v_and_b32_e32 v33, v0, v33
	v_lshrrev_b32_e32 v0, 5, v38
	v_lshlrev_b32_e32 v34, 5, v40
	s_wait_loadcnt_dscnt 0x0
	s_barrier_signal -1
	v_mbcnt_lo_u32_b32 v84, v33, 0
	v_lshlrev_b32_e32 v0, 2, v0
	v_cmp_ne_u32_e64 s0, 0, v33
	s_barrier_wait -1
	global_inv scope:SCOPE_SE
	v_cmp_eq_u32_e32 vcc_lo, 0, v84
	v_add_nc_u32_e32 v85, v0, v34
	; wave barrier
	s_and_b32 s10, s0, vcc_lo
	s_wait_alu 0xfffe
	s_and_saveexec_b32 s0, s10
; %bb.46:
	v_bcnt_u32_b32 v33, v33, 0
	ds_store_b32 v85, v33 offset:32
; %bb.47:
	s_wait_alu 0xfffe
	s_or_b32 exec_lo, exec_lo, s0
	v_cmp_ne_u16_e32 vcc_lo, 0x7fff, v73
	; wave barrier
	s_wait_alu 0xfffd
	v_cndmask_b32_e32 v33, 0xffff8000, v73, vcc_lo
	s_delay_alu instid0(VALU_DEP_1) | instskip(NEXT) | instid1(VALU_DEP_1)
	v_and_b32_e32 v33, 0xffff, v33
	v_and_b32_e32 v33, s1, v33
	s_delay_alu instid0(VALU_DEP_1)
	v_and_b32_e32 v34, 1, v33
	v_lshlrev_b32_e32 v35, 30, v33
	v_lshlrev_b32_e32 v36, 29, v33
	;; [unrolled: 1-line block ×4, first 2 shown]
	v_add_co_u32 v34, s0, v34, -1
	s_wait_alu 0xf1ff
	v_cndmask_b32_e64 v38, 0, 1, s0
	v_not_b32_e32 v81, v35
	v_cmp_gt_i32_e64 s0, 0, v35
	v_not_b32_e32 v35, v36
	v_lshlrev_b32_e32 v40, 26, v33
	v_cmp_ne_u32_e32 vcc_lo, 0, v38
	v_ashrrev_i32_e32 v81, 31, v81
	v_lshlrev_b32_e32 v80, 25, v33
	v_ashrrev_i32_e32 v35, 31, v35
	v_lshlrev_b32_e32 v38, 24, v33
	s_wait_alu 0xfffd
	v_xor_b32_e32 v34, vcc_lo, v34
	v_cmp_gt_i32_e32 vcc_lo, 0, v36
	v_not_b32_e32 v36, v37
	s_wait_alu 0xf1ff
	v_xor_b32_e32 v81, s0, v81
	v_cmp_gt_i32_e64 s0, 0, v37
	v_and_b32_e32 v34, exec_lo, v34
	v_not_b32_e32 v37, v39
	v_ashrrev_i32_e32 v36, 31, v36
	s_wait_alu 0xfffd
	v_xor_b32_e32 v35, vcc_lo, v35
	v_cmp_gt_i32_e32 vcc_lo, 0, v39
	v_and_b32_e32 v34, v34, v81
	v_not_b32_e32 v39, v40
	v_ashrrev_i32_e32 v37, 31, v37
	s_wait_alu 0xf1ff
	v_xor_b32_e32 v36, s0, v36
	v_cmp_gt_i32_e64 s0, 0, v40
	v_and_b32_e32 v34, v34, v35
	v_not_b32_e32 v35, v80
	v_ashrrev_i32_e32 v39, 31, v39
	s_wait_alu 0xfffd
	v_xor_b32_e32 v37, vcc_lo, v37
	v_cmp_gt_i32_e32 vcc_lo, 0, v80
	v_and_b32_e32 v34, v34, v36
	v_not_b32_e32 v36, v38
	v_ashrrev_i32_e32 v35, 31, v35
	s_wait_alu 0xf1ff
	v_xor_b32_e32 v39, s0, v39
	v_lshlrev_b32_e32 v33, 5, v33
	v_and_b32_e32 v34, v34, v37
	v_cmp_gt_i32_e64 s0, 0, v38
	v_ashrrev_i32_e32 v36, 31, v36
	s_wait_alu 0xfffd
	v_xor_b32_e32 v35, vcc_lo, v35
	v_add_nc_u32_e32 v88, v0, v33
	v_and_b32_e32 v34, v34, v39
	s_wait_alu 0xf1ff
	v_xor_b32_e32 v33, s0, v36
	ds_load_b32 v86, v88 offset:32
	v_and_b32_e32 v34, v34, v35
	; wave barrier
	s_delay_alu instid0(VALU_DEP_1) | instskip(NEXT) | instid1(VALU_DEP_1)
	v_and_b32_e32 v33, v34, v33
	v_mbcnt_lo_u32_b32 v87, v33, 0
	v_cmp_ne_u32_e64 s0, 0, v33
	s_delay_alu instid0(VALU_DEP_2)
	v_cmp_eq_u32_e32 vcc_lo, 0, v87
	s_and_b32 s10, s0, vcc_lo
	s_wait_alu 0xfffe
	s_and_saveexec_b32 s0, s10
	s_cbranch_execz .LBB256_49
; %bb.48:
	s_wait_dscnt 0x0
	v_bcnt_u32_b32 v33, v33, v86
	ds_store_b32 v88, v33 offset:32
.LBB256_49:
	s_wait_alu 0xfffe
	s_or_b32 exec_lo, exec_lo, s0
	v_cmp_ne_u16_e32 vcc_lo, 0x7fff, v74
	; wave barrier
	s_wait_alu 0xfffd
	v_cndmask_b32_e32 v33, 0xffff8000, v74, vcc_lo
	s_delay_alu instid0(VALU_DEP_1) | instskip(NEXT) | instid1(VALU_DEP_1)
	v_and_b32_e32 v33, 0xffff, v33
	v_and_b32_e32 v33, s1, v33
	s_delay_alu instid0(VALU_DEP_1)
	v_and_b32_e32 v34, 1, v33
	v_lshlrev_b32_e32 v35, 30, v33
	v_lshlrev_b32_e32 v36, 29, v33
	;; [unrolled: 1-line block ×4, first 2 shown]
	v_add_co_u32 v34, s0, v34, -1
	s_wait_alu 0xf1ff
	v_cndmask_b32_e64 v38, 0, 1, s0
	v_not_b32_e32 v81, v35
	v_cmp_gt_i32_e64 s0, 0, v35
	v_not_b32_e32 v35, v36
	v_lshlrev_b32_e32 v40, 26, v33
	v_cmp_ne_u32_e32 vcc_lo, 0, v38
	v_ashrrev_i32_e32 v81, 31, v81
	v_lshlrev_b32_e32 v80, 25, v33
	v_ashrrev_i32_e32 v35, 31, v35
	v_lshlrev_b32_e32 v38, 24, v33
	s_wait_alu 0xfffd
	v_xor_b32_e32 v34, vcc_lo, v34
	v_cmp_gt_i32_e32 vcc_lo, 0, v36
	v_not_b32_e32 v36, v37
	s_wait_alu 0xf1ff
	v_xor_b32_e32 v81, s0, v81
	v_cmp_gt_i32_e64 s0, 0, v37
	v_and_b32_e32 v34, exec_lo, v34
	v_not_b32_e32 v37, v39
	v_ashrrev_i32_e32 v36, 31, v36
	s_wait_alu 0xfffd
	v_xor_b32_e32 v35, vcc_lo, v35
	v_cmp_gt_i32_e32 vcc_lo, 0, v39
	v_and_b32_e32 v34, v34, v81
	v_not_b32_e32 v39, v40
	v_ashrrev_i32_e32 v37, 31, v37
	s_wait_alu 0xf1ff
	v_xor_b32_e32 v36, s0, v36
	v_cmp_gt_i32_e64 s0, 0, v40
	v_and_b32_e32 v34, v34, v35
	v_not_b32_e32 v35, v80
	v_ashrrev_i32_e32 v39, 31, v39
	s_wait_alu 0xfffd
	v_xor_b32_e32 v37, vcc_lo, v37
	v_cmp_gt_i32_e32 vcc_lo, 0, v80
	v_and_b32_e32 v34, v34, v36
	v_not_b32_e32 v36, v38
	v_ashrrev_i32_e32 v35, 31, v35
	s_wait_alu 0xf1ff
	v_xor_b32_e32 v39, s0, v39
	v_lshlrev_b32_e32 v33, 5, v33
	v_and_b32_e32 v34, v34, v37
	v_cmp_gt_i32_e64 s0, 0, v38
	v_ashrrev_i32_e32 v36, 31, v36
	s_wait_alu 0xfffd
	v_xor_b32_e32 v35, vcc_lo, v35
	v_add_nc_u32_e32 v91, v0, v33
	v_and_b32_e32 v34, v34, v39
	s_wait_alu 0xf1ff
	v_xor_b32_e32 v33, s0, v36
	ds_load_b32 v89, v91 offset:32
	v_and_b32_e32 v34, v34, v35
	; wave barrier
	s_delay_alu instid0(VALU_DEP_1) | instskip(NEXT) | instid1(VALU_DEP_1)
	v_and_b32_e32 v33, v34, v33
	v_mbcnt_lo_u32_b32 v90, v33, 0
	v_cmp_ne_u32_e64 s0, 0, v33
	s_delay_alu instid0(VALU_DEP_2)
	v_cmp_eq_u32_e32 vcc_lo, 0, v90
	s_and_b32 s10, s0, vcc_lo
	s_wait_alu 0xfffe
	s_and_saveexec_b32 s0, s10
	s_cbranch_execz .LBB256_51
; %bb.50:
	s_wait_dscnt 0x0
	v_bcnt_u32_b32 v33, v33, v89
	ds_store_b32 v91, v33 offset:32
.LBB256_51:
	s_wait_alu 0xfffe
	s_or_b32 exec_lo, exec_lo, s0
	v_cmp_ne_u16_e32 vcc_lo, 0x7fff, v75
	; wave barrier
	s_wait_alu 0xfffd
	v_cndmask_b32_e32 v33, 0xffff8000, v75, vcc_lo
	s_delay_alu instid0(VALU_DEP_1) | instskip(NEXT) | instid1(VALU_DEP_1)
	v_and_b32_e32 v33, 0xffff, v33
	v_and_b32_e32 v33, s1, v33
	s_delay_alu instid0(VALU_DEP_1)
	v_and_b32_e32 v34, 1, v33
	v_lshlrev_b32_e32 v35, 30, v33
	v_lshlrev_b32_e32 v36, 29, v33
	;; [unrolled: 1-line block ×4, first 2 shown]
	v_add_co_u32 v34, s0, v34, -1
	s_wait_alu 0xf1ff
	v_cndmask_b32_e64 v38, 0, 1, s0
	v_not_b32_e32 v81, v35
	v_cmp_gt_i32_e64 s0, 0, v35
	v_not_b32_e32 v35, v36
	v_lshlrev_b32_e32 v40, 26, v33
	v_cmp_ne_u32_e32 vcc_lo, 0, v38
	v_ashrrev_i32_e32 v81, 31, v81
	v_lshlrev_b32_e32 v80, 25, v33
	v_ashrrev_i32_e32 v35, 31, v35
	v_lshlrev_b32_e32 v38, 24, v33
	s_wait_alu 0xfffd
	v_xor_b32_e32 v34, vcc_lo, v34
	v_cmp_gt_i32_e32 vcc_lo, 0, v36
	v_not_b32_e32 v36, v37
	s_wait_alu 0xf1ff
	v_xor_b32_e32 v81, s0, v81
	v_cmp_gt_i32_e64 s0, 0, v37
	v_and_b32_e32 v34, exec_lo, v34
	v_not_b32_e32 v37, v39
	v_ashrrev_i32_e32 v36, 31, v36
	s_wait_alu 0xfffd
	v_xor_b32_e32 v35, vcc_lo, v35
	v_cmp_gt_i32_e32 vcc_lo, 0, v39
	v_and_b32_e32 v34, v34, v81
	v_not_b32_e32 v39, v40
	v_ashrrev_i32_e32 v37, 31, v37
	s_wait_alu 0xf1ff
	v_xor_b32_e32 v36, s0, v36
	v_cmp_gt_i32_e64 s0, 0, v40
	v_and_b32_e32 v34, v34, v35
	v_not_b32_e32 v35, v80
	v_ashrrev_i32_e32 v39, 31, v39
	s_wait_alu 0xfffd
	v_xor_b32_e32 v37, vcc_lo, v37
	v_cmp_gt_i32_e32 vcc_lo, 0, v80
	v_and_b32_e32 v34, v34, v36
	v_not_b32_e32 v36, v38
	v_ashrrev_i32_e32 v35, 31, v35
	s_wait_alu 0xf1ff
	v_xor_b32_e32 v39, s0, v39
	v_lshlrev_b32_e32 v33, 5, v33
	v_and_b32_e32 v34, v34, v37
	v_cmp_gt_i32_e64 s0, 0, v38
	v_ashrrev_i32_e32 v36, 31, v36
	s_wait_alu 0xfffd
	v_xor_b32_e32 v35, vcc_lo, v35
	v_add_nc_u32_e32 v94, v0, v33
	v_and_b32_e32 v34, v34, v39
	s_wait_alu 0xf1ff
	v_xor_b32_e32 v33, s0, v36
	ds_load_b32 v92, v94 offset:32
	v_and_b32_e32 v34, v34, v35
	; wave barrier
	s_delay_alu instid0(VALU_DEP_1) | instskip(NEXT) | instid1(VALU_DEP_1)
	v_and_b32_e32 v33, v34, v33
	v_mbcnt_lo_u32_b32 v93, v33, 0
	v_cmp_ne_u32_e64 s0, 0, v33
	s_delay_alu instid0(VALU_DEP_2)
	v_cmp_eq_u32_e32 vcc_lo, 0, v93
	s_and_b32 s10, s0, vcc_lo
	s_wait_alu 0xfffe
	s_and_saveexec_b32 s0, s10
	s_cbranch_execz .LBB256_53
; %bb.52:
	s_wait_dscnt 0x0
	v_bcnt_u32_b32 v33, v33, v92
	ds_store_b32 v94, v33 offset:32
.LBB256_53:
	s_wait_alu 0xfffe
	s_or_b32 exec_lo, exec_lo, s0
	v_cmp_ne_u16_e32 vcc_lo, 0x7fff, v76
	; wave barrier
	s_wait_alu 0xfffd
	v_cndmask_b32_e32 v33, 0xffff8000, v76, vcc_lo
	s_delay_alu instid0(VALU_DEP_1) | instskip(NEXT) | instid1(VALU_DEP_1)
	v_and_b32_e32 v33, 0xffff, v33
	v_and_b32_e32 v33, s1, v33
	s_delay_alu instid0(VALU_DEP_1)
	v_and_b32_e32 v34, 1, v33
	v_lshlrev_b32_e32 v35, 30, v33
	v_lshlrev_b32_e32 v36, 29, v33
	v_lshlrev_b32_e32 v37, 28, v33
	v_lshlrev_b32_e32 v39, 27, v33
	v_add_co_u32 v34, s0, v34, -1
	s_wait_alu 0xf1ff
	v_cndmask_b32_e64 v38, 0, 1, s0
	v_not_b32_e32 v81, v35
	v_cmp_gt_i32_e64 s0, 0, v35
	v_not_b32_e32 v35, v36
	v_lshlrev_b32_e32 v40, 26, v33
	v_cmp_ne_u32_e32 vcc_lo, 0, v38
	v_ashrrev_i32_e32 v81, 31, v81
	v_lshlrev_b32_e32 v80, 25, v33
	v_ashrrev_i32_e32 v35, 31, v35
	v_lshlrev_b32_e32 v38, 24, v33
	s_wait_alu 0xfffd
	v_xor_b32_e32 v34, vcc_lo, v34
	v_cmp_gt_i32_e32 vcc_lo, 0, v36
	v_not_b32_e32 v36, v37
	s_wait_alu 0xf1ff
	v_xor_b32_e32 v81, s0, v81
	v_cmp_gt_i32_e64 s0, 0, v37
	v_and_b32_e32 v34, exec_lo, v34
	v_not_b32_e32 v37, v39
	v_ashrrev_i32_e32 v36, 31, v36
	s_wait_alu 0xfffd
	v_xor_b32_e32 v35, vcc_lo, v35
	v_cmp_gt_i32_e32 vcc_lo, 0, v39
	v_and_b32_e32 v34, v34, v81
	v_not_b32_e32 v39, v40
	v_ashrrev_i32_e32 v37, 31, v37
	s_wait_alu 0xf1ff
	v_xor_b32_e32 v36, s0, v36
	v_cmp_gt_i32_e64 s0, 0, v40
	v_and_b32_e32 v34, v34, v35
	v_not_b32_e32 v35, v80
	v_ashrrev_i32_e32 v39, 31, v39
	s_wait_alu 0xfffd
	v_xor_b32_e32 v37, vcc_lo, v37
	v_cmp_gt_i32_e32 vcc_lo, 0, v80
	v_and_b32_e32 v34, v34, v36
	v_not_b32_e32 v36, v38
	v_ashrrev_i32_e32 v35, 31, v35
	s_wait_alu 0xf1ff
	v_xor_b32_e32 v39, s0, v39
	v_lshlrev_b32_e32 v33, 5, v33
	v_and_b32_e32 v34, v34, v37
	v_cmp_gt_i32_e64 s0, 0, v38
	v_ashrrev_i32_e32 v36, 31, v36
	s_wait_alu 0xfffd
	v_xor_b32_e32 v35, vcc_lo, v35
	v_add_nc_u32_e32 v97, v0, v33
	v_and_b32_e32 v34, v34, v39
	s_wait_alu 0xf1ff
	v_xor_b32_e32 v33, s0, v36
	ds_load_b32 v95, v97 offset:32
	v_and_b32_e32 v34, v34, v35
	; wave barrier
	s_delay_alu instid0(VALU_DEP_1) | instskip(NEXT) | instid1(VALU_DEP_1)
	v_and_b32_e32 v33, v34, v33
	v_mbcnt_lo_u32_b32 v96, v33, 0
	v_cmp_ne_u32_e64 s0, 0, v33
	s_delay_alu instid0(VALU_DEP_2)
	v_cmp_eq_u32_e32 vcc_lo, 0, v96
	s_and_b32 s10, s0, vcc_lo
	s_wait_alu 0xfffe
	s_and_saveexec_b32 s0, s10
	s_cbranch_execz .LBB256_55
; %bb.54:
	s_wait_dscnt 0x0
	v_bcnt_u32_b32 v33, v33, v95
	ds_store_b32 v97, v33 offset:32
.LBB256_55:
	s_wait_alu 0xfffe
	s_or_b32 exec_lo, exec_lo, s0
	v_cmp_ne_u16_e32 vcc_lo, 0x7fff, v77
	; wave barrier
	s_wait_alu 0xfffd
	v_cndmask_b32_e32 v33, 0xffff8000, v77, vcc_lo
	s_delay_alu instid0(VALU_DEP_1) | instskip(NEXT) | instid1(VALU_DEP_1)
	v_and_b32_e32 v33, 0xffff, v33
	v_and_b32_e32 v33, s1, v33
	s_delay_alu instid0(VALU_DEP_1)
	v_and_b32_e32 v34, 1, v33
	v_lshlrev_b32_e32 v35, 30, v33
	v_lshlrev_b32_e32 v36, 29, v33
	;; [unrolled: 1-line block ×4, first 2 shown]
	v_add_co_u32 v34, s0, v34, -1
	s_wait_alu 0xf1ff
	v_cndmask_b32_e64 v38, 0, 1, s0
	v_not_b32_e32 v81, v35
	v_cmp_gt_i32_e64 s0, 0, v35
	v_not_b32_e32 v35, v36
	v_lshlrev_b32_e32 v40, 26, v33
	v_cmp_ne_u32_e32 vcc_lo, 0, v38
	v_ashrrev_i32_e32 v81, 31, v81
	v_lshlrev_b32_e32 v80, 25, v33
	v_ashrrev_i32_e32 v35, 31, v35
	v_lshlrev_b32_e32 v38, 24, v33
	s_wait_alu 0xfffd
	v_xor_b32_e32 v34, vcc_lo, v34
	v_cmp_gt_i32_e32 vcc_lo, 0, v36
	v_not_b32_e32 v36, v37
	s_wait_alu 0xf1ff
	v_xor_b32_e32 v81, s0, v81
	v_cmp_gt_i32_e64 s0, 0, v37
	v_and_b32_e32 v34, exec_lo, v34
	v_not_b32_e32 v37, v39
	v_ashrrev_i32_e32 v36, 31, v36
	s_wait_alu 0xfffd
	v_xor_b32_e32 v35, vcc_lo, v35
	v_cmp_gt_i32_e32 vcc_lo, 0, v39
	v_and_b32_e32 v34, v34, v81
	v_not_b32_e32 v39, v40
	v_ashrrev_i32_e32 v37, 31, v37
	s_wait_alu 0xf1ff
	v_xor_b32_e32 v36, s0, v36
	v_cmp_gt_i32_e64 s0, 0, v40
	v_and_b32_e32 v34, v34, v35
	v_not_b32_e32 v35, v80
	v_ashrrev_i32_e32 v39, 31, v39
	s_wait_alu 0xfffd
	v_xor_b32_e32 v37, vcc_lo, v37
	v_cmp_gt_i32_e32 vcc_lo, 0, v80
	v_and_b32_e32 v34, v34, v36
	v_not_b32_e32 v36, v38
	v_ashrrev_i32_e32 v35, 31, v35
	s_wait_alu 0xf1ff
	v_xor_b32_e32 v39, s0, v39
	v_lshlrev_b32_e32 v33, 5, v33
	v_and_b32_e32 v34, v34, v37
	v_cmp_gt_i32_e64 s0, 0, v38
	v_ashrrev_i32_e32 v36, 31, v36
	s_wait_alu 0xfffd
	v_xor_b32_e32 v35, vcc_lo, v35
	v_add_nc_u32_e32 v100, v0, v33
	v_and_b32_e32 v34, v34, v39
	s_wait_alu 0xf1ff
	v_xor_b32_e32 v33, s0, v36
	ds_load_b32 v98, v100 offset:32
	v_and_b32_e32 v34, v34, v35
	; wave barrier
	s_delay_alu instid0(VALU_DEP_1) | instskip(NEXT) | instid1(VALU_DEP_1)
	v_and_b32_e32 v33, v34, v33
	v_mbcnt_lo_u32_b32 v99, v33, 0
	v_cmp_ne_u32_e64 s0, 0, v33
	s_delay_alu instid0(VALU_DEP_2)
	v_cmp_eq_u32_e32 vcc_lo, 0, v99
	s_and_b32 s10, s0, vcc_lo
	s_wait_alu 0xfffe
	s_and_saveexec_b32 s0, s10
	s_cbranch_execz .LBB256_57
; %bb.56:
	s_wait_dscnt 0x0
	v_bcnt_u32_b32 v33, v33, v98
	ds_store_b32 v100, v33 offset:32
.LBB256_57:
	s_wait_alu 0xfffe
	s_or_b32 exec_lo, exec_lo, s0
	v_cmp_ne_u16_e32 vcc_lo, 0x7fff, v78
	; wave barrier
	s_wait_alu 0xfffd
	v_cndmask_b32_e32 v33, 0xffff8000, v78, vcc_lo
	s_delay_alu instid0(VALU_DEP_1) | instskip(NEXT) | instid1(VALU_DEP_1)
	v_and_b32_e32 v33, 0xffff, v33
	v_and_b32_e32 v33, s1, v33
	s_delay_alu instid0(VALU_DEP_1)
	v_and_b32_e32 v34, 1, v33
	v_lshlrev_b32_e32 v35, 30, v33
	v_lshlrev_b32_e32 v36, 29, v33
	;; [unrolled: 1-line block ×4, first 2 shown]
	v_add_co_u32 v34, s0, v34, -1
	s_wait_alu 0xf1ff
	v_cndmask_b32_e64 v38, 0, 1, s0
	v_not_b32_e32 v81, v35
	v_cmp_gt_i32_e64 s0, 0, v35
	v_not_b32_e32 v35, v36
	v_lshlrev_b32_e32 v40, 26, v33
	v_cmp_ne_u32_e32 vcc_lo, 0, v38
	v_ashrrev_i32_e32 v81, 31, v81
	v_lshlrev_b32_e32 v80, 25, v33
	v_ashrrev_i32_e32 v35, 31, v35
	v_lshlrev_b32_e32 v38, 24, v33
	s_wait_alu 0xfffd
	v_xor_b32_e32 v34, vcc_lo, v34
	v_cmp_gt_i32_e32 vcc_lo, 0, v36
	v_not_b32_e32 v36, v37
	s_wait_alu 0xf1ff
	v_xor_b32_e32 v81, s0, v81
	v_cmp_gt_i32_e64 s0, 0, v37
	v_and_b32_e32 v34, exec_lo, v34
	v_not_b32_e32 v37, v39
	v_ashrrev_i32_e32 v36, 31, v36
	s_wait_alu 0xfffd
	v_xor_b32_e32 v35, vcc_lo, v35
	v_cmp_gt_i32_e32 vcc_lo, 0, v39
	v_and_b32_e32 v34, v34, v81
	v_not_b32_e32 v39, v40
	v_ashrrev_i32_e32 v37, 31, v37
	s_wait_alu 0xf1ff
	v_xor_b32_e32 v36, s0, v36
	v_cmp_gt_i32_e64 s0, 0, v40
	v_and_b32_e32 v34, v34, v35
	v_not_b32_e32 v35, v80
	v_ashrrev_i32_e32 v39, 31, v39
	s_wait_alu 0xfffd
	v_xor_b32_e32 v37, vcc_lo, v37
	v_cmp_gt_i32_e32 vcc_lo, 0, v80
	v_and_b32_e32 v34, v34, v36
	v_not_b32_e32 v36, v38
	v_ashrrev_i32_e32 v35, 31, v35
	s_wait_alu 0xf1ff
	v_xor_b32_e32 v39, s0, v39
	v_lshlrev_b32_e32 v33, 5, v33
	v_and_b32_e32 v34, v34, v37
	v_cmp_gt_i32_e64 s0, 0, v38
	v_ashrrev_i32_e32 v36, 31, v36
	s_wait_alu 0xfffd
	v_xor_b32_e32 v35, vcc_lo, v35
	v_add_nc_u32_e32 v103, v0, v33
	v_and_b32_e32 v34, v34, v39
	s_wait_alu 0xf1ff
	v_xor_b32_e32 v33, s0, v36
	ds_load_b32 v101, v103 offset:32
	v_and_b32_e32 v34, v34, v35
	; wave barrier
	s_delay_alu instid0(VALU_DEP_1) | instskip(NEXT) | instid1(VALU_DEP_1)
	v_and_b32_e32 v33, v34, v33
	v_mbcnt_lo_u32_b32 v102, v33, 0
	v_cmp_ne_u32_e64 s0, 0, v33
	s_delay_alu instid0(VALU_DEP_2)
	v_cmp_eq_u32_e32 vcc_lo, 0, v102
	s_and_b32 s10, s0, vcc_lo
	s_wait_alu 0xfffe
	s_and_saveexec_b32 s0, s10
	s_cbranch_execz .LBB256_59
; %bb.58:
	s_wait_dscnt 0x0
	v_bcnt_u32_b32 v33, v33, v101
	ds_store_b32 v103, v33 offset:32
.LBB256_59:
	s_wait_alu 0xfffe
	s_or_b32 exec_lo, exec_lo, s0
	v_cmp_ne_u16_e32 vcc_lo, 0x7fff, v79
	; wave barrier
	s_wait_alu 0xfffd
	v_cndmask_b32_e32 v33, 0xffff8000, v79, vcc_lo
	s_delay_alu instid0(VALU_DEP_1) | instskip(NEXT) | instid1(VALU_DEP_1)
	v_and_b32_e32 v33, 0xffff, v33
	v_and_b32_e32 v33, s1, v33
	s_delay_alu instid0(VALU_DEP_1)
	v_and_b32_e32 v34, 1, v33
	v_lshlrev_b32_e32 v35, 30, v33
	v_lshlrev_b32_e32 v36, 29, v33
	;; [unrolled: 1-line block ×4, first 2 shown]
	v_add_co_u32 v34, s0, v34, -1
	s_wait_alu 0xf1ff
	v_cndmask_b32_e64 v38, 0, 1, s0
	v_not_b32_e32 v81, v35
	v_cmp_gt_i32_e64 s0, 0, v35
	v_not_b32_e32 v35, v36
	v_lshlrev_b32_e32 v40, 26, v33
	v_cmp_ne_u32_e32 vcc_lo, 0, v38
	v_ashrrev_i32_e32 v81, 31, v81
	v_lshlrev_b32_e32 v80, 25, v33
	v_ashrrev_i32_e32 v35, 31, v35
	v_lshlrev_b32_e32 v38, 24, v33
	s_wait_alu 0xfffd
	v_xor_b32_e32 v34, vcc_lo, v34
	v_cmp_gt_i32_e32 vcc_lo, 0, v36
	v_not_b32_e32 v36, v37
	s_wait_alu 0xf1ff
	v_xor_b32_e32 v81, s0, v81
	v_cmp_gt_i32_e64 s0, 0, v37
	v_and_b32_e32 v34, exec_lo, v34
	v_not_b32_e32 v37, v39
	v_ashrrev_i32_e32 v36, 31, v36
	s_wait_alu 0xfffd
	v_xor_b32_e32 v35, vcc_lo, v35
	v_cmp_gt_i32_e32 vcc_lo, 0, v39
	v_and_b32_e32 v34, v34, v81
	v_not_b32_e32 v39, v40
	v_ashrrev_i32_e32 v37, 31, v37
	s_wait_alu 0xf1ff
	v_xor_b32_e32 v36, s0, v36
	v_cmp_gt_i32_e64 s0, 0, v40
	v_and_b32_e32 v34, v34, v35
	v_not_b32_e32 v35, v80
	v_ashrrev_i32_e32 v39, 31, v39
	s_wait_alu 0xfffd
	v_xor_b32_e32 v37, vcc_lo, v37
	v_cmp_gt_i32_e32 vcc_lo, 0, v80
	v_and_b32_e32 v34, v34, v36
	v_not_b32_e32 v36, v38
	v_ashrrev_i32_e32 v35, 31, v35
	s_wait_alu 0xf1ff
	v_xor_b32_e32 v39, s0, v39
	v_lshlrev_b32_e32 v33, 5, v33
	v_and_b32_e32 v34, v34, v37
	v_cmp_gt_i32_e64 s0, 0, v38
	v_ashrrev_i32_e32 v36, 31, v36
	s_wait_alu 0xfffd
	v_xor_b32_e32 v35, vcc_lo, v35
	v_add_nc_u32_e32 v106, v0, v33
	v_and_b32_e32 v34, v34, v39
	v_min_u32_e32 v80, 0xe0, v68
	s_wait_alu 0xf1ff
	v_xor_b32_e32 v33, s0, v36
	ds_load_b32 v104, v106 offset:32
	v_and_b32_e32 v34, v34, v35
	; wave barrier
	s_delay_alu instid0(VALU_DEP_1) | instskip(NEXT) | instid1(VALU_DEP_1)
	v_and_b32_e32 v33, v34, v33
	v_mbcnt_lo_u32_b32 v105, v33, 0
	v_cmp_ne_u32_e64 s0, 0, v33
	s_delay_alu instid0(VALU_DEP_2)
	v_cmp_eq_u32_e32 vcc_lo, 0, v105
	s_and_b32 s1, s0, vcc_lo
	s_wait_alu 0xfffe
	s_and_saveexec_b32 s0, s1
	s_cbranch_execz .LBB256_61
; %bb.60:
	s_wait_dscnt 0x0
	v_bcnt_u32_b32 v33, v33, v104
	ds_store_b32 v106, v33 offset:32
.LBB256_61:
	s_wait_alu 0xfffe
	s_or_b32 exec_lo, exec_lo, s0
	; wave barrier
	s_wait_loadcnt_dscnt 0x0
	s_barrier_signal -1
	s_barrier_wait -1
	global_inv scope:SCOPE_SE
	ds_load_b128 v[37:40], v65 offset:32
	ds_load_b128 v[33:36], v65 offset:48
	v_and_b32_e32 v107, 16, v67
	v_or_b32_e32 v80, 31, v80
	s_delay_alu instid0(VALU_DEP_2) | instskip(NEXT) | instid1(VALU_DEP_2)
	v_cmp_eq_u32_e64 s17, 0, v107
	v_cmp_eq_u32_e64 s15, v41, v80
	s_wait_dscnt 0x1
	v_add_nc_u32_e32 v81, v38, v37
	s_delay_alu instid0(VALU_DEP_1) | instskip(SKIP_1) | instid1(VALU_DEP_1)
	v_add3_u32 v81, v81, v39, v40
	s_wait_dscnt 0x0
	v_add3_u32 v81, v81, v33, v34
	s_delay_alu instid0(VALU_DEP_1) | instskip(SKIP_1) | instid1(VALU_DEP_2)
	v_add3_u32 v36, v81, v35, v36
	v_and_b32_e32 v81, 15, v67
	v_mov_b32_dpp v83, v36 row_shr:1 row_mask:0xf bank_mask:0xf
	s_delay_alu instid0(VALU_DEP_2)
	v_cmp_eq_u32_e64 s1, 0, v81
	v_cmp_lt_u32_e64 s11, 1, v81
	v_cmp_lt_u32_e64 s12, 3, v81
	;; [unrolled: 1-line block ×3, first 2 shown]
	s_wait_alu 0xf1ff
	v_cndmask_b32_e64 v83, v83, 0, s1
	s_delay_alu instid0(VALU_DEP_1) | instskip(NEXT) | instid1(VALU_DEP_1)
	v_add_nc_u32_e32 v36, v83, v36
	v_mov_b32_dpp v83, v36 row_shr:2 row_mask:0xf bank_mask:0xf
	s_delay_alu instid0(VALU_DEP_1) | instskip(NEXT) | instid1(VALU_DEP_1)
	v_cndmask_b32_e64 v83, 0, v83, s11
	v_add_nc_u32_e32 v36, v36, v83
	s_delay_alu instid0(VALU_DEP_1) | instskip(NEXT) | instid1(VALU_DEP_1)
	v_mov_b32_dpp v83, v36 row_shr:4 row_mask:0xf bank_mask:0xf
	v_cndmask_b32_e64 v83, 0, v83, s12
	s_delay_alu instid0(VALU_DEP_1) | instskip(NEXT) | instid1(VALU_DEP_1)
	v_add_nc_u32_e32 v36, v36, v83
	v_mov_b32_dpp v83, v36 row_shr:8 row_mask:0xf bank_mask:0xf
	s_delay_alu instid0(VALU_DEP_1) | instskip(NEXT) | instid1(VALU_DEP_1)
	v_cndmask_b32_e64 v81, 0, v83, s14
	v_add_nc_u32_e32 v83, v36, v81
	v_bfe_i32 v81, v67, 4, 1
	ds_swizzle_b32 v36, v83 offset:swizzle(BROADCAST,32,15)
	s_wait_dscnt 0x0
	v_and_b32_e32 v108, v81, v36
	v_mul_i32_i24_e32 v36, 0xffffffe4, v41
	v_lshlrev_b32_e32 v81, 2, v66
	s_delay_alu instid0(VALU_DEP_3)
	v_add_nc_u32_e32 v83, v83, v108
	s_and_saveexec_b32 s0, s15
; %bb.62:
	ds_store_b32 v81, v83
; %bb.63:
	s_wait_alu 0xfffe
	s_or_b32 exec_lo, exec_lo, s0
	v_and_b32_e32 v80, 7, v67
	v_cmp_gt_u32_e64 s16, 8, v41
	s_wait_loadcnt_dscnt 0x0
	s_barrier_signal -1
	s_barrier_wait -1
	v_cmp_eq_u32_e64 s13, 0, v80
	v_cmp_lt_u32_e64 s10, 1, v80
	v_cmp_lt_u32_e32 vcc_lo, 3, v80
	v_add_nc_u32_e32 v80, v65, v36
	global_inv scope:SCOPE_SE
	s_and_saveexec_b32 s0, s16
	s_cbranch_execz .LBB256_65
; %bb.64:
	ds_load_b32 v36, v80
	s_wait_dscnt 0x0
	v_mov_b32_dpp v107, v36 row_shr:1 row_mask:0xf bank_mask:0xf
	s_delay_alu instid0(VALU_DEP_1) | instskip(NEXT) | instid1(VALU_DEP_1)
	v_cndmask_b32_e64 v107, v107, 0, s13
	v_add_nc_u32_e32 v36, v107, v36
	s_delay_alu instid0(VALU_DEP_1) | instskip(NEXT) | instid1(VALU_DEP_1)
	v_mov_b32_dpp v107, v36 row_shr:2 row_mask:0xf bank_mask:0xf
	v_cndmask_b32_e64 v107, 0, v107, s10
	s_delay_alu instid0(VALU_DEP_1) | instskip(NEXT) | instid1(VALU_DEP_1)
	v_add_nc_u32_e32 v36, v36, v107
	v_mov_b32_dpp v107, v36 row_shr:4 row_mask:0xf bank_mask:0xf
	s_wait_alu 0xfffd
	s_delay_alu instid0(VALU_DEP_1) | instskip(NEXT) | instid1(VALU_DEP_1)
	v_cndmask_b32_e32 v107, 0, v107, vcc_lo
	v_add_nc_u32_e32 v36, v36, v107
	ds_store_b32 v80, v36
.LBB256_65:
	s_wait_alu 0xfffe
	s_or_b32 exec_lo, exec_lo, s0
	v_mul_u32_u24_e32 v36, 6, v82
	v_sub_co_u32 v107, s0, v67, 1
	v_cmp_lt_u32_e64 s18, 31, v41
	v_add_nc_u32_e32 v82, -4, v81
	v_mov_b32_e32 v108, 0
	s_wait_loadcnt_dscnt 0x0
	s_barrier_signal -1
	s_barrier_wait -1
	global_inv scope:SCOPE_SE
	s_and_saveexec_b32 s19, s18
; %bb.66:
	ds_load_b32 v108, v82
; %bb.67:
	s_wait_alu 0xfffe
	s_or_b32 exec_lo, exec_lo, s19
	v_cmp_gt_i32_e64 s19, 0, v107
	s_mov_b32 s24, 0
	s_min_u32 s20, s20, 8
	s_mov_b32 s25, s24
	s_mov_b32 s26, s24
	v_cndmask_b32_e64 v107, v107, v67, s19
	s_mov_b32 s27, s24
	s_wait_dscnt 0x0
	v_add_nc_u32_e32 v109, v108, v83
	v_cmp_eq_u32_e64 s19, 0, v41
	s_wait_alu 0xfffe
	s_lshl_b32 s20, -1, s20
	v_lshlrev_b32_e32 v83, 2, v107
	s_wait_alu 0xfffe
	s_not_b32 s33, s20
	ds_bpermute_b32 v107, v83, v109
	s_wait_dscnt 0x0
	v_cndmask_b32_e64 v107, v107, v108, s0
	s_delay_alu instid0(VALU_DEP_1) | instskip(NEXT) | instid1(VALU_DEP_1)
	v_cndmask_b32_e64 v107, v107, 0, s19
	v_add_nc_u32_e32 v108, v107, v37
	s_delay_alu instid0(VALU_DEP_1) | instskip(NEXT) | instid1(VALU_DEP_1)
	v_add_nc_u32_e32 v109, v108, v38
	v_add_nc_u32_e32 v110, v109, v39
	s_delay_alu instid0(VALU_DEP_1) | instskip(NEXT) | instid1(VALU_DEP_1)
	v_add_nc_u32_e32 v37, v110, v40
	;; [unrolled: 3-line block ×3, first 2 shown]
	v_add_nc_u32_e32 v40, v39, v35
	ds_store_b128 v65, v[107:110] offset:32
	ds_store_b128 v65, v[37:40] offset:48
	s_wait_loadcnt_dscnt 0x0
	s_barrier_signal -1
	s_barrier_wait -1
	global_inv scope:SCOPE_SE
	ds_load_b32 v33, v85 offset:32
	ds_load_b32 v34, v88 offset:32
	;; [unrolled: 1-line block ×8, first 2 shown]
	v_add_nc_u32_e32 v88, v71, v36
	s_wait_loadcnt_dscnt 0x0
	s_barrier_signal -1
	s_barrier_wait -1
	global_inv scope:SCOPE_SE
	v_add_nc_u32_e32 v84, v33, v84
	v_add3_u32 v86, v87, v86, v34
	v_add3_u32 v87, v90, v89, v35
	;; [unrolled: 1-line block ×7, first 2 shown]
	v_lshlrev_b32_e32 v33, 1, v84
	v_lshlrev_b32_e32 v34, 1, v86
	;; [unrolled: 1-line block ×8, first 2 shown]
	ds_store_b16 v33, v72
	ds_store_b16 v34, v73
	;; [unrolled: 1-line block ×8, first 2 shown]
	s_wait_loadcnt_dscnt 0x0
	s_barrier_signal -1
	s_barrier_wait -1
	global_inv scope:SCOPE_SE
	ds_load_u16 v72, v71
	ds_load_u16 v73, v71 offset:64
	ds_load_u16 v74, v71 offset:128
	;; [unrolled: 1-line block ×7, first 2 shown]
	v_mad_co_u64_u32 v[84:85], null, v84, 6, v[33:34]
	v_mad_co_u64_u32 v[33:34], null, v86, 6, v[34:35]
	;; [unrolled: 1-line block ×3, first 2 shown]
	s_wait_loadcnt_dscnt 0x0
	s_barrier_signal -1
	s_barrier_wait -1
	global_inv scope:SCOPE_SE
	v_mad_co_u64_u32 v[35:36], null, v89, 6, v[36:37]
	v_lshrrev_b16 v79, 8, v72
	v_cmp_ne_u16_e64 s20, 0x7fff, v72
	ds_store_b64 v84, v[17:18]
	v_mad_co_u64_u32 v[36:37], null, v90, 6, v[37:38]
	v_mad_co_u64_u32 v[37:38], null, v91, 6, v[38:39]
	s_wait_alu 0xf1ff
	v_cndmask_b32_e64 v79, 0x80, v79, s20
	v_mad_co_u64_u32 v[38:39], null, v92, 6, v[39:40]
	v_mad_co_u64_u32 v[39:40], null, v93, 6, v[40:41]
	s_delay_alu instid0(VALU_DEP_3)
	v_and_b32_e32 v17, 0xffff, v79
	ds_store_b64 v33, v[19:20]
	ds_store_b64 v34, v[25:26]
	;; [unrolled: 1-line block ×7, first 2 shown]
	v_and_b32_e32 v40, s33, v17
	s_wait_loadcnt_dscnt 0x0
	s_barrier_signal -1
	s_barrier_wait -1
	global_inv scope:SCOPE_SE
	v_and_b32_e32 v17, 1, v40
	v_lshlrev_b32_e32 v18, 30, v40
	v_lshlrev_b32_e32 v19, 29, v40
	;; [unrolled: 1-line block ×4, first 2 shown]
	v_add_co_u32 v17, s20, v17, -1
	s_wait_alu 0xf1ff
	v_cndmask_b32_e64 v21, 0, 1, s20
	v_not_b32_e32 v25, v18
	v_cmp_gt_i32_e64 s21, 0, v18
	v_not_b32_e32 v18, v19
	v_lshlrev_b32_e32 v23, 26, v40
	v_cmp_ne_u32_e64 s20, 0, v21
	v_ashrrev_i32_e32 v25, 31, v25
	v_lshlrev_b32_e32 v24, 25, v40
	v_ashrrev_i32_e32 v18, 31, v18
	v_lshlrev_b32_e32 v21, 24, v40
	s_wait_alu 0xf1ff
	v_xor_b32_e32 v17, s20, v17
	v_cmp_gt_i32_e64 s20, 0, v19
	v_not_b32_e32 v19, v20
	v_xor_b32_e32 v25, s21, v25
	v_cmp_gt_i32_e64 s21, 0, v20
	v_and_b32_e32 v17, exec_lo, v17
	v_not_b32_e32 v20, v22
	v_ashrrev_i32_e32 v19, 31, v19
	s_wait_alu 0xf1ff
	v_xor_b32_e32 v18, s20, v18
	v_cmp_gt_i32_e64 s20, 0, v22
	v_and_b32_e32 v17, v17, v25
	v_not_b32_e32 v22, v23
	v_ashrrev_i32_e32 v20, 31, v20
	v_xor_b32_e32 v19, s21, v19
	v_cmp_gt_i32_e64 s21, 0, v23
	v_and_b32_e32 v17, v17, v18
	v_not_b32_e32 v18, v24
	v_ashrrev_i32_e32 v22, 31, v22
	s_wait_alu 0xf1ff
	v_xor_b32_e32 v20, s20, v20
	v_cmp_gt_i32_e64 s20, 0, v24
	v_and_b32_e32 v17, v17, v19
	v_not_b32_e32 v19, v21
	v_ashrrev_i32_e32 v18, 31, v18
	v_xor_b32_e32 v22, s21, v22
	v_cmp_gt_i32_e64 s21, 0, v21
	v_and_b32_e32 v17, v17, v20
	v_ashrrev_i32_e32 v19, 31, v19
	s_wait_alu 0xf1ff
	v_xor_b32_e32 v18, s20, v18
	v_dual_mov_b32 v37, s27 :: v_dual_mov_b32 v36, s26
	v_and_b32_e32 v17, v17, v22
	v_xor_b32_e32 v33, s21, v19
	ds_load_2addr_b64 v[21:24], v88 offset1:32
	v_dual_mov_b32 v35, s25 :: v_dual_mov_b32 v34, s24
	v_and_b32_e32 v38, v17, v18
	ds_load_2addr_b64 v[29:32], v88 offset0:64 offset1:96
	ds_load_2addr_b64 v[25:28], v88 offset0:128 offset1:160
	;; [unrolled: 1-line block ×3, first 2 shown]
	v_lshl_add_u32 v84, v40, 5, v0
	s_wait_loadcnt_dscnt 0x0
	s_barrier_signal -1
	v_and_b32_e32 v33, v38, v33
	s_barrier_wait -1
	global_inv scope:SCOPE_SE
	ds_store_b128 v65, v[34:37] offset:32
	ds_store_b128 v65, v[34:37] offset:48
	s_wait_loadcnt_dscnt 0x0
	v_mbcnt_lo_u32_b32 v79, v33, 0
	v_cmp_ne_u32_e64 s21, 0, v33
	s_barrier_signal -1
	s_barrier_wait -1
	global_inv scope:SCOPE_SE
	v_cmp_eq_u32_e64 s20, 0, v79
	; wave barrier
	s_and_b32 s21, s21, s20
	s_wait_alu 0xfffe
	s_and_saveexec_b32 s20, s21
; %bb.68:
	v_bcnt_u32_b32 v33, v33, 0
	ds_store_b32 v84, v33 offset:32
; %bb.69:
	s_wait_alu 0xfffe
	s_or_b32 exec_lo, exec_lo, s20
	v_lshrrev_b16 v33, 8, v73
	v_cmp_ne_u16_e64 s20, 0x7fff, v73
	; wave barrier
	s_wait_alu 0xf1ff
	s_delay_alu instid0(VALU_DEP_1) | instskip(NEXT) | instid1(VALU_DEP_1)
	v_cndmask_b32_e64 v33, 0x80, v33, s20
	v_and_b32_e32 v33, s33, v33
	s_delay_alu instid0(VALU_DEP_1)
	v_and_b32_e32 v34, 1, v33
	v_lshlrev_b32_e32 v35, 30, v33
	v_lshlrev_b32_e32 v36, 29, v33
	;; [unrolled: 1-line block ×4, first 2 shown]
	v_add_co_u32 v34, s20, v34, -1
	s_wait_alu 0xf1ff
	v_cndmask_b32_e64 v38, 0, 1, s20
	v_not_b32_e32 v86, v35
	v_cmp_gt_i32_e64 s21, 0, v35
	v_not_b32_e32 v35, v36
	v_lshlrev_b32_e32 v40, 26, v33
	v_cmp_ne_u32_e64 s20, 0, v38
	v_ashrrev_i32_e32 v86, 31, v86
	v_lshlrev_b32_e32 v85, 25, v33
	v_ashrrev_i32_e32 v35, 31, v35
	v_lshlrev_b32_e32 v38, 24, v33
	s_wait_alu 0xf1ff
	v_xor_b32_e32 v34, s20, v34
	v_cmp_gt_i32_e64 s20, 0, v36
	v_not_b32_e32 v36, v37
	v_xor_b32_e32 v86, s21, v86
	v_cmp_gt_i32_e64 s21, 0, v37
	v_and_b32_e32 v34, exec_lo, v34
	v_not_b32_e32 v37, v39
	v_ashrrev_i32_e32 v36, 31, v36
	s_wait_alu 0xf1ff
	v_xor_b32_e32 v35, s20, v35
	v_cmp_gt_i32_e64 s20, 0, v39
	v_and_b32_e32 v34, v34, v86
	v_not_b32_e32 v39, v40
	v_ashrrev_i32_e32 v37, 31, v37
	v_xor_b32_e32 v36, s21, v36
	v_cmp_gt_i32_e64 s21, 0, v40
	v_and_b32_e32 v34, v34, v35
	v_not_b32_e32 v35, v85
	v_ashrrev_i32_e32 v39, 31, v39
	s_wait_alu 0xf1ff
	v_xor_b32_e32 v37, s20, v37
	v_cmp_gt_i32_e64 s20, 0, v85
	v_and_b32_e32 v34, v34, v36
	v_not_b32_e32 v36, v38
	v_ashrrev_i32_e32 v35, 31, v35
	v_xor_b32_e32 v39, s21, v39
	v_cmp_gt_i32_e64 s21, 0, v38
	v_and_b32_e32 v34, v34, v37
	v_ashrrev_i32_e32 v36, 31, v36
	s_wait_alu 0xf1ff
	v_xor_b32_e32 v35, s20, v35
	v_lshl_add_u32 v87, v33, 5, v0
	v_and_b32_e32 v34, v34, v39
	v_xor_b32_e32 v33, s21, v36
	ds_load_b32 v85, v87 offset:32
	v_and_b32_e32 v34, v34, v35
	; wave barrier
	s_delay_alu instid0(VALU_DEP_1) | instskip(NEXT) | instid1(VALU_DEP_1)
	v_and_b32_e32 v33, v34, v33
	v_mbcnt_lo_u32_b32 v86, v33, 0
	v_cmp_ne_u32_e64 s21, 0, v33
	s_delay_alu instid0(VALU_DEP_2)
	v_cmp_eq_u32_e64 s20, 0, v86
	s_and_b32 s21, s21, s20
	s_wait_alu 0xfffe
	s_and_saveexec_b32 s20, s21
	s_cbranch_execz .LBB256_71
; %bb.70:
	s_wait_dscnt 0x0
	v_bcnt_u32_b32 v33, v33, v85
	ds_store_b32 v87, v33 offset:32
.LBB256_71:
	s_wait_alu 0xfffe
	s_or_b32 exec_lo, exec_lo, s20
	v_lshrrev_b16 v33, 8, v74
	v_cmp_ne_u16_e64 s20, 0x7fff, v74
	; wave barrier
	s_wait_alu 0xf1ff
	s_delay_alu instid0(VALU_DEP_1) | instskip(NEXT) | instid1(VALU_DEP_1)
	v_cndmask_b32_e64 v33, 0x80, v33, s20
	v_and_b32_e32 v33, s33, v33
	s_delay_alu instid0(VALU_DEP_1)
	v_and_b32_e32 v34, 1, v33
	v_lshlrev_b32_e32 v35, 30, v33
	v_lshlrev_b32_e32 v36, 29, v33
	;; [unrolled: 1-line block ×4, first 2 shown]
	v_add_co_u32 v34, s20, v34, -1
	s_wait_alu 0xf1ff
	v_cndmask_b32_e64 v38, 0, 1, s20
	v_not_b32_e32 v89, v35
	v_cmp_gt_i32_e64 s21, 0, v35
	v_not_b32_e32 v35, v36
	v_lshlrev_b32_e32 v40, 26, v33
	v_cmp_ne_u32_e64 s20, 0, v38
	v_ashrrev_i32_e32 v89, 31, v89
	v_lshlrev_b32_e32 v88, 25, v33
	v_ashrrev_i32_e32 v35, 31, v35
	v_lshlrev_b32_e32 v38, 24, v33
	s_wait_alu 0xf1ff
	v_xor_b32_e32 v34, s20, v34
	v_cmp_gt_i32_e64 s20, 0, v36
	v_not_b32_e32 v36, v37
	v_xor_b32_e32 v89, s21, v89
	v_cmp_gt_i32_e64 s21, 0, v37
	v_and_b32_e32 v34, exec_lo, v34
	v_not_b32_e32 v37, v39
	v_ashrrev_i32_e32 v36, 31, v36
	s_wait_alu 0xf1ff
	v_xor_b32_e32 v35, s20, v35
	v_cmp_gt_i32_e64 s20, 0, v39
	v_and_b32_e32 v34, v34, v89
	v_not_b32_e32 v39, v40
	v_ashrrev_i32_e32 v37, 31, v37
	v_xor_b32_e32 v36, s21, v36
	v_cmp_gt_i32_e64 s21, 0, v40
	v_and_b32_e32 v34, v34, v35
	v_not_b32_e32 v35, v88
	v_ashrrev_i32_e32 v39, 31, v39
	s_wait_alu 0xf1ff
	v_xor_b32_e32 v37, s20, v37
	v_cmp_gt_i32_e64 s20, 0, v88
	v_and_b32_e32 v34, v34, v36
	v_not_b32_e32 v36, v38
	v_ashrrev_i32_e32 v35, 31, v35
	v_xor_b32_e32 v39, s21, v39
	v_cmp_gt_i32_e64 s21, 0, v38
	v_and_b32_e32 v34, v34, v37
	v_ashrrev_i32_e32 v36, 31, v36
	s_wait_alu 0xf1ff
	v_xor_b32_e32 v35, s20, v35
	v_lshl_add_u32 v90, v33, 5, v0
	v_and_b32_e32 v34, v34, v39
	v_xor_b32_e32 v33, s21, v36
	ds_load_b32 v88, v90 offset:32
	v_and_b32_e32 v34, v34, v35
	; wave barrier
	s_delay_alu instid0(VALU_DEP_1) | instskip(NEXT) | instid1(VALU_DEP_1)
	v_and_b32_e32 v33, v34, v33
	v_mbcnt_lo_u32_b32 v89, v33, 0
	v_cmp_ne_u32_e64 s21, 0, v33
	s_delay_alu instid0(VALU_DEP_2)
	v_cmp_eq_u32_e64 s20, 0, v89
	s_and_b32 s21, s21, s20
	s_wait_alu 0xfffe
	s_and_saveexec_b32 s20, s21
	s_cbranch_execz .LBB256_73
; %bb.72:
	s_wait_dscnt 0x0
	v_bcnt_u32_b32 v33, v33, v88
	ds_store_b32 v90, v33 offset:32
.LBB256_73:
	s_wait_alu 0xfffe
	s_or_b32 exec_lo, exec_lo, s20
	v_lshrrev_b16 v33, 8, v75
	v_cmp_ne_u16_e64 s20, 0x7fff, v75
	; wave barrier
	s_wait_alu 0xf1ff
	s_delay_alu instid0(VALU_DEP_1) | instskip(NEXT) | instid1(VALU_DEP_1)
	v_cndmask_b32_e64 v33, 0x80, v33, s20
	v_and_b32_e32 v33, s33, v33
	s_delay_alu instid0(VALU_DEP_1)
	v_and_b32_e32 v34, 1, v33
	v_lshlrev_b32_e32 v35, 30, v33
	v_lshlrev_b32_e32 v36, 29, v33
	;; [unrolled: 1-line block ×4, first 2 shown]
	v_add_co_u32 v34, s20, v34, -1
	s_wait_alu 0xf1ff
	v_cndmask_b32_e64 v38, 0, 1, s20
	v_not_b32_e32 v92, v35
	v_cmp_gt_i32_e64 s21, 0, v35
	v_not_b32_e32 v35, v36
	v_lshlrev_b32_e32 v40, 26, v33
	v_cmp_ne_u32_e64 s20, 0, v38
	v_ashrrev_i32_e32 v92, 31, v92
	v_lshlrev_b32_e32 v91, 25, v33
	v_ashrrev_i32_e32 v35, 31, v35
	v_lshlrev_b32_e32 v38, 24, v33
	s_wait_alu 0xf1ff
	v_xor_b32_e32 v34, s20, v34
	v_cmp_gt_i32_e64 s20, 0, v36
	v_not_b32_e32 v36, v37
	v_xor_b32_e32 v92, s21, v92
	v_cmp_gt_i32_e64 s21, 0, v37
	v_and_b32_e32 v34, exec_lo, v34
	v_not_b32_e32 v37, v39
	v_ashrrev_i32_e32 v36, 31, v36
	s_wait_alu 0xf1ff
	v_xor_b32_e32 v35, s20, v35
	v_cmp_gt_i32_e64 s20, 0, v39
	v_and_b32_e32 v34, v34, v92
	v_not_b32_e32 v39, v40
	v_ashrrev_i32_e32 v37, 31, v37
	v_xor_b32_e32 v36, s21, v36
	v_cmp_gt_i32_e64 s21, 0, v40
	v_and_b32_e32 v34, v34, v35
	v_not_b32_e32 v35, v91
	v_ashrrev_i32_e32 v39, 31, v39
	s_wait_alu 0xf1ff
	v_xor_b32_e32 v37, s20, v37
	v_cmp_gt_i32_e64 s20, 0, v91
	v_and_b32_e32 v34, v34, v36
	v_not_b32_e32 v36, v38
	v_ashrrev_i32_e32 v35, 31, v35
	v_xor_b32_e32 v39, s21, v39
	v_cmp_gt_i32_e64 s21, 0, v38
	v_and_b32_e32 v34, v34, v37
	v_ashrrev_i32_e32 v36, 31, v36
	s_wait_alu 0xf1ff
	v_xor_b32_e32 v35, s20, v35
	v_lshl_add_u32 v93, v33, 5, v0
	v_and_b32_e32 v34, v34, v39
	v_xor_b32_e32 v33, s21, v36
	ds_load_b32 v91, v93 offset:32
	v_and_b32_e32 v34, v34, v35
	; wave barrier
	s_delay_alu instid0(VALU_DEP_1) | instskip(NEXT) | instid1(VALU_DEP_1)
	v_and_b32_e32 v33, v34, v33
	v_mbcnt_lo_u32_b32 v92, v33, 0
	v_cmp_ne_u32_e64 s21, 0, v33
	s_delay_alu instid0(VALU_DEP_2)
	v_cmp_eq_u32_e64 s20, 0, v92
	s_and_b32 s21, s21, s20
	s_wait_alu 0xfffe
	s_and_saveexec_b32 s20, s21
	s_cbranch_execz .LBB256_75
; %bb.74:
	s_wait_dscnt 0x0
	v_bcnt_u32_b32 v33, v33, v91
	ds_store_b32 v93, v33 offset:32
.LBB256_75:
	s_wait_alu 0xfffe
	s_or_b32 exec_lo, exec_lo, s20
	v_lshrrev_b16 v33, 8, v76
	v_cmp_ne_u16_e64 s20, 0x7fff, v76
	; wave barrier
	s_wait_alu 0xf1ff
	s_delay_alu instid0(VALU_DEP_1) | instskip(NEXT) | instid1(VALU_DEP_1)
	v_cndmask_b32_e64 v33, 0x80, v33, s20
	v_and_b32_e32 v33, s33, v33
	s_delay_alu instid0(VALU_DEP_1)
	v_and_b32_e32 v34, 1, v33
	v_lshlrev_b32_e32 v35, 30, v33
	v_lshlrev_b32_e32 v36, 29, v33
	;; [unrolled: 1-line block ×4, first 2 shown]
	v_add_co_u32 v34, s20, v34, -1
	s_wait_alu 0xf1ff
	v_cndmask_b32_e64 v38, 0, 1, s20
	v_not_b32_e32 v95, v35
	v_cmp_gt_i32_e64 s21, 0, v35
	v_not_b32_e32 v35, v36
	v_lshlrev_b32_e32 v40, 26, v33
	v_cmp_ne_u32_e64 s20, 0, v38
	v_ashrrev_i32_e32 v95, 31, v95
	v_lshlrev_b32_e32 v94, 25, v33
	v_ashrrev_i32_e32 v35, 31, v35
	v_lshlrev_b32_e32 v38, 24, v33
	s_wait_alu 0xf1ff
	v_xor_b32_e32 v34, s20, v34
	v_cmp_gt_i32_e64 s20, 0, v36
	v_not_b32_e32 v36, v37
	v_xor_b32_e32 v95, s21, v95
	v_cmp_gt_i32_e64 s21, 0, v37
	v_and_b32_e32 v34, exec_lo, v34
	v_not_b32_e32 v37, v39
	v_ashrrev_i32_e32 v36, 31, v36
	s_wait_alu 0xf1ff
	v_xor_b32_e32 v35, s20, v35
	v_cmp_gt_i32_e64 s20, 0, v39
	v_and_b32_e32 v34, v34, v95
	v_not_b32_e32 v39, v40
	v_ashrrev_i32_e32 v37, 31, v37
	v_xor_b32_e32 v36, s21, v36
	v_cmp_gt_i32_e64 s21, 0, v40
	v_and_b32_e32 v34, v34, v35
	v_not_b32_e32 v35, v94
	v_ashrrev_i32_e32 v39, 31, v39
	s_wait_alu 0xf1ff
	v_xor_b32_e32 v37, s20, v37
	v_cmp_gt_i32_e64 s20, 0, v94
	v_and_b32_e32 v34, v34, v36
	v_not_b32_e32 v36, v38
	v_ashrrev_i32_e32 v35, 31, v35
	v_xor_b32_e32 v39, s21, v39
	v_cmp_gt_i32_e64 s21, 0, v38
	v_and_b32_e32 v34, v34, v37
	v_ashrrev_i32_e32 v36, 31, v36
	s_wait_alu 0xf1ff
	v_xor_b32_e32 v35, s20, v35
	v_lshl_add_u32 v96, v33, 5, v0
	v_and_b32_e32 v34, v34, v39
	v_xor_b32_e32 v33, s21, v36
	ds_load_b32 v94, v96 offset:32
	v_and_b32_e32 v34, v34, v35
	; wave barrier
	s_delay_alu instid0(VALU_DEP_1) | instskip(NEXT) | instid1(VALU_DEP_1)
	v_and_b32_e32 v33, v34, v33
	v_mbcnt_lo_u32_b32 v95, v33, 0
	v_cmp_ne_u32_e64 s21, 0, v33
	s_delay_alu instid0(VALU_DEP_2)
	v_cmp_eq_u32_e64 s20, 0, v95
	s_and_b32 s21, s21, s20
	s_wait_alu 0xfffe
	s_and_saveexec_b32 s20, s21
	s_cbranch_execz .LBB256_77
; %bb.76:
	s_wait_dscnt 0x0
	v_bcnt_u32_b32 v33, v33, v94
	ds_store_b32 v96, v33 offset:32
.LBB256_77:
	s_wait_alu 0xfffe
	s_or_b32 exec_lo, exec_lo, s20
	v_lshrrev_b16 v33, 8, v77
	v_cmp_ne_u16_e64 s20, 0x7fff, v77
	; wave barrier
	s_wait_alu 0xf1ff
	s_delay_alu instid0(VALU_DEP_1) | instskip(NEXT) | instid1(VALU_DEP_1)
	v_cndmask_b32_e64 v33, 0x80, v33, s20
	v_and_b32_e32 v33, s33, v33
	s_delay_alu instid0(VALU_DEP_1)
	v_and_b32_e32 v34, 1, v33
	v_lshlrev_b32_e32 v35, 30, v33
	v_lshlrev_b32_e32 v36, 29, v33
	;; [unrolled: 1-line block ×4, first 2 shown]
	v_add_co_u32 v34, s20, v34, -1
	s_wait_alu 0xf1ff
	v_cndmask_b32_e64 v38, 0, 1, s20
	v_not_b32_e32 v98, v35
	v_cmp_gt_i32_e64 s21, 0, v35
	v_not_b32_e32 v35, v36
	v_lshlrev_b32_e32 v40, 26, v33
	v_cmp_ne_u32_e64 s20, 0, v38
	v_ashrrev_i32_e32 v98, 31, v98
	v_lshlrev_b32_e32 v97, 25, v33
	v_ashrrev_i32_e32 v35, 31, v35
	v_lshlrev_b32_e32 v38, 24, v33
	s_wait_alu 0xf1ff
	v_xor_b32_e32 v34, s20, v34
	v_cmp_gt_i32_e64 s20, 0, v36
	v_not_b32_e32 v36, v37
	v_xor_b32_e32 v98, s21, v98
	v_cmp_gt_i32_e64 s21, 0, v37
	v_and_b32_e32 v34, exec_lo, v34
	v_not_b32_e32 v37, v39
	v_ashrrev_i32_e32 v36, 31, v36
	s_wait_alu 0xf1ff
	v_xor_b32_e32 v35, s20, v35
	v_cmp_gt_i32_e64 s20, 0, v39
	v_and_b32_e32 v34, v34, v98
	v_not_b32_e32 v39, v40
	v_ashrrev_i32_e32 v37, 31, v37
	v_xor_b32_e32 v36, s21, v36
	v_cmp_gt_i32_e64 s21, 0, v40
	v_and_b32_e32 v34, v34, v35
	v_not_b32_e32 v35, v97
	v_ashrrev_i32_e32 v39, 31, v39
	s_wait_alu 0xf1ff
	v_xor_b32_e32 v37, s20, v37
	v_cmp_gt_i32_e64 s20, 0, v97
	v_and_b32_e32 v34, v34, v36
	v_not_b32_e32 v36, v38
	v_ashrrev_i32_e32 v35, 31, v35
	v_xor_b32_e32 v39, s21, v39
	v_cmp_gt_i32_e64 s21, 0, v38
	v_and_b32_e32 v34, v34, v37
	v_ashrrev_i32_e32 v36, 31, v36
	s_wait_alu 0xf1ff
	v_xor_b32_e32 v35, s20, v35
	v_lshl_add_u32 v99, v33, 5, v0
	v_and_b32_e32 v34, v34, v39
	v_xor_b32_e32 v33, s21, v36
	ds_load_b32 v97, v99 offset:32
	v_and_b32_e32 v34, v34, v35
	; wave barrier
	s_delay_alu instid0(VALU_DEP_1) | instskip(NEXT) | instid1(VALU_DEP_1)
	v_and_b32_e32 v33, v34, v33
	v_mbcnt_lo_u32_b32 v98, v33, 0
	v_cmp_ne_u32_e64 s21, 0, v33
	s_delay_alu instid0(VALU_DEP_2)
	v_cmp_eq_u32_e64 s20, 0, v98
	s_and_b32 s21, s21, s20
	s_wait_alu 0xfffe
	s_and_saveexec_b32 s20, s21
	s_cbranch_execz .LBB256_79
; %bb.78:
	s_wait_dscnt 0x0
	v_bcnt_u32_b32 v33, v33, v97
	ds_store_b32 v99, v33 offset:32
.LBB256_79:
	s_wait_alu 0xfffe
	s_or_b32 exec_lo, exec_lo, s20
	v_lshrrev_b16 v33, 8, v78
	v_cmp_ne_u16_e64 s20, 0x7fff, v78
	; wave barrier
	s_wait_alu 0xf1ff
	s_delay_alu instid0(VALU_DEP_1) | instskip(NEXT) | instid1(VALU_DEP_1)
	v_cndmask_b32_e64 v33, 0x80, v33, s20
	v_and_b32_e32 v33, s33, v33
	s_delay_alu instid0(VALU_DEP_1)
	v_and_b32_e32 v34, 1, v33
	v_lshlrev_b32_e32 v35, 30, v33
	v_lshlrev_b32_e32 v36, 29, v33
	;; [unrolled: 1-line block ×4, first 2 shown]
	v_add_co_u32 v34, s20, v34, -1
	s_wait_alu 0xf1ff
	v_cndmask_b32_e64 v38, 0, 1, s20
	v_not_b32_e32 v101, v35
	v_cmp_gt_i32_e64 s21, 0, v35
	v_not_b32_e32 v35, v36
	v_lshlrev_b32_e32 v40, 26, v33
	v_cmp_ne_u32_e64 s20, 0, v38
	v_ashrrev_i32_e32 v101, 31, v101
	v_lshlrev_b32_e32 v100, 25, v33
	v_ashrrev_i32_e32 v35, 31, v35
	v_lshlrev_b32_e32 v38, 24, v33
	s_wait_alu 0xf1ff
	v_xor_b32_e32 v34, s20, v34
	v_cmp_gt_i32_e64 s20, 0, v36
	v_not_b32_e32 v36, v37
	v_xor_b32_e32 v101, s21, v101
	v_cmp_gt_i32_e64 s21, 0, v37
	v_and_b32_e32 v34, exec_lo, v34
	v_not_b32_e32 v37, v39
	v_ashrrev_i32_e32 v36, 31, v36
	s_wait_alu 0xf1ff
	v_xor_b32_e32 v35, s20, v35
	v_cmp_gt_i32_e64 s20, 0, v39
	v_and_b32_e32 v34, v34, v101
	v_not_b32_e32 v39, v40
	v_ashrrev_i32_e32 v37, 31, v37
	v_xor_b32_e32 v36, s21, v36
	v_cmp_gt_i32_e64 s21, 0, v40
	v_and_b32_e32 v34, v34, v35
	v_not_b32_e32 v35, v100
	v_ashrrev_i32_e32 v39, 31, v39
	s_wait_alu 0xf1ff
	v_xor_b32_e32 v37, s20, v37
	v_cmp_gt_i32_e64 s20, 0, v100
	v_and_b32_e32 v34, v34, v36
	v_not_b32_e32 v36, v38
	v_ashrrev_i32_e32 v35, 31, v35
	v_xor_b32_e32 v39, s21, v39
	v_cmp_gt_i32_e64 s21, 0, v38
	v_and_b32_e32 v34, v34, v37
	v_ashrrev_i32_e32 v36, 31, v36
	s_wait_alu 0xf1ff
	v_xor_b32_e32 v35, s20, v35
	v_lshl_add_u32 v102, v33, 5, v0
	v_and_b32_e32 v34, v34, v39
	v_xor_b32_e32 v33, s21, v36
	ds_load_b32 v100, v102 offset:32
	v_and_b32_e32 v34, v34, v35
	; wave barrier
	s_delay_alu instid0(VALU_DEP_1) | instskip(NEXT) | instid1(VALU_DEP_1)
	v_and_b32_e32 v33, v34, v33
	v_mbcnt_lo_u32_b32 v101, v33, 0
	v_cmp_ne_u32_e64 s21, 0, v33
	s_delay_alu instid0(VALU_DEP_2)
	v_cmp_eq_u32_e64 s20, 0, v101
	s_and_b32 s21, s21, s20
	s_wait_alu 0xfffe
	s_and_saveexec_b32 s20, s21
	s_cbranch_execz .LBB256_81
; %bb.80:
	s_wait_dscnt 0x0
	v_bcnt_u32_b32 v33, v33, v100
	ds_store_b32 v102, v33 offset:32
.LBB256_81:
	s_wait_alu 0xfffe
	s_or_b32 exec_lo, exec_lo, s20
	v_lshrrev_b16 v33, 8, v71
	v_cmp_ne_u16_e64 s20, 0x7fff, v71
	; wave barrier
	s_wait_alu 0xf1ff
	s_delay_alu instid0(VALU_DEP_1) | instskip(NEXT) | instid1(VALU_DEP_1)
	v_cndmask_b32_e64 v33, 0x80, v33, s20
	v_and_b32_e32 v33, s33, v33
	s_delay_alu instid0(VALU_DEP_1)
	v_and_b32_e32 v34, 1, v33
	v_lshlrev_b32_e32 v35, 30, v33
	v_lshlrev_b32_e32 v36, 29, v33
	;; [unrolled: 1-line block ×4, first 2 shown]
	v_add_co_u32 v34, s20, v34, -1
	s_wait_alu 0xf1ff
	v_cndmask_b32_e64 v38, 0, 1, s20
	v_not_b32_e32 v104, v35
	v_cmp_gt_i32_e64 s21, 0, v35
	v_not_b32_e32 v35, v36
	v_lshlrev_b32_e32 v40, 26, v33
	v_cmp_ne_u32_e64 s20, 0, v38
	v_ashrrev_i32_e32 v104, 31, v104
	v_lshlrev_b32_e32 v103, 25, v33
	v_ashrrev_i32_e32 v35, 31, v35
	v_lshlrev_b32_e32 v38, 24, v33
	s_wait_alu 0xf1ff
	v_xor_b32_e32 v34, s20, v34
	v_cmp_gt_i32_e64 s20, 0, v36
	v_not_b32_e32 v36, v37
	v_xor_b32_e32 v104, s21, v104
	v_cmp_gt_i32_e64 s21, 0, v37
	v_and_b32_e32 v34, exec_lo, v34
	v_not_b32_e32 v37, v39
	v_ashrrev_i32_e32 v36, 31, v36
	s_wait_alu 0xf1ff
	v_xor_b32_e32 v35, s20, v35
	v_cmp_gt_i32_e64 s20, 0, v39
	v_and_b32_e32 v34, v34, v104
	v_not_b32_e32 v39, v40
	v_ashrrev_i32_e32 v37, 31, v37
	v_xor_b32_e32 v36, s21, v36
	v_cmp_gt_i32_e64 s21, 0, v40
	v_and_b32_e32 v34, v34, v35
	v_not_b32_e32 v35, v103
	v_ashrrev_i32_e32 v39, 31, v39
	s_wait_alu 0xf1ff
	v_xor_b32_e32 v37, s20, v37
	v_cmp_gt_i32_e64 s20, 0, v103
	v_and_b32_e32 v34, v34, v36
	v_not_b32_e32 v36, v38
	v_ashrrev_i32_e32 v35, 31, v35
	v_xor_b32_e32 v39, s21, v39
	v_cmp_gt_i32_e64 s21, 0, v38
	v_and_b32_e32 v34, v34, v37
	v_ashrrev_i32_e32 v36, 31, v36
	s_wait_alu 0xf1ff
	v_xor_b32_e32 v35, s20, v35
	v_lshl_add_u32 v104, v33, 5, v0
	v_and_b32_e32 v34, v34, v39
	v_xor_b32_e32 v33, s21, v36
	ds_load_b32 v0, v104 offset:32
	v_and_b32_e32 v34, v34, v35
	; wave barrier
	s_delay_alu instid0(VALU_DEP_1) | instskip(NEXT) | instid1(VALU_DEP_1)
	v_and_b32_e32 v33, v34, v33
	v_mbcnt_lo_u32_b32 v103, v33, 0
	v_cmp_ne_u32_e64 s21, 0, v33
	s_delay_alu instid0(VALU_DEP_2)
	v_cmp_eq_u32_e64 s20, 0, v103
	s_and_b32 s21, s21, s20
	s_wait_alu 0xfffe
	s_and_saveexec_b32 s20, s21
	s_cbranch_execz .LBB256_83
; %bb.82:
	s_wait_dscnt 0x0
	v_bcnt_u32_b32 v33, v33, v0
	ds_store_b32 v104, v33 offset:32
.LBB256_83:
	s_wait_alu 0xfffe
	s_or_b32 exec_lo, exec_lo, s20
	; wave barrier
	s_wait_loadcnt_dscnt 0x0
	s_barrier_signal -1
	s_barrier_wait -1
	global_inv scope:SCOPE_SE
	ds_load_b128 v[37:40], v65 offset:32
	ds_load_b128 v[33:36], v65 offset:48
	s_wait_dscnt 0x1
	v_add_nc_u32_e32 v105, v38, v37
	s_delay_alu instid0(VALU_DEP_1) | instskip(SKIP_1) | instid1(VALU_DEP_1)
	v_add3_u32 v105, v105, v39, v40
	s_wait_dscnt 0x0
	v_add3_u32 v105, v105, v33, v34
	s_delay_alu instid0(VALU_DEP_1) | instskip(NEXT) | instid1(VALU_DEP_1)
	v_add3_u32 v36, v105, v35, v36
	v_mov_b32_dpp v105, v36 row_shr:1 row_mask:0xf bank_mask:0xf
	s_delay_alu instid0(VALU_DEP_1) | instskip(NEXT) | instid1(VALU_DEP_1)
	v_cndmask_b32_e64 v105, v105, 0, s1
	v_add_nc_u32_e32 v36, v105, v36
	s_delay_alu instid0(VALU_DEP_1) | instskip(NEXT) | instid1(VALU_DEP_1)
	v_mov_b32_dpp v105, v36 row_shr:2 row_mask:0xf bank_mask:0xf
	v_cndmask_b32_e64 v105, 0, v105, s11
	s_delay_alu instid0(VALU_DEP_1) | instskip(NEXT) | instid1(VALU_DEP_1)
	v_add_nc_u32_e32 v36, v36, v105
	v_mov_b32_dpp v105, v36 row_shr:4 row_mask:0xf bank_mask:0xf
	s_delay_alu instid0(VALU_DEP_1) | instskip(NEXT) | instid1(VALU_DEP_1)
	v_cndmask_b32_e64 v105, 0, v105, s12
	v_add_nc_u32_e32 v36, v36, v105
	s_delay_alu instid0(VALU_DEP_1) | instskip(NEXT) | instid1(VALU_DEP_1)
	v_mov_b32_dpp v105, v36 row_shr:8 row_mask:0xf bank_mask:0xf
	v_cndmask_b32_e64 v105, 0, v105, s14
	s_delay_alu instid0(VALU_DEP_1) | instskip(SKIP_3) | instid1(VALU_DEP_1)
	v_add_nc_u32_e32 v36, v36, v105
	ds_swizzle_b32 v105, v36 offset:swizzle(BROADCAST,32,15)
	s_wait_dscnt 0x0
	v_cndmask_b32_e64 v105, v105, 0, s17
	v_add_nc_u32_e32 v36, v36, v105
	s_and_saveexec_b32 s1, s15
; %bb.84:
	ds_store_b32 v81, v36
; %bb.85:
	s_wait_alu 0xfffe
	s_or_b32 exec_lo, exec_lo, s1
	s_wait_loadcnt_dscnt 0x0
	s_barrier_signal -1
	s_barrier_wait -1
	global_inv scope:SCOPE_SE
	s_and_saveexec_b32 s1, s16
	s_cbranch_execz .LBB256_87
; %bb.86:
	ds_load_b32 v81, v80
	s_wait_dscnt 0x0
	v_mov_b32_dpp v105, v81 row_shr:1 row_mask:0xf bank_mask:0xf
	s_delay_alu instid0(VALU_DEP_1) | instskip(NEXT) | instid1(VALU_DEP_1)
	v_cndmask_b32_e64 v105, v105, 0, s13
	v_add_nc_u32_e32 v81, v105, v81
	s_delay_alu instid0(VALU_DEP_1) | instskip(NEXT) | instid1(VALU_DEP_1)
	v_mov_b32_dpp v105, v81 row_shr:2 row_mask:0xf bank_mask:0xf
	v_cndmask_b32_e64 v105, 0, v105, s10
	s_delay_alu instid0(VALU_DEP_1) | instskip(NEXT) | instid1(VALU_DEP_1)
	v_add_nc_u32_e32 v81, v81, v105
	v_mov_b32_dpp v105, v81 row_shr:4 row_mask:0xf bank_mask:0xf
	s_wait_alu 0xfffd
	s_delay_alu instid0(VALU_DEP_1) | instskip(NEXT) | instid1(VALU_DEP_1)
	v_cndmask_b32_e32 v105, 0, v105, vcc_lo
	v_add_nc_u32_e32 v81, v81, v105
	ds_store_b32 v80, v81
.LBB256_87:
	s_wait_alu 0xfffe
	s_or_b32 exec_lo, exec_lo, s1
	v_mov_b32_e32 v80, 0
	s_wait_loadcnt_dscnt 0x0
	s_barrier_signal -1
	s_barrier_wait -1
	global_inv scope:SCOPE_SE
	s_and_saveexec_b32 s1, s18
; %bb.88:
	ds_load_b32 v80, v82
; %bb.89:
	s_wait_alu 0xfffe
	s_or_b32 exec_lo, exec_lo, s1
	s_wait_dscnt 0x0
	v_add_nc_u32_e32 v36, v80, v36
	ds_bpermute_b32 v36, v83, v36
	s_wait_dscnt 0x0
	v_cndmask_b32_e64 v36, v36, v80, s0
	s_delay_alu instid0(VALU_DEP_1) | instskip(NEXT) | instid1(VALU_DEP_1)
	v_cndmask_b32_e64 v36, v36, 0, s19
	v_add_nc_u32_e32 v37, v36, v37
	s_delay_alu instid0(VALU_DEP_1) | instskip(NEXT) | instid1(VALU_DEP_1)
	v_add_nc_u32_e32 v38, v37, v38
	v_add_nc_u32_e32 v39, v38, v39
	s_delay_alu instid0(VALU_DEP_1) | instskip(NEXT) | instid1(VALU_DEP_1)
	v_add_nc_u32_e32 v80, v39, v40
	v_add_nc_u32_e32 v81, v80, v33
	s_delay_alu instid0(VALU_DEP_1) | instskip(NEXT) | instid1(VALU_DEP_1)
	v_add_nc_u32_e32 v82, v81, v34
	v_add_nc_u32_e32 v83, v82, v35
	ds_store_b128 v65, v[36:39] offset:32
	ds_store_b128 v65, v[80:83] offset:48
	s_wait_loadcnt_dscnt 0x0
	s_barrier_signal -1
	s_barrier_wait -1
	global_inv scope:SCOPE_SE
	ds_load_b32 v33, v104 offset:32
	ds_load_b32 v34, v102 offset:32
	;; [unrolled: 1-line block ×8, first 2 shown]
	v_lshlrev_b32_e32 v80, 1, v64
	s_wait_loadcnt_dscnt 0x0
	s_barrier_signal -1
	s_barrier_wait -1
	global_inv scope:SCOPE_SE
	v_mad_u32_u24 v81, v41, 48, v80
	v_add3_u32 v82, v103, v0, v33
	v_add3_u32 v83, v101, v100, v34
	;; [unrolled: 1-line block ×3, first 2 shown]
	v_add_nc_u32_e32 v79, v36, v79
	v_add3_u32 v85, v86, v85, v37
	v_add3_u32 v86, v89, v88, v38
	;; [unrolled: 1-line block ×4, first 2 shown]
	v_lshlrev_b32_e32 v0, 1, v79
	v_lshlrev_b32_e32 v33, 1, v85
	;; [unrolled: 1-line block ×8, first 2 shown]
	ds_store_b16 v0, v72
	ds_store_b16 v33, v73
	;; [unrolled: 1-line block ×8, first 2 shown]
	v_mad_co_u64_u32 v[71:72], null, v79, 6, v[0:1]
	v_mad_co_u64_u32 v[72:73], null, v85, 6, v[33:34]
	;; [unrolled: 1-line block ×4, first 2 shown]
	s_wait_loadcnt_dscnt 0x0
	s_barrier_signal -1
	s_barrier_wait -1
	global_inv scope:SCOPE_SE
	v_mad_co_u64_u32 v[75:76], null, v40, 6, v[36:37]
	ds_load_b128 v[33:36], v80
	v_mad_co_u64_u32 v[76:77], null, v84, 6, v[37:38]
	v_mad_co_u64_u32 v[37:38], null, v83, 6, v[38:39]
	;; [unrolled: 1-line block ×3, first 2 shown]
	s_wait_loadcnt_dscnt 0x0
	s_barrier_signal -1
	s_barrier_wait -1
	global_inv scope:SCOPE_SE
	ds_store_b64 v71, v[21:22]
	ds_store_b64 v72, v[23:24]
	;; [unrolled: 1-line block ×8, first 2 shown]
	s_wait_loadcnt_dscnt 0x0
	s_barrier_signal -1
	s_barrier_wait -1
	global_inv scope:SCOPE_SE
	ds_load_b128 v[29:32], v81
	ds_load_b128 v[25:28], v81 offset:16
	ds_load_b128 v[21:24], v81 offset:32
	;; [unrolled: 1-line block ×3, first 2 shown]
	v_cmp_lt_i16_e32 vcc_lo, -1, v33
	v_lshrrev_b32_e32 v0, 16, v33
	v_lshrrev_b32_e32 v38, 16, v34
	;; [unrolled: 1-line block ×4, first 2 shown]
	s_wait_alu 0xfffd
	v_cndmask_b32_e64 v37, 0xffff8000, -1, vcc_lo
	v_cmp_lt_i16_e32 vcc_lo, -1, v34
	s_wait_alu 0xfffd
	v_cndmask_b32_e64 v39, 0xffff8000, -1, vcc_lo
	v_cmp_lt_i16_e32 vcc_lo, -1, v35
	;; [unrolled: 3-line block ×5, first 2 shown]
	s_delay_alu instid0(VALU_DEP_2) | instskip(SKIP_3) | instid1(VALU_DEP_3)
	v_perm_b32 v0, v0, v37, 0x5040100
	s_wait_alu 0xfffd
	v_cndmask_b32_e64 v38, 0xffff8000, -1, vcc_lo
	v_cmp_lt_i16_e32 vcc_lo, -1, v40
	v_xor_b32_e32 v0, v0, v33
	s_delay_alu instid0(VALU_DEP_3) | instskip(SKIP_3) | instid1(VALU_DEP_3)
	v_perm_b32 v37, v38, v39, 0x5040100
	s_wait_alu 0xfffd
	v_cndmask_b32_e64 v40, 0xffff8000, -1, vcc_lo
	v_cmp_lt_i16_e32 vcc_lo, -1, v72
	v_xor_b32_e32 v34, v37, v34
	s_delay_alu instid0(VALU_DEP_3) | instskip(SKIP_2) | instid1(VALU_DEP_2)
	v_perm_b32 v38, v40, v71, 0x5040100
	s_wait_alu 0xfffd
	v_cndmask_b32_e64 v72, 0xffff8000, -1, vcc_lo
	v_xor_b32_e32 v33, v38, v35
	s_delay_alu instid0(VALU_DEP_2) | instskip(NEXT) | instid1(VALU_DEP_1)
	v_perm_b32 v39, v72, v73, 0x5040100
	v_xor_b32_e32 v35, v39, v36
	s_branch .LBB256_142
.LBB256_90:
	v_mad_co_u64_u32 v[2:3], null, s28, v41, 0
	v_dual_mov_b32 v14, v1 :: v_dual_mov_b32 v15, v1
	v_mov_b32_e32 v16, v1
	v_dual_mov_b32 v6, v1 :: v_dual_mov_b32 v7, v1
	v_dual_mov_b32 v8, v1 :: v_dual_mov_b32 v9, v1
	v_mad_co_u64_u32 v[3:4], null, s29, v41, v[3:4]
	v_dual_mov_b32 v4, v1 :: v_dual_mov_b32 v5, v1
	v_dual_mov_b32 v10, v1 :: v_dual_mov_b32 v13, v1
	s_delay_alu instid0(VALU_DEP_3) | instskip(NEXT) | instid1(VALU_DEP_1)
	v_lshlrev_b64_e32 v[2:3], 3, v[2:3]
	v_add_co_u32 v2, vcc_lo, s34, v2
	s_wait_alu 0xfffd
	s_delay_alu instid0(VALU_DEP_2)
	v_add_co_ci_u32_e64 v3, null, s35, v3, vcc_lo
	global_load_b64 v[11:12], v[2:3], off
	v_dual_mov_b32 v2, v1 :: v_dual_mov_b32 v3, v1
	s_or_b32 exec_lo, exec_lo, s0
	s_and_saveexec_b32 s0, s3
	s_cbranch_execz .LBB256_36
.LBB256_91:
	v_mad_co_u64_u32 v[1:2], null, s28, v17, 0
	s_delay_alu instid0(VALU_DEP_1) | instskip(NEXT) | instid1(VALU_DEP_1)
	v_mad_co_u64_u32 v[24:25], null, s29, v17, v[2:3]
	v_mov_b32_e32 v2, v24
	s_delay_alu instid0(VALU_DEP_1) | instskip(NEXT) | instid1(VALU_DEP_1)
	v_lshlrev_b64_e32 v[1:2], 3, v[1:2]
	v_add_co_u32 v1, vcc_lo, s34, v1
	s_wait_alu 0xfffd
	s_delay_alu instid0(VALU_DEP_2)
	v_add_co_ci_u32_e64 v2, null, s35, v2, vcc_lo
	global_load_b64 v[1:2], v[1:2], off
	s_or_b32 exec_lo, exec_lo, s0
	s_and_saveexec_b32 s0, s4
	s_cbranch_execz .LBB256_37
.LBB256_92:
	v_mad_co_u64_u32 v[13:14], null, s28, v18, 0
	s_delay_alu instid0(VALU_DEP_1) | instskip(NEXT) | instid1(VALU_DEP_1)
	v_mad_co_u64_u32 v[24:25], null, s29, v18, v[14:15]
	v_mov_b32_e32 v14, v24
	s_delay_alu instid0(VALU_DEP_1) | instskip(NEXT) | instid1(VALU_DEP_1)
	v_lshlrev_b64_e32 v[13:14], 3, v[13:14]
	v_add_co_u32 v13, vcc_lo, s34, v13
	s_wait_alu 0xfffd
	s_delay_alu instid0(VALU_DEP_2)
	v_add_co_ci_u32_e64 v14, null, s35, v14, vcc_lo
	global_load_b64 v[13:14], v[13:14], off
	s_or_b32 exec_lo, exec_lo, s0
	s_and_saveexec_b32 s0, s5
	s_cbranch_execz .LBB256_38
.LBB256_93:
	v_mad_co_u64_u32 v[15:16], null, s28, v19, 0
	s_delay_alu instid0(VALU_DEP_1) | instskip(NEXT) | instid1(VALU_DEP_1)
	v_mad_co_u64_u32 v[24:25], null, s29, v19, v[16:17]
	v_mov_b32_e32 v16, v24
	s_delay_alu instid0(VALU_DEP_1) | instskip(NEXT) | instid1(VALU_DEP_1)
	v_lshlrev_b64_e32 v[15:16], 3, v[15:16]
	v_add_co_u32 v15, vcc_lo, s34, v15
	s_wait_alu 0xfffd
	s_delay_alu instid0(VALU_DEP_2)
	v_add_co_ci_u32_e64 v16, null, s35, v16, vcc_lo
	global_load_b64 v[15:16], v[15:16], off
	s_or_b32 exec_lo, exec_lo, s0
	s_and_saveexec_b32 s0, s6
	s_cbranch_execz .LBB256_39
.LBB256_94:
	v_mad_co_u64_u32 v[3:4], null, s28, v20, 0
	s_delay_alu instid0(VALU_DEP_1) | instskip(NEXT) | instid1(VALU_DEP_1)
	v_mad_co_u64_u32 v[24:25], null, s29, v20, v[4:5]
	v_mov_b32_e32 v4, v24
	s_delay_alu instid0(VALU_DEP_1) | instskip(NEXT) | instid1(VALU_DEP_1)
	v_lshlrev_b64_e32 v[3:4], 3, v[3:4]
	v_add_co_u32 v3, vcc_lo, s34, v3
	s_wait_alu 0xfffd
	s_delay_alu instid0(VALU_DEP_2)
	v_add_co_ci_u32_e64 v4, null, s35, v4, vcc_lo
	global_load_b64 v[3:4], v[3:4], off
	s_or_b32 exec_lo, exec_lo, s0
	s_and_saveexec_b32 s0, s7
	s_cbranch_execz .LBB256_40
.LBB256_95:
	v_mad_co_u64_u32 v[5:6], null, s28, v21, 0
	s_delay_alu instid0(VALU_DEP_1) | instskip(NEXT) | instid1(VALU_DEP_1)
	v_mad_co_u64_u32 v[24:25], null, s29, v21, v[6:7]
	v_mov_b32_e32 v6, v24
	s_delay_alu instid0(VALU_DEP_1) | instskip(NEXT) | instid1(VALU_DEP_1)
	v_lshlrev_b64_e32 v[5:6], 3, v[5:6]
	v_add_co_u32 v5, vcc_lo, s34, v5
	s_wait_alu 0xfffd
	s_delay_alu instid0(VALU_DEP_2)
	v_add_co_ci_u32_e64 v6, null, s35, v6, vcc_lo
	global_load_b64 v[5:6], v[5:6], off
	s_or_b32 exec_lo, exec_lo, s0
	s_and_saveexec_b32 s0, s8
	s_cbranch_execnz .LBB256_41
	s_branch .LBB256_42
.LBB256_96:
                                        ; implicit-def: $vgpr19_vgpr20
                                        ; implicit-def: $vgpr23_vgpr24
                                        ; implicit-def: $vgpr27_vgpr28
                                        ; implicit-def: $vgpr31_vgpr32
                                        ; implicit-def: $vgpr35
                                        ; implicit-def: $vgpr33
                                        ; implicit-def: $vgpr34
                                        ; implicit-def: $vgpr0
	s_cbranch_execz .LBB256_142
; %bb.97:
	v_lshrrev_b32_e32 v0, 16, v44
	v_cmp_gt_i16_e32 vcc_lo, 0, v44
	s_wait_dscnt 0x0
	v_lshrrev_b32_e32 v17, 16, v45
	v_lshrrev_b32_e32 v18, 16, v42
	;; [unrolled: 1-line block ×3, first 2 shown]
	v_or_b32_e32 v21, v67, v68
	s_wait_alu 0xfffd
	v_cndmask_b32_e64 v20, 0x7fff, 0, vcc_lo
	v_cmp_gt_i16_e32 vcc_lo, 0, v0
	v_and_or_b32 v36, 0x1f00, v64, v67
	s_mov_b32 s12, 0
	s_getpc_b64 s[0:1]
	s_sext_i32_i16 s1, s1
	s_add_co_u32 s0, s0, _ZN7rocprim17ROCPRIM_400000_NS16block_radix_sortI12hip_bfloat16Lj256ELj8ElLj1ELj1ELj0ELNS0_26block_radix_rank_algorithmE1ELNS0_18block_padding_hintE2ELNS0_4arch9wavefront6targetE0EE19radix_bits_per_passE@rel32@lo+8
	s_add_co_ci_u32 s1, s1, _ZN7rocprim17ROCPRIM_400000_NS16block_radix_sortI12hip_bfloat16Lj256ELj8ElLj1ELj1ELj0ELNS0_26block_radix_rank_algorithmE1ELNS0_18block_padding_hintE2ELNS0_4arch9wavefront6targetE0EE19radix_bits_per_passE@rel32@hi+16
	s_mov_b32 s13, s12
	s_wait_alu 0xfffd
	v_cndmask_b32_e64 v0, 0x7fff, 0, vcc_lo
	v_cmp_gt_i16_e32 vcc_lo, 0, v45
	s_mov_b32 s14, s12
	s_mov_b32 s15, s12
	v_lshlrev_b32_e32 v25, 1, v36
	v_perm_b32 v0, v0, v20, 0x5040100
	s_wait_alu 0xfffd
	v_cndmask_b32_e64 v22, 0x7fff, 0, vcc_lo
	v_cmp_gt_i16_e32 vcc_lo, 0, v17
	s_load_b32 s20, s[0:1], 0x0
	v_cndmask_b32_e64 v17, 0x7fff, 0, vcc_lo
	v_cmp_gt_i16_e32 vcc_lo, 0, v42
	s_delay_alu instid0(VALU_DEP_2)
	v_perm_b32 v20, v17, v22, 0x5040100
	s_wait_alu 0xfffd
	v_cndmask_b32_e64 v23, 0x7fff, 0, vcc_lo
	v_cmp_gt_i16_e32 vcc_lo, 0, v18
	v_xor_b32_e32 v17, v0, v44
	s_wait_alu 0xfffd
	v_cndmask_b32_e64 v18, 0x7fff, 0, vcc_lo
	v_cmp_gt_i16_e32 vcc_lo, 0, v43
	s_wait_kmcnt 0x0
	s_min_u32 s0, s20, 16
	s_delay_alu instid0(VALU_DEP_2)
	v_perm_b32 v22, v18, v23, 0x5040100
	s_wait_alu 0xfffd
	v_cndmask_b32_e64 v24, 0x7fff, 0, vcc_lo
	v_cmp_gt_i16_e32 vcc_lo, 0, v19
	v_lshlrev_b32_e32 v23, 4, v21
	v_xor_b32_e32 v18, v20, v45
	s_lshl_b32 s0, -1, s0
	s_wait_alu 0xfffd
	v_cndmask_b32_e64 v19, 0x7fff, 0, vcc_lo
	s_not_b32 s1, s0
	s_delay_alu instid0(VALU_DEP_1) | instskip(SKIP_1) | instid1(VALU_DEP_2)
	v_perm_b32 v24, v19, v24, 0x5040100
	v_xor_b32_e32 v19, v22, v42
	v_xor_b32_e32 v20, v24, v43
	ds_store_b128 v23, v[17:20]
	; wave barrier
	ds_load_u16 v26, v25
	ds_load_u16 v27, v25 offset:64
	ds_load_u16 v28, v25 offset:128
	;; [unrolled: 1-line block ×7, first 2 shown]
	s_wait_loadcnt_dscnt 0x0
	s_barrier_signal -1
	s_barrier_wait -1
	global_inv scope:SCOPE_SE
	v_cmp_ne_u16_e32 vcc_lo, 0x8000, v26
	s_wait_alu 0xfffd
	v_cndmask_b32_e32 v0, 0x7fff, v26, vcc_lo
	v_mad_u32_u24 v17, v21, 48, v23
	ds_store_b128 v17, v[13:16]
	ds_store_b128 v17, v[9:12] offset:16
	v_and_b32_e32 v0, 0xffff, v0
	ds_store_b128 v17, v[5:8] offset:32
	ds_store_b128 v17, v[1:4] offset:48
	v_mad_u32_u24 v12, v36, 6, v25
	; wave barrier
	v_and_b32_e32 v23, s1, v0
	ds_load_2addr_b64 v[8:11], v12 offset1:32
	ds_load_2addr_b64 v[0:3], v12 offset0:64 offset1:96
	v_and_b32_e32 v4, 1, v23
	v_lshlrev_b32_e32 v18, 30, v23
	v_lshlrev_b32_e32 v19, 29, v23
	;; [unrolled: 1-line block ×3, first 2 shown]
	s_delay_alu instid0(VALU_DEP_4)
	v_add_co_u32 v16, s0, v4, -1
	s_wait_alu 0xf1ff
	v_cndmask_b32_e64 v17, 0, 1, s0
	ds_load_2addr_b64 v[4:7], v12 offset0:128 offset1:160
	ds_load_2addr_b64 v[12:15], v12 offset0:192 offset1:224
	s_wait_loadcnt_dscnt 0x0
	s_barrier_signal -1
	v_cmp_ne_u32_e32 vcc_lo, 0, v17
	v_not_b32_e32 v17, v18
	s_barrier_wait -1
	global_inv scope:SCOPE_SE
	s_load_b32 s0, s[36:37], 0xc
	v_xor_b32_e32 v16, vcc_lo, v16
	v_cmp_gt_i32_e32 vcc_lo, 0, v18
	v_ashrrev_i32_e32 v17, 31, v17
	v_not_b32_e32 v18, v19
	s_delay_alu instid0(VALU_DEP_4) | instskip(SKIP_1) | instid1(VALU_DEP_3)
	v_and_b32_e32 v16, exec_lo, v16
	s_wait_alu 0xfffd
	v_xor_b32_e32 v17, vcc_lo, v17
	v_cmp_gt_i32_e32 vcc_lo, 0, v19
	v_ashrrev_i32_e32 v18, 31, v18
	v_not_b32_e32 v19, v20
	s_delay_alu instid0(VALU_DEP_4)
	v_and_b32_e32 v16, v16, v17
	v_lshlrev_b32_e32 v17, 27, v23
	s_wait_alu 0xfffd
	v_xor_b32_e32 v18, vcc_lo, v18
	v_cmp_gt_i32_e32 vcc_lo, 0, v20
	v_ashrrev_i32_e32 v19, 31, v19
	v_not_b32_e32 v20, v17
	s_delay_alu instid0(VALU_DEP_4)
	v_and_b32_e32 v16, v16, v18
	v_lshlrev_b32_e32 v18, 26, v23
	s_wait_alu 0xfffd
	v_xor_b32_e32 v19, vcc_lo, v19
	v_cmp_gt_i32_e32 vcc_lo, 0, v17
	v_ashrrev_i32_e32 v17, 31, v20
	s_wait_kmcnt 0x0
	s_lshr_b32 s10, s0, 16
	v_not_b32_e32 v20, v18
	v_and_b32_e32 v16, v16, v19
	v_lshlrev_b32_e32 v19, 25, v23
	s_wait_alu 0xfffd
	v_xor_b32_e32 v17, vcc_lo, v17
	v_cmp_gt_i32_e32 vcc_lo, 0, v18
	v_ashrrev_i32_e32 v18, 31, v20
	s_wait_alu 0xfffe
	v_mad_u32_u24 v21, v70, s10, v69
	v_not_b32_e32 v20, v19
	v_and_b32_e32 v16, v16, v17
	v_lshlrev_b32_e32 v17, 24, v23
	s_wait_alu 0xfffd
	v_xor_b32_e32 v18, vcc_lo, v18
	v_cmp_gt_i32_e32 vcc_lo, 0, v19
	v_ashrrev_i32_e32 v19, 31, v20
	s_and_b32 s0, s0, 0xffff
	v_not_b32_e32 v20, v17
	v_and_b32_e32 v16, v16, v18
	s_wait_alu 0xfffe
	v_mad_co_u64_u32 v[21:22], null, v21, s0, v[41:42]
	s_wait_alu 0xfffd
	v_xor_b32_e32 v18, vcc_lo, v19
	v_cmp_gt_i32_e32 vcc_lo, 0, v17
	v_ashrrev_i32_e32 v17, 31, v20
	s_delay_alu instid0(VALU_DEP_3) | instskip(SKIP_2) | instid1(VALU_DEP_3)
	v_and_b32_e32 v16, v16, v18
	v_lshrrev_b32_e32 v21, 5, v21
	s_wait_alu 0xfffd
	v_xor_b32_e32 v22, vcc_lo, v17
	v_dual_mov_b32 v20, s15 :: v_dual_mov_b32 v19, s14
	v_dual_mov_b32 v18, s13 :: v_dual_mov_b32 v17, s12
	s_delay_alu instid0(VALU_DEP_3)
	v_and_b32_e32 v16, v16, v22
	ds_store_b128 v65, v[17:20] offset:32
	ds_store_b128 v65, v[17:20] offset:48
	v_mbcnt_lo_u32_b32 v38, v16, 0
	v_lshlrev_b32_e32 v24, 2, v21
	v_lshlrev_b32_e32 v17, 5, v23
	v_cmp_ne_u32_e64 s0, 0, v16
	s_wait_loadcnt_dscnt 0x0
	v_cmp_eq_u32_e32 vcc_lo, 0, v38
	s_barrier_signal -1
	v_add_nc_u32_e32 v39, v24, v17
	s_barrier_wait -1
	global_inv scope:SCOPE_SE
	s_and_b32 s10, s0, vcc_lo
	; wave barrier
	s_wait_alu 0xfffe
	s_and_saveexec_b32 s0, s10
; %bb.98:
	v_bcnt_u32_b32 v16, v16, 0
	ds_store_b32 v39, v16 offset:32
; %bb.99:
	s_wait_alu 0xfffe
	s_or_b32 exec_lo, exec_lo, s0
	v_cmp_ne_u16_e32 vcc_lo, 0x8000, v27
	; wave barrier
	s_wait_alu 0xfffd
	v_cndmask_b32_e32 v16, 0x7fff, v27, vcc_lo
	s_delay_alu instid0(VALU_DEP_1) | instskip(NEXT) | instid1(VALU_DEP_1)
	v_and_b32_e32 v16, 0xffff, v16
	v_and_b32_e32 v16, s1, v16
	s_delay_alu instid0(VALU_DEP_1)
	v_and_b32_e32 v17, 1, v16
	v_lshlrev_b32_e32 v18, 30, v16
	v_lshlrev_b32_e32 v19, 29, v16
	;; [unrolled: 1-line block ×4, first 2 shown]
	v_add_co_u32 v17, s0, v17, -1
	s_wait_alu 0xf1ff
	v_cndmask_b32_e64 v21, 0, 1, s0
	v_not_b32_e32 v35, v18
	v_cmp_gt_i32_e64 s0, 0, v18
	v_not_b32_e32 v18, v19
	v_lshlrev_b32_e32 v23, 26, v16
	v_cmp_ne_u32_e32 vcc_lo, 0, v21
	v_ashrrev_i32_e32 v35, 31, v35
	v_lshlrev_b32_e32 v34, 25, v16
	v_ashrrev_i32_e32 v18, 31, v18
	v_lshlrev_b32_e32 v21, 24, v16
	s_wait_alu 0xfffd
	v_xor_b32_e32 v17, vcc_lo, v17
	v_cmp_gt_i32_e32 vcc_lo, 0, v19
	v_not_b32_e32 v19, v20
	s_wait_alu 0xf1ff
	v_xor_b32_e32 v35, s0, v35
	v_cmp_gt_i32_e64 s0, 0, v20
	v_and_b32_e32 v17, exec_lo, v17
	v_not_b32_e32 v20, v22
	v_ashrrev_i32_e32 v19, 31, v19
	s_wait_alu 0xfffd
	v_xor_b32_e32 v18, vcc_lo, v18
	v_cmp_gt_i32_e32 vcc_lo, 0, v22
	v_and_b32_e32 v17, v17, v35
	v_not_b32_e32 v22, v23
	v_ashrrev_i32_e32 v20, 31, v20
	s_wait_alu 0xf1ff
	v_xor_b32_e32 v19, s0, v19
	v_cmp_gt_i32_e64 s0, 0, v23
	v_and_b32_e32 v17, v17, v18
	v_not_b32_e32 v18, v34
	v_ashrrev_i32_e32 v22, 31, v22
	s_wait_alu 0xfffd
	v_xor_b32_e32 v20, vcc_lo, v20
	v_cmp_gt_i32_e32 vcc_lo, 0, v34
	v_and_b32_e32 v17, v17, v19
	v_not_b32_e32 v19, v21
	v_ashrrev_i32_e32 v18, 31, v18
	s_wait_alu 0xf1ff
	v_xor_b32_e32 v22, s0, v22
	v_lshlrev_b32_e32 v16, 5, v16
	v_and_b32_e32 v17, v17, v20
	v_cmp_gt_i32_e64 s0, 0, v21
	v_ashrrev_i32_e32 v19, 31, v19
	s_wait_alu 0xfffd
	v_xor_b32_e32 v18, vcc_lo, v18
	v_add_nc_u32_e32 v43, v24, v16
	v_and_b32_e32 v17, v17, v22
	s_wait_alu 0xf1ff
	v_xor_b32_e32 v16, s0, v19
	ds_load_b32 v40, v43 offset:32
	v_and_b32_e32 v17, v17, v18
	; wave barrier
	s_delay_alu instid0(VALU_DEP_1) | instskip(NEXT) | instid1(VALU_DEP_1)
	v_and_b32_e32 v16, v17, v16
	v_mbcnt_lo_u32_b32 v42, v16, 0
	v_cmp_ne_u32_e64 s0, 0, v16
	s_delay_alu instid0(VALU_DEP_2)
	v_cmp_eq_u32_e32 vcc_lo, 0, v42
	s_and_b32 s10, s0, vcc_lo
	s_wait_alu 0xfffe
	s_and_saveexec_b32 s0, s10
	s_cbranch_execz .LBB256_101
; %bb.100:
	s_wait_dscnt 0x0
	v_bcnt_u32_b32 v16, v16, v40
	ds_store_b32 v43, v16 offset:32
.LBB256_101:
	s_wait_alu 0xfffe
	s_or_b32 exec_lo, exec_lo, s0
	v_cmp_ne_u16_e32 vcc_lo, 0x8000, v28
	; wave barrier
	s_wait_alu 0xfffd
	v_cndmask_b32_e32 v16, 0x7fff, v28, vcc_lo
	s_delay_alu instid0(VALU_DEP_1) | instskip(NEXT) | instid1(VALU_DEP_1)
	v_and_b32_e32 v16, 0xffff, v16
	v_and_b32_e32 v16, s1, v16
	s_delay_alu instid0(VALU_DEP_1)
	v_and_b32_e32 v17, 1, v16
	v_lshlrev_b32_e32 v18, 30, v16
	v_lshlrev_b32_e32 v19, 29, v16
	;; [unrolled: 1-line block ×4, first 2 shown]
	v_add_co_u32 v17, s0, v17, -1
	s_wait_alu 0xf1ff
	v_cndmask_b32_e64 v21, 0, 1, s0
	v_not_b32_e32 v35, v18
	v_cmp_gt_i32_e64 s0, 0, v18
	v_not_b32_e32 v18, v19
	v_lshlrev_b32_e32 v23, 26, v16
	v_cmp_ne_u32_e32 vcc_lo, 0, v21
	v_ashrrev_i32_e32 v35, 31, v35
	v_lshlrev_b32_e32 v34, 25, v16
	v_ashrrev_i32_e32 v18, 31, v18
	v_lshlrev_b32_e32 v21, 24, v16
	s_wait_alu 0xfffd
	v_xor_b32_e32 v17, vcc_lo, v17
	v_cmp_gt_i32_e32 vcc_lo, 0, v19
	v_not_b32_e32 v19, v20
	s_wait_alu 0xf1ff
	v_xor_b32_e32 v35, s0, v35
	v_cmp_gt_i32_e64 s0, 0, v20
	v_and_b32_e32 v17, exec_lo, v17
	v_not_b32_e32 v20, v22
	v_ashrrev_i32_e32 v19, 31, v19
	s_wait_alu 0xfffd
	v_xor_b32_e32 v18, vcc_lo, v18
	v_cmp_gt_i32_e32 vcc_lo, 0, v22
	v_and_b32_e32 v17, v17, v35
	v_not_b32_e32 v22, v23
	v_ashrrev_i32_e32 v20, 31, v20
	s_wait_alu 0xf1ff
	v_xor_b32_e32 v19, s0, v19
	v_cmp_gt_i32_e64 s0, 0, v23
	v_and_b32_e32 v17, v17, v18
	v_not_b32_e32 v18, v34
	v_ashrrev_i32_e32 v22, 31, v22
	s_wait_alu 0xfffd
	v_xor_b32_e32 v20, vcc_lo, v20
	v_cmp_gt_i32_e32 vcc_lo, 0, v34
	v_and_b32_e32 v17, v17, v19
	v_not_b32_e32 v19, v21
	v_ashrrev_i32_e32 v18, 31, v18
	s_wait_alu 0xf1ff
	v_xor_b32_e32 v22, s0, v22
	v_lshlrev_b32_e32 v16, 5, v16
	v_and_b32_e32 v17, v17, v20
	v_cmp_gt_i32_e64 s0, 0, v21
	v_ashrrev_i32_e32 v19, 31, v19
	s_wait_alu 0xfffd
	v_xor_b32_e32 v18, vcc_lo, v18
	v_add_nc_u32_e32 v69, v24, v16
	v_and_b32_e32 v17, v17, v22
	s_wait_alu 0xf1ff
	v_xor_b32_e32 v16, s0, v19
	ds_load_b32 v44, v69 offset:32
	v_and_b32_e32 v17, v17, v18
	; wave barrier
	s_delay_alu instid0(VALU_DEP_1) | instskip(NEXT) | instid1(VALU_DEP_1)
	v_and_b32_e32 v16, v17, v16
	v_mbcnt_lo_u32_b32 v45, v16, 0
	v_cmp_ne_u32_e64 s0, 0, v16
	s_delay_alu instid0(VALU_DEP_2)
	v_cmp_eq_u32_e32 vcc_lo, 0, v45
	s_and_b32 s10, s0, vcc_lo
	s_wait_alu 0xfffe
	s_and_saveexec_b32 s0, s10
	s_cbranch_execz .LBB256_103
; %bb.102:
	s_wait_dscnt 0x0
	v_bcnt_u32_b32 v16, v16, v44
	ds_store_b32 v69, v16 offset:32
.LBB256_103:
	s_wait_alu 0xfffe
	s_or_b32 exec_lo, exec_lo, s0
	v_cmp_ne_u16_e32 vcc_lo, 0x8000, v29
	; wave barrier
	s_wait_alu 0xfffd
	v_cndmask_b32_e32 v16, 0x7fff, v29, vcc_lo
	s_delay_alu instid0(VALU_DEP_1) | instskip(NEXT) | instid1(VALU_DEP_1)
	v_and_b32_e32 v16, 0xffff, v16
	v_and_b32_e32 v16, s1, v16
	s_delay_alu instid0(VALU_DEP_1)
	v_and_b32_e32 v17, 1, v16
	v_lshlrev_b32_e32 v18, 30, v16
	v_lshlrev_b32_e32 v19, 29, v16
	;; [unrolled: 1-line block ×4, first 2 shown]
	v_add_co_u32 v17, s0, v17, -1
	s_wait_alu 0xf1ff
	v_cndmask_b32_e64 v21, 0, 1, s0
	v_not_b32_e32 v35, v18
	v_cmp_gt_i32_e64 s0, 0, v18
	v_not_b32_e32 v18, v19
	v_lshlrev_b32_e32 v23, 26, v16
	v_cmp_ne_u32_e32 vcc_lo, 0, v21
	v_ashrrev_i32_e32 v35, 31, v35
	v_lshlrev_b32_e32 v34, 25, v16
	v_ashrrev_i32_e32 v18, 31, v18
	v_lshlrev_b32_e32 v21, 24, v16
	s_wait_alu 0xfffd
	v_xor_b32_e32 v17, vcc_lo, v17
	v_cmp_gt_i32_e32 vcc_lo, 0, v19
	v_not_b32_e32 v19, v20
	s_wait_alu 0xf1ff
	v_xor_b32_e32 v35, s0, v35
	v_cmp_gt_i32_e64 s0, 0, v20
	v_and_b32_e32 v17, exec_lo, v17
	v_not_b32_e32 v20, v22
	v_ashrrev_i32_e32 v19, 31, v19
	s_wait_alu 0xfffd
	v_xor_b32_e32 v18, vcc_lo, v18
	v_cmp_gt_i32_e32 vcc_lo, 0, v22
	v_and_b32_e32 v17, v17, v35
	v_not_b32_e32 v22, v23
	v_ashrrev_i32_e32 v20, 31, v20
	s_wait_alu 0xf1ff
	v_xor_b32_e32 v19, s0, v19
	v_cmp_gt_i32_e64 s0, 0, v23
	v_and_b32_e32 v17, v17, v18
	v_not_b32_e32 v18, v34
	v_ashrrev_i32_e32 v22, 31, v22
	s_wait_alu 0xfffd
	v_xor_b32_e32 v20, vcc_lo, v20
	v_cmp_gt_i32_e32 vcc_lo, 0, v34
	v_and_b32_e32 v17, v17, v19
	v_not_b32_e32 v19, v21
	v_ashrrev_i32_e32 v18, 31, v18
	s_wait_alu 0xf1ff
	v_xor_b32_e32 v22, s0, v22
	v_lshlrev_b32_e32 v16, 5, v16
	v_and_b32_e32 v17, v17, v20
	v_cmp_gt_i32_e64 s0, 0, v21
	v_ashrrev_i32_e32 v19, 31, v19
	s_wait_alu 0xfffd
	v_xor_b32_e32 v18, vcc_lo, v18
	v_add_nc_u32_e32 v72, v24, v16
	v_and_b32_e32 v17, v17, v22
	s_wait_alu 0xf1ff
	v_xor_b32_e32 v16, s0, v19
	ds_load_b32 v70, v72 offset:32
	v_and_b32_e32 v17, v17, v18
	; wave barrier
	s_delay_alu instid0(VALU_DEP_1) | instskip(NEXT) | instid1(VALU_DEP_1)
	v_and_b32_e32 v16, v17, v16
	v_mbcnt_lo_u32_b32 v71, v16, 0
	v_cmp_ne_u32_e64 s0, 0, v16
	s_delay_alu instid0(VALU_DEP_2)
	v_cmp_eq_u32_e32 vcc_lo, 0, v71
	s_and_b32 s10, s0, vcc_lo
	s_wait_alu 0xfffe
	s_and_saveexec_b32 s0, s10
	s_cbranch_execz .LBB256_105
; %bb.104:
	s_wait_dscnt 0x0
	v_bcnt_u32_b32 v16, v16, v70
	ds_store_b32 v72, v16 offset:32
.LBB256_105:
	s_wait_alu 0xfffe
	s_or_b32 exec_lo, exec_lo, s0
	v_cmp_ne_u16_e32 vcc_lo, 0x8000, v30
	; wave barrier
	s_wait_alu 0xfffd
	v_cndmask_b32_e32 v16, 0x7fff, v30, vcc_lo
	s_delay_alu instid0(VALU_DEP_1) | instskip(NEXT) | instid1(VALU_DEP_1)
	v_and_b32_e32 v16, 0xffff, v16
	v_and_b32_e32 v16, s1, v16
	s_delay_alu instid0(VALU_DEP_1)
	v_and_b32_e32 v17, 1, v16
	v_lshlrev_b32_e32 v18, 30, v16
	v_lshlrev_b32_e32 v19, 29, v16
	;; [unrolled: 1-line block ×4, first 2 shown]
	v_add_co_u32 v17, s0, v17, -1
	s_wait_alu 0xf1ff
	v_cndmask_b32_e64 v21, 0, 1, s0
	v_not_b32_e32 v35, v18
	v_cmp_gt_i32_e64 s0, 0, v18
	v_not_b32_e32 v18, v19
	v_lshlrev_b32_e32 v23, 26, v16
	v_cmp_ne_u32_e32 vcc_lo, 0, v21
	v_ashrrev_i32_e32 v35, 31, v35
	v_lshlrev_b32_e32 v34, 25, v16
	v_ashrrev_i32_e32 v18, 31, v18
	v_lshlrev_b32_e32 v21, 24, v16
	s_wait_alu 0xfffd
	v_xor_b32_e32 v17, vcc_lo, v17
	v_cmp_gt_i32_e32 vcc_lo, 0, v19
	v_not_b32_e32 v19, v20
	s_wait_alu 0xf1ff
	v_xor_b32_e32 v35, s0, v35
	v_cmp_gt_i32_e64 s0, 0, v20
	v_and_b32_e32 v17, exec_lo, v17
	v_not_b32_e32 v20, v22
	v_ashrrev_i32_e32 v19, 31, v19
	s_wait_alu 0xfffd
	v_xor_b32_e32 v18, vcc_lo, v18
	v_cmp_gt_i32_e32 vcc_lo, 0, v22
	v_and_b32_e32 v17, v17, v35
	v_not_b32_e32 v22, v23
	v_ashrrev_i32_e32 v20, 31, v20
	s_wait_alu 0xf1ff
	v_xor_b32_e32 v19, s0, v19
	v_cmp_gt_i32_e64 s0, 0, v23
	v_and_b32_e32 v17, v17, v18
	v_not_b32_e32 v18, v34
	v_ashrrev_i32_e32 v22, 31, v22
	s_wait_alu 0xfffd
	v_xor_b32_e32 v20, vcc_lo, v20
	v_cmp_gt_i32_e32 vcc_lo, 0, v34
	v_and_b32_e32 v17, v17, v19
	v_not_b32_e32 v19, v21
	v_ashrrev_i32_e32 v18, 31, v18
	s_wait_alu 0xf1ff
	v_xor_b32_e32 v22, s0, v22
	v_lshlrev_b32_e32 v16, 5, v16
	v_and_b32_e32 v17, v17, v20
	v_cmp_gt_i32_e64 s0, 0, v21
	v_ashrrev_i32_e32 v19, 31, v19
	s_wait_alu 0xfffd
	v_xor_b32_e32 v18, vcc_lo, v18
	v_add_nc_u32_e32 v75, v24, v16
	v_and_b32_e32 v17, v17, v22
	s_wait_alu 0xf1ff
	v_xor_b32_e32 v16, s0, v19
	ds_load_b32 v73, v75 offset:32
	v_and_b32_e32 v17, v17, v18
	; wave barrier
	s_delay_alu instid0(VALU_DEP_1) | instskip(NEXT) | instid1(VALU_DEP_1)
	v_and_b32_e32 v16, v17, v16
	v_mbcnt_lo_u32_b32 v74, v16, 0
	v_cmp_ne_u32_e64 s0, 0, v16
	s_delay_alu instid0(VALU_DEP_2)
	v_cmp_eq_u32_e32 vcc_lo, 0, v74
	s_and_b32 s10, s0, vcc_lo
	s_wait_alu 0xfffe
	s_and_saveexec_b32 s0, s10
	s_cbranch_execz .LBB256_107
; %bb.106:
	s_wait_dscnt 0x0
	v_bcnt_u32_b32 v16, v16, v73
	ds_store_b32 v75, v16 offset:32
.LBB256_107:
	s_wait_alu 0xfffe
	s_or_b32 exec_lo, exec_lo, s0
	v_cmp_ne_u16_e32 vcc_lo, 0x8000, v31
	; wave barrier
	s_wait_alu 0xfffd
	v_cndmask_b32_e32 v16, 0x7fff, v31, vcc_lo
	s_delay_alu instid0(VALU_DEP_1) | instskip(NEXT) | instid1(VALU_DEP_1)
	v_and_b32_e32 v16, 0xffff, v16
	v_and_b32_e32 v16, s1, v16
	s_delay_alu instid0(VALU_DEP_1)
	v_and_b32_e32 v17, 1, v16
	v_lshlrev_b32_e32 v18, 30, v16
	v_lshlrev_b32_e32 v19, 29, v16
	;; [unrolled: 1-line block ×4, first 2 shown]
	v_add_co_u32 v17, s0, v17, -1
	s_wait_alu 0xf1ff
	v_cndmask_b32_e64 v21, 0, 1, s0
	v_not_b32_e32 v35, v18
	v_cmp_gt_i32_e64 s0, 0, v18
	v_not_b32_e32 v18, v19
	v_lshlrev_b32_e32 v23, 26, v16
	v_cmp_ne_u32_e32 vcc_lo, 0, v21
	v_ashrrev_i32_e32 v35, 31, v35
	v_lshlrev_b32_e32 v34, 25, v16
	v_ashrrev_i32_e32 v18, 31, v18
	v_lshlrev_b32_e32 v21, 24, v16
	s_wait_alu 0xfffd
	v_xor_b32_e32 v17, vcc_lo, v17
	v_cmp_gt_i32_e32 vcc_lo, 0, v19
	v_not_b32_e32 v19, v20
	s_wait_alu 0xf1ff
	v_xor_b32_e32 v35, s0, v35
	v_cmp_gt_i32_e64 s0, 0, v20
	v_and_b32_e32 v17, exec_lo, v17
	v_not_b32_e32 v20, v22
	v_ashrrev_i32_e32 v19, 31, v19
	s_wait_alu 0xfffd
	v_xor_b32_e32 v18, vcc_lo, v18
	v_cmp_gt_i32_e32 vcc_lo, 0, v22
	v_and_b32_e32 v17, v17, v35
	v_not_b32_e32 v22, v23
	v_ashrrev_i32_e32 v20, 31, v20
	s_wait_alu 0xf1ff
	v_xor_b32_e32 v19, s0, v19
	v_cmp_gt_i32_e64 s0, 0, v23
	v_and_b32_e32 v17, v17, v18
	v_not_b32_e32 v18, v34
	v_ashrrev_i32_e32 v22, 31, v22
	s_wait_alu 0xfffd
	v_xor_b32_e32 v20, vcc_lo, v20
	v_cmp_gt_i32_e32 vcc_lo, 0, v34
	v_and_b32_e32 v17, v17, v19
	v_not_b32_e32 v19, v21
	v_ashrrev_i32_e32 v18, 31, v18
	s_wait_alu 0xf1ff
	v_xor_b32_e32 v22, s0, v22
	v_lshlrev_b32_e32 v16, 5, v16
	v_and_b32_e32 v17, v17, v20
	v_cmp_gt_i32_e64 s0, 0, v21
	v_ashrrev_i32_e32 v19, 31, v19
	s_wait_alu 0xfffd
	v_xor_b32_e32 v18, vcc_lo, v18
	v_add_nc_u32_e32 v78, v24, v16
	v_and_b32_e32 v17, v17, v22
	s_wait_alu 0xf1ff
	v_xor_b32_e32 v16, s0, v19
	ds_load_b32 v76, v78 offset:32
	v_and_b32_e32 v17, v17, v18
	; wave barrier
	s_delay_alu instid0(VALU_DEP_1) | instskip(NEXT) | instid1(VALU_DEP_1)
	v_and_b32_e32 v16, v17, v16
	v_mbcnt_lo_u32_b32 v77, v16, 0
	v_cmp_ne_u32_e64 s0, 0, v16
	s_delay_alu instid0(VALU_DEP_2)
	v_cmp_eq_u32_e32 vcc_lo, 0, v77
	s_and_b32 s10, s0, vcc_lo
	s_wait_alu 0xfffe
	s_and_saveexec_b32 s0, s10
	s_cbranch_execz .LBB256_109
; %bb.108:
	s_wait_dscnt 0x0
	v_bcnt_u32_b32 v16, v16, v76
	ds_store_b32 v78, v16 offset:32
.LBB256_109:
	s_wait_alu 0xfffe
	s_or_b32 exec_lo, exec_lo, s0
	v_cmp_ne_u16_e32 vcc_lo, 0x8000, v32
	; wave barrier
	s_wait_alu 0xfffd
	v_cndmask_b32_e32 v16, 0x7fff, v32, vcc_lo
	s_delay_alu instid0(VALU_DEP_1) | instskip(NEXT) | instid1(VALU_DEP_1)
	v_and_b32_e32 v16, 0xffff, v16
	v_and_b32_e32 v16, s1, v16
	s_delay_alu instid0(VALU_DEP_1)
	v_and_b32_e32 v17, 1, v16
	v_lshlrev_b32_e32 v18, 30, v16
	v_lshlrev_b32_e32 v19, 29, v16
	;; [unrolled: 1-line block ×4, first 2 shown]
	v_add_co_u32 v17, s0, v17, -1
	s_wait_alu 0xf1ff
	v_cndmask_b32_e64 v21, 0, 1, s0
	v_not_b32_e32 v35, v18
	v_cmp_gt_i32_e64 s0, 0, v18
	v_not_b32_e32 v18, v19
	v_lshlrev_b32_e32 v23, 26, v16
	v_cmp_ne_u32_e32 vcc_lo, 0, v21
	v_ashrrev_i32_e32 v35, 31, v35
	v_lshlrev_b32_e32 v34, 25, v16
	v_ashrrev_i32_e32 v18, 31, v18
	v_lshlrev_b32_e32 v21, 24, v16
	s_wait_alu 0xfffd
	v_xor_b32_e32 v17, vcc_lo, v17
	v_cmp_gt_i32_e32 vcc_lo, 0, v19
	v_not_b32_e32 v19, v20
	s_wait_alu 0xf1ff
	v_xor_b32_e32 v35, s0, v35
	v_cmp_gt_i32_e64 s0, 0, v20
	v_and_b32_e32 v17, exec_lo, v17
	v_not_b32_e32 v20, v22
	v_ashrrev_i32_e32 v19, 31, v19
	s_wait_alu 0xfffd
	v_xor_b32_e32 v18, vcc_lo, v18
	v_cmp_gt_i32_e32 vcc_lo, 0, v22
	v_and_b32_e32 v17, v17, v35
	v_not_b32_e32 v22, v23
	v_ashrrev_i32_e32 v20, 31, v20
	s_wait_alu 0xf1ff
	v_xor_b32_e32 v19, s0, v19
	v_cmp_gt_i32_e64 s0, 0, v23
	v_and_b32_e32 v17, v17, v18
	v_not_b32_e32 v18, v34
	v_ashrrev_i32_e32 v22, 31, v22
	s_wait_alu 0xfffd
	v_xor_b32_e32 v20, vcc_lo, v20
	v_cmp_gt_i32_e32 vcc_lo, 0, v34
	v_and_b32_e32 v17, v17, v19
	v_not_b32_e32 v19, v21
	v_ashrrev_i32_e32 v18, 31, v18
	s_wait_alu 0xf1ff
	v_xor_b32_e32 v22, s0, v22
	v_lshlrev_b32_e32 v16, 5, v16
	v_and_b32_e32 v17, v17, v20
	v_cmp_gt_i32_e64 s0, 0, v21
	v_ashrrev_i32_e32 v19, 31, v19
	s_wait_alu 0xfffd
	v_xor_b32_e32 v18, vcc_lo, v18
	v_add_nc_u32_e32 v81, v24, v16
	v_and_b32_e32 v17, v17, v22
	s_wait_alu 0xf1ff
	v_xor_b32_e32 v16, s0, v19
	ds_load_b32 v79, v81 offset:32
	v_and_b32_e32 v17, v17, v18
	; wave barrier
	s_delay_alu instid0(VALU_DEP_1) | instskip(NEXT) | instid1(VALU_DEP_1)
	v_and_b32_e32 v16, v17, v16
	v_mbcnt_lo_u32_b32 v80, v16, 0
	v_cmp_ne_u32_e64 s0, 0, v16
	s_delay_alu instid0(VALU_DEP_2)
	v_cmp_eq_u32_e32 vcc_lo, 0, v80
	s_and_b32 s10, s0, vcc_lo
	s_wait_alu 0xfffe
	s_and_saveexec_b32 s0, s10
	s_cbranch_execz .LBB256_111
; %bb.110:
	s_wait_dscnt 0x0
	v_bcnt_u32_b32 v16, v16, v79
	ds_store_b32 v81, v16 offset:32
.LBB256_111:
	s_wait_alu 0xfffe
	s_or_b32 exec_lo, exec_lo, s0
	v_cmp_ne_u16_e32 vcc_lo, 0x8000, v33
	; wave barrier
	s_wait_alu 0xfffd
	v_cndmask_b32_e32 v16, 0x7fff, v33, vcc_lo
	s_delay_alu instid0(VALU_DEP_1) | instskip(NEXT) | instid1(VALU_DEP_1)
	v_and_b32_e32 v16, 0xffff, v16
	v_and_b32_e32 v16, s1, v16
	s_delay_alu instid0(VALU_DEP_1)
	v_and_b32_e32 v17, 1, v16
	v_lshlrev_b32_e32 v18, 30, v16
	v_lshlrev_b32_e32 v19, 29, v16
	v_lshlrev_b32_e32 v20, 28, v16
	v_lshlrev_b32_e32 v22, 27, v16
	v_add_co_u32 v17, s0, v17, -1
	s_wait_alu 0xf1ff
	v_cndmask_b32_e64 v21, 0, 1, s0
	v_not_b32_e32 v35, v18
	v_cmp_gt_i32_e64 s0, 0, v18
	v_not_b32_e32 v18, v19
	v_lshlrev_b32_e32 v23, 26, v16
	v_cmp_ne_u32_e32 vcc_lo, 0, v21
	v_ashrrev_i32_e32 v35, 31, v35
	v_lshlrev_b32_e32 v34, 25, v16
	v_ashrrev_i32_e32 v18, 31, v18
	v_lshlrev_b32_e32 v21, 24, v16
	s_wait_alu 0xfffd
	v_xor_b32_e32 v17, vcc_lo, v17
	v_cmp_gt_i32_e32 vcc_lo, 0, v19
	v_not_b32_e32 v19, v20
	s_wait_alu 0xf1ff
	v_xor_b32_e32 v35, s0, v35
	v_cmp_gt_i32_e64 s0, 0, v20
	v_and_b32_e32 v17, exec_lo, v17
	v_not_b32_e32 v20, v22
	v_ashrrev_i32_e32 v19, 31, v19
	s_wait_alu 0xfffd
	v_xor_b32_e32 v18, vcc_lo, v18
	v_cmp_gt_i32_e32 vcc_lo, 0, v22
	v_and_b32_e32 v17, v17, v35
	v_not_b32_e32 v22, v23
	v_ashrrev_i32_e32 v20, 31, v20
	s_wait_alu 0xf1ff
	v_xor_b32_e32 v19, s0, v19
	v_cmp_gt_i32_e64 s0, 0, v23
	v_and_b32_e32 v17, v17, v18
	v_not_b32_e32 v18, v34
	v_ashrrev_i32_e32 v22, 31, v22
	s_wait_alu 0xfffd
	v_xor_b32_e32 v20, vcc_lo, v20
	v_cmp_gt_i32_e32 vcc_lo, 0, v34
	v_and_b32_e32 v17, v17, v19
	v_not_b32_e32 v19, v21
	v_ashrrev_i32_e32 v18, 31, v18
	s_wait_alu 0xf1ff
	v_xor_b32_e32 v22, s0, v22
	v_lshlrev_b32_e32 v16, 5, v16
	v_and_b32_e32 v17, v17, v20
	v_cmp_gt_i32_e64 s0, 0, v21
	v_ashrrev_i32_e32 v19, 31, v19
	s_wait_alu 0xfffd
	v_xor_b32_e32 v18, vcc_lo, v18
	v_add_nc_u32_e32 v84, v24, v16
	v_and_b32_e32 v17, v17, v22
	v_min_u32_e32 v34, 0xe0, v68
	s_wait_alu 0xf1ff
	v_xor_b32_e32 v16, s0, v19
	ds_load_b32 v82, v84 offset:32
	v_and_b32_e32 v17, v17, v18
	; wave barrier
	s_delay_alu instid0(VALU_DEP_1) | instskip(NEXT) | instid1(VALU_DEP_1)
	v_and_b32_e32 v16, v17, v16
	v_mbcnt_lo_u32_b32 v83, v16, 0
	v_cmp_ne_u32_e64 s0, 0, v16
	s_delay_alu instid0(VALU_DEP_2)
	v_cmp_eq_u32_e32 vcc_lo, 0, v83
	s_and_b32 s1, s0, vcc_lo
	s_wait_alu 0xfffe
	s_and_saveexec_b32 s0, s1
	s_cbranch_execz .LBB256_113
; %bb.112:
	s_wait_dscnt 0x0
	v_bcnt_u32_b32 v16, v16, v82
	ds_store_b32 v84, v16 offset:32
.LBB256_113:
	s_wait_alu 0xfffe
	s_or_b32 exec_lo, exec_lo, s0
	; wave barrier
	s_wait_loadcnt_dscnt 0x0
	s_barrier_signal -1
	s_barrier_wait -1
	global_inv scope:SCOPE_SE
	ds_load_b128 v[20:23], v65 offset:32
	ds_load_b128 v[16:19], v65 offset:48
	v_and_b32_e32 v68, 16, v67
	v_or_b32_e32 v34, 31, v34
	s_delay_alu instid0(VALU_DEP_2) | instskip(NEXT) | instid1(VALU_DEP_2)
	v_cmp_eq_u32_e64 s17, 0, v68
	v_cmp_eq_u32_e64 s15, v41, v34
	s_wait_dscnt 0x1
	v_add_nc_u32_e32 v35, v21, v20
	s_delay_alu instid0(VALU_DEP_1) | instskip(SKIP_1) | instid1(VALU_DEP_1)
	v_add3_u32 v35, v35, v22, v23
	s_wait_dscnt 0x0
	v_add3_u32 v35, v35, v16, v17
	s_delay_alu instid0(VALU_DEP_1) | instskip(SKIP_1) | instid1(VALU_DEP_2)
	v_add3_u32 v19, v35, v18, v19
	v_and_b32_e32 v35, 15, v67
	v_mov_b32_dpp v37, v19 row_shr:1 row_mask:0xf bank_mask:0xf
	s_delay_alu instid0(VALU_DEP_2)
	v_cmp_eq_u32_e64 s1, 0, v35
	v_cmp_lt_u32_e64 s11, 1, v35
	v_cmp_lt_u32_e64 s12, 3, v35
	v_cmp_lt_u32_e64 s14, 7, v35
	s_wait_alu 0xf1ff
	v_cndmask_b32_e64 v37, v37, 0, s1
	s_delay_alu instid0(VALU_DEP_1) | instskip(NEXT) | instid1(VALU_DEP_1)
	v_add_nc_u32_e32 v19, v37, v19
	v_mov_b32_dpp v37, v19 row_shr:2 row_mask:0xf bank_mask:0xf
	s_delay_alu instid0(VALU_DEP_1) | instskip(NEXT) | instid1(VALU_DEP_1)
	v_cndmask_b32_e64 v37, 0, v37, s11
	v_add_nc_u32_e32 v19, v19, v37
	s_delay_alu instid0(VALU_DEP_1) | instskip(NEXT) | instid1(VALU_DEP_1)
	v_mov_b32_dpp v37, v19 row_shr:4 row_mask:0xf bank_mask:0xf
	v_cndmask_b32_e64 v37, 0, v37, s12
	s_delay_alu instid0(VALU_DEP_1) | instskip(NEXT) | instid1(VALU_DEP_1)
	v_add_nc_u32_e32 v19, v19, v37
	v_mov_b32_dpp v37, v19 row_shr:8 row_mask:0xf bank_mask:0xf
	s_delay_alu instid0(VALU_DEP_1) | instskip(NEXT) | instid1(VALU_DEP_1)
	v_cndmask_b32_e64 v35, 0, v37, s14
	v_add_nc_u32_e32 v37, v19, v35
	v_bfe_i32 v35, v67, 4, 1
	ds_swizzle_b32 v19, v37 offset:swizzle(BROADCAST,32,15)
	s_wait_dscnt 0x0
	v_and_b32_e32 v85, v35, v19
	v_mul_i32_i24_e32 v19, 0xffffffe4, v41
	v_lshlrev_b32_e32 v35, 2, v66
	s_delay_alu instid0(VALU_DEP_3)
	v_add_nc_u32_e32 v37, v37, v85
	s_and_saveexec_b32 s0, s15
; %bb.114:
	ds_store_b32 v35, v37
; %bb.115:
	s_wait_alu 0xfffe
	s_or_b32 exec_lo, exec_lo, s0
	v_and_b32_e32 v34, 7, v67
	v_cmp_gt_u32_e64 s16, 8, v41
	s_wait_loadcnt_dscnt 0x0
	s_barrier_signal -1
	s_barrier_wait -1
	v_cmp_eq_u32_e64 s13, 0, v34
	v_cmp_lt_u32_e64 s10, 1, v34
	v_cmp_lt_u32_e32 vcc_lo, 3, v34
	v_add_nc_u32_e32 v34, v65, v19
	global_inv scope:SCOPE_SE
	s_and_saveexec_b32 s0, s16
	s_cbranch_execz .LBB256_117
; %bb.116:
	ds_load_b32 v19, v34
	s_wait_dscnt 0x0
	v_mov_b32_dpp v66, v19 row_shr:1 row_mask:0xf bank_mask:0xf
	s_delay_alu instid0(VALU_DEP_1) | instskip(NEXT) | instid1(VALU_DEP_1)
	v_cndmask_b32_e64 v66, v66, 0, s13
	v_add_nc_u32_e32 v19, v66, v19
	s_delay_alu instid0(VALU_DEP_1) | instskip(NEXT) | instid1(VALU_DEP_1)
	v_mov_b32_dpp v66, v19 row_shr:2 row_mask:0xf bank_mask:0xf
	v_cndmask_b32_e64 v66, 0, v66, s10
	s_delay_alu instid0(VALU_DEP_1) | instskip(NEXT) | instid1(VALU_DEP_1)
	v_add_nc_u32_e32 v19, v19, v66
	v_mov_b32_dpp v66, v19 row_shr:4 row_mask:0xf bank_mask:0xf
	s_wait_alu 0xfffd
	s_delay_alu instid0(VALU_DEP_1) | instskip(NEXT) | instid1(VALU_DEP_1)
	v_cndmask_b32_e32 v66, 0, v66, vcc_lo
	v_add_nc_u32_e32 v19, v19, v66
	ds_store_b32 v34, v19
.LBB256_117:
	s_wait_alu 0xfffe
	s_or_b32 exec_lo, exec_lo, s0
	v_mul_u32_u24_e32 v19, 6, v36
	v_sub_co_u32 v66, s0, v67, 1
	v_cmp_lt_u32_e64 s18, 31, v41
	v_add_nc_u32_e32 v36, -4, v35
	v_mov_b32_e32 v68, 0
	s_wait_loadcnt_dscnt 0x0
	s_barrier_signal -1
	s_barrier_wait -1
	global_inv scope:SCOPE_SE
	s_and_saveexec_b32 s19, s18
; %bb.118:
	ds_load_b32 v68, v36
; %bb.119:
	s_wait_alu 0xfffe
	s_or_b32 exec_lo, exec_lo, s19
	v_cmp_gt_i32_e64 s19, 0, v66
	s_mov_b32 s24, 0
	s_min_u32 s20, s20, 8
	s_mov_b32 s25, s24
	s_mov_b32 s26, s24
	v_cndmask_b32_e64 v66, v66, v67, s19
	s_mov_b32 s27, s24
	s_wait_dscnt 0x0
	v_add_nc_u32_e32 v67, v68, v37
	v_cmp_eq_u32_e64 s19, 0, v41
	s_wait_alu 0xfffe
	s_lshl_b32 s20, -1, s20
	v_lshlrev_b32_e32 v37, 2, v66
	s_wait_alu 0xfffe
	s_not_b32 s33, s20
	ds_bpermute_b32 v66, v37, v67
	s_wait_dscnt 0x0
	v_cndmask_b32_e64 v66, v66, v68, s0
	s_delay_alu instid0(VALU_DEP_1) | instskip(NEXT) | instid1(VALU_DEP_1)
	v_cndmask_b32_e64 v85, v66, 0, s19
	v_add_nc_u32_e32 v86, v85, v20
	s_delay_alu instid0(VALU_DEP_1) | instskip(NEXT) | instid1(VALU_DEP_1)
	v_add_nc_u32_e32 v87, v86, v21
	v_add_nc_u32_e32 v88, v87, v22
	s_delay_alu instid0(VALU_DEP_1) | instskip(NEXT) | instid1(VALU_DEP_1)
	v_add_nc_u32_e32 v20, v88, v23
	;; [unrolled: 3-line block ×3, first 2 shown]
	v_add_nc_u32_e32 v23, v22, v18
	ds_store_b128 v65, v[85:88] offset:32
	ds_store_b128 v65, v[20:23] offset:48
	s_wait_loadcnt_dscnt 0x0
	s_barrier_signal -1
	s_barrier_wait -1
	global_inv scope:SCOPE_SE
	ds_load_b32 v16, v39 offset:32
	ds_load_b32 v17, v43 offset:32
	ds_load_b32 v18, v69 offset:32
	ds_load_b32 v20, v72 offset:32
	ds_load_b32 v21, v75 offset:32
	ds_load_b32 v22, v78 offset:32
	ds_load_b32 v23, v81 offset:32
	ds_load_b32 v39, v84 offset:32
	v_add_nc_u32_e32 v43, v25, v19
	s_wait_loadcnt_dscnt 0x0
	s_barrier_signal -1
	s_barrier_wait -1
	global_inv scope:SCOPE_SE
	v_add_nc_u32_e32 v38, v16, v38
	v_add3_u32 v40, v42, v40, v17
	v_add3_u32 v42, v45, v44, v18
	;; [unrolled: 1-line block ×7, first 2 shown]
	v_lshlrev_b32_e32 v16, 1, v38
	v_lshlrev_b32_e32 v17, 1, v40
	;; [unrolled: 1-line block ×8, first 2 shown]
	ds_store_b16 v16, v26
	ds_store_b16 v17, v27
	;; [unrolled: 1-line block ×8, first 2 shown]
	s_wait_loadcnt_dscnt 0x0
	s_barrier_signal -1
	s_barrier_wait -1
	global_inv scope:SCOPE_SE
	ds_load_u16 v26, v25
	ds_load_u16 v27, v25 offset:64
	ds_load_u16 v28, v25 offset:128
	;; [unrolled: 1-line block ×7, first 2 shown]
	v_mad_co_u64_u32 v[38:39], null, v38, 6, v[16:17]
	v_mad_co_u64_u32 v[16:17], null, v40, 6, v[17:18]
	;; [unrolled: 1-line block ×3, first 2 shown]
	s_wait_loadcnt_dscnt 0x0
	s_barrier_signal -1
	s_barrier_wait -1
	global_inv scope:SCOPE_SE
	v_mad_co_u64_u32 v[18:19], null, v44, 6, v[19:20]
	v_lshrrev_b16 v33, 8, v26
	v_cmp_ne_u16_e64 s20, 0x8000, v26
	ds_store_b64 v38, v[8:9]
	v_mad_co_u64_u32 v[19:20], null, v45, 6, v[20:21]
	v_mad_co_u64_u32 v[20:21], null, v66, 6, v[21:22]
	s_wait_alu 0xf1ff
	v_cndmask_b32_e64 v33, 0x7f, v33, s20
	v_mad_co_u64_u32 v[21:22], null, v67, 6, v[22:23]
	v_mad_co_u64_u32 v[22:23], null, v68, 6, v[23:24]
	s_delay_alu instid0(VALU_DEP_3)
	v_and_b32_e32 v8, 0xffff, v33
	ds_store_b64 v16, v[10:11]
	ds_store_b64 v17, v[0:1]
	;; [unrolled: 1-line block ×7, first 2 shown]
	v_and_b32_e32 v23, s33, v8
	s_wait_loadcnt_dscnt 0x0
	s_barrier_signal -1
	s_barrier_wait -1
	global_inv scope:SCOPE_SE
	v_and_b32_e32 v0, 1, v23
	v_lshlrev_b32_e32 v1, 30, v23
	v_lshlrev_b32_e32 v2, 29, v23
	;; [unrolled: 1-line block ×4, first 2 shown]
	v_add_co_u32 v0, s20, v0, -1
	s_wait_alu 0xf1ff
	v_cndmask_b32_e64 v4, 0, 1, s20
	v_not_b32_e32 v8, v1
	v_cmp_gt_i32_e64 s21, 0, v1
	v_not_b32_e32 v1, v2
	v_lshlrev_b32_e32 v6, 26, v23
	v_cmp_ne_u32_e64 s20, 0, v4
	v_ashrrev_i32_e32 v8, 31, v8
	v_lshlrev_b32_e32 v7, 25, v23
	v_ashrrev_i32_e32 v1, 31, v1
	v_lshlrev_b32_e32 v4, 24, v23
	s_wait_alu 0xf1ff
	v_xor_b32_e32 v0, s20, v0
	v_cmp_gt_i32_e64 s20, 0, v2
	v_not_b32_e32 v2, v3
	v_xor_b32_e32 v8, s21, v8
	v_cmp_gt_i32_e64 s21, 0, v3
	v_and_b32_e32 v0, exec_lo, v0
	v_not_b32_e32 v3, v5
	v_ashrrev_i32_e32 v2, 31, v2
	s_wait_alu 0xf1ff
	v_xor_b32_e32 v1, s20, v1
	v_cmp_gt_i32_e64 s20, 0, v5
	v_and_b32_e32 v0, v0, v8
	v_not_b32_e32 v5, v6
	v_ashrrev_i32_e32 v3, 31, v3
	v_xor_b32_e32 v2, s21, v2
	v_cmp_gt_i32_e64 s21, 0, v6
	v_and_b32_e32 v0, v0, v1
	v_not_b32_e32 v1, v7
	v_ashrrev_i32_e32 v5, 31, v5
	s_wait_alu 0xf1ff
	v_xor_b32_e32 v3, s20, v3
	v_cmp_gt_i32_e64 s20, 0, v7
	v_and_b32_e32 v0, v0, v2
	v_not_b32_e32 v2, v4
	v_ashrrev_i32_e32 v1, 31, v1
	v_xor_b32_e32 v5, s21, v5
	v_cmp_gt_i32_e64 s21, 0, v4
	v_and_b32_e32 v0, v0, v3
	v_ashrrev_i32_e32 v2, 31, v2
	s_wait_alu 0xf1ff
	v_xor_b32_e32 v1, s20, v1
	v_dual_mov_b32 v17, s24 :: v_dual_mov_b32 v18, s25
	v_and_b32_e32 v0, v0, v5
	v_xor_b32_e32 v16, s21, v2
	ds_load_2addr_b64 v[4:7], v43 offset1:32
	v_dual_mov_b32 v19, s26 :: v_dual_mov_b32 v20, s27
	v_and_b32_e32 v21, v0, v1
	ds_load_2addr_b64 v[12:15], v43 offset0:64 offset1:96
	ds_load_2addr_b64 v[8:11], v43 offset0:128 offset1:160
	;; [unrolled: 1-line block ×3, first 2 shown]
	v_lshl_add_u32 v38, v23, 5, v24
	s_wait_loadcnt_dscnt 0x0
	s_barrier_signal -1
	v_and_b32_e32 v16, v21, v16
	s_barrier_wait -1
	global_inv scope:SCOPE_SE
	ds_store_b128 v65, v[17:20] offset:32
	ds_store_b128 v65, v[17:20] offset:48
	s_wait_loadcnt_dscnt 0x0
	v_mbcnt_lo_u32_b32 v33, v16, 0
	v_cmp_ne_u32_e64 s21, 0, v16
	s_barrier_signal -1
	s_barrier_wait -1
	global_inv scope:SCOPE_SE
	v_cmp_eq_u32_e64 s20, 0, v33
	; wave barrier
	s_and_b32 s21, s21, s20
	s_wait_alu 0xfffe
	s_and_saveexec_b32 s20, s21
; %bb.120:
	v_bcnt_u32_b32 v16, v16, 0
	ds_store_b32 v38, v16 offset:32
; %bb.121:
	s_wait_alu 0xfffe
	s_or_b32 exec_lo, exec_lo, s20
	v_lshrrev_b16 v16, 8, v27
	v_cmp_ne_u16_e64 s20, 0x8000, v27
	; wave barrier
	s_wait_alu 0xf1ff
	s_delay_alu instid0(VALU_DEP_1) | instskip(NEXT) | instid1(VALU_DEP_1)
	v_cndmask_b32_e64 v16, 0x7f, v16, s20
	v_and_b32_e32 v16, s33, v16
	s_delay_alu instid0(VALU_DEP_1)
	v_and_b32_e32 v17, 1, v16
	v_lshlrev_b32_e32 v18, 30, v16
	v_lshlrev_b32_e32 v19, 29, v16
	;; [unrolled: 1-line block ×4, first 2 shown]
	v_add_co_u32 v17, s20, v17, -1
	s_wait_alu 0xf1ff
	v_cndmask_b32_e64 v21, 0, 1, s20
	v_not_b32_e32 v40, v18
	v_cmp_gt_i32_e64 s21, 0, v18
	v_not_b32_e32 v18, v19
	v_lshlrev_b32_e32 v23, 26, v16
	v_cmp_ne_u32_e64 s20, 0, v21
	v_ashrrev_i32_e32 v40, 31, v40
	v_lshlrev_b32_e32 v39, 25, v16
	v_ashrrev_i32_e32 v18, 31, v18
	v_lshlrev_b32_e32 v21, 24, v16
	s_wait_alu 0xf1ff
	v_xor_b32_e32 v17, s20, v17
	v_cmp_gt_i32_e64 s20, 0, v19
	v_not_b32_e32 v19, v20
	v_xor_b32_e32 v40, s21, v40
	v_cmp_gt_i32_e64 s21, 0, v20
	v_and_b32_e32 v17, exec_lo, v17
	v_not_b32_e32 v20, v22
	v_ashrrev_i32_e32 v19, 31, v19
	s_wait_alu 0xf1ff
	v_xor_b32_e32 v18, s20, v18
	v_cmp_gt_i32_e64 s20, 0, v22
	v_and_b32_e32 v17, v17, v40
	v_not_b32_e32 v22, v23
	v_ashrrev_i32_e32 v20, 31, v20
	v_xor_b32_e32 v19, s21, v19
	v_cmp_gt_i32_e64 s21, 0, v23
	v_and_b32_e32 v17, v17, v18
	v_not_b32_e32 v18, v39
	v_ashrrev_i32_e32 v22, 31, v22
	s_wait_alu 0xf1ff
	v_xor_b32_e32 v20, s20, v20
	v_cmp_gt_i32_e64 s20, 0, v39
	v_and_b32_e32 v17, v17, v19
	v_not_b32_e32 v19, v21
	v_ashrrev_i32_e32 v18, 31, v18
	v_xor_b32_e32 v22, s21, v22
	v_cmp_gt_i32_e64 s21, 0, v21
	v_and_b32_e32 v17, v17, v20
	v_ashrrev_i32_e32 v19, 31, v19
	s_wait_alu 0xf1ff
	v_xor_b32_e32 v18, s20, v18
	v_lshl_add_u32 v42, v16, 5, v24
	v_and_b32_e32 v17, v17, v22
	v_xor_b32_e32 v16, s21, v19
	ds_load_b32 v39, v42 offset:32
	v_and_b32_e32 v17, v17, v18
	; wave barrier
	s_delay_alu instid0(VALU_DEP_1) | instskip(NEXT) | instid1(VALU_DEP_1)
	v_and_b32_e32 v16, v17, v16
	v_mbcnt_lo_u32_b32 v40, v16, 0
	v_cmp_ne_u32_e64 s21, 0, v16
	s_delay_alu instid0(VALU_DEP_2)
	v_cmp_eq_u32_e64 s20, 0, v40
	s_and_b32 s21, s21, s20
	s_wait_alu 0xfffe
	s_and_saveexec_b32 s20, s21
	s_cbranch_execz .LBB256_123
; %bb.122:
	s_wait_dscnt 0x0
	v_bcnt_u32_b32 v16, v16, v39
	ds_store_b32 v42, v16 offset:32
.LBB256_123:
	s_wait_alu 0xfffe
	s_or_b32 exec_lo, exec_lo, s20
	v_lshrrev_b16 v16, 8, v28
	v_cmp_ne_u16_e64 s20, 0x8000, v28
	; wave barrier
	s_wait_alu 0xf1ff
	s_delay_alu instid0(VALU_DEP_1) | instskip(NEXT) | instid1(VALU_DEP_1)
	v_cndmask_b32_e64 v16, 0x7f, v16, s20
	v_and_b32_e32 v16, s33, v16
	s_delay_alu instid0(VALU_DEP_1)
	v_and_b32_e32 v17, 1, v16
	v_lshlrev_b32_e32 v18, 30, v16
	v_lshlrev_b32_e32 v19, 29, v16
	;; [unrolled: 1-line block ×4, first 2 shown]
	v_add_co_u32 v17, s20, v17, -1
	s_wait_alu 0xf1ff
	v_cndmask_b32_e64 v21, 0, 1, s20
	v_not_b32_e32 v44, v18
	v_cmp_gt_i32_e64 s21, 0, v18
	v_not_b32_e32 v18, v19
	v_lshlrev_b32_e32 v23, 26, v16
	v_cmp_ne_u32_e64 s20, 0, v21
	v_ashrrev_i32_e32 v44, 31, v44
	v_lshlrev_b32_e32 v43, 25, v16
	v_ashrrev_i32_e32 v18, 31, v18
	v_lshlrev_b32_e32 v21, 24, v16
	s_wait_alu 0xf1ff
	v_xor_b32_e32 v17, s20, v17
	v_cmp_gt_i32_e64 s20, 0, v19
	v_not_b32_e32 v19, v20
	v_xor_b32_e32 v44, s21, v44
	v_cmp_gt_i32_e64 s21, 0, v20
	v_and_b32_e32 v17, exec_lo, v17
	v_not_b32_e32 v20, v22
	v_ashrrev_i32_e32 v19, 31, v19
	s_wait_alu 0xf1ff
	v_xor_b32_e32 v18, s20, v18
	v_cmp_gt_i32_e64 s20, 0, v22
	v_and_b32_e32 v17, v17, v44
	v_not_b32_e32 v22, v23
	v_ashrrev_i32_e32 v20, 31, v20
	v_xor_b32_e32 v19, s21, v19
	v_cmp_gt_i32_e64 s21, 0, v23
	v_and_b32_e32 v17, v17, v18
	v_not_b32_e32 v18, v43
	v_ashrrev_i32_e32 v22, 31, v22
	s_wait_alu 0xf1ff
	v_xor_b32_e32 v20, s20, v20
	v_cmp_gt_i32_e64 s20, 0, v43
	v_and_b32_e32 v17, v17, v19
	v_not_b32_e32 v19, v21
	v_ashrrev_i32_e32 v18, 31, v18
	v_xor_b32_e32 v22, s21, v22
	v_cmp_gt_i32_e64 s21, 0, v21
	v_and_b32_e32 v17, v17, v20
	v_ashrrev_i32_e32 v19, 31, v19
	s_wait_alu 0xf1ff
	v_xor_b32_e32 v18, s20, v18
	v_lshl_add_u32 v45, v16, 5, v24
	v_and_b32_e32 v17, v17, v22
	v_xor_b32_e32 v16, s21, v19
	ds_load_b32 v43, v45 offset:32
	v_and_b32_e32 v17, v17, v18
	; wave barrier
	s_delay_alu instid0(VALU_DEP_1) | instskip(NEXT) | instid1(VALU_DEP_1)
	v_and_b32_e32 v16, v17, v16
	v_mbcnt_lo_u32_b32 v44, v16, 0
	v_cmp_ne_u32_e64 s21, 0, v16
	s_delay_alu instid0(VALU_DEP_2)
	v_cmp_eq_u32_e64 s20, 0, v44
	s_and_b32 s21, s21, s20
	s_wait_alu 0xfffe
	s_and_saveexec_b32 s20, s21
	s_cbranch_execz .LBB256_125
; %bb.124:
	s_wait_dscnt 0x0
	v_bcnt_u32_b32 v16, v16, v43
	ds_store_b32 v45, v16 offset:32
.LBB256_125:
	s_wait_alu 0xfffe
	s_or_b32 exec_lo, exec_lo, s20
	v_lshrrev_b16 v16, 8, v29
	v_cmp_ne_u16_e64 s20, 0x8000, v29
	; wave barrier
	s_wait_alu 0xf1ff
	s_delay_alu instid0(VALU_DEP_1) | instskip(NEXT) | instid1(VALU_DEP_1)
	v_cndmask_b32_e64 v16, 0x7f, v16, s20
	v_and_b32_e32 v16, s33, v16
	s_delay_alu instid0(VALU_DEP_1)
	v_and_b32_e32 v17, 1, v16
	v_lshlrev_b32_e32 v18, 30, v16
	v_lshlrev_b32_e32 v19, 29, v16
	;; [unrolled: 1-line block ×4, first 2 shown]
	v_add_co_u32 v17, s20, v17, -1
	s_wait_alu 0xf1ff
	v_cndmask_b32_e64 v21, 0, 1, s20
	v_not_b32_e32 v67, v18
	v_cmp_gt_i32_e64 s21, 0, v18
	v_not_b32_e32 v18, v19
	v_lshlrev_b32_e32 v23, 26, v16
	v_cmp_ne_u32_e64 s20, 0, v21
	v_ashrrev_i32_e32 v67, 31, v67
	v_lshlrev_b32_e32 v66, 25, v16
	v_ashrrev_i32_e32 v18, 31, v18
	v_lshlrev_b32_e32 v21, 24, v16
	s_wait_alu 0xf1ff
	v_xor_b32_e32 v17, s20, v17
	v_cmp_gt_i32_e64 s20, 0, v19
	v_not_b32_e32 v19, v20
	v_xor_b32_e32 v67, s21, v67
	v_cmp_gt_i32_e64 s21, 0, v20
	v_and_b32_e32 v17, exec_lo, v17
	v_not_b32_e32 v20, v22
	v_ashrrev_i32_e32 v19, 31, v19
	s_wait_alu 0xf1ff
	v_xor_b32_e32 v18, s20, v18
	v_cmp_gt_i32_e64 s20, 0, v22
	v_and_b32_e32 v17, v17, v67
	v_not_b32_e32 v22, v23
	v_ashrrev_i32_e32 v20, 31, v20
	v_xor_b32_e32 v19, s21, v19
	v_cmp_gt_i32_e64 s21, 0, v23
	v_and_b32_e32 v17, v17, v18
	v_not_b32_e32 v18, v66
	v_ashrrev_i32_e32 v22, 31, v22
	s_wait_alu 0xf1ff
	v_xor_b32_e32 v20, s20, v20
	v_cmp_gt_i32_e64 s20, 0, v66
	v_and_b32_e32 v17, v17, v19
	v_not_b32_e32 v19, v21
	v_ashrrev_i32_e32 v18, 31, v18
	v_xor_b32_e32 v22, s21, v22
	v_cmp_gt_i32_e64 s21, 0, v21
	v_and_b32_e32 v17, v17, v20
	v_ashrrev_i32_e32 v19, 31, v19
	s_wait_alu 0xf1ff
	v_xor_b32_e32 v18, s20, v18
	v_lshl_add_u32 v68, v16, 5, v24
	v_and_b32_e32 v17, v17, v22
	v_xor_b32_e32 v16, s21, v19
	ds_load_b32 v66, v68 offset:32
	v_and_b32_e32 v17, v17, v18
	; wave barrier
	s_delay_alu instid0(VALU_DEP_1) | instskip(NEXT) | instid1(VALU_DEP_1)
	v_and_b32_e32 v16, v17, v16
	v_mbcnt_lo_u32_b32 v67, v16, 0
	v_cmp_ne_u32_e64 s21, 0, v16
	s_delay_alu instid0(VALU_DEP_2)
	v_cmp_eq_u32_e64 s20, 0, v67
	s_and_b32 s21, s21, s20
	s_wait_alu 0xfffe
	s_and_saveexec_b32 s20, s21
	s_cbranch_execz .LBB256_127
; %bb.126:
	s_wait_dscnt 0x0
	v_bcnt_u32_b32 v16, v16, v66
	ds_store_b32 v68, v16 offset:32
.LBB256_127:
	s_wait_alu 0xfffe
	s_or_b32 exec_lo, exec_lo, s20
	v_lshrrev_b16 v16, 8, v30
	v_cmp_ne_u16_e64 s20, 0x8000, v30
	; wave barrier
	s_wait_alu 0xf1ff
	s_delay_alu instid0(VALU_DEP_1) | instskip(NEXT) | instid1(VALU_DEP_1)
	v_cndmask_b32_e64 v16, 0x7f, v16, s20
	v_and_b32_e32 v16, s33, v16
	s_delay_alu instid0(VALU_DEP_1)
	v_and_b32_e32 v17, 1, v16
	v_lshlrev_b32_e32 v18, 30, v16
	v_lshlrev_b32_e32 v19, 29, v16
	;; [unrolled: 1-line block ×4, first 2 shown]
	v_add_co_u32 v17, s20, v17, -1
	s_wait_alu 0xf1ff
	v_cndmask_b32_e64 v21, 0, 1, s20
	v_not_b32_e32 v70, v18
	v_cmp_gt_i32_e64 s21, 0, v18
	v_not_b32_e32 v18, v19
	v_lshlrev_b32_e32 v23, 26, v16
	v_cmp_ne_u32_e64 s20, 0, v21
	v_ashrrev_i32_e32 v70, 31, v70
	v_lshlrev_b32_e32 v69, 25, v16
	v_ashrrev_i32_e32 v18, 31, v18
	v_lshlrev_b32_e32 v21, 24, v16
	s_wait_alu 0xf1ff
	v_xor_b32_e32 v17, s20, v17
	v_cmp_gt_i32_e64 s20, 0, v19
	v_not_b32_e32 v19, v20
	v_xor_b32_e32 v70, s21, v70
	v_cmp_gt_i32_e64 s21, 0, v20
	v_and_b32_e32 v17, exec_lo, v17
	v_not_b32_e32 v20, v22
	v_ashrrev_i32_e32 v19, 31, v19
	s_wait_alu 0xf1ff
	v_xor_b32_e32 v18, s20, v18
	v_cmp_gt_i32_e64 s20, 0, v22
	v_and_b32_e32 v17, v17, v70
	v_not_b32_e32 v22, v23
	v_ashrrev_i32_e32 v20, 31, v20
	v_xor_b32_e32 v19, s21, v19
	v_cmp_gt_i32_e64 s21, 0, v23
	v_and_b32_e32 v17, v17, v18
	v_not_b32_e32 v18, v69
	v_ashrrev_i32_e32 v22, 31, v22
	s_wait_alu 0xf1ff
	v_xor_b32_e32 v20, s20, v20
	v_cmp_gt_i32_e64 s20, 0, v69
	v_and_b32_e32 v17, v17, v19
	v_not_b32_e32 v19, v21
	v_ashrrev_i32_e32 v18, 31, v18
	v_xor_b32_e32 v22, s21, v22
	v_cmp_gt_i32_e64 s21, 0, v21
	v_and_b32_e32 v17, v17, v20
	v_ashrrev_i32_e32 v19, 31, v19
	s_wait_alu 0xf1ff
	v_xor_b32_e32 v18, s20, v18
	v_lshl_add_u32 v71, v16, 5, v24
	v_and_b32_e32 v17, v17, v22
	v_xor_b32_e32 v16, s21, v19
	ds_load_b32 v69, v71 offset:32
	v_and_b32_e32 v17, v17, v18
	; wave barrier
	s_delay_alu instid0(VALU_DEP_1) | instskip(NEXT) | instid1(VALU_DEP_1)
	v_and_b32_e32 v16, v17, v16
	v_mbcnt_lo_u32_b32 v70, v16, 0
	v_cmp_ne_u32_e64 s21, 0, v16
	s_delay_alu instid0(VALU_DEP_2)
	v_cmp_eq_u32_e64 s20, 0, v70
	s_and_b32 s21, s21, s20
	s_wait_alu 0xfffe
	s_and_saveexec_b32 s20, s21
	s_cbranch_execz .LBB256_129
; %bb.128:
	s_wait_dscnt 0x0
	v_bcnt_u32_b32 v16, v16, v69
	ds_store_b32 v71, v16 offset:32
.LBB256_129:
	s_wait_alu 0xfffe
	s_or_b32 exec_lo, exec_lo, s20
	v_lshrrev_b16 v16, 8, v31
	v_cmp_ne_u16_e64 s20, 0x8000, v31
	; wave barrier
	s_wait_alu 0xf1ff
	s_delay_alu instid0(VALU_DEP_1) | instskip(NEXT) | instid1(VALU_DEP_1)
	v_cndmask_b32_e64 v16, 0x7f, v16, s20
	v_and_b32_e32 v16, s33, v16
	s_delay_alu instid0(VALU_DEP_1)
	v_and_b32_e32 v17, 1, v16
	v_lshlrev_b32_e32 v18, 30, v16
	v_lshlrev_b32_e32 v19, 29, v16
	;; [unrolled: 1-line block ×4, first 2 shown]
	v_add_co_u32 v17, s20, v17, -1
	s_wait_alu 0xf1ff
	v_cndmask_b32_e64 v21, 0, 1, s20
	v_not_b32_e32 v73, v18
	v_cmp_gt_i32_e64 s21, 0, v18
	v_not_b32_e32 v18, v19
	v_lshlrev_b32_e32 v23, 26, v16
	v_cmp_ne_u32_e64 s20, 0, v21
	v_ashrrev_i32_e32 v73, 31, v73
	v_lshlrev_b32_e32 v72, 25, v16
	v_ashrrev_i32_e32 v18, 31, v18
	v_lshlrev_b32_e32 v21, 24, v16
	s_wait_alu 0xf1ff
	v_xor_b32_e32 v17, s20, v17
	v_cmp_gt_i32_e64 s20, 0, v19
	v_not_b32_e32 v19, v20
	v_xor_b32_e32 v73, s21, v73
	v_cmp_gt_i32_e64 s21, 0, v20
	v_and_b32_e32 v17, exec_lo, v17
	v_not_b32_e32 v20, v22
	v_ashrrev_i32_e32 v19, 31, v19
	s_wait_alu 0xf1ff
	v_xor_b32_e32 v18, s20, v18
	v_cmp_gt_i32_e64 s20, 0, v22
	v_and_b32_e32 v17, v17, v73
	v_not_b32_e32 v22, v23
	v_ashrrev_i32_e32 v20, 31, v20
	v_xor_b32_e32 v19, s21, v19
	v_cmp_gt_i32_e64 s21, 0, v23
	v_and_b32_e32 v17, v17, v18
	v_not_b32_e32 v18, v72
	v_ashrrev_i32_e32 v22, 31, v22
	s_wait_alu 0xf1ff
	v_xor_b32_e32 v20, s20, v20
	v_cmp_gt_i32_e64 s20, 0, v72
	v_and_b32_e32 v17, v17, v19
	v_not_b32_e32 v19, v21
	v_ashrrev_i32_e32 v18, 31, v18
	v_xor_b32_e32 v22, s21, v22
	v_cmp_gt_i32_e64 s21, 0, v21
	v_and_b32_e32 v17, v17, v20
	v_ashrrev_i32_e32 v19, 31, v19
	s_wait_alu 0xf1ff
	v_xor_b32_e32 v18, s20, v18
	v_lshl_add_u32 v74, v16, 5, v24
	v_and_b32_e32 v17, v17, v22
	v_xor_b32_e32 v16, s21, v19
	ds_load_b32 v72, v74 offset:32
	v_and_b32_e32 v17, v17, v18
	; wave barrier
	s_delay_alu instid0(VALU_DEP_1) | instskip(NEXT) | instid1(VALU_DEP_1)
	v_and_b32_e32 v16, v17, v16
	v_mbcnt_lo_u32_b32 v73, v16, 0
	v_cmp_ne_u32_e64 s21, 0, v16
	s_delay_alu instid0(VALU_DEP_2)
	v_cmp_eq_u32_e64 s20, 0, v73
	s_and_b32 s21, s21, s20
	s_wait_alu 0xfffe
	s_and_saveexec_b32 s20, s21
	s_cbranch_execz .LBB256_131
; %bb.130:
	s_wait_dscnt 0x0
	v_bcnt_u32_b32 v16, v16, v72
	ds_store_b32 v74, v16 offset:32
.LBB256_131:
	s_wait_alu 0xfffe
	s_or_b32 exec_lo, exec_lo, s20
	v_lshrrev_b16 v16, 8, v32
	v_cmp_ne_u16_e64 s20, 0x8000, v32
	; wave barrier
	s_wait_alu 0xf1ff
	s_delay_alu instid0(VALU_DEP_1) | instskip(NEXT) | instid1(VALU_DEP_1)
	v_cndmask_b32_e64 v16, 0x7f, v16, s20
	v_and_b32_e32 v16, s33, v16
	s_delay_alu instid0(VALU_DEP_1)
	v_and_b32_e32 v17, 1, v16
	v_lshlrev_b32_e32 v18, 30, v16
	v_lshlrev_b32_e32 v19, 29, v16
	;; [unrolled: 1-line block ×4, first 2 shown]
	v_add_co_u32 v17, s20, v17, -1
	s_wait_alu 0xf1ff
	v_cndmask_b32_e64 v21, 0, 1, s20
	v_not_b32_e32 v76, v18
	v_cmp_gt_i32_e64 s21, 0, v18
	v_not_b32_e32 v18, v19
	v_lshlrev_b32_e32 v23, 26, v16
	v_cmp_ne_u32_e64 s20, 0, v21
	v_ashrrev_i32_e32 v76, 31, v76
	v_lshlrev_b32_e32 v75, 25, v16
	v_ashrrev_i32_e32 v18, 31, v18
	v_lshlrev_b32_e32 v21, 24, v16
	s_wait_alu 0xf1ff
	v_xor_b32_e32 v17, s20, v17
	v_cmp_gt_i32_e64 s20, 0, v19
	v_not_b32_e32 v19, v20
	v_xor_b32_e32 v76, s21, v76
	v_cmp_gt_i32_e64 s21, 0, v20
	v_and_b32_e32 v17, exec_lo, v17
	v_not_b32_e32 v20, v22
	v_ashrrev_i32_e32 v19, 31, v19
	s_wait_alu 0xf1ff
	v_xor_b32_e32 v18, s20, v18
	v_cmp_gt_i32_e64 s20, 0, v22
	v_and_b32_e32 v17, v17, v76
	v_not_b32_e32 v22, v23
	v_ashrrev_i32_e32 v20, 31, v20
	v_xor_b32_e32 v19, s21, v19
	v_cmp_gt_i32_e64 s21, 0, v23
	v_and_b32_e32 v17, v17, v18
	v_not_b32_e32 v18, v75
	v_ashrrev_i32_e32 v22, 31, v22
	s_wait_alu 0xf1ff
	v_xor_b32_e32 v20, s20, v20
	v_cmp_gt_i32_e64 s20, 0, v75
	v_and_b32_e32 v17, v17, v19
	v_not_b32_e32 v19, v21
	v_ashrrev_i32_e32 v18, 31, v18
	v_xor_b32_e32 v22, s21, v22
	v_cmp_gt_i32_e64 s21, 0, v21
	v_and_b32_e32 v17, v17, v20
	v_ashrrev_i32_e32 v19, 31, v19
	s_wait_alu 0xf1ff
	v_xor_b32_e32 v18, s20, v18
	v_lshl_add_u32 v77, v16, 5, v24
	v_and_b32_e32 v17, v17, v22
	v_xor_b32_e32 v16, s21, v19
	ds_load_b32 v75, v77 offset:32
	v_and_b32_e32 v17, v17, v18
	; wave barrier
	s_delay_alu instid0(VALU_DEP_1) | instskip(NEXT) | instid1(VALU_DEP_1)
	v_and_b32_e32 v16, v17, v16
	v_mbcnt_lo_u32_b32 v76, v16, 0
	v_cmp_ne_u32_e64 s21, 0, v16
	s_delay_alu instid0(VALU_DEP_2)
	v_cmp_eq_u32_e64 s20, 0, v76
	s_and_b32 s21, s21, s20
	s_wait_alu 0xfffe
	s_and_saveexec_b32 s20, s21
	s_cbranch_execz .LBB256_133
; %bb.132:
	s_wait_dscnt 0x0
	v_bcnt_u32_b32 v16, v16, v75
	ds_store_b32 v77, v16 offset:32
.LBB256_133:
	s_wait_alu 0xfffe
	s_or_b32 exec_lo, exec_lo, s20
	v_lshrrev_b16 v16, 8, v25
	v_cmp_ne_u16_e64 s20, 0x8000, v25
	; wave barrier
	s_wait_alu 0xf1ff
	s_delay_alu instid0(VALU_DEP_1) | instskip(NEXT) | instid1(VALU_DEP_1)
	v_cndmask_b32_e64 v16, 0x7f, v16, s20
	v_and_b32_e32 v16, s33, v16
	s_delay_alu instid0(VALU_DEP_1)
	v_and_b32_e32 v17, 1, v16
	v_lshlrev_b32_e32 v18, 30, v16
	v_lshlrev_b32_e32 v19, 29, v16
	;; [unrolled: 1-line block ×4, first 2 shown]
	v_add_co_u32 v17, s20, v17, -1
	s_wait_alu 0xf1ff
	v_cndmask_b32_e64 v21, 0, 1, s20
	v_not_b32_e32 v79, v18
	v_cmp_gt_i32_e64 s21, 0, v18
	v_not_b32_e32 v18, v19
	v_lshlrev_b32_e32 v23, 26, v16
	v_cmp_ne_u32_e64 s20, 0, v21
	v_ashrrev_i32_e32 v79, 31, v79
	v_lshlrev_b32_e32 v78, 25, v16
	v_ashrrev_i32_e32 v18, 31, v18
	v_lshlrev_b32_e32 v21, 24, v16
	s_wait_alu 0xf1ff
	v_xor_b32_e32 v17, s20, v17
	v_cmp_gt_i32_e64 s20, 0, v19
	v_not_b32_e32 v19, v20
	v_xor_b32_e32 v79, s21, v79
	v_cmp_gt_i32_e64 s21, 0, v20
	v_and_b32_e32 v17, exec_lo, v17
	v_not_b32_e32 v20, v22
	v_ashrrev_i32_e32 v19, 31, v19
	s_wait_alu 0xf1ff
	v_xor_b32_e32 v18, s20, v18
	v_cmp_gt_i32_e64 s20, 0, v22
	v_and_b32_e32 v17, v17, v79
	v_not_b32_e32 v22, v23
	v_ashrrev_i32_e32 v20, 31, v20
	v_xor_b32_e32 v19, s21, v19
	v_cmp_gt_i32_e64 s21, 0, v23
	v_and_b32_e32 v17, v17, v18
	v_not_b32_e32 v18, v78
	v_ashrrev_i32_e32 v22, 31, v22
	s_wait_alu 0xf1ff
	v_xor_b32_e32 v20, s20, v20
	v_cmp_gt_i32_e64 s20, 0, v78
	v_and_b32_e32 v17, v17, v19
	v_not_b32_e32 v19, v21
	v_ashrrev_i32_e32 v18, 31, v18
	v_xor_b32_e32 v22, s21, v22
	v_cmp_gt_i32_e64 s21, 0, v21
	v_and_b32_e32 v17, v17, v20
	v_ashrrev_i32_e32 v19, 31, v19
	s_wait_alu 0xf1ff
	v_xor_b32_e32 v18, s20, v18
	v_lshl_add_u32 v79, v16, 5, v24
	v_and_b32_e32 v17, v17, v22
	v_xor_b32_e32 v16, s21, v19
	ds_load_b32 v24, v79 offset:32
	v_and_b32_e32 v17, v17, v18
	; wave barrier
	s_delay_alu instid0(VALU_DEP_1) | instskip(NEXT) | instid1(VALU_DEP_1)
	v_and_b32_e32 v16, v17, v16
	v_mbcnt_lo_u32_b32 v78, v16, 0
	v_cmp_ne_u32_e64 s21, 0, v16
	s_delay_alu instid0(VALU_DEP_2)
	v_cmp_eq_u32_e64 s20, 0, v78
	s_and_b32 s21, s21, s20
	s_wait_alu 0xfffe
	s_and_saveexec_b32 s20, s21
	s_cbranch_execz .LBB256_135
; %bb.134:
	s_wait_dscnt 0x0
	v_bcnt_u32_b32 v16, v16, v24
	ds_store_b32 v79, v16 offset:32
.LBB256_135:
	s_wait_alu 0xfffe
	s_or_b32 exec_lo, exec_lo, s20
	; wave barrier
	s_wait_loadcnt_dscnt 0x0
	s_barrier_signal -1
	s_barrier_wait -1
	global_inv scope:SCOPE_SE
	ds_load_b128 v[20:23], v65 offset:32
	ds_load_b128 v[16:19], v65 offset:48
	s_wait_dscnt 0x1
	v_add_nc_u32_e32 v80, v21, v20
	s_delay_alu instid0(VALU_DEP_1) | instskip(SKIP_1) | instid1(VALU_DEP_1)
	v_add3_u32 v80, v80, v22, v23
	s_wait_dscnt 0x0
	v_add3_u32 v80, v80, v16, v17
	s_delay_alu instid0(VALU_DEP_1) | instskip(NEXT) | instid1(VALU_DEP_1)
	v_add3_u32 v19, v80, v18, v19
	v_mov_b32_dpp v80, v19 row_shr:1 row_mask:0xf bank_mask:0xf
	s_delay_alu instid0(VALU_DEP_1) | instskip(NEXT) | instid1(VALU_DEP_1)
	v_cndmask_b32_e64 v80, v80, 0, s1
	v_add_nc_u32_e32 v19, v80, v19
	s_delay_alu instid0(VALU_DEP_1) | instskip(NEXT) | instid1(VALU_DEP_1)
	v_mov_b32_dpp v80, v19 row_shr:2 row_mask:0xf bank_mask:0xf
	v_cndmask_b32_e64 v80, 0, v80, s11
	s_delay_alu instid0(VALU_DEP_1) | instskip(NEXT) | instid1(VALU_DEP_1)
	v_add_nc_u32_e32 v19, v19, v80
	v_mov_b32_dpp v80, v19 row_shr:4 row_mask:0xf bank_mask:0xf
	s_delay_alu instid0(VALU_DEP_1) | instskip(NEXT) | instid1(VALU_DEP_1)
	v_cndmask_b32_e64 v80, 0, v80, s12
	v_add_nc_u32_e32 v19, v19, v80
	s_delay_alu instid0(VALU_DEP_1) | instskip(NEXT) | instid1(VALU_DEP_1)
	v_mov_b32_dpp v80, v19 row_shr:8 row_mask:0xf bank_mask:0xf
	v_cndmask_b32_e64 v80, 0, v80, s14
	s_delay_alu instid0(VALU_DEP_1) | instskip(SKIP_3) | instid1(VALU_DEP_1)
	v_add_nc_u32_e32 v19, v19, v80
	ds_swizzle_b32 v80, v19 offset:swizzle(BROADCAST,32,15)
	s_wait_dscnt 0x0
	v_cndmask_b32_e64 v80, v80, 0, s17
	v_add_nc_u32_e32 v19, v19, v80
	s_and_saveexec_b32 s1, s15
; %bb.136:
	ds_store_b32 v35, v19
; %bb.137:
	s_wait_alu 0xfffe
	s_or_b32 exec_lo, exec_lo, s1
	s_wait_loadcnt_dscnt 0x0
	s_barrier_signal -1
	s_barrier_wait -1
	global_inv scope:SCOPE_SE
	s_and_saveexec_b32 s1, s16
	s_cbranch_execz .LBB256_139
; %bb.138:
	ds_load_b32 v35, v34
	s_wait_dscnt 0x0
	v_mov_b32_dpp v80, v35 row_shr:1 row_mask:0xf bank_mask:0xf
	s_delay_alu instid0(VALU_DEP_1) | instskip(NEXT) | instid1(VALU_DEP_1)
	v_cndmask_b32_e64 v80, v80, 0, s13
	v_add_nc_u32_e32 v35, v80, v35
	s_delay_alu instid0(VALU_DEP_1) | instskip(NEXT) | instid1(VALU_DEP_1)
	v_mov_b32_dpp v80, v35 row_shr:2 row_mask:0xf bank_mask:0xf
	v_cndmask_b32_e64 v80, 0, v80, s10
	s_delay_alu instid0(VALU_DEP_1) | instskip(NEXT) | instid1(VALU_DEP_1)
	v_add_nc_u32_e32 v35, v35, v80
	v_mov_b32_dpp v80, v35 row_shr:4 row_mask:0xf bank_mask:0xf
	s_wait_alu 0xfffd
	s_delay_alu instid0(VALU_DEP_1) | instskip(NEXT) | instid1(VALU_DEP_1)
	v_cndmask_b32_e32 v80, 0, v80, vcc_lo
	v_add_nc_u32_e32 v35, v35, v80
	ds_store_b32 v34, v35
.LBB256_139:
	s_wait_alu 0xfffe
	s_or_b32 exec_lo, exec_lo, s1
	v_mov_b32_e32 v34, 0
	s_wait_loadcnt_dscnt 0x0
	s_barrier_signal -1
	s_barrier_wait -1
	global_inv scope:SCOPE_SE
	s_and_saveexec_b32 s1, s18
; %bb.140:
	ds_load_b32 v34, v36
; %bb.141:
	s_wait_alu 0xfffe
	s_or_b32 exec_lo, exec_lo, s1
	s_wait_dscnt 0x0
	v_add_nc_u32_e32 v19, v34, v19
	ds_bpermute_b32 v19, v37, v19
	s_wait_dscnt 0x0
	v_cndmask_b32_e64 v19, v19, v34, s0
	s_delay_alu instid0(VALU_DEP_1) | instskip(NEXT) | instid1(VALU_DEP_1)
	v_cndmask_b32_e64 v19, v19, 0, s19
	v_add_nc_u32_e32 v20, v19, v20
	s_delay_alu instid0(VALU_DEP_1) | instskip(NEXT) | instid1(VALU_DEP_1)
	v_add_nc_u32_e32 v21, v20, v21
	v_add_nc_u32_e32 v22, v21, v22
	s_delay_alu instid0(VALU_DEP_1) | instskip(NEXT) | instid1(VALU_DEP_1)
	v_add_nc_u32_e32 v34, v22, v23
	;; [unrolled: 3-line block ×3, first 2 shown]
	v_add_nc_u32_e32 v37, v36, v18
	ds_store_b128 v65, v[19:22] offset:32
	ds_store_b128 v65, v[34:37] offset:48
	s_wait_loadcnt_dscnt 0x0
	s_barrier_signal -1
	s_barrier_wait -1
	global_inv scope:SCOPE_SE
	ds_load_b32 v16, v79 offset:32
	ds_load_b32 v17, v77 offset:32
	;; [unrolled: 1-line block ×8, first 2 shown]
	s_wait_loadcnt_dscnt 0x0
	s_barrier_signal -1
	s_barrier_wait -1
	global_inv scope:SCOPE_SE
	v_lshlrev_b32_e32 v34, 1, v64
	s_delay_alu instid0(VALU_DEP_1)
	v_mad_u32_u24 v37, v41, 48, v34
	v_add3_u32 v35, v78, v24, v16
	v_add3_u32 v36, v76, v75, v17
	;; [unrolled: 1-line block ×3, first 2 shown]
	v_add_nc_u32_e32 v24, v19, v33
	v_add3_u32 v33, v40, v39, v20
	v_add3_u32 v39, v44, v43, v21
	;; [unrolled: 1-line block ×4, first 2 shown]
	v_lshlrev_b32_e32 v16, 1, v24
	v_lshlrev_b32_e32 v17, 1, v33
	;; [unrolled: 1-line block ×8, first 2 shown]
	ds_store_b16 v16, v26
	ds_store_b16 v17, v27
	;; [unrolled: 1-line block ×8, first 2 shown]
	v_mad_co_u64_u32 v[24:25], null, v24, 6, v[16:17]
	v_mad_co_u64_u32 v[16:17], null, v33, 6, v[17:18]
	;; [unrolled: 1-line block ×7, first 2 shown]
	s_wait_loadcnt_dscnt 0x0
	s_barrier_signal -1
	s_barrier_wait -1
	global_inv scope:SCOPE_SE
	v_mad_co_u64_u32 v[22:23], null, v35, 6, v[23:24]
	ds_load_b128 v[33:36], v34
	s_wait_loadcnt_dscnt 0x0
	s_barrier_signal -1
	s_barrier_wait -1
	global_inv scope:SCOPE_SE
	ds_store_b64 v24, v[4:5]
	ds_store_b64 v16, v[6:7]
	;; [unrolled: 1-line block ×8, first 2 shown]
	s_wait_loadcnt_dscnt 0x0
	s_barrier_signal -1
	s_barrier_wait -1
	global_inv scope:SCOPE_SE
	ds_load_b128 v[29:32], v37
	ds_load_b128 v[25:28], v37 offset:16
	ds_load_b128 v[21:24], v37 offset:32
	;; [unrolled: 1-line block ×3, first 2 shown]
	v_cmp_gt_i16_e32 vcc_lo, 0, v33
	v_lshrrev_b32_e32 v0, 16, v33
	v_lshrrev_b32_e32 v2, 16, v34
	;; [unrolled: 1-line block ×4, first 2 shown]
	s_wait_alu 0xfffd
	v_cndmask_b32_e64 v1, 0x7fff, 0, vcc_lo
	v_cmp_gt_i16_e32 vcc_lo, 0, v34
	s_wait_alu 0xfffd
	v_cndmask_b32_e64 v3, 0x7fff, 0, vcc_lo
	v_cmp_gt_i16_e32 vcc_lo, 0, v35
	;; [unrolled: 3-line block ×5, first 2 shown]
	s_delay_alu instid0(VALU_DEP_2) | instskip(SKIP_3) | instid1(VALU_DEP_3)
	v_perm_b32 v0, v0, v1, 0x5040100
	s_wait_alu 0xfffd
	v_cndmask_b32_e64 v2, 0x7fff, 0, vcc_lo
	v_cmp_gt_i16_e32 vcc_lo, 0, v4
	v_xor_b32_e32 v0, v0, v33
	s_delay_alu instid0(VALU_DEP_3) | instskip(SKIP_3) | instid1(VALU_DEP_3)
	v_perm_b32 v1, v2, v3, 0x5040100
	s_wait_alu 0xfffd
	v_cndmask_b32_e64 v4, 0x7fff, 0, vcc_lo
	v_cmp_gt_i16_e32 vcc_lo, 0, v6
	v_xor_b32_e32 v34, v1, v34
	s_delay_alu instid0(VALU_DEP_3) | instskip(SKIP_2) | instid1(VALU_DEP_2)
	v_perm_b32 v2, v4, v5, 0x5040100
	s_wait_alu 0xfffd
	v_cndmask_b32_e64 v6, 0x7fff, 0, vcc_lo
	v_xor_b32_e32 v33, v2, v35
	s_delay_alu instid0(VALU_DEP_2) | instskip(NEXT) | instid1(VALU_DEP_1)
	v_perm_b32 v3, v6, v7, 0x5040100
	v_xor_b32_e32 v35, v3, v36
.LBB256_142:
	v_mad_co_u64_u32 v[9:10], null, s22, v41, 0
	s_wait_loadcnt_dscnt 0x0
	s_barrier_signal -1
	s_barrier_wait -1
	global_inv scope:SCOPE_SE
	ds_store_2addr_b32 v54, v0, v34 offset1:1
	ds_store_2addr_b32 v54, v33, v35 offset0:2 offset1:3
	s_wait_loadcnt_dscnt 0x0
	v_mov_b32_e32 v0, v10
	s_barrier_signal -1
	s_barrier_wait -1
	global_inv scope:SCOPE_SE
	ds_load_u16 v8, v47 offset:512
	ds_load_u16 v7, v48 offset:1024
	;; [unrolled: 1-line block ×7, first 2 shown]
	v_mad_co_u64_u32 v[0:1], null, s23, v41, v[0:1]
	s_delay_alu instid0(VALU_DEP_1) | instskip(NEXT) | instid1(VALU_DEP_1)
	v_mov_b32_e32 v10, v0
	v_lshlrev_b64_e32 v[0:1], 1, v[9:10]
	s_delay_alu instid0(VALU_DEP_1) | instskip(SKIP_1) | instid1(VALU_DEP_2)
	v_add_co_u32 v0, vcc_lo, s30, v0
	s_wait_alu 0xfffd
	v_add_co_ci_u32_e64 v1, null, s31, v1, vcc_lo
	s_and_saveexec_b32 s0, s2
	s_cbranch_execnz .LBB256_161
; %bb.143:
	s_wait_alu 0xfffe
	s_or_b32 exec_lo, exec_lo, s0
	s_and_saveexec_b32 s0, s3
	s_cbranch_execnz .LBB256_162
.LBB256_144:
	s_wait_alu 0xfffe
	s_or_b32 exec_lo, exec_lo, s0
	s_and_saveexec_b32 s0, s4
	s_cbranch_execnz .LBB256_163
.LBB256_145:
	s_wait_alu 0xfffe
	s_or_b32 exec_lo, exec_lo, s0
	s_and_saveexec_b32 s0, s5
	s_cbranch_execnz .LBB256_164
.LBB256_146:
	s_wait_alu 0xfffe
	s_or_b32 exec_lo, exec_lo, s0
	s_and_saveexec_b32 s0, s6
	s_cbranch_execnz .LBB256_165
.LBB256_147:
	s_wait_alu 0xfffe
	s_or_b32 exec_lo, exec_lo, s0
	s_and_saveexec_b32 s0, s7
	s_cbranch_execnz .LBB256_166
.LBB256_148:
	s_wait_alu 0xfffe
	s_or_b32 exec_lo, exec_lo, s0
	s_and_saveexec_b32 s0, s8
	s_cbranch_execnz .LBB256_167
.LBB256_149:
	s_wait_alu 0xfffe
	s_or_b32 exec_lo, exec_lo, s0
	s_and_saveexec_b32 s0, s9
	s_cbranch_execz .LBB256_151
.LBB256_150:
	v_mad_co_u64_u32 v[0:1], null, 0xe00, s22, v[0:1]
	s_wait_dscnt 0x0
	s_delay_alu instid0(VALU_DEP_1) | instskip(NEXT) | instid1(VALU_DEP_1)
	v_mad_co_u64_u32 v[3:4], null, 0xe00, s23, v[1:2]
	v_mov_b32_e32 v1, v3
	global_store_b16 v[0:1], v2, off
.LBB256_151:
	s_wait_alu 0xfffe
	s_or_b32 exec_lo, exec_lo, s0
	s_wait_dscnt 0x0
	v_mad_co_u64_u32 v[2:3], null, s28, v41, 0
	s_wait_loadcnt 0x0
	s_wait_storecnt 0x0
	s_barrier_signal -1
	s_barrier_wait -1
	global_inv scope:SCOPE_SE
	ds_store_2addr_b64 v63, v[29:30], v[31:32] offset1:1
	ds_store_2addr_b64 v63, v[25:26], v[27:28] offset0:2 offset1:3
	ds_store_2addr_b64 v63, v[21:22], v[23:24] offset0:4 offset1:5
	;; [unrolled: 1-line block ×3, first 2 shown]
	s_wait_loadcnt_dscnt 0x0
	v_mov_b32_e32 v0, v3
	s_barrier_signal -1
	s_barrier_wait -1
	global_inv scope:SCOPE_SE
	v_mad_co_u64_u32 v[3:4], null, s29, v41, v[0:1]
	ds_load_b64 v[14:15], v56 offset:2048
	ds_load_b64 v[12:13], v57 offset:4096
	ds_load_b64 v[10:11], v58 offset:6144
	ds_load_b64 v[8:9], v59 offset:8192
	ds_load_b64 v[6:7], v60 offset:10240
	ds_load_b64 v[4:5], v61 offset:12288
	ds_load_b64 v[0:1], v62 offset:14336
	v_lshlrev_b64_e32 v[2:3], 3, v[2:3]
	s_delay_alu instid0(VALU_DEP_1) | instskip(SKIP_1) | instid1(VALU_DEP_2)
	v_add_co_u32 v2, vcc_lo, s34, v2
	s_wait_alu 0xfffd
	v_add_co_ci_u32_e64 v3, null, s35, v3, vcc_lo
	s_and_saveexec_b32 s0, s2
	s_cbranch_execnz .LBB256_168
; %bb.152:
	s_wait_alu 0xfffe
	s_or_b32 exec_lo, exec_lo, s0
	s_and_saveexec_b32 s0, s3
	s_cbranch_execnz .LBB256_169
.LBB256_153:
	s_wait_alu 0xfffe
	s_or_b32 exec_lo, exec_lo, s0
	s_and_saveexec_b32 s0, s4
	s_cbranch_execnz .LBB256_170
.LBB256_154:
	s_wait_alu 0xfffe
	s_or_b32 exec_lo, exec_lo, s0
	s_and_saveexec_b32 s0, s5
	s_cbranch_execnz .LBB256_171
.LBB256_155:
	s_wait_alu 0xfffe
	s_or_b32 exec_lo, exec_lo, s0
	s_and_saveexec_b32 s0, s6
	s_cbranch_execnz .LBB256_172
.LBB256_156:
	s_wait_alu 0xfffe
	s_or_b32 exec_lo, exec_lo, s0
	s_and_saveexec_b32 s0, s7
	s_cbranch_execnz .LBB256_173
.LBB256_157:
	s_wait_alu 0xfffe
	s_or_b32 exec_lo, exec_lo, s0
	s_and_saveexec_b32 s0, s8
	s_cbranch_execnz .LBB256_174
.LBB256_158:
	s_wait_alu 0xfffe
	s_or_b32 exec_lo, exec_lo, s0
	s_and_saveexec_b32 s0, s9
	s_cbranch_execz .LBB256_160
.LBB256_159:
	v_mad_co_u64_u32 v[2:3], null, 0x3800, s28, v[2:3]
	s_wait_dscnt 0x1
	s_delay_alu instid0(VALU_DEP_1)
	v_mad_co_u64_u32 v[3:4], null, 0x3800, s29, v[3:4]
	s_wait_dscnt 0x0
	global_store_b64 v[2:3], v[0:1], off
.LBB256_160:
	s_nop 0
	s_sendmsg sendmsg(MSG_DEALLOC_VGPRS)
	s_endpgm
.LBB256_161:
	ds_load_u16 v9, v46
	s_wait_dscnt 0x0
	global_store_b16 v[0:1], v9, off
	s_wait_alu 0xfffe
	s_or_b32 exec_lo, exec_lo, s0
	s_and_saveexec_b32 s0, s3
	s_cbranch_execz .LBB256_144
.LBB256_162:
	s_lshl_b64 s[10:11], s[22:23], 9
	s_wait_alu 0xfffe
	v_add_co_u32 v9, vcc_lo, v0, s10
	s_wait_alu 0xfffd
	v_add_co_ci_u32_e64 v10, null, s11, v1, vcc_lo
	s_wait_dscnt 0x6
	global_store_b16 v[9:10], v8, off
	s_or_b32 exec_lo, exec_lo, s0
	s_and_saveexec_b32 s0, s4
	s_cbranch_execz .LBB256_145
.LBB256_163:
	s_lshl_b64 s[10:11], s[22:23], 10
	s_wait_dscnt 0x6
	s_wait_alu 0xfffe
	v_add_co_u32 v8, vcc_lo, v0, s10
	s_wait_alu 0xfffd
	v_add_co_ci_u32_e64 v9, null, s11, v1, vcc_lo
	s_wait_dscnt 0x5
	global_store_b16 v[8:9], v7, off
	s_or_b32 exec_lo, exec_lo, s0
	s_and_saveexec_b32 s0, s5
	s_cbranch_execz .LBB256_146
.LBB256_164:
	s_wait_dscnt 0x5
	v_mad_co_u64_u32 v[7:8], null, 0x600, s22, v[0:1]
	s_delay_alu instid0(VALU_DEP_1)
	v_mad_co_u64_u32 v[8:9], null, 0x600, s23, v[8:9]
	s_wait_dscnt 0x4
	global_store_b16 v[7:8], v6, off
	s_wait_alu 0xfffe
	s_or_b32 exec_lo, exec_lo, s0
	s_and_saveexec_b32 s0, s6
	s_cbranch_execz .LBB256_147
.LBB256_165:
	s_lshl_b64 s[10:11], s[22:23], 11
	s_wait_dscnt 0x4
	s_wait_alu 0xfffe
	v_add_co_u32 v6, vcc_lo, v0, s10
	s_wait_alu 0xfffd
	v_add_co_ci_u32_e64 v7, null, s11, v1, vcc_lo
	s_wait_dscnt 0x3
	global_store_b16 v[6:7], v5, off
	s_or_b32 exec_lo, exec_lo, s0
	s_and_saveexec_b32 s0, s7
	s_cbranch_execz .LBB256_148
.LBB256_166:
	s_wait_dscnt 0x3
	v_mad_co_u64_u32 v[5:6], null, 0xa00, s22, v[0:1]
	s_delay_alu instid0(VALU_DEP_1)
	v_mad_co_u64_u32 v[6:7], null, 0xa00, s23, v[6:7]
	s_wait_dscnt 0x2
	global_store_b16 v[5:6], v4, off
	s_wait_alu 0xfffe
	s_or_b32 exec_lo, exec_lo, s0
	s_and_saveexec_b32 s0, s8
	s_cbranch_execz .LBB256_149
.LBB256_167:
	s_wait_dscnt 0x2
	v_mad_co_u64_u32 v[4:5], null, 0xc00, s22, v[0:1]
	s_delay_alu instid0(VALU_DEP_1)
	v_mad_co_u64_u32 v[5:6], null, 0xc00, s23, v[5:6]
	s_wait_dscnt 0x1
	global_store_b16 v[4:5], v3, off
	s_wait_alu 0xfffe
	s_or_b32 exec_lo, exec_lo, s0
	s_and_saveexec_b32 s0, s9
	s_cbranch_execnz .LBB256_150
	s_branch .LBB256_151
.LBB256_168:
	ds_load_b64 v[16:17], v55
	s_wait_dscnt 0x0
	global_store_b64 v[2:3], v[16:17], off
	s_wait_alu 0xfffe
	s_or_b32 exec_lo, exec_lo, s0
	s_and_saveexec_b32 s0, s3
	s_cbranch_execz .LBB256_153
.LBB256_169:
	s_lshl_b64 s[2:3], s[28:29], 11
	s_wait_alu 0xfffe
	v_add_co_u32 v16, vcc_lo, v2, s2
	s_wait_alu 0xfffd
	v_add_co_ci_u32_e64 v17, null, s3, v3, vcc_lo
	s_wait_dscnt 0x6
	global_store_b64 v[16:17], v[14:15], off
	s_or_b32 exec_lo, exec_lo, s0
	s_and_saveexec_b32 s0, s4
	s_cbranch_execz .LBB256_154
.LBB256_170:
	s_lshl_b64 s[2:3], s[28:29], 12
	s_wait_dscnt 0x6
	s_wait_alu 0xfffe
	v_add_co_u32 v14, vcc_lo, v2, s2
	s_wait_alu 0xfffd
	v_add_co_ci_u32_e64 v15, null, s3, v3, vcc_lo
	s_wait_dscnt 0x5
	global_store_b64 v[14:15], v[12:13], off
	s_or_b32 exec_lo, exec_lo, s0
	s_and_saveexec_b32 s0, s5
	s_cbranch_execz .LBB256_155
.LBB256_171:
	s_wait_dscnt 0x5
	v_mad_co_u64_u32 v[12:13], null, 0x1800, s28, v[2:3]
	s_delay_alu instid0(VALU_DEP_1)
	v_mad_co_u64_u32 v[13:14], null, 0x1800, s29, v[13:14]
	s_wait_dscnt 0x4
	global_store_b64 v[12:13], v[10:11], off
	s_wait_alu 0xfffe
	s_or_b32 exec_lo, exec_lo, s0
	s_and_saveexec_b32 s0, s6
	s_cbranch_execz .LBB256_156
.LBB256_172:
	s_lshl_b64 s[2:3], s[28:29], 13
	s_wait_dscnt 0x4
	s_wait_alu 0xfffe
	v_add_co_u32 v10, vcc_lo, v2, s2
	s_wait_alu 0xfffd
	v_add_co_ci_u32_e64 v11, null, s3, v3, vcc_lo
	s_wait_dscnt 0x3
	global_store_b64 v[10:11], v[8:9], off
	s_or_b32 exec_lo, exec_lo, s0
	s_and_saveexec_b32 s0, s7
	s_cbranch_execz .LBB256_157
.LBB256_173:
	s_wait_dscnt 0x3
	v_mad_co_u64_u32 v[8:9], null, 0x2800, s28, v[2:3]
	s_delay_alu instid0(VALU_DEP_1)
	v_mad_co_u64_u32 v[9:10], null, 0x2800, s29, v[9:10]
	s_wait_dscnt 0x2
	global_store_b64 v[8:9], v[6:7], off
	s_wait_alu 0xfffe
	s_or_b32 exec_lo, exec_lo, s0
	s_and_saveexec_b32 s0, s8
	s_cbranch_execz .LBB256_158
.LBB256_174:
	s_wait_dscnt 0x2
	v_mad_co_u64_u32 v[6:7], null, 0x3000, s28, v[2:3]
	s_delay_alu instid0(VALU_DEP_1)
	v_mad_co_u64_u32 v[7:8], null, 0x3000, s29, v[7:8]
	s_wait_dscnt 0x1
	global_store_b64 v[6:7], v[4:5], off
	s_wait_alu 0xfffe
	s_or_b32 exec_lo, exec_lo, s0
	s_and_saveexec_b32 s0, s9
	s_cbranch_execnz .LBB256_159
	s_branch .LBB256_160
	.section	.rodata,"a",@progbits
	.p2align	6, 0x0
	.amdhsa_kernel _ZN2at6native18radixSortKVInPlaceILin1ELin1ELi256ELi8EN3c108BFloat16ElmEEvNS_4cuda6detail10TensorInfoIT3_T5_EES8_S8_S8_NS6_IT4_S8_EES8_b
		.amdhsa_group_segment_fixed_size 16896
		.amdhsa_private_segment_fixed_size 0
		.amdhsa_kernarg_size 1128
		.amdhsa_user_sgpr_count 2
		.amdhsa_user_sgpr_dispatch_ptr 0
		.amdhsa_user_sgpr_queue_ptr 0
		.amdhsa_user_sgpr_kernarg_segment_ptr 1
		.amdhsa_user_sgpr_dispatch_id 0
		.amdhsa_user_sgpr_private_segment_size 0
		.amdhsa_wavefront_size32 1
		.amdhsa_uses_dynamic_stack 0
		.amdhsa_enable_private_segment 0
		.amdhsa_system_sgpr_workgroup_id_x 1
		.amdhsa_system_sgpr_workgroup_id_y 1
		.amdhsa_system_sgpr_workgroup_id_z 1
		.amdhsa_system_sgpr_workgroup_info 0
		.amdhsa_system_vgpr_workitem_id 2
		.amdhsa_next_free_vgpr 111
		.amdhsa_next_free_sgpr 38
		.amdhsa_reserve_vcc 1
		.amdhsa_float_round_mode_32 0
		.amdhsa_float_round_mode_16_64 0
		.amdhsa_float_denorm_mode_32 3
		.amdhsa_float_denorm_mode_16_64 3
		.amdhsa_fp16_overflow 0
		.amdhsa_workgroup_processor_mode 1
		.amdhsa_memory_ordered 1
		.amdhsa_forward_progress 1
		.amdhsa_inst_pref_size 191
		.amdhsa_round_robin_scheduling 0
		.amdhsa_exception_fp_ieee_invalid_op 0
		.amdhsa_exception_fp_denorm_src 0
		.amdhsa_exception_fp_ieee_div_zero 0
		.amdhsa_exception_fp_ieee_overflow 0
		.amdhsa_exception_fp_ieee_underflow 0
		.amdhsa_exception_fp_ieee_inexact 0
		.amdhsa_exception_int_div_zero 0
	.end_amdhsa_kernel
	.section	.text._ZN2at6native18radixSortKVInPlaceILin1ELin1ELi256ELi8EN3c108BFloat16ElmEEvNS_4cuda6detail10TensorInfoIT3_T5_EES8_S8_S8_NS6_IT4_S8_EES8_b,"axG",@progbits,_ZN2at6native18radixSortKVInPlaceILin1ELin1ELi256ELi8EN3c108BFloat16ElmEEvNS_4cuda6detail10TensorInfoIT3_T5_EES8_S8_S8_NS6_IT4_S8_EES8_b,comdat
.Lfunc_end256:
	.size	_ZN2at6native18radixSortKVInPlaceILin1ELin1ELi256ELi8EN3c108BFloat16ElmEEvNS_4cuda6detail10TensorInfoIT3_T5_EES8_S8_S8_NS6_IT4_S8_EES8_b, .Lfunc_end256-_ZN2at6native18radixSortKVInPlaceILin1ELin1ELi256ELi8EN3c108BFloat16ElmEEvNS_4cuda6detail10TensorInfoIT3_T5_EES8_S8_S8_NS6_IT4_S8_EES8_b
                                        ; -- End function
	.set _ZN2at6native18radixSortKVInPlaceILin1ELin1ELi256ELi8EN3c108BFloat16ElmEEvNS_4cuda6detail10TensorInfoIT3_T5_EES8_S8_S8_NS6_IT4_S8_EES8_b.num_vgpr, 111
	.set _ZN2at6native18radixSortKVInPlaceILin1ELin1ELi256ELi8EN3c108BFloat16ElmEEvNS_4cuda6detail10TensorInfoIT3_T5_EES8_S8_S8_NS6_IT4_S8_EES8_b.num_agpr, 0
	.set _ZN2at6native18radixSortKVInPlaceILin1ELin1ELi256ELi8EN3c108BFloat16ElmEEvNS_4cuda6detail10TensorInfoIT3_T5_EES8_S8_S8_NS6_IT4_S8_EES8_b.numbered_sgpr, 38
	.set _ZN2at6native18radixSortKVInPlaceILin1ELin1ELi256ELi8EN3c108BFloat16ElmEEvNS_4cuda6detail10TensorInfoIT3_T5_EES8_S8_S8_NS6_IT4_S8_EES8_b.num_named_barrier, 0
	.set _ZN2at6native18radixSortKVInPlaceILin1ELin1ELi256ELi8EN3c108BFloat16ElmEEvNS_4cuda6detail10TensorInfoIT3_T5_EES8_S8_S8_NS6_IT4_S8_EES8_b.private_seg_size, 0
	.set _ZN2at6native18radixSortKVInPlaceILin1ELin1ELi256ELi8EN3c108BFloat16ElmEEvNS_4cuda6detail10TensorInfoIT3_T5_EES8_S8_S8_NS6_IT4_S8_EES8_b.uses_vcc, 1
	.set _ZN2at6native18radixSortKVInPlaceILin1ELin1ELi256ELi8EN3c108BFloat16ElmEEvNS_4cuda6detail10TensorInfoIT3_T5_EES8_S8_S8_NS6_IT4_S8_EES8_b.uses_flat_scratch, 0
	.set _ZN2at6native18radixSortKVInPlaceILin1ELin1ELi256ELi8EN3c108BFloat16ElmEEvNS_4cuda6detail10TensorInfoIT3_T5_EES8_S8_S8_NS6_IT4_S8_EES8_b.has_dyn_sized_stack, 0
	.set _ZN2at6native18radixSortKVInPlaceILin1ELin1ELi256ELi8EN3c108BFloat16ElmEEvNS_4cuda6detail10TensorInfoIT3_T5_EES8_S8_S8_NS6_IT4_S8_EES8_b.has_recursion, 0
	.set _ZN2at6native18radixSortKVInPlaceILin1ELin1ELi256ELi8EN3c108BFloat16ElmEEvNS_4cuda6detail10TensorInfoIT3_T5_EES8_S8_S8_NS6_IT4_S8_EES8_b.has_indirect_call, 0
	.section	.AMDGPU.csdata,"",@progbits
; Kernel info:
; codeLenInByte = 24364
; TotalNumSgprs: 40
; NumVgprs: 111
; ScratchSize: 0
; MemoryBound: 0
; FloatMode: 240
; IeeeMode: 1
; LDSByteSize: 16896 bytes/workgroup (compile time only)
; SGPRBlocks: 0
; VGPRBlocks: 13
; NumSGPRsForWavesPerEU: 40
; NumVGPRsForWavesPerEU: 111
; Occupancy: 12
; WaveLimiterHint : 1
; COMPUTE_PGM_RSRC2:SCRATCH_EN: 0
; COMPUTE_PGM_RSRC2:USER_SGPR: 2
; COMPUTE_PGM_RSRC2:TRAP_HANDLER: 0
; COMPUTE_PGM_RSRC2:TGID_X_EN: 1
; COMPUTE_PGM_RSRC2:TGID_Y_EN: 1
; COMPUTE_PGM_RSRC2:TGID_Z_EN: 1
; COMPUTE_PGM_RSRC2:TIDIG_COMP_CNT: 2
	.section	.text._ZN2at6native18radixSortKVInPlaceILin1ELin1ELi128ELi8EN3c108BFloat16ElmEEvNS_4cuda6detail10TensorInfoIT3_T5_EES8_S8_S8_NS6_IT4_S8_EES8_b,"axG",@progbits,_ZN2at6native18radixSortKVInPlaceILin1ELin1ELi128ELi8EN3c108BFloat16ElmEEvNS_4cuda6detail10TensorInfoIT3_T5_EES8_S8_S8_NS6_IT4_S8_EES8_b,comdat
	.protected	_ZN2at6native18radixSortKVInPlaceILin1ELin1ELi128ELi8EN3c108BFloat16ElmEEvNS_4cuda6detail10TensorInfoIT3_T5_EES8_S8_S8_NS6_IT4_S8_EES8_b ; -- Begin function _ZN2at6native18radixSortKVInPlaceILin1ELin1ELi128ELi8EN3c108BFloat16ElmEEvNS_4cuda6detail10TensorInfoIT3_T5_EES8_S8_S8_NS6_IT4_S8_EES8_b
	.globl	_ZN2at6native18radixSortKVInPlaceILin1ELin1ELi128ELi8EN3c108BFloat16ElmEEvNS_4cuda6detail10TensorInfoIT3_T5_EES8_S8_S8_NS6_IT4_S8_EES8_b
	.p2align	8
	.type	_ZN2at6native18radixSortKVInPlaceILin1ELin1ELi128ELi8EN3c108BFloat16ElmEEvNS_4cuda6detail10TensorInfoIT3_T5_EES8_S8_S8_NS6_IT4_S8_EES8_b,@function
_ZN2at6native18radixSortKVInPlaceILin1ELin1ELi128ELi8EN3c108BFloat16ElmEEvNS_4cuda6detail10TensorInfoIT3_T5_EES8_S8_S8_NS6_IT4_S8_EES8_b: ; @_ZN2at6native18radixSortKVInPlaceILin1ELin1ELi128ELi8EN3c108BFloat16ElmEEvNS_4cuda6detail10TensorInfoIT3_T5_EES8_S8_S8_NS6_IT4_S8_EES8_b
; %bb.0:
	s_clause 0x1
	s_load_b64 s[2:3], s[0:1], 0x368
	s_load_b128 s[8:11], s[0:1], 0x1a0
	s_lshr_b32 s4, ttmp7, 16
	s_and_b32 s5, ttmp7, 0xffff
	s_wait_kmcnt 0x0
	s_mul_i32 s3, s3, s4
	s_delay_alu instid0(SALU_CYCLE_1) | instskip(NEXT) | instid1(SALU_CYCLE_1)
	s_add_co_i32 s3, s3, s5
	s_mul_i32 s2, s3, s2
	s_mov_b32 s3, 0
	s_add_co_i32 s2, s2, ttmp9
	s_delay_alu instid0(SALU_CYCLE_1)
	v_cmp_le_u64_e64 s4, s[8:9], s[2:3]
	s_and_b32 vcc_lo, exec_lo, s4
	s_cbranch_vccnz .LBB257_160
; %bb.1:
	s_clause 0x1
	s_load_b32 s9, s[0:1], 0x198
	s_load_b64 s[22:23], s[0:1], 0x1b0
	s_mov_b64 s[4:5], 0
	s_mov_b64 s[6:7], s[2:3]
	s_wait_kmcnt 0x0
	s_cmp_lt_i32 s9, 2
	s_cbranch_scc1 .LBB257_9
; %bb.2:
	s_mov_b32 s8, 0
	s_add_co_i32 s4, s9, -1
	s_wait_alu 0xfffe
	s_mov_b32 s5, s8
	s_add_co_i32 s11, s9, 1
	s_lshl_b64 s[4:5], s[4:5], 3
	s_mov_b64 s[14:15], s[2:3]
	s_add_nc_u64 s[6:7], s[0:1], s[4:5]
	s_mov_b64 s[4:5], 0
	s_add_nc_u64 s[12:13], s[6:7], 8
.LBB257_3:                              ; =>This Inner Loop Header: Depth=1
	s_load_b64 s[16:17], s[12:13], 0x0
	s_wait_kmcnt 0x0
	s_or_b64 s[6:7], s[14:15], s[16:17]
	s_wait_alu 0xfffe
	s_mov_b32 s9, s7
                                        ; implicit-def: $sgpr6_sgpr7
	s_wait_alu 0xfffe
	s_cmp_lg_u64 s[8:9], 0
	s_mov_b32 s9, -1
	s_cbranch_scc0 .LBB257_5
; %bb.4:                                ;   in Loop: Header=BB257_3 Depth=1
	s_cvt_f32_u32 s6, s16
	s_cvt_f32_u32 s7, s17
	s_sub_nc_u64 s[18:19], 0, s[16:17]
	s_mov_b32 s21, s8
	s_mov_b32 s27, s8
	s_wait_alu 0xfffe
	s_fmamk_f32 s6, s7, 0x4f800000, s6
	s_wait_alu 0xfffe
	s_delay_alu instid0(SALU_CYCLE_2) | instskip(NEXT) | instid1(TRANS32_DEP_1)
	v_s_rcp_f32 s6, s6
	s_mul_f32 s6, s6, 0x5f7ffffc
	s_wait_alu 0xfffe
	s_delay_alu instid0(SALU_CYCLE_2) | instskip(SKIP_1) | instid1(SALU_CYCLE_2)
	s_mul_f32 s7, s6, 0x2f800000
	s_wait_alu 0xfffe
	s_trunc_f32 s7, s7
	s_wait_alu 0xfffe
	s_delay_alu instid0(SALU_CYCLE_2) | instskip(SKIP_2) | instid1(SALU_CYCLE_1)
	s_fmamk_f32 s6, s7, 0xcf800000, s6
	s_cvt_u32_f32 s7, s7
	s_wait_alu 0xfffe
	s_cvt_u32_f32 s6, s6
	s_wait_alu 0xfffe
	s_delay_alu instid0(SALU_CYCLE_2) | instskip(NEXT) | instid1(SALU_CYCLE_1)
	s_mul_u64 s[24:25], s[18:19], s[6:7]
	s_mul_hi_u32 s29, s6, s25
	s_mul_i32 s28, s6, s25
	s_mul_hi_u32 s20, s6, s24
	s_mul_i32 s26, s7, s24
	s_add_nc_u64 s[20:21], s[20:21], s[28:29]
	s_mul_hi_u32 s9, s7, s24
	s_mul_hi_u32 s30, s7, s25
	s_add_co_u32 s20, s20, s26
	s_wait_alu 0xfffe
	s_add_co_ci_u32 s26, s21, s9
	s_mul_i32 s24, s7, s25
	s_add_co_ci_u32 s25, s30, 0
	s_delay_alu instid0(SALU_CYCLE_1)
	s_add_nc_u64 s[20:21], s[26:27], s[24:25]
	s_mov_b32 s25, s8
	s_add_co_u32 s6, s6, s20
	s_cselect_b32 s9, -1, 0
	s_wait_alu 0xfffe
	s_cmp_lg_u32 s9, 0
	s_add_co_ci_u32 s7, s7, s21
	s_mov_b32 s21, s8
	s_wait_alu 0xfffe
	s_mul_u64 s[18:19], s[18:19], s[6:7]
	s_delay_alu instid0(SALU_CYCLE_1)
	s_mul_hi_u32 s27, s6, s19
	s_mul_i32 s26, s6, s19
	s_mul_hi_u32 s20, s6, s18
	s_mul_i32 s24, s7, s18
	s_add_nc_u64 s[20:21], s[20:21], s[26:27]
	s_mul_hi_u32 s9, s7, s18
	s_mul_hi_u32 s28, s7, s19
	s_mul_i32 s18, s7, s19
	s_add_co_u32 s19, s20, s24
	s_wait_alu 0xfffe
	s_add_co_ci_u32 s24, s21, s9
	s_add_co_ci_u32 s19, s28, 0
	s_mov_b32 s21, s8
	s_add_nc_u64 s[18:19], s[24:25], s[18:19]
	s_delay_alu instid0(SALU_CYCLE_1)
	s_add_co_u32 s6, s6, s18
	s_cselect_b32 s9, -1, 0
	s_wait_alu 0xfffe
	s_mul_hi_u32 s20, s14, s6
	s_cmp_lg_u32 s9, 0
	s_mul_hi_u32 s9, s15, s6
	s_add_co_ci_u32 s18, s7, s19
	s_mul_i32 s19, s15, s6
	s_mul_hi_u32 s7, s14, s18
	s_mul_i32 s6, s14, s18
	s_mul_hi_u32 s26, s15, s18
	s_wait_alu 0xfffe
	s_add_nc_u64 s[6:7], s[20:21], s[6:7]
	s_mul_i32 s18, s15, s18
	s_wait_alu 0xfffe
	s_add_co_u32 s6, s6, s19
	s_add_co_ci_u32 s24, s7, s9
	s_add_co_ci_u32 s19, s26, 0
	s_delay_alu instid0(SALU_CYCLE_1) | instskip(SKIP_2) | instid1(SALU_CYCLE_1)
	s_add_nc_u64 s[6:7], s[24:25], s[18:19]
	s_wait_alu 0xfffe
	s_mul_u64 s[18:19], s[16:17], s[6:7]
	s_sub_co_u32 s9, s14, s18
	s_cselect_b32 s18, -1, 0
	s_sub_co_i32 s20, s15, s19
	s_cmp_lg_u32 s18, 0
	s_sub_co_ci_u32 s20, s20, s17
	s_wait_alu 0xfffe
	s_sub_co_u32 s21, s9, s16
	s_cselect_b32 s24, -1, 0
	s_delay_alu instid0(SALU_CYCLE_1) | instskip(SKIP_1) | instid1(SALU_CYCLE_1)
	s_cmp_lg_u32 s24, 0
	s_sub_co_ci_u32 s20, s20, 0
	s_cmp_ge_u32 s20, s17
	s_cselect_b32 s24, -1, 0
	s_cmp_ge_u32 s21, s16
	s_cselect_b32 s25, -1, 0
	s_cmp_eq_u32 s20, s17
	s_add_nc_u64 s[20:21], s[6:7], 1
	s_cselect_b32 s26, s25, s24
	s_add_nc_u64 s[24:25], s[6:7], 2
	s_cmp_lg_u32 s26, 0
	s_cselect_b32 s20, s24, s20
	s_cselect_b32 s21, s25, s21
	s_cmp_lg_u32 s18, 0
	s_sub_co_ci_u32 s18, s15, s19
	s_delay_alu instid0(SALU_CYCLE_1)
	s_cmp_ge_u32 s18, s17
	s_cselect_b32 s19, -1, 0
	s_cmp_ge_u32 s9, s16
	s_cselect_b32 s9, -1, 0
	s_cmp_eq_u32 s18, s17
	s_wait_alu 0xfffe
	s_cselect_b32 s9, s9, s19
	s_wait_alu 0xfffe
	s_cmp_lg_u32 s9, 0
	s_mov_b32 s9, 0
	s_cselect_b32 s7, s21, s7
	s_cselect_b32 s6, s20, s6
.LBB257_5:                              ;   in Loop: Header=BB257_3 Depth=1
	s_wait_alu 0xfffe
	s_and_not1_b32 vcc_lo, exec_lo, s9
	s_cbranch_vccnz .LBB257_7
; %bb.6:                                ;   in Loop: Header=BB257_3 Depth=1
	v_cvt_f32_u32_e32 v1, s16
	s_sub_co_i32 s7, 0, s16
	s_delay_alu instid0(VALU_DEP_1) | instskip(NEXT) | instid1(TRANS32_DEP_1)
	v_rcp_iflag_f32_e32 v1, v1
	v_mul_f32_e32 v1, 0x4f7ffffe, v1
	s_delay_alu instid0(VALU_DEP_1) | instskip(NEXT) | instid1(VALU_DEP_1)
	v_cvt_u32_f32_e32 v1, v1
	v_readfirstlane_b32 s6, v1
	s_wait_alu 0xfffe
	s_mul_i32 s7, s7, s6
	s_wait_alu 0xfffe
	s_mul_hi_u32 s7, s6, s7
	s_wait_alu 0xfffe
	s_add_co_i32 s6, s6, s7
	s_wait_alu 0xfffe
	s_mul_hi_u32 s6, s14, s6
	s_wait_alu 0xfffe
	s_mul_i32 s7, s6, s16
	s_add_co_i32 s9, s6, 1
	s_wait_alu 0xfffe
	s_sub_co_i32 s7, s14, s7
	s_wait_alu 0xfffe
	s_sub_co_i32 s18, s7, s16
	s_cmp_ge_u32 s7, s16
	s_cselect_b32 s6, s9, s6
	s_cselect_b32 s7, s18, s7
	s_wait_alu 0xfffe
	s_add_co_i32 s9, s6, 1
	s_cmp_ge_u32 s7, s16
	s_mov_b32 s7, s8
	s_wait_alu 0xfffe
	s_cselect_b32 s6, s9, s6
.LBB257_7:                              ;   in Loop: Header=BB257_3 Depth=1
	s_load_b64 s[18:19], s[12:13], 0xc8
	s_mul_u64 s[16:17], s[6:7], s[16:17]
	s_add_co_i32 s11, s11, -1
	s_wait_alu 0xfffe
	s_sub_nc_u64 s[14:15], s[14:15], s[16:17]
	s_cmp_gt_u32 s11, 2
	s_add_nc_u64 s[12:13], s[12:13], -8
	s_wait_kmcnt 0x0
	s_mul_u64 s[14:15], s[18:19], s[14:15]
	s_delay_alu instid0(SALU_CYCLE_1)
	s_add_nc_u64 s[4:5], s[14:15], s[4:5]
	s_cbranch_scc0 .LBB257_9
; %bb.8:                                ;   in Loop: Header=BB257_3 Depth=1
	s_mov_b64 s[14:15], s[6:7]
	s_branch .LBB257_3
.LBB257_9:
	s_load_b32 s9, s[0:1], 0x350
	s_add_nc_u64 s[36:37], s[0:1], 0x368
	s_mov_b64 s[12:13], 0
	s_wait_kmcnt 0x0
	s_cmp_lt_i32 s9, 2
	s_cbranch_scc1 .LBB257_17
; %bb.10:
	s_mov_b32 s8, 0
	s_add_co_i32 s12, s9, -1
	s_wait_alu 0xfffe
	s_mov_b32 s13, s8
	s_add_co_i32 s11, s9, 1
	s_lshl_b64 s[12:13], s[12:13], 3
	s_delay_alu instid0(SALU_CYCLE_1) | instskip(NEXT) | instid1(SALU_CYCLE_1)
	s_add_nc_u64 s[12:13], s[0:1], s[12:13]
	s_add_nc_u64 s[16:17], s[12:13], 0x1c0
	s_mov_b64 s[12:13], 0
.LBB257_11:                             ; =>This Inner Loop Header: Depth=1
	s_load_b64 s[18:19], s[16:17], 0x0
	s_wait_kmcnt 0x0
	s_or_b64 s[14:15], s[2:3], s[18:19]
	s_delay_alu instid0(SALU_CYCLE_1)
	s_mov_b32 s9, s15
                                        ; implicit-def: $sgpr14_sgpr15
	s_wait_alu 0xfffe
	s_cmp_lg_u64 s[8:9], 0
	s_mov_b32 s9, -1
	s_cbranch_scc0 .LBB257_13
; %bb.12:                               ;   in Loop: Header=BB257_11 Depth=1
	s_cvt_f32_u32 s9, s18
	s_cvt_f32_u32 s14, s19
	s_sub_nc_u64 s[20:21], 0, s[18:19]
	s_mov_b32 s25, s8
	s_mov_b32 s29, s8
	s_wait_alu 0xfffe
	s_fmamk_f32 s9, s14, 0x4f800000, s9
	s_wait_alu 0xfffe
	s_delay_alu instid0(SALU_CYCLE_2) | instskip(NEXT) | instid1(TRANS32_DEP_1)
	v_s_rcp_f32 s9, s9
	s_mul_f32 s9, s9, 0x5f7ffffc
	s_wait_alu 0xfffe
	s_delay_alu instid0(SALU_CYCLE_2) | instskip(NEXT) | instid1(SALU_CYCLE_3)
	s_mul_f32 s14, s9, 0x2f800000
	s_trunc_f32 s14, s14
	s_delay_alu instid0(SALU_CYCLE_3) | instskip(SKIP_2) | instid1(SALU_CYCLE_1)
	s_fmamk_f32 s9, s14, 0xcf800000, s9
	s_cvt_u32_f32 s15, s14
	s_wait_alu 0xfffe
	s_cvt_u32_f32 s14, s9
	s_delay_alu instid0(SALU_CYCLE_3) | instskip(NEXT) | instid1(SALU_CYCLE_1)
	s_mul_u64 s[26:27], s[20:21], s[14:15]
	s_mul_hi_u32 s31, s14, s27
	s_mul_i32 s30, s14, s27
	s_mul_hi_u32 s24, s14, s26
	s_mul_i32 s28, s15, s26
	s_add_nc_u64 s[24:25], s[24:25], s[30:31]
	s_mul_hi_u32 s9, s15, s26
	s_mul_hi_u32 s33, s15, s27
	s_add_co_u32 s24, s24, s28
	s_wait_alu 0xfffe
	s_add_co_ci_u32 s28, s25, s9
	s_mul_i32 s26, s15, s27
	s_add_co_ci_u32 s27, s33, 0
	s_delay_alu instid0(SALU_CYCLE_1)
	s_add_nc_u64 s[24:25], s[28:29], s[26:27]
	s_mov_b32 s27, s8
	s_add_co_u32 s14, s14, s24
	s_cselect_b32 s9, -1, 0
	s_wait_alu 0xfffe
	s_cmp_lg_u32 s9, 0
	s_add_co_ci_u32 s15, s15, s25
	s_mov_b32 s25, s8
	s_mul_u64 s[20:21], s[20:21], s[14:15]
	s_delay_alu instid0(SALU_CYCLE_1)
	s_mul_hi_u32 s29, s14, s21
	s_mul_i32 s28, s14, s21
	s_mul_hi_u32 s24, s14, s20
	s_mul_i32 s26, s15, s20
	s_add_nc_u64 s[24:25], s[24:25], s[28:29]
	s_mul_hi_u32 s9, s15, s20
	s_mul_hi_u32 s30, s15, s21
	s_mul_i32 s20, s15, s21
	s_add_co_u32 s21, s24, s26
	s_wait_alu 0xfffe
	s_add_co_ci_u32 s26, s25, s9
	s_add_co_ci_u32 s21, s30, 0
	s_mov_b32 s25, s8
	s_add_nc_u64 s[20:21], s[26:27], s[20:21]
	s_delay_alu instid0(SALU_CYCLE_1)
	s_add_co_u32 s9, s14, s20
	s_cselect_b32 s14, -1, 0
	s_wait_alu 0xfffe
	s_mul_hi_u32 s24, s2, s9
	s_cmp_lg_u32 s14, 0
	s_mul_hi_u32 s26, s3, s9
	s_add_co_ci_u32 s20, s15, s21
	s_mul_i32 s9, s3, s9
	s_mul_hi_u32 s15, s2, s20
	s_mul_i32 s14, s2, s20
	s_mul_hi_u32 s21, s3, s20
	s_add_nc_u64 s[14:15], s[24:25], s[14:15]
	s_mul_i32 s20, s3, s20
	s_wait_alu 0xfffe
	s_add_co_u32 s9, s14, s9
	s_add_co_ci_u32 s26, s15, s26
	s_add_co_ci_u32 s21, s21, 0
	s_delay_alu instid0(SALU_CYCLE_1) | instskip(NEXT) | instid1(SALU_CYCLE_1)
	s_add_nc_u64 s[14:15], s[26:27], s[20:21]
	s_mul_u64 s[20:21], s[18:19], s[14:15]
	s_delay_alu instid0(SALU_CYCLE_1)
	s_sub_co_u32 s9, s2, s20
	s_cselect_b32 s20, -1, 0
	s_sub_co_i32 s24, s3, s21
	s_cmp_lg_u32 s20, 0
	s_sub_co_ci_u32 s24, s24, s19
	s_wait_alu 0xfffe
	s_sub_co_u32 s25, s9, s18
	s_cselect_b32 s26, -1, 0
	s_delay_alu instid0(SALU_CYCLE_1) | instskip(SKIP_1) | instid1(SALU_CYCLE_1)
	s_cmp_lg_u32 s26, 0
	s_sub_co_ci_u32 s24, s24, 0
	s_cmp_ge_u32 s24, s19
	s_cselect_b32 s26, -1, 0
	s_cmp_ge_u32 s25, s18
	s_cselect_b32 s27, -1, 0
	s_cmp_eq_u32 s24, s19
	s_add_nc_u64 s[24:25], s[14:15], 1
	s_cselect_b32 s28, s27, s26
	s_add_nc_u64 s[26:27], s[14:15], 2
	s_cmp_lg_u32 s28, 0
	s_cselect_b32 s24, s26, s24
	s_cselect_b32 s25, s27, s25
	s_cmp_lg_u32 s20, 0
	s_sub_co_ci_u32 s20, s3, s21
	s_delay_alu instid0(SALU_CYCLE_1)
	s_cmp_ge_u32 s20, s19
	s_cselect_b32 s21, -1, 0
	s_cmp_ge_u32 s9, s18
	s_cselect_b32 s9, -1, 0
	s_cmp_eq_u32 s20, s19
	s_wait_alu 0xfffe
	s_cselect_b32 s9, s9, s21
	s_wait_alu 0xfffe
	s_cmp_lg_u32 s9, 0
	s_mov_b32 s9, 0
	s_cselect_b32 s15, s25, s15
	s_cselect_b32 s14, s24, s14
.LBB257_13:                             ;   in Loop: Header=BB257_11 Depth=1
	s_wait_alu 0xfffe
	s_and_not1_b32 vcc_lo, exec_lo, s9
	s_cbranch_vccnz .LBB257_15
; %bb.14:                               ;   in Loop: Header=BB257_11 Depth=1
	v_cvt_f32_u32_e32 v1, s18
	s_sub_co_i32 s14, 0, s18
	s_delay_alu instid0(VALU_DEP_1) | instskip(NEXT) | instid1(TRANS32_DEP_1)
	v_rcp_iflag_f32_e32 v1, v1
	v_mul_f32_e32 v1, 0x4f7ffffe, v1
	s_delay_alu instid0(VALU_DEP_1) | instskip(NEXT) | instid1(VALU_DEP_1)
	v_cvt_u32_f32_e32 v1, v1
	v_readfirstlane_b32 s9, v1
	s_mul_i32 s14, s14, s9
	s_delay_alu instid0(SALU_CYCLE_1) | instskip(NEXT) | instid1(SALU_CYCLE_1)
	s_mul_hi_u32 s14, s9, s14
	s_add_co_i32 s9, s9, s14
	s_wait_alu 0xfffe
	s_mul_hi_u32 s9, s2, s9
	s_wait_alu 0xfffe
	s_mul_i32 s14, s9, s18
	s_add_co_i32 s15, s9, 1
	s_sub_co_i32 s14, s2, s14
	s_delay_alu instid0(SALU_CYCLE_1)
	s_sub_co_i32 s20, s14, s18
	s_cmp_ge_u32 s14, s18
	s_cselect_b32 s9, s15, s9
	s_cselect_b32 s14, s20, s14
	s_wait_alu 0xfffe
	s_add_co_i32 s15, s9, 1
	s_cmp_ge_u32 s14, s18
	s_cselect_b32 s14, s15, s9
	s_mov_b32 s15, s8
.LBB257_15:                             ;   in Loop: Header=BB257_11 Depth=1
	s_load_b64 s[20:21], s[16:17], 0xc8
	s_mul_u64 s[18:19], s[14:15], s[18:19]
	s_add_co_i32 s11, s11, -1
	s_wait_alu 0xfffe
	s_sub_nc_u64 s[2:3], s[2:3], s[18:19]
	s_cmp_gt_u32 s11, 2
	s_add_nc_u64 s[16:17], s[16:17], -8
	s_wait_kmcnt 0x0
	s_wait_alu 0xfffe
	s_mul_u64 s[2:3], s[20:21], s[2:3]
	s_wait_alu 0xfffe
	s_add_nc_u64 s[12:13], s[2:3], s[12:13]
	s_cbranch_scc0 .LBB257_18
; %bb.16:                               ;   in Loop: Header=BB257_11 Depth=1
	s_mov_b64 s[2:3], s[14:15]
	s_branch .LBB257_11
.LBB257_17:
	s_mov_b64 s[14:15], s[2:3]
.LBB257_18:
	s_clause 0x2
	s_load_b64 s[2:3], s[0:1], 0xd0
	s_load_b32 s11, s[0:1], 0x360
	s_load_b64 s[8:9], s[0:1], 0x0
	v_and_b32_e32 v41, 0x3ff, v0
	s_wait_kmcnt 0x0
	s_mul_u64 s[2:3], s[2:3], s[6:7]
	s_bitcmp1_b32 s11, 0
	s_mov_b32 s6, 0xffff
	s_cselect_b32 s11, -1, 0
	s_delay_alu instid0(SALU_CYCLE_1)
	s_and_b32 s7, s11, exec_lo
	s_wait_alu 0xfffe
	s_cselect_b32 s20, s6, 0x7fff
	s_lshl_b64 s[6:7], s[2:3], 1
	v_cmp_gt_u32_e64 s2, s10, v41
	v_mov_b32_e32 v1, s20
	s_wait_alu 0xfffe
	s_add_nc_u64 s[6:7], s[8:9], s[6:7]
	s_lshl_b64 s[4:5], s[4:5], 1
	s_wait_alu 0xfffe
	s_add_nc_u64 s[30:31], s[6:7], s[4:5]
	s_and_saveexec_b32 s3, s2
	s_cbranch_execz .LBB257_20
; %bb.19:
	v_mad_co_u64_u32 v[1:2], null, s22, v41, 0
	s_delay_alu instid0(VALU_DEP_1) | instskip(NEXT) | instid1(VALU_DEP_1)
	v_mad_co_u64_u32 v[2:3], null, s23, v41, v[2:3]
	v_lshlrev_b64_e32 v[1:2], 1, v[1:2]
	s_delay_alu instid0(VALU_DEP_1) | instskip(NEXT) | instid1(VALU_DEP_1)
	v_add_co_u32 v1, vcc_lo, s30, v1
	v_add_co_ci_u32_e64 v2, null, s31, v2, vcc_lo
	global_load_u16 v1, v[1:2], off
.LBB257_20:
	s_wait_alu 0xfffe
	s_or_b32 exec_lo, exec_lo, s3
	v_dual_mov_b32 v2, s20 :: v_dual_add_nc_u32 v17, 0x80, v41
	s_delay_alu instid0(VALU_DEP_1)
	v_cmp_gt_u32_e64 s3, s10, v17
	s_and_saveexec_b32 s4, s3
	s_cbranch_execz .LBB257_22
; %bb.21:
	v_mad_co_u64_u32 v[2:3], null, s22, v17, 0
	s_delay_alu instid0(VALU_DEP_1) | instskip(NEXT) | instid1(VALU_DEP_1)
	v_mad_co_u64_u32 v[3:4], null, s23, v17, v[3:4]
	v_lshlrev_b64_e32 v[2:3], 1, v[2:3]
	s_delay_alu instid0(VALU_DEP_1) | instskip(SKIP_1) | instid1(VALU_DEP_2)
	v_add_co_u32 v2, vcc_lo, s30, v2
	s_wait_alu 0xfffd
	v_add_co_ci_u32_e64 v3, null, s31, v3, vcc_lo
	global_load_u16 v2, v[2:3], off
.LBB257_22:
	s_or_b32 exec_lo, exec_lo, s4
	v_dual_mov_b32 v3, s20 :: v_dual_add_nc_u32 v18, 0x100, v41
	s_delay_alu instid0(VALU_DEP_1)
	v_cmp_gt_u32_e64 s4, s10, v18
	s_and_saveexec_b32 s5, s4
	s_cbranch_execz .LBB257_24
; %bb.23:
	v_mad_co_u64_u32 v[3:4], null, s22, v18, 0
	s_delay_alu instid0(VALU_DEP_1) | instskip(NEXT) | instid1(VALU_DEP_1)
	v_mad_co_u64_u32 v[4:5], null, s23, v18, v[4:5]
	v_lshlrev_b64_e32 v[3:4], 1, v[3:4]
	s_delay_alu instid0(VALU_DEP_1) | instskip(SKIP_1) | instid1(VALU_DEP_2)
	v_add_co_u32 v3, vcc_lo, s30, v3
	s_wait_alu 0xfffd
	v_add_co_ci_u32_e64 v4, null, s31, v4, vcc_lo
	global_load_u16 v3, v[3:4], off
.LBB257_24:
	;; [unrolled: 17-line block ×3, first 2 shown]
	s_wait_alu 0xfffe
	s_or_b32 exec_lo, exec_lo, s6
	v_dual_mov_b32 v5, s20 :: v_dual_add_nc_u32 v20, 0x200, v41
	s_delay_alu instid0(VALU_DEP_1)
	v_cmp_gt_u32_e64 s6, s10, v20
	s_and_saveexec_b32 s7, s6
	s_cbranch_execz .LBB257_28
; %bb.27:
	v_mad_co_u64_u32 v[5:6], null, s22, v20, 0
	s_delay_alu instid0(VALU_DEP_1) | instskip(NEXT) | instid1(VALU_DEP_1)
	v_mad_co_u64_u32 v[6:7], null, s23, v20, v[6:7]
	v_lshlrev_b64_e32 v[5:6], 1, v[5:6]
	s_delay_alu instid0(VALU_DEP_1) | instskip(SKIP_1) | instid1(VALU_DEP_2)
	v_add_co_u32 v5, vcc_lo, s30, v5
	s_wait_alu 0xfffd
	v_add_co_ci_u32_e64 v6, null, s31, v6, vcc_lo
	global_load_u16 v5, v[5:6], off
.LBB257_28:
	s_wait_alu 0xfffe
	s_or_b32 exec_lo, exec_lo, s7
	v_dual_mov_b32 v6, s20 :: v_dual_add_nc_u32 v21, 0x280, v41
	s_delay_alu instid0(VALU_DEP_1)
	v_cmp_gt_u32_e64 s7, s10, v21
	s_and_saveexec_b32 s8, s7
	s_cbranch_execz .LBB257_30
; %bb.29:
	v_mad_co_u64_u32 v[6:7], null, s22, v21, 0
	s_delay_alu instid0(VALU_DEP_1) | instskip(NEXT) | instid1(VALU_DEP_1)
	v_mad_co_u64_u32 v[7:8], null, s23, v21, v[7:8]
	v_lshlrev_b64_e32 v[6:7], 1, v[6:7]
	s_delay_alu instid0(VALU_DEP_1) | instskip(SKIP_1) | instid1(VALU_DEP_2)
	v_add_co_u32 v6, vcc_lo, s30, v6
	s_wait_alu 0xfffd
	v_add_co_ci_u32_e64 v7, null, s31, v7, vcc_lo
	global_load_u16 v6, v[6:7], off
.LBB257_30:
	;; [unrolled: 18-line block ×3, first 2 shown]
	s_wait_alu 0xfffe
	s_or_b32 exec_lo, exec_lo, s9
	s_clause 0x1
	s_load_b64 s[18:19], s[0:1], 0x288
	s_load_b64 s[16:17], s[0:1], 0x1b8
	v_dual_mov_b32 v8, s20 :: v_dual_add_nc_u32 v23, 0x380, v41
	s_delay_alu instid0(VALU_DEP_1)
	v_cmp_gt_u32_e64 s9, s10, v23
	s_and_saveexec_b32 s10, s9
	s_cbranch_execz .LBB257_34
; %bb.33:
	v_mad_co_u64_u32 v[8:9], null, s22, v23, 0
	s_delay_alu instid0(VALU_DEP_1) | instskip(NEXT) | instid1(VALU_DEP_1)
	v_mad_co_u64_u32 v[9:10], null, s23, v23, v[9:10]
	v_lshlrev_b64_e32 v[8:9], 1, v[8:9]
	s_delay_alu instid0(VALU_DEP_1) | instskip(SKIP_1) | instid1(VALU_DEP_2)
	v_add_co_u32 v8, vcc_lo, s30, v8
	s_wait_alu 0xfffd
	v_add_co_ci_u32_e64 v9, null, s31, v9, vcc_lo
	global_load_u16 v8, v[8:9], off
.LBB257_34:
	s_wait_alu 0xfffe
	s_or_b32 exec_lo, exec_lo, s10
	v_lshrrev_b32_e32 v9, 4, v41
	v_lshrrev_b32_e32 v10, 4, v17
	;; [unrolled: 1-line block ×3, first 2 shown]
	v_lshlrev_b32_e32 v12, 1, v41
	v_lshrrev_b32_e32 v13, 4, v19
	v_and_b32_e32 v9, 60, v9
	v_and_b32_e32 v10, 0x7c, v10
	;; [unrolled: 1-line block ×3, first 2 shown]
	v_lshrrev_b32_e32 v14, 4, v23
	s_load_b64 s[28:29], s[0:1], 0x358
	v_add_nc_u32_e32 v46, v9, v12
	v_add_nc_u32_e32 v47, v10, v12
	;; [unrolled: 1-line block ×3, first 2 shown]
	v_and_b32_e32 v9, 0x7c, v13
	v_lshrrev_b32_e32 v10, 4, v20
	v_lshrrev_b32_e32 v11, 4, v21
	;; [unrolled: 1-line block ×3, first 2 shown]
	s_wait_kmcnt 0x0
	s_mul_u64 s[14:15], s[18:19], s[14:15]
	v_add_nc_u32_e32 v49, v9, v12
	v_and_b32_e32 v9, 0x7c, v10
	v_and_b32_e32 v10, 0x7c, v11
	;; [unrolled: 1-line block ×4, first 2 shown]
	v_lshrrev_b32_e32 v14, 1, v41
	v_add_nc_u32_e32 v50, v9, v12
	v_add_nc_u32_e32 v51, v10, v12
	;; [unrolled: 1-line block ×4, first 2 shown]
	v_and_b32_e32 v9, 0x1fc, v14
	v_mov_b32_e32 v11, 0
	v_mov_b32_e32 v12, 0
	s_wait_loadcnt 0x0
	ds_store_b16 v46, v1
	ds_store_b16 v47, v2 offset:256
	ds_store_b16 v48, v3 offset:512
	;; [unrolled: 1-line block ×7, first 2 shown]
	s_wait_dscnt 0x0
	v_lshl_add_u32 v54, v41, 4, v9
	s_barrier_signal -1
	s_barrier_wait -1
	global_inv scope:SCOPE_SE
	ds_load_2addr_b32 v[44:45], v54 offset1:1
	ds_load_2addr_b32 v[42:43], v54 offset0:2 offset1:3
	v_mov_b32_e32 v1, 0
	s_lshl_b64 s[14:15], s[14:15], 3
	s_lshl_b64 s[12:13], s[12:13], 3
	s_add_nc_u64 s[14:15], s[16:17], s[14:15]
	s_wait_loadcnt_dscnt 0x0
	v_dual_mov_b32 v2, v1 :: v_dual_mov_b32 v13, v1
	v_dual_mov_b32 v14, v1 :: v_dual_mov_b32 v15, v1
	;; [unrolled: 1-line block ×6, first 2 shown]
	v_mov_b32_e32 v10, v1
	s_add_nc_u64 s[34:35], s[14:15], s[12:13]
	s_barrier_signal -1
	s_barrier_wait -1
	global_inv scope:SCOPE_SE
	s_and_saveexec_b32 s0, s2
	s_cbranch_execnz .LBB257_90
; %bb.35:
	s_or_b32 exec_lo, exec_lo, s0
	s_and_saveexec_b32 s0, s3
	s_cbranch_execnz .LBB257_91
.LBB257_36:
	s_or_b32 exec_lo, exec_lo, s0
	s_and_saveexec_b32 s0, s4
	s_cbranch_execnz .LBB257_92
.LBB257_37:
	s_or_b32 exec_lo, exec_lo, s0
	s_and_saveexec_b32 s0, s5
	s_cbranch_execnz .LBB257_93
.LBB257_38:
	s_or_b32 exec_lo, exec_lo, s0
	s_and_saveexec_b32 s0, s6
	s_cbranch_execnz .LBB257_94
.LBB257_39:
	s_or_b32 exec_lo, exec_lo, s0
	s_and_saveexec_b32 s0, s7
	s_cbranch_execnz .LBB257_95
.LBB257_40:
	s_or_b32 exec_lo, exec_lo, s0
	s_and_saveexec_b32 s0, s8
	s_cbranch_execz .LBB257_42
.LBB257_41:
	v_mad_co_u64_u32 v[7:8], null, s28, v22, 0
	s_delay_alu instid0(VALU_DEP_1) | instskip(NEXT) | instid1(VALU_DEP_1)
	v_mad_co_u64_u32 v[24:25], null, s29, v22, v[8:9]
	v_mov_b32_e32 v8, v24
	s_delay_alu instid0(VALU_DEP_1) | instskip(NEXT) | instid1(VALU_DEP_1)
	v_lshlrev_b64_e32 v[7:8], 3, v[7:8]
	v_add_co_u32 v7, vcc_lo, s34, v7
	s_wait_alu 0xfffd
	s_delay_alu instid0(VALU_DEP_2)
	v_add_co_ci_u32_e64 v8, null, s35, v8, vcc_lo
	global_load_b64 v[7:8], v[7:8], off
.LBB257_42:
	s_or_b32 exec_lo, exec_lo, s0
	v_lshrrev_b32_e32 v66, 5, v41
	v_lshrrev_b32_e32 v27, 5, v17
	v_lshrrev_b32_e32 v26, 5, v18
	v_lshrrev_b32_e32 v25, 5, v19
	v_lshrrev_b32_e32 v24, 5, v20
	v_lshrrev_b32_e32 v20, 5, v21
	v_lshrrev_b32_e32 v19, 5, v22
	v_lshrrev_b32_e32 v18, 5, v23
	v_lshlrev_b32_e32 v64, 3, v41
	v_lshrrev_b32_e32 v17, 2, v41
	s_xor_b32 s0, s11, -1
	s_and_saveexec_b32 s1, s9
	s_cbranch_execz .LBB257_44
; %bb.43:
	v_mad_co_u64_u32 v[9:10], null, s28, v23, 0
	s_wait_loadcnt 0x0
	s_delay_alu instid0(VALU_DEP_1) | instskip(NEXT) | instid1(VALU_DEP_1)
	v_mad_co_u64_u32 v[21:22], null, s29, v23, v[10:11]
	v_mov_b32_e32 v10, v21
	s_delay_alu instid0(VALU_DEP_1) | instskip(NEXT) | instid1(VALU_DEP_1)
	v_lshlrev_b64_e32 v[9:10], 3, v[9:10]
	v_add_co_u32 v9, vcc_lo, s34, v9
	s_wait_alu 0xfffd
	s_delay_alu instid0(VALU_DEP_2)
	v_add_co_ci_u32_e64 v10, null, s35, v10, vcc_lo
	global_load_b64 v[9:10], v[9:10], off
.LBB257_44:
	s_or_b32 exec_lo, exec_lo, s1
	v_lshl_add_u32 v55, v66, 3, v64
	v_lshl_add_u32 v56, v27, 3, v64
	;; [unrolled: 1-line block ×5, first 2 shown]
	s_wait_loadcnt 0x0
	ds_store_b64 v55, v[11:12]
	ds_store_b64 v56, v[1:2] offset:1024
	ds_store_b64 v57, v[13:14] offset:2048
	;; [unrolled: 1-line block ×3, first 2 shown]
	v_lshlrev_b32_e32 v1, 3, v64
	v_lshl_add_u32 v60, v20, 3, v64
	v_lshl_add_u32 v61, v19, 3, v64
	;; [unrolled: 1-line block ×3, first 2 shown]
	ds_store_b64 v59, v[3:4] offset:4096
	ds_store_b64 v60, v[5:6] offset:5120
	;; [unrolled: 1-line block ×4, first 2 shown]
	v_lshl_add_u32 v63, v17, 3, v1
	s_wait_dscnt 0x0
	s_barrier_signal -1
	s_barrier_wait -1
	global_inv scope:SCOPE_SE
	ds_load_2addr_b64 v[13:16], v63 offset1:1
	ds_load_2addr_b64 v[9:12], v63 offset0:2 offset1:3
	ds_load_2addr_b64 v[5:8], v63 offset0:4 offset1:5
	;; [unrolled: 1-line block ×3, first 2 shown]
	v_bfe_u32 v69, v0, 10, 10
	v_bfe_u32 v70, v0, 20, 10
	v_mbcnt_lo_u32_b32 v67, -1, 0
	v_and_b32_e32 v68, 0x3e0, v41
	v_lshlrev_b32_e32 v65, 2, v64
	s_and_b32 vcc_lo, exec_lo, s0
	s_wait_loadcnt_dscnt 0x0
	s_barrier_signal -1
	s_barrier_wait -1
	global_inv scope:SCOPE_SE
	s_wait_alu 0xfffe
	s_cbranch_vccz .LBB257_96
; %bb.45:
	v_pk_ashrrev_i16 v0, 15, v44 op_sel_hi:[0,1]
	v_pk_ashrrev_i16 v17, 15, v45 op_sel_hi:[0,1]
	;; [unrolled: 1-line block ×4, first 2 shown]
	v_or_b32_e32 v21, v67, v68
	v_or_b32_e32 v0, 0x80008000, v0
	;; [unrolled: 1-line block ×5, first 2 shown]
	v_and_or_b32 v82, 0x1f00, v64, v67
	s_mov_b32 s12, 0
	v_xor_b32_e32 v17, v0, v44
	v_xor_b32_e32 v18, v20, v45
	;; [unrolled: 1-line block ×4, first 2 shown]
	s_mov_b32 s13, s12
	s_mov_b32 s14, s12
	;; [unrolled: 1-line block ×3, first 2 shown]
	v_lshlrev_b32_e32 v23, 4, v21
	v_lshlrev_b32_e32 v71, 1, v82
	s_getpc_b64 s[0:1]
	s_sext_i32_i16 s1, s1
	s_add_co_u32 s0, s0, _ZN7rocprim17ROCPRIM_400000_NS16block_radix_sortI12hip_bfloat16Lj128ELj8ElLj1ELj1ELj0ELNS0_26block_radix_rank_algorithmE1ELNS0_18block_padding_hintE2ELNS0_4arch9wavefront6targetE0EE19radix_bits_per_passE@rel32@lo+8
	s_add_co_ci_u32 s1, s1, _ZN7rocprim17ROCPRIM_400000_NS16block_radix_sortI12hip_bfloat16Lj128ELj8ElLj1ELj1ELj0ELNS0_26block_radix_rank_algorithmE1ELNS0_18block_padding_hintE2ELNS0_4arch9wavefront6targetE0EE19radix_bits_per_passE@rel32@hi+16
	s_load_b32 s19, s[0:1], 0x0
	ds_store_b128 v23, v[17:20]
	; wave barrier
	ds_load_u16 v72, v71
	v_mad_u32_u24 v0, v21, 48, v23
	ds_load_u16 v73, v71 offset:64
	ds_load_u16 v74, v71 offset:128
	;; [unrolled: 1-line block ×7, first 2 shown]
	s_wait_loadcnt_dscnt 0x0
	s_barrier_signal -1
	s_barrier_wait -1
	global_inv scope:SCOPE_SE
	ds_store_b128 v0, v[13:16]
	ds_store_b128 v0, v[9:12] offset:16
	ds_store_b128 v0, v[5:8] offset:32
	;; [unrolled: 1-line block ×3, first 2 shown]
	v_mad_u32_u24 v29, v82, 6, v71
	; wave barrier
	s_wait_kmcnt 0x0
	s_min_u32 s0, s19, 16
	s_delay_alu instid0(SALU_CYCLE_1) | instskip(SKIP_4) | instid1(VALU_DEP_1)
	s_lshl_b32 s0, -1, s0
	v_cmp_ne_u16_e32 vcc_lo, 0x7fff, v72
	s_not_b32 s1, s0
	s_wait_alu 0xfffd
	v_cndmask_b32_e32 v17, 0xffff8000, v72, vcc_lo
	v_and_b32_e32 v17, 0xffff, v17
	s_delay_alu instid0(VALU_DEP_1)
	v_and_b32_e32 v40, s1, v17
	ds_load_2addr_b64 v[17:20], v29 offset1:32
	ds_load_2addr_b64 v[25:28], v29 offset0:64 offset1:96
	ds_load_2addr_b64 v[21:24], v29 offset0:128 offset1:160
	;; [unrolled: 1-line block ×3, first 2 shown]
	s_wait_loadcnt_dscnt 0x0
	v_and_b32_e32 v0, 1, v40
	v_lshlrev_b32_e32 v33, 30, v40
	v_lshlrev_b32_e32 v36, 28, v40
	s_barrier_signal -1
	s_barrier_wait -1
	v_add_co_u32 v0, s0, v0, -1
	s_wait_alu 0xf1ff
	v_cndmask_b32_e64 v34, 0, 1, s0
	v_not_b32_e32 v35, v33
	v_cmp_gt_i32_e64 s0, 0, v33
	global_inv scope:SCOPE_SE
	v_cmp_ne_u32_e32 vcc_lo, 0, v34
	v_lshlrev_b32_e32 v34, 29, v40
	v_ashrrev_i32_e32 v33, 31, v35
	s_wait_alu 0xfffd
	v_xor_b32_e32 v0, vcc_lo, v0
	s_delay_alu instid0(VALU_DEP_3)
	v_not_b32_e32 v35, v34
	s_wait_alu 0xf1ff
	v_xor_b32_e32 v33, s0, v33
	v_cmp_gt_i32_e32 vcc_lo, 0, v34
	s_load_b32 s0, s[36:37], 0xc
	v_and_b32_e32 v0, exec_lo, v0
	v_ashrrev_i32_e32 v34, 31, v35
	v_not_b32_e32 v35, v36
	s_delay_alu instid0(VALU_DEP_3) | instskip(SKIP_1) | instid1(VALU_DEP_4)
	v_and_b32_e32 v0, v0, v33
	v_lshlrev_b32_e32 v33, 27, v40
	v_xor_b32_e32 v34, vcc_lo, v34
	v_cmp_gt_i32_e32 vcc_lo, 0, v36
	v_ashrrev_i32_e32 v35, 31, v35
	s_delay_alu instid0(VALU_DEP_4) | instskip(NEXT) | instid1(VALU_DEP_4)
	v_not_b32_e32 v36, v33
	v_and_b32_e32 v0, v0, v34
	v_lshlrev_b32_e32 v34, 26, v40
	s_wait_alu 0xfffd
	v_xor_b32_e32 v35, vcc_lo, v35
	v_cmp_gt_i32_e32 vcc_lo, 0, v33
	v_ashrrev_i32_e32 v33, 31, v36
	v_not_b32_e32 v36, v34
	s_delay_alu instid0(VALU_DEP_4)
	v_and_b32_e32 v0, v0, v35
	v_lshlrev_b32_e32 v35, 25, v40
	s_wait_alu 0xfffd
	v_xor_b32_e32 v33, vcc_lo, v33
	v_cmp_gt_i32_e32 vcc_lo, 0, v34
	v_ashrrev_i32_e32 v34, 31, v36
	s_wait_kmcnt 0x0
	s_lshr_b32 s10, s0, 16
	v_not_b32_e32 v36, v35
	v_and_b32_e32 v0, v0, v33
	v_lshlrev_b32_e32 v33, 24, v40
	s_wait_alu 0xfffd
	v_xor_b32_e32 v34, vcc_lo, v34
	v_cmp_gt_i32_e32 vcc_lo, 0, v35
	v_ashrrev_i32_e32 v35, 31, v36
	s_wait_alu 0xfffe
	v_mad_u32_u24 v37, v70, s10, v69
	v_not_b32_e32 v36, v33
	v_and_b32_e32 v0, v0, v34
	s_and_b32 s0, s0, 0xffff
	s_wait_alu 0xfffd
	v_xor_b32_e32 v34, vcc_lo, v35
	v_cmp_gt_i32_e32 vcc_lo, 0, v33
	v_ashrrev_i32_e32 v33, 31, v36
	s_wait_alu 0xfffe
	v_mad_co_u64_u32 v[38:39], null, v37, s0, v[41:42]
	v_dual_mov_b32 v37, s15 :: v_dual_and_b32 v0, v0, v34
	s_wait_alu 0xfffd
	v_xor_b32_e32 v33, vcc_lo, v33
	v_dual_mov_b32 v36, s14 :: v_dual_mov_b32 v35, s13
	v_mov_b32_e32 v34, s12
	ds_store_b128 v65, v[34:37] offset:16
	ds_store_b128 v65, v[34:37] offset:32
	v_and_b32_e32 v33, v0, v33
	v_lshrrev_b32_e32 v0, 5, v38
	v_lshlrev_b32_e32 v34, 4, v40
	s_wait_loadcnt_dscnt 0x0
	s_barrier_signal -1
	v_mbcnt_lo_u32_b32 v84, v33, 0
	v_lshlrev_b32_e32 v0, 2, v0
	v_cmp_ne_u32_e64 s0, 0, v33
	s_barrier_wait -1
	global_inv scope:SCOPE_SE
	v_cmp_eq_u32_e32 vcc_lo, 0, v84
	v_add_nc_u32_e32 v85, v0, v34
	; wave barrier
	s_and_b32 s10, s0, vcc_lo
	s_wait_alu 0xfffe
	s_and_saveexec_b32 s0, s10
; %bb.46:
	v_bcnt_u32_b32 v33, v33, 0
	ds_store_b32 v85, v33 offset:16
; %bb.47:
	s_wait_alu 0xfffe
	s_or_b32 exec_lo, exec_lo, s0
	v_cmp_ne_u16_e32 vcc_lo, 0x7fff, v73
	; wave barrier
	s_wait_alu 0xfffd
	v_cndmask_b32_e32 v33, 0xffff8000, v73, vcc_lo
	s_delay_alu instid0(VALU_DEP_1) | instskip(NEXT) | instid1(VALU_DEP_1)
	v_and_b32_e32 v33, 0xffff, v33
	v_and_b32_e32 v33, s1, v33
	s_delay_alu instid0(VALU_DEP_1)
	v_and_b32_e32 v34, 1, v33
	v_lshlrev_b32_e32 v35, 30, v33
	v_lshlrev_b32_e32 v36, 29, v33
	;; [unrolled: 1-line block ×4, first 2 shown]
	v_add_co_u32 v34, s0, v34, -1
	s_wait_alu 0xf1ff
	v_cndmask_b32_e64 v38, 0, 1, s0
	v_not_b32_e32 v81, v35
	v_cmp_gt_i32_e64 s0, 0, v35
	v_not_b32_e32 v35, v36
	v_lshlrev_b32_e32 v40, 26, v33
	v_cmp_ne_u32_e32 vcc_lo, 0, v38
	v_ashrrev_i32_e32 v81, 31, v81
	v_lshlrev_b32_e32 v80, 25, v33
	v_ashrrev_i32_e32 v35, 31, v35
	v_lshlrev_b32_e32 v38, 24, v33
	s_wait_alu 0xfffd
	v_xor_b32_e32 v34, vcc_lo, v34
	v_cmp_gt_i32_e32 vcc_lo, 0, v36
	v_not_b32_e32 v36, v37
	s_wait_alu 0xf1ff
	v_xor_b32_e32 v81, s0, v81
	v_cmp_gt_i32_e64 s0, 0, v37
	v_and_b32_e32 v34, exec_lo, v34
	v_not_b32_e32 v37, v39
	v_ashrrev_i32_e32 v36, 31, v36
	s_wait_alu 0xfffd
	v_xor_b32_e32 v35, vcc_lo, v35
	v_cmp_gt_i32_e32 vcc_lo, 0, v39
	v_and_b32_e32 v34, v34, v81
	v_not_b32_e32 v39, v40
	v_ashrrev_i32_e32 v37, 31, v37
	s_wait_alu 0xf1ff
	v_xor_b32_e32 v36, s0, v36
	v_cmp_gt_i32_e64 s0, 0, v40
	v_and_b32_e32 v34, v34, v35
	v_not_b32_e32 v35, v80
	v_ashrrev_i32_e32 v39, 31, v39
	s_wait_alu 0xfffd
	v_xor_b32_e32 v37, vcc_lo, v37
	v_cmp_gt_i32_e32 vcc_lo, 0, v80
	v_and_b32_e32 v34, v34, v36
	v_not_b32_e32 v36, v38
	v_ashrrev_i32_e32 v35, 31, v35
	s_wait_alu 0xf1ff
	v_xor_b32_e32 v39, s0, v39
	v_lshlrev_b32_e32 v33, 4, v33
	v_and_b32_e32 v34, v34, v37
	v_cmp_gt_i32_e64 s0, 0, v38
	v_ashrrev_i32_e32 v36, 31, v36
	s_wait_alu 0xfffd
	v_xor_b32_e32 v35, vcc_lo, v35
	v_add_nc_u32_e32 v88, v0, v33
	v_and_b32_e32 v34, v34, v39
	s_wait_alu 0xf1ff
	v_xor_b32_e32 v33, s0, v36
	ds_load_b32 v86, v88 offset:16
	v_and_b32_e32 v34, v34, v35
	; wave barrier
	s_delay_alu instid0(VALU_DEP_1) | instskip(NEXT) | instid1(VALU_DEP_1)
	v_and_b32_e32 v33, v34, v33
	v_mbcnt_lo_u32_b32 v87, v33, 0
	v_cmp_ne_u32_e64 s0, 0, v33
	s_delay_alu instid0(VALU_DEP_2)
	v_cmp_eq_u32_e32 vcc_lo, 0, v87
	s_and_b32 s10, s0, vcc_lo
	s_wait_alu 0xfffe
	s_and_saveexec_b32 s0, s10
	s_cbranch_execz .LBB257_49
; %bb.48:
	s_wait_dscnt 0x0
	v_bcnt_u32_b32 v33, v33, v86
	ds_store_b32 v88, v33 offset:16
.LBB257_49:
	s_wait_alu 0xfffe
	s_or_b32 exec_lo, exec_lo, s0
	v_cmp_ne_u16_e32 vcc_lo, 0x7fff, v74
	; wave barrier
	s_wait_alu 0xfffd
	v_cndmask_b32_e32 v33, 0xffff8000, v74, vcc_lo
	s_delay_alu instid0(VALU_DEP_1) | instskip(NEXT) | instid1(VALU_DEP_1)
	v_and_b32_e32 v33, 0xffff, v33
	v_and_b32_e32 v33, s1, v33
	s_delay_alu instid0(VALU_DEP_1)
	v_and_b32_e32 v34, 1, v33
	v_lshlrev_b32_e32 v35, 30, v33
	v_lshlrev_b32_e32 v36, 29, v33
	;; [unrolled: 1-line block ×4, first 2 shown]
	v_add_co_u32 v34, s0, v34, -1
	s_wait_alu 0xf1ff
	v_cndmask_b32_e64 v38, 0, 1, s0
	v_not_b32_e32 v81, v35
	v_cmp_gt_i32_e64 s0, 0, v35
	v_not_b32_e32 v35, v36
	v_lshlrev_b32_e32 v40, 26, v33
	v_cmp_ne_u32_e32 vcc_lo, 0, v38
	v_ashrrev_i32_e32 v81, 31, v81
	v_lshlrev_b32_e32 v80, 25, v33
	v_ashrrev_i32_e32 v35, 31, v35
	v_lshlrev_b32_e32 v38, 24, v33
	s_wait_alu 0xfffd
	v_xor_b32_e32 v34, vcc_lo, v34
	v_cmp_gt_i32_e32 vcc_lo, 0, v36
	v_not_b32_e32 v36, v37
	s_wait_alu 0xf1ff
	v_xor_b32_e32 v81, s0, v81
	v_cmp_gt_i32_e64 s0, 0, v37
	v_and_b32_e32 v34, exec_lo, v34
	v_not_b32_e32 v37, v39
	v_ashrrev_i32_e32 v36, 31, v36
	s_wait_alu 0xfffd
	v_xor_b32_e32 v35, vcc_lo, v35
	v_cmp_gt_i32_e32 vcc_lo, 0, v39
	v_and_b32_e32 v34, v34, v81
	v_not_b32_e32 v39, v40
	v_ashrrev_i32_e32 v37, 31, v37
	s_wait_alu 0xf1ff
	v_xor_b32_e32 v36, s0, v36
	v_cmp_gt_i32_e64 s0, 0, v40
	v_and_b32_e32 v34, v34, v35
	v_not_b32_e32 v35, v80
	v_ashrrev_i32_e32 v39, 31, v39
	s_wait_alu 0xfffd
	v_xor_b32_e32 v37, vcc_lo, v37
	v_cmp_gt_i32_e32 vcc_lo, 0, v80
	v_and_b32_e32 v34, v34, v36
	v_not_b32_e32 v36, v38
	v_ashrrev_i32_e32 v35, 31, v35
	s_wait_alu 0xf1ff
	v_xor_b32_e32 v39, s0, v39
	v_lshlrev_b32_e32 v33, 4, v33
	v_and_b32_e32 v34, v34, v37
	v_cmp_gt_i32_e64 s0, 0, v38
	v_ashrrev_i32_e32 v36, 31, v36
	s_wait_alu 0xfffd
	v_xor_b32_e32 v35, vcc_lo, v35
	v_add_nc_u32_e32 v91, v0, v33
	v_and_b32_e32 v34, v34, v39
	s_wait_alu 0xf1ff
	v_xor_b32_e32 v33, s0, v36
	ds_load_b32 v89, v91 offset:16
	v_and_b32_e32 v34, v34, v35
	; wave barrier
	s_delay_alu instid0(VALU_DEP_1) | instskip(NEXT) | instid1(VALU_DEP_1)
	v_and_b32_e32 v33, v34, v33
	v_mbcnt_lo_u32_b32 v90, v33, 0
	v_cmp_ne_u32_e64 s0, 0, v33
	s_delay_alu instid0(VALU_DEP_2)
	v_cmp_eq_u32_e32 vcc_lo, 0, v90
	s_and_b32 s10, s0, vcc_lo
	s_wait_alu 0xfffe
	s_and_saveexec_b32 s0, s10
	s_cbranch_execz .LBB257_51
; %bb.50:
	s_wait_dscnt 0x0
	v_bcnt_u32_b32 v33, v33, v89
	ds_store_b32 v91, v33 offset:16
.LBB257_51:
	s_wait_alu 0xfffe
	s_or_b32 exec_lo, exec_lo, s0
	v_cmp_ne_u16_e32 vcc_lo, 0x7fff, v75
	; wave barrier
	s_wait_alu 0xfffd
	v_cndmask_b32_e32 v33, 0xffff8000, v75, vcc_lo
	s_delay_alu instid0(VALU_DEP_1) | instskip(NEXT) | instid1(VALU_DEP_1)
	v_and_b32_e32 v33, 0xffff, v33
	v_and_b32_e32 v33, s1, v33
	s_delay_alu instid0(VALU_DEP_1)
	v_and_b32_e32 v34, 1, v33
	v_lshlrev_b32_e32 v35, 30, v33
	v_lshlrev_b32_e32 v36, 29, v33
	;; [unrolled: 1-line block ×4, first 2 shown]
	v_add_co_u32 v34, s0, v34, -1
	s_wait_alu 0xf1ff
	v_cndmask_b32_e64 v38, 0, 1, s0
	v_not_b32_e32 v81, v35
	v_cmp_gt_i32_e64 s0, 0, v35
	v_not_b32_e32 v35, v36
	v_lshlrev_b32_e32 v40, 26, v33
	v_cmp_ne_u32_e32 vcc_lo, 0, v38
	v_ashrrev_i32_e32 v81, 31, v81
	v_lshlrev_b32_e32 v80, 25, v33
	v_ashrrev_i32_e32 v35, 31, v35
	v_lshlrev_b32_e32 v38, 24, v33
	s_wait_alu 0xfffd
	v_xor_b32_e32 v34, vcc_lo, v34
	v_cmp_gt_i32_e32 vcc_lo, 0, v36
	v_not_b32_e32 v36, v37
	s_wait_alu 0xf1ff
	v_xor_b32_e32 v81, s0, v81
	v_cmp_gt_i32_e64 s0, 0, v37
	v_and_b32_e32 v34, exec_lo, v34
	v_not_b32_e32 v37, v39
	v_ashrrev_i32_e32 v36, 31, v36
	s_wait_alu 0xfffd
	v_xor_b32_e32 v35, vcc_lo, v35
	v_cmp_gt_i32_e32 vcc_lo, 0, v39
	v_and_b32_e32 v34, v34, v81
	v_not_b32_e32 v39, v40
	v_ashrrev_i32_e32 v37, 31, v37
	s_wait_alu 0xf1ff
	v_xor_b32_e32 v36, s0, v36
	v_cmp_gt_i32_e64 s0, 0, v40
	v_and_b32_e32 v34, v34, v35
	v_not_b32_e32 v35, v80
	v_ashrrev_i32_e32 v39, 31, v39
	s_wait_alu 0xfffd
	v_xor_b32_e32 v37, vcc_lo, v37
	v_cmp_gt_i32_e32 vcc_lo, 0, v80
	v_and_b32_e32 v34, v34, v36
	v_not_b32_e32 v36, v38
	v_ashrrev_i32_e32 v35, 31, v35
	s_wait_alu 0xf1ff
	v_xor_b32_e32 v39, s0, v39
	v_lshlrev_b32_e32 v33, 4, v33
	v_and_b32_e32 v34, v34, v37
	v_cmp_gt_i32_e64 s0, 0, v38
	v_ashrrev_i32_e32 v36, 31, v36
	s_wait_alu 0xfffd
	v_xor_b32_e32 v35, vcc_lo, v35
	v_add_nc_u32_e32 v94, v0, v33
	v_and_b32_e32 v34, v34, v39
	s_wait_alu 0xf1ff
	v_xor_b32_e32 v33, s0, v36
	ds_load_b32 v92, v94 offset:16
	v_and_b32_e32 v34, v34, v35
	; wave barrier
	s_delay_alu instid0(VALU_DEP_1) | instskip(NEXT) | instid1(VALU_DEP_1)
	v_and_b32_e32 v33, v34, v33
	v_mbcnt_lo_u32_b32 v93, v33, 0
	v_cmp_ne_u32_e64 s0, 0, v33
	s_delay_alu instid0(VALU_DEP_2)
	v_cmp_eq_u32_e32 vcc_lo, 0, v93
	s_and_b32 s10, s0, vcc_lo
	s_wait_alu 0xfffe
	s_and_saveexec_b32 s0, s10
	s_cbranch_execz .LBB257_53
; %bb.52:
	s_wait_dscnt 0x0
	v_bcnt_u32_b32 v33, v33, v92
	ds_store_b32 v94, v33 offset:16
.LBB257_53:
	s_wait_alu 0xfffe
	s_or_b32 exec_lo, exec_lo, s0
	v_cmp_ne_u16_e32 vcc_lo, 0x7fff, v76
	; wave barrier
	s_wait_alu 0xfffd
	v_cndmask_b32_e32 v33, 0xffff8000, v76, vcc_lo
	s_delay_alu instid0(VALU_DEP_1) | instskip(NEXT) | instid1(VALU_DEP_1)
	v_and_b32_e32 v33, 0xffff, v33
	v_and_b32_e32 v33, s1, v33
	s_delay_alu instid0(VALU_DEP_1)
	v_and_b32_e32 v34, 1, v33
	v_lshlrev_b32_e32 v35, 30, v33
	v_lshlrev_b32_e32 v36, 29, v33
	;; [unrolled: 1-line block ×4, first 2 shown]
	v_add_co_u32 v34, s0, v34, -1
	s_wait_alu 0xf1ff
	v_cndmask_b32_e64 v38, 0, 1, s0
	v_not_b32_e32 v81, v35
	v_cmp_gt_i32_e64 s0, 0, v35
	v_not_b32_e32 v35, v36
	v_lshlrev_b32_e32 v40, 26, v33
	v_cmp_ne_u32_e32 vcc_lo, 0, v38
	v_ashrrev_i32_e32 v81, 31, v81
	v_lshlrev_b32_e32 v80, 25, v33
	v_ashrrev_i32_e32 v35, 31, v35
	v_lshlrev_b32_e32 v38, 24, v33
	s_wait_alu 0xfffd
	v_xor_b32_e32 v34, vcc_lo, v34
	v_cmp_gt_i32_e32 vcc_lo, 0, v36
	v_not_b32_e32 v36, v37
	s_wait_alu 0xf1ff
	v_xor_b32_e32 v81, s0, v81
	v_cmp_gt_i32_e64 s0, 0, v37
	v_and_b32_e32 v34, exec_lo, v34
	v_not_b32_e32 v37, v39
	v_ashrrev_i32_e32 v36, 31, v36
	s_wait_alu 0xfffd
	v_xor_b32_e32 v35, vcc_lo, v35
	v_cmp_gt_i32_e32 vcc_lo, 0, v39
	v_and_b32_e32 v34, v34, v81
	v_not_b32_e32 v39, v40
	v_ashrrev_i32_e32 v37, 31, v37
	s_wait_alu 0xf1ff
	v_xor_b32_e32 v36, s0, v36
	v_cmp_gt_i32_e64 s0, 0, v40
	v_and_b32_e32 v34, v34, v35
	v_not_b32_e32 v35, v80
	v_ashrrev_i32_e32 v39, 31, v39
	s_wait_alu 0xfffd
	v_xor_b32_e32 v37, vcc_lo, v37
	v_cmp_gt_i32_e32 vcc_lo, 0, v80
	v_and_b32_e32 v34, v34, v36
	v_not_b32_e32 v36, v38
	v_ashrrev_i32_e32 v35, 31, v35
	s_wait_alu 0xf1ff
	v_xor_b32_e32 v39, s0, v39
	v_lshlrev_b32_e32 v33, 4, v33
	v_and_b32_e32 v34, v34, v37
	v_cmp_gt_i32_e64 s0, 0, v38
	v_ashrrev_i32_e32 v36, 31, v36
	s_wait_alu 0xfffd
	v_xor_b32_e32 v35, vcc_lo, v35
	v_add_nc_u32_e32 v97, v0, v33
	v_and_b32_e32 v34, v34, v39
	s_wait_alu 0xf1ff
	v_xor_b32_e32 v33, s0, v36
	ds_load_b32 v95, v97 offset:16
	v_and_b32_e32 v34, v34, v35
	; wave barrier
	s_delay_alu instid0(VALU_DEP_1) | instskip(NEXT) | instid1(VALU_DEP_1)
	v_and_b32_e32 v33, v34, v33
	v_mbcnt_lo_u32_b32 v96, v33, 0
	v_cmp_ne_u32_e64 s0, 0, v33
	s_delay_alu instid0(VALU_DEP_2)
	v_cmp_eq_u32_e32 vcc_lo, 0, v96
	s_and_b32 s10, s0, vcc_lo
	s_wait_alu 0xfffe
	s_and_saveexec_b32 s0, s10
	s_cbranch_execz .LBB257_55
; %bb.54:
	s_wait_dscnt 0x0
	v_bcnt_u32_b32 v33, v33, v95
	ds_store_b32 v97, v33 offset:16
.LBB257_55:
	s_wait_alu 0xfffe
	s_or_b32 exec_lo, exec_lo, s0
	v_cmp_ne_u16_e32 vcc_lo, 0x7fff, v77
	; wave barrier
	s_wait_alu 0xfffd
	v_cndmask_b32_e32 v33, 0xffff8000, v77, vcc_lo
	s_delay_alu instid0(VALU_DEP_1) | instskip(NEXT) | instid1(VALU_DEP_1)
	v_and_b32_e32 v33, 0xffff, v33
	v_and_b32_e32 v33, s1, v33
	s_delay_alu instid0(VALU_DEP_1)
	v_and_b32_e32 v34, 1, v33
	v_lshlrev_b32_e32 v35, 30, v33
	v_lshlrev_b32_e32 v36, 29, v33
	;; [unrolled: 1-line block ×4, first 2 shown]
	v_add_co_u32 v34, s0, v34, -1
	s_wait_alu 0xf1ff
	v_cndmask_b32_e64 v38, 0, 1, s0
	v_not_b32_e32 v81, v35
	v_cmp_gt_i32_e64 s0, 0, v35
	v_not_b32_e32 v35, v36
	v_lshlrev_b32_e32 v40, 26, v33
	v_cmp_ne_u32_e32 vcc_lo, 0, v38
	v_ashrrev_i32_e32 v81, 31, v81
	v_lshlrev_b32_e32 v80, 25, v33
	v_ashrrev_i32_e32 v35, 31, v35
	v_lshlrev_b32_e32 v38, 24, v33
	s_wait_alu 0xfffd
	v_xor_b32_e32 v34, vcc_lo, v34
	v_cmp_gt_i32_e32 vcc_lo, 0, v36
	v_not_b32_e32 v36, v37
	s_wait_alu 0xf1ff
	v_xor_b32_e32 v81, s0, v81
	v_cmp_gt_i32_e64 s0, 0, v37
	v_and_b32_e32 v34, exec_lo, v34
	v_not_b32_e32 v37, v39
	v_ashrrev_i32_e32 v36, 31, v36
	s_wait_alu 0xfffd
	v_xor_b32_e32 v35, vcc_lo, v35
	v_cmp_gt_i32_e32 vcc_lo, 0, v39
	v_and_b32_e32 v34, v34, v81
	v_not_b32_e32 v39, v40
	v_ashrrev_i32_e32 v37, 31, v37
	s_wait_alu 0xf1ff
	v_xor_b32_e32 v36, s0, v36
	v_cmp_gt_i32_e64 s0, 0, v40
	v_and_b32_e32 v34, v34, v35
	v_not_b32_e32 v35, v80
	v_ashrrev_i32_e32 v39, 31, v39
	s_wait_alu 0xfffd
	v_xor_b32_e32 v37, vcc_lo, v37
	v_cmp_gt_i32_e32 vcc_lo, 0, v80
	v_and_b32_e32 v34, v34, v36
	v_not_b32_e32 v36, v38
	v_ashrrev_i32_e32 v35, 31, v35
	s_wait_alu 0xf1ff
	v_xor_b32_e32 v39, s0, v39
	v_lshlrev_b32_e32 v33, 4, v33
	v_and_b32_e32 v34, v34, v37
	v_cmp_gt_i32_e64 s0, 0, v38
	v_ashrrev_i32_e32 v36, 31, v36
	s_wait_alu 0xfffd
	v_xor_b32_e32 v35, vcc_lo, v35
	v_add_nc_u32_e32 v100, v0, v33
	v_and_b32_e32 v34, v34, v39
	s_wait_alu 0xf1ff
	v_xor_b32_e32 v33, s0, v36
	ds_load_b32 v98, v100 offset:16
	v_and_b32_e32 v34, v34, v35
	; wave barrier
	s_delay_alu instid0(VALU_DEP_1) | instskip(NEXT) | instid1(VALU_DEP_1)
	v_and_b32_e32 v33, v34, v33
	v_mbcnt_lo_u32_b32 v99, v33, 0
	v_cmp_ne_u32_e64 s0, 0, v33
	s_delay_alu instid0(VALU_DEP_2)
	v_cmp_eq_u32_e32 vcc_lo, 0, v99
	s_and_b32 s10, s0, vcc_lo
	s_wait_alu 0xfffe
	s_and_saveexec_b32 s0, s10
	s_cbranch_execz .LBB257_57
; %bb.56:
	s_wait_dscnt 0x0
	v_bcnt_u32_b32 v33, v33, v98
	ds_store_b32 v100, v33 offset:16
.LBB257_57:
	s_wait_alu 0xfffe
	s_or_b32 exec_lo, exec_lo, s0
	v_cmp_ne_u16_e32 vcc_lo, 0x7fff, v78
	; wave barrier
	s_wait_alu 0xfffd
	v_cndmask_b32_e32 v33, 0xffff8000, v78, vcc_lo
	s_delay_alu instid0(VALU_DEP_1) | instskip(NEXT) | instid1(VALU_DEP_1)
	v_and_b32_e32 v33, 0xffff, v33
	v_and_b32_e32 v33, s1, v33
	s_delay_alu instid0(VALU_DEP_1)
	v_and_b32_e32 v34, 1, v33
	v_lshlrev_b32_e32 v35, 30, v33
	v_lshlrev_b32_e32 v36, 29, v33
	;; [unrolled: 1-line block ×4, first 2 shown]
	v_add_co_u32 v34, s0, v34, -1
	s_wait_alu 0xf1ff
	v_cndmask_b32_e64 v38, 0, 1, s0
	v_not_b32_e32 v81, v35
	v_cmp_gt_i32_e64 s0, 0, v35
	v_not_b32_e32 v35, v36
	v_lshlrev_b32_e32 v40, 26, v33
	v_cmp_ne_u32_e32 vcc_lo, 0, v38
	v_ashrrev_i32_e32 v81, 31, v81
	v_lshlrev_b32_e32 v80, 25, v33
	v_ashrrev_i32_e32 v35, 31, v35
	v_lshlrev_b32_e32 v38, 24, v33
	s_wait_alu 0xfffd
	v_xor_b32_e32 v34, vcc_lo, v34
	v_cmp_gt_i32_e32 vcc_lo, 0, v36
	v_not_b32_e32 v36, v37
	s_wait_alu 0xf1ff
	v_xor_b32_e32 v81, s0, v81
	v_cmp_gt_i32_e64 s0, 0, v37
	v_and_b32_e32 v34, exec_lo, v34
	v_not_b32_e32 v37, v39
	v_ashrrev_i32_e32 v36, 31, v36
	s_wait_alu 0xfffd
	v_xor_b32_e32 v35, vcc_lo, v35
	v_cmp_gt_i32_e32 vcc_lo, 0, v39
	v_and_b32_e32 v34, v34, v81
	v_not_b32_e32 v39, v40
	v_ashrrev_i32_e32 v37, 31, v37
	s_wait_alu 0xf1ff
	v_xor_b32_e32 v36, s0, v36
	v_cmp_gt_i32_e64 s0, 0, v40
	v_and_b32_e32 v34, v34, v35
	v_not_b32_e32 v35, v80
	v_ashrrev_i32_e32 v39, 31, v39
	s_wait_alu 0xfffd
	v_xor_b32_e32 v37, vcc_lo, v37
	v_cmp_gt_i32_e32 vcc_lo, 0, v80
	v_and_b32_e32 v34, v34, v36
	v_not_b32_e32 v36, v38
	v_ashrrev_i32_e32 v35, 31, v35
	s_wait_alu 0xf1ff
	v_xor_b32_e32 v39, s0, v39
	v_lshlrev_b32_e32 v33, 4, v33
	v_and_b32_e32 v34, v34, v37
	v_cmp_gt_i32_e64 s0, 0, v38
	v_ashrrev_i32_e32 v36, 31, v36
	s_wait_alu 0xfffd
	v_xor_b32_e32 v35, vcc_lo, v35
	v_add_nc_u32_e32 v103, v0, v33
	v_and_b32_e32 v34, v34, v39
	s_wait_alu 0xf1ff
	v_xor_b32_e32 v33, s0, v36
	ds_load_b32 v101, v103 offset:16
	v_and_b32_e32 v34, v34, v35
	; wave barrier
	s_delay_alu instid0(VALU_DEP_1) | instskip(NEXT) | instid1(VALU_DEP_1)
	v_and_b32_e32 v33, v34, v33
	v_mbcnt_lo_u32_b32 v102, v33, 0
	v_cmp_ne_u32_e64 s0, 0, v33
	s_delay_alu instid0(VALU_DEP_2)
	v_cmp_eq_u32_e32 vcc_lo, 0, v102
	s_and_b32 s10, s0, vcc_lo
	s_wait_alu 0xfffe
	s_and_saveexec_b32 s0, s10
	s_cbranch_execz .LBB257_59
; %bb.58:
	s_wait_dscnt 0x0
	v_bcnt_u32_b32 v33, v33, v101
	ds_store_b32 v103, v33 offset:16
.LBB257_59:
	s_wait_alu 0xfffe
	s_or_b32 exec_lo, exec_lo, s0
	v_cmp_ne_u16_e32 vcc_lo, 0x7fff, v79
	; wave barrier
	s_wait_alu 0xfffd
	v_cndmask_b32_e32 v33, 0xffff8000, v79, vcc_lo
	s_delay_alu instid0(VALU_DEP_1) | instskip(NEXT) | instid1(VALU_DEP_1)
	v_and_b32_e32 v33, 0xffff, v33
	v_and_b32_e32 v33, s1, v33
	s_delay_alu instid0(VALU_DEP_1)
	v_and_b32_e32 v34, 1, v33
	v_lshlrev_b32_e32 v35, 30, v33
	v_lshlrev_b32_e32 v36, 29, v33
	;; [unrolled: 1-line block ×4, first 2 shown]
	v_add_co_u32 v34, s0, v34, -1
	s_wait_alu 0xf1ff
	v_cndmask_b32_e64 v38, 0, 1, s0
	v_not_b32_e32 v81, v35
	v_cmp_gt_i32_e64 s0, 0, v35
	v_not_b32_e32 v35, v36
	v_lshlrev_b32_e32 v40, 26, v33
	v_cmp_ne_u32_e32 vcc_lo, 0, v38
	v_ashrrev_i32_e32 v81, 31, v81
	v_lshlrev_b32_e32 v80, 25, v33
	v_ashrrev_i32_e32 v35, 31, v35
	v_lshlrev_b32_e32 v38, 24, v33
	s_wait_alu 0xfffd
	v_xor_b32_e32 v34, vcc_lo, v34
	v_cmp_gt_i32_e32 vcc_lo, 0, v36
	v_not_b32_e32 v36, v37
	s_wait_alu 0xf1ff
	v_xor_b32_e32 v81, s0, v81
	v_cmp_gt_i32_e64 s0, 0, v37
	v_and_b32_e32 v34, exec_lo, v34
	v_not_b32_e32 v37, v39
	v_ashrrev_i32_e32 v36, 31, v36
	s_wait_alu 0xfffd
	v_xor_b32_e32 v35, vcc_lo, v35
	v_cmp_gt_i32_e32 vcc_lo, 0, v39
	v_and_b32_e32 v34, v34, v81
	v_not_b32_e32 v39, v40
	v_ashrrev_i32_e32 v37, 31, v37
	s_wait_alu 0xf1ff
	v_xor_b32_e32 v36, s0, v36
	v_cmp_gt_i32_e64 s0, 0, v40
	v_and_b32_e32 v34, v34, v35
	v_not_b32_e32 v35, v80
	v_ashrrev_i32_e32 v39, 31, v39
	s_wait_alu 0xfffd
	v_xor_b32_e32 v37, vcc_lo, v37
	v_cmp_gt_i32_e32 vcc_lo, 0, v80
	v_and_b32_e32 v34, v34, v36
	v_not_b32_e32 v36, v38
	v_ashrrev_i32_e32 v35, 31, v35
	s_wait_alu 0xf1ff
	v_xor_b32_e32 v39, s0, v39
	v_lshlrev_b32_e32 v33, 4, v33
	v_and_b32_e32 v34, v34, v37
	v_cmp_gt_i32_e64 s0, 0, v38
	v_ashrrev_i32_e32 v36, 31, v36
	s_wait_alu 0xfffd
	v_xor_b32_e32 v35, vcc_lo, v35
	v_add_nc_u32_e32 v106, v0, v33
	v_and_b32_e32 v34, v34, v39
	v_min_u32_e32 v80, 0x60, v68
	s_wait_alu 0xf1ff
	v_xor_b32_e32 v33, s0, v36
	ds_load_b32 v104, v106 offset:16
	v_and_b32_e32 v34, v34, v35
	; wave barrier
	s_delay_alu instid0(VALU_DEP_1) | instskip(NEXT) | instid1(VALU_DEP_1)
	v_and_b32_e32 v33, v34, v33
	v_mbcnt_lo_u32_b32 v105, v33, 0
	v_cmp_ne_u32_e64 s0, 0, v33
	s_delay_alu instid0(VALU_DEP_2)
	v_cmp_eq_u32_e32 vcc_lo, 0, v105
	s_and_b32 s1, s0, vcc_lo
	s_wait_alu 0xfffe
	s_and_saveexec_b32 s0, s1
	s_cbranch_execz .LBB257_61
; %bb.60:
	s_wait_dscnt 0x0
	v_bcnt_u32_b32 v33, v33, v104
	ds_store_b32 v106, v33 offset:16
.LBB257_61:
	s_wait_alu 0xfffe
	s_or_b32 exec_lo, exec_lo, s0
	; wave barrier
	s_wait_loadcnt_dscnt 0x0
	s_barrier_signal -1
	s_barrier_wait -1
	global_inv scope:SCOPE_SE
	ds_load_b128 v[37:40], v65 offset:16
	ds_load_b128 v[33:36], v65 offset:32
	v_and_b32_e32 v107, 16, v67
	v_or_b32_e32 v80, 31, v80
	s_delay_alu instid0(VALU_DEP_2) | instskip(NEXT) | instid1(VALU_DEP_2)
	v_cmp_eq_u32_e64 s16, 0, v107
	v_cmp_eq_u32_e64 s14, v41, v80
	v_lshlrev_b32_e32 v80, 2, v66
	s_wait_dscnt 0x1
	v_add_nc_u32_e32 v81, v38, v37
	s_delay_alu instid0(VALU_DEP_1) | instskip(SKIP_1) | instid1(VALU_DEP_1)
	v_add3_u32 v81, v81, v39, v40
	s_wait_dscnt 0x0
	v_add3_u32 v81, v81, v33, v34
	s_delay_alu instid0(VALU_DEP_1) | instskip(SKIP_1) | instid1(VALU_DEP_2)
	v_add3_u32 v36, v81, v35, v36
	v_and_b32_e32 v81, 15, v67
	v_mov_b32_dpp v83, v36 row_shr:1 row_mask:0xf bank_mask:0xf
	s_delay_alu instid0(VALU_DEP_2)
	v_cmp_eq_u32_e64 s0, 0, v81
	v_cmp_lt_u32_e64 s10, 1, v81
	v_cmp_lt_u32_e64 s11, 3, v81
	;; [unrolled: 1-line block ×3, first 2 shown]
	s_wait_alu 0xf1ff
	v_cndmask_b32_e64 v83, v83, 0, s0
	s_delay_alu instid0(VALU_DEP_1) | instskip(NEXT) | instid1(VALU_DEP_1)
	v_add_nc_u32_e32 v36, v83, v36
	v_mov_b32_dpp v83, v36 row_shr:2 row_mask:0xf bank_mask:0xf
	s_delay_alu instid0(VALU_DEP_1) | instskip(NEXT) | instid1(VALU_DEP_1)
	v_cndmask_b32_e64 v83, 0, v83, s10
	v_add_nc_u32_e32 v36, v36, v83
	s_delay_alu instid0(VALU_DEP_1) | instskip(NEXT) | instid1(VALU_DEP_1)
	v_mov_b32_dpp v83, v36 row_shr:4 row_mask:0xf bank_mask:0xf
	v_cndmask_b32_e64 v83, 0, v83, s11
	s_delay_alu instid0(VALU_DEP_1) | instskip(NEXT) | instid1(VALU_DEP_1)
	v_add_nc_u32_e32 v36, v36, v83
	v_mov_b32_dpp v83, v36 row_shr:8 row_mask:0xf bank_mask:0xf
	s_delay_alu instid0(VALU_DEP_1) | instskip(SKIP_1) | instid1(VALU_DEP_2)
	v_cndmask_b32_e64 v81, 0, v83, s13
	v_bfe_i32 v83, v67, 4, 1
	v_add_nc_u32_e32 v81, v36, v81
	ds_swizzle_b32 v36, v81 offset:swizzle(BROADCAST,32,15)
	s_wait_dscnt 0x0
	v_and_b32_e32 v83, v83, v36
	v_mul_i32_i24_e32 v36, 0xffffffe4, v41
	s_delay_alu instid0(VALU_DEP_2)
	v_add_nc_u32_e32 v83, v81, v83
	s_and_saveexec_b32 s1, s14
; %bb.62:
	ds_store_b32 v80, v83
; %bb.63:
	s_wait_alu 0xfffe
	s_or_b32 exec_lo, exec_lo, s1
	v_and_b32_e32 v81, 3, v67
	v_cmp_gt_u32_e64 s15, 4, v41
	s_wait_loadcnt_dscnt 0x0
	s_barrier_signal -1
	s_barrier_wait -1
	v_cmp_eq_u32_e64 s12, 0, v81
	v_cmp_lt_u32_e64 s1, 1, v81
	v_add_nc_u32_e32 v81, v65, v36
	global_inv scope:SCOPE_SE
	s_and_saveexec_b32 s17, s15
	s_cbranch_execz .LBB257_65
; %bb.64:
	ds_load_b32 v36, v81
	s_wait_dscnt 0x0
	v_mov_b32_dpp v107, v36 row_shr:1 row_mask:0xf bank_mask:0xf
	s_delay_alu instid0(VALU_DEP_1) | instskip(NEXT) | instid1(VALU_DEP_1)
	v_cndmask_b32_e64 v107, v107, 0, s12
	v_add_nc_u32_e32 v36, v107, v36
	s_delay_alu instid0(VALU_DEP_1) | instskip(NEXT) | instid1(VALU_DEP_1)
	v_mov_b32_dpp v107, v36 row_shr:2 row_mask:0xf bank_mask:0xf
	v_cndmask_b32_e64 v107, 0, v107, s1
	s_delay_alu instid0(VALU_DEP_1)
	v_add_nc_u32_e32 v36, v36, v107
	ds_store_b32 v81, v36
.LBB257_65:
	s_wait_alu 0xfffe
	s_or_b32 exec_lo, exec_lo, s17
	v_mul_u32_u24_e32 v36, 6, v82
	v_sub_co_u32 v107, vcc_lo, v67, 1
	v_cmp_lt_u32_e64 s17, 31, v41
	v_add_nc_u32_e32 v82, -4, v80
	v_mov_b32_e32 v108, 0
	s_wait_loadcnt_dscnt 0x0
	s_barrier_signal -1
	s_barrier_wait -1
	global_inv scope:SCOPE_SE
	s_and_saveexec_b32 s18, s17
; %bb.66:
	ds_load_b32 v108, v82
; %bb.67:
	s_wait_alu 0xfffe
	s_or_b32 exec_lo, exec_lo, s18
	v_cmp_gt_i32_e64 s18, 0, v107
	s_mov_b32 s24, 0
	s_min_u32 s19, s19, 8
	s_mov_b32 s25, s24
	s_mov_b32 s26, s24
	v_cndmask_b32_e64 v107, v107, v67, s18
	s_mov_b32 s27, s24
	s_wait_dscnt 0x0
	v_add_nc_u32_e32 v109, v108, v83
	v_cmp_eq_u32_e64 s18, 0, v41
	s_wait_alu 0xfffe
	s_lshl_b32 s19, -1, s19
	v_lshlrev_b32_e32 v83, 2, v107
	s_wait_alu 0xfffe
	s_not_b32 s21, s19
	ds_bpermute_b32 v107, v83, v109
	s_wait_dscnt 0x0
	s_wait_alu 0xfffd
	v_cndmask_b32_e32 v107, v107, v108, vcc_lo
	s_delay_alu instid0(VALU_DEP_1) | instskip(NEXT) | instid1(VALU_DEP_1)
	v_cndmask_b32_e64 v107, v107, 0, s18
	v_add_nc_u32_e32 v108, v107, v37
	s_delay_alu instid0(VALU_DEP_1) | instskip(NEXT) | instid1(VALU_DEP_1)
	v_add_nc_u32_e32 v109, v108, v38
	v_add_nc_u32_e32 v110, v109, v39
	s_delay_alu instid0(VALU_DEP_1) | instskip(NEXT) | instid1(VALU_DEP_1)
	v_add_nc_u32_e32 v37, v110, v40
	;; [unrolled: 3-line block ×3, first 2 shown]
	v_add_nc_u32_e32 v40, v39, v35
	ds_store_b128 v65, v[107:110] offset:16
	ds_store_b128 v65, v[37:40] offset:32
	s_wait_loadcnt_dscnt 0x0
	s_barrier_signal -1
	s_barrier_wait -1
	global_inv scope:SCOPE_SE
	ds_load_b32 v33, v85 offset:16
	ds_load_b32 v34, v88 offset:16
	;; [unrolled: 1-line block ×8, first 2 shown]
	v_add_nc_u32_e32 v88, v71, v36
	s_wait_loadcnt_dscnt 0x0
	s_barrier_signal -1
	s_barrier_wait -1
	global_inv scope:SCOPE_SE
	v_add_nc_u32_e32 v84, v33, v84
	v_add3_u32 v86, v87, v86, v34
	v_add3_u32 v87, v90, v89, v35
	;; [unrolled: 1-line block ×7, first 2 shown]
	v_lshlrev_b32_e32 v33, 1, v84
	v_lshlrev_b32_e32 v34, 1, v86
	;; [unrolled: 1-line block ×8, first 2 shown]
	ds_store_b16 v33, v72
	ds_store_b16 v34, v73
	;; [unrolled: 1-line block ×8, first 2 shown]
	s_wait_loadcnt_dscnt 0x0
	s_barrier_signal -1
	s_barrier_wait -1
	global_inv scope:SCOPE_SE
	ds_load_u16 v72, v71
	ds_load_u16 v73, v71 offset:64
	ds_load_u16 v74, v71 offset:128
	;; [unrolled: 1-line block ×7, first 2 shown]
	v_mad_co_u64_u32 v[84:85], null, v84, 6, v[33:34]
	v_mad_co_u64_u32 v[33:34], null, v86, 6, v[34:35]
	;; [unrolled: 1-line block ×3, first 2 shown]
	s_wait_loadcnt_dscnt 0x0
	s_barrier_signal -1
	s_barrier_wait -1
	global_inv scope:SCOPE_SE
	v_mad_co_u64_u32 v[35:36], null, v89, 6, v[36:37]
	v_lshrrev_b16 v79, 8, v72
	v_cmp_ne_u16_e64 s19, 0x7fff, v72
	ds_store_b64 v84, v[17:18]
	v_mad_co_u64_u32 v[36:37], null, v90, 6, v[37:38]
	v_mad_co_u64_u32 v[37:38], null, v91, 6, v[38:39]
	s_wait_alu 0xf1ff
	v_cndmask_b32_e64 v79, 0x80, v79, s19
	v_mad_co_u64_u32 v[38:39], null, v92, 6, v[39:40]
	v_mad_co_u64_u32 v[39:40], null, v93, 6, v[40:41]
	s_delay_alu instid0(VALU_DEP_3)
	v_and_b32_e32 v17, 0xffff, v79
	ds_store_b64 v33, v[19:20]
	ds_store_b64 v34, v[25:26]
	ds_store_b64 v35, v[27:28]
	ds_store_b64 v36, v[21:22]
	ds_store_b64 v37, v[23:24]
	ds_store_b64 v38, v[29:30]
	ds_store_b64 v39, v[31:32]
	s_wait_alu 0xfffe
	v_and_b32_e32 v40, s21, v17
	s_wait_loadcnt_dscnt 0x0
	s_barrier_signal -1
	s_barrier_wait -1
	global_inv scope:SCOPE_SE
	v_and_b32_e32 v17, 1, v40
	v_lshlrev_b32_e32 v18, 30, v40
	v_lshlrev_b32_e32 v19, 29, v40
	;; [unrolled: 1-line block ×4, first 2 shown]
	v_add_co_u32 v17, s19, v17, -1
	s_wait_alu 0xf1ff
	v_cndmask_b32_e64 v21, 0, 1, s19
	v_not_b32_e32 v25, v18
	v_cmp_gt_i32_e64 s20, 0, v18
	v_not_b32_e32 v18, v19
	v_lshlrev_b32_e32 v23, 26, v40
	v_cmp_ne_u32_e64 s19, 0, v21
	v_ashrrev_i32_e32 v25, 31, v25
	v_lshlrev_b32_e32 v24, 25, v40
	v_ashrrev_i32_e32 v18, 31, v18
	v_lshlrev_b32_e32 v21, 24, v40
	s_wait_alu 0xf1ff
	v_xor_b32_e32 v17, s19, v17
	v_cmp_gt_i32_e64 s19, 0, v19
	v_not_b32_e32 v19, v20
	v_xor_b32_e32 v25, s20, v25
	v_cmp_gt_i32_e64 s20, 0, v20
	v_and_b32_e32 v17, exec_lo, v17
	v_not_b32_e32 v20, v22
	v_ashrrev_i32_e32 v19, 31, v19
	s_wait_alu 0xf1ff
	v_xor_b32_e32 v18, s19, v18
	v_cmp_gt_i32_e64 s19, 0, v22
	v_and_b32_e32 v17, v17, v25
	v_not_b32_e32 v22, v23
	v_ashrrev_i32_e32 v20, 31, v20
	v_xor_b32_e32 v19, s20, v19
	v_cmp_gt_i32_e64 s20, 0, v23
	v_and_b32_e32 v17, v17, v18
	v_not_b32_e32 v18, v24
	v_ashrrev_i32_e32 v22, 31, v22
	s_wait_alu 0xf1ff
	v_xor_b32_e32 v20, s19, v20
	v_cmp_gt_i32_e64 s19, 0, v24
	v_and_b32_e32 v17, v17, v19
	v_not_b32_e32 v19, v21
	v_ashrrev_i32_e32 v18, 31, v18
	v_xor_b32_e32 v22, s20, v22
	v_cmp_gt_i32_e64 s20, 0, v21
	v_and_b32_e32 v17, v17, v20
	v_ashrrev_i32_e32 v19, 31, v19
	s_wait_alu 0xf1ff
	v_xor_b32_e32 v18, s19, v18
	v_dual_mov_b32 v37, s27 :: v_dual_mov_b32 v36, s26
	v_and_b32_e32 v17, v17, v22
	v_xor_b32_e32 v33, s20, v19
	ds_load_2addr_b64 v[21:24], v88 offset1:32
	v_dual_mov_b32 v35, s25 :: v_dual_mov_b32 v34, s24
	v_and_b32_e32 v38, v17, v18
	ds_load_2addr_b64 v[29:32], v88 offset0:64 offset1:96
	ds_load_2addr_b64 v[25:28], v88 offset0:128 offset1:160
	;; [unrolled: 1-line block ×3, first 2 shown]
	v_lshl_add_u32 v84, v40, 4, v0
	s_wait_loadcnt_dscnt 0x0
	s_barrier_signal -1
	v_and_b32_e32 v33, v38, v33
	s_barrier_wait -1
	global_inv scope:SCOPE_SE
	ds_store_b128 v65, v[34:37] offset:16
	ds_store_b128 v65, v[34:37] offset:32
	s_wait_loadcnt_dscnt 0x0
	v_mbcnt_lo_u32_b32 v79, v33, 0
	v_cmp_ne_u32_e64 s20, 0, v33
	s_barrier_signal -1
	s_barrier_wait -1
	global_inv scope:SCOPE_SE
	v_cmp_eq_u32_e64 s19, 0, v79
	; wave barrier
	s_and_b32 s20, s20, s19
	s_wait_alu 0xfffe
	s_and_saveexec_b32 s19, s20
; %bb.68:
	v_bcnt_u32_b32 v33, v33, 0
	ds_store_b32 v84, v33 offset:16
; %bb.69:
	s_wait_alu 0xfffe
	s_or_b32 exec_lo, exec_lo, s19
	v_lshrrev_b16 v33, 8, v73
	v_cmp_ne_u16_e64 s19, 0x7fff, v73
	; wave barrier
	s_wait_alu 0xf1ff
	s_delay_alu instid0(VALU_DEP_1) | instskip(NEXT) | instid1(VALU_DEP_1)
	v_cndmask_b32_e64 v33, 0x80, v33, s19
	v_and_b32_e32 v33, s21, v33
	s_delay_alu instid0(VALU_DEP_1)
	v_and_b32_e32 v34, 1, v33
	v_lshlrev_b32_e32 v35, 30, v33
	v_lshlrev_b32_e32 v36, 29, v33
	;; [unrolled: 1-line block ×4, first 2 shown]
	v_add_co_u32 v34, s19, v34, -1
	s_wait_alu 0xf1ff
	v_cndmask_b32_e64 v38, 0, 1, s19
	v_not_b32_e32 v86, v35
	v_cmp_gt_i32_e64 s20, 0, v35
	v_not_b32_e32 v35, v36
	v_lshlrev_b32_e32 v40, 26, v33
	v_cmp_ne_u32_e64 s19, 0, v38
	v_ashrrev_i32_e32 v86, 31, v86
	v_lshlrev_b32_e32 v85, 25, v33
	v_ashrrev_i32_e32 v35, 31, v35
	v_lshlrev_b32_e32 v38, 24, v33
	s_wait_alu 0xf1ff
	v_xor_b32_e32 v34, s19, v34
	v_cmp_gt_i32_e64 s19, 0, v36
	v_not_b32_e32 v36, v37
	v_xor_b32_e32 v86, s20, v86
	v_cmp_gt_i32_e64 s20, 0, v37
	v_and_b32_e32 v34, exec_lo, v34
	v_not_b32_e32 v37, v39
	v_ashrrev_i32_e32 v36, 31, v36
	s_wait_alu 0xf1ff
	v_xor_b32_e32 v35, s19, v35
	v_cmp_gt_i32_e64 s19, 0, v39
	v_and_b32_e32 v34, v34, v86
	v_not_b32_e32 v39, v40
	v_ashrrev_i32_e32 v37, 31, v37
	v_xor_b32_e32 v36, s20, v36
	v_cmp_gt_i32_e64 s20, 0, v40
	v_and_b32_e32 v34, v34, v35
	v_not_b32_e32 v35, v85
	v_ashrrev_i32_e32 v39, 31, v39
	s_wait_alu 0xf1ff
	v_xor_b32_e32 v37, s19, v37
	v_cmp_gt_i32_e64 s19, 0, v85
	v_and_b32_e32 v34, v34, v36
	v_not_b32_e32 v36, v38
	v_ashrrev_i32_e32 v35, 31, v35
	v_xor_b32_e32 v39, s20, v39
	v_cmp_gt_i32_e64 s20, 0, v38
	v_and_b32_e32 v34, v34, v37
	v_ashrrev_i32_e32 v36, 31, v36
	s_wait_alu 0xf1ff
	v_xor_b32_e32 v35, s19, v35
	v_lshl_add_u32 v87, v33, 4, v0
	v_and_b32_e32 v34, v34, v39
	v_xor_b32_e32 v33, s20, v36
	ds_load_b32 v85, v87 offset:16
	v_and_b32_e32 v34, v34, v35
	; wave barrier
	s_delay_alu instid0(VALU_DEP_1) | instskip(NEXT) | instid1(VALU_DEP_1)
	v_and_b32_e32 v33, v34, v33
	v_mbcnt_lo_u32_b32 v86, v33, 0
	v_cmp_ne_u32_e64 s20, 0, v33
	s_delay_alu instid0(VALU_DEP_2)
	v_cmp_eq_u32_e64 s19, 0, v86
	s_and_b32 s20, s20, s19
	s_wait_alu 0xfffe
	s_and_saveexec_b32 s19, s20
	s_cbranch_execz .LBB257_71
; %bb.70:
	s_wait_dscnt 0x0
	v_bcnt_u32_b32 v33, v33, v85
	ds_store_b32 v87, v33 offset:16
.LBB257_71:
	s_wait_alu 0xfffe
	s_or_b32 exec_lo, exec_lo, s19
	v_lshrrev_b16 v33, 8, v74
	v_cmp_ne_u16_e64 s19, 0x7fff, v74
	; wave barrier
	s_wait_alu 0xf1ff
	s_delay_alu instid0(VALU_DEP_1) | instskip(NEXT) | instid1(VALU_DEP_1)
	v_cndmask_b32_e64 v33, 0x80, v33, s19
	v_and_b32_e32 v33, s21, v33
	s_delay_alu instid0(VALU_DEP_1)
	v_and_b32_e32 v34, 1, v33
	v_lshlrev_b32_e32 v35, 30, v33
	v_lshlrev_b32_e32 v36, 29, v33
	;; [unrolled: 1-line block ×4, first 2 shown]
	v_add_co_u32 v34, s19, v34, -1
	s_wait_alu 0xf1ff
	v_cndmask_b32_e64 v38, 0, 1, s19
	v_not_b32_e32 v89, v35
	v_cmp_gt_i32_e64 s20, 0, v35
	v_not_b32_e32 v35, v36
	v_lshlrev_b32_e32 v40, 26, v33
	v_cmp_ne_u32_e64 s19, 0, v38
	v_ashrrev_i32_e32 v89, 31, v89
	v_lshlrev_b32_e32 v88, 25, v33
	v_ashrrev_i32_e32 v35, 31, v35
	v_lshlrev_b32_e32 v38, 24, v33
	s_wait_alu 0xf1ff
	v_xor_b32_e32 v34, s19, v34
	v_cmp_gt_i32_e64 s19, 0, v36
	v_not_b32_e32 v36, v37
	v_xor_b32_e32 v89, s20, v89
	v_cmp_gt_i32_e64 s20, 0, v37
	v_and_b32_e32 v34, exec_lo, v34
	v_not_b32_e32 v37, v39
	v_ashrrev_i32_e32 v36, 31, v36
	s_wait_alu 0xf1ff
	v_xor_b32_e32 v35, s19, v35
	v_cmp_gt_i32_e64 s19, 0, v39
	v_and_b32_e32 v34, v34, v89
	v_not_b32_e32 v39, v40
	v_ashrrev_i32_e32 v37, 31, v37
	v_xor_b32_e32 v36, s20, v36
	v_cmp_gt_i32_e64 s20, 0, v40
	v_and_b32_e32 v34, v34, v35
	v_not_b32_e32 v35, v88
	v_ashrrev_i32_e32 v39, 31, v39
	s_wait_alu 0xf1ff
	v_xor_b32_e32 v37, s19, v37
	v_cmp_gt_i32_e64 s19, 0, v88
	v_and_b32_e32 v34, v34, v36
	v_not_b32_e32 v36, v38
	v_ashrrev_i32_e32 v35, 31, v35
	v_xor_b32_e32 v39, s20, v39
	v_cmp_gt_i32_e64 s20, 0, v38
	v_and_b32_e32 v34, v34, v37
	v_ashrrev_i32_e32 v36, 31, v36
	s_wait_alu 0xf1ff
	v_xor_b32_e32 v35, s19, v35
	v_lshl_add_u32 v90, v33, 4, v0
	v_and_b32_e32 v34, v34, v39
	v_xor_b32_e32 v33, s20, v36
	ds_load_b32 v88, v90 offset:16
	v_and_b32_e32 v34, v34, v35
	; wave barrier
	s_delay_alu instid0(VALU_DEP_1) | instskip(NEXT) | instid1(VALU_DEP_1)
	v_and_b32_e32 v33, v34, v33
	v_mbcnt_lo_u32_b32 v89, v33, 0
	v_cmp_ne_u32_e64 s20, 0, v33
	s_delay_alu instid0(VALU_DEP_2)
	v_cmp_eq_u32_e64 s19, 0, v89
	s_and_b32 s20, s20, s19
	s_wait_alu 0xfffe
	s_and_saveexec_b32 s19, s20
	s_cbranch_execz .LBB257_73
; %bb.72:
	s_wait_dscnt 0x0
	v_bcnt_u32_b32 v33, v33, v88
	ds_store_b32 v90, v33 offset:16
.LBB257_73:
	s_wait_alu 0xfffe
	s_or_b32 exec_lo, exec_lo, s19
	v_lshrrev_b16 v33, 8, v75
	v_cmp_ne_u16_e64 s19, 0x7fff, v75
	; wave barrier
	s_wait_alu 0xf1ff
	s_delay_alu instid0(VALU_DEP_1) | instskip(NEXT) | instid1(VALU_DEP_1)
	v_cndmask_b32_e64 v33, 0x80, v33, s19
	v_and_b32_e32 v33, s21, v33
	s_delay_alu instid0(VALU_DEP_1)
	v_and_b32_e32 v34, 1, v33
	v_lshlrev_b32_e32 v35, 30, v33
	v_lshlrev_b32_e32 v36, 29, v33
	;; [unrolled: 1-line block ×4, first 2 shown]
	v_add_co_u32 v34, s19, v34, -1
	s_wait_alu 0xf1ff
	v_cndmask_b32_e64 v38, 0, 1, s19
	v_not_b32_e32 v92, v35
	v_cmp_gt_i32_e64 s20, 0, v35
	v_not_b32_e32 v35, v36
	v_lshlrev_b32_e32 v40, 26, v33
	v_cmp_ne_u32_e64 s19, 0, v38
	v_ashrrev_i32_e32 v92, 31, v92
	v_lshlrev_b32_e32 v91, 25, v33
	v_ashrrev_i32_e32 v35, 31, v35
	v_lshlrev_b32_e32 v38, 24, v33
	s_wait_alu 0xf1ff
	v_xor_b32_e32 v34, s19, v34
	v_cmp_gt_i32_e64 s19, 0, v36
	v_not_b32_e32 v36, v37
	v_xor_b32_e32 v92, s20, v92
	v_cmp_gt_i32_e64 s20, 0, v37
	v_and_b32_e32 v34, exec_lo, v34
	v_not_b32_e32 v37, v39
	v_ashrrev_i32_e32 v36, 31, v36
	s_wait_alu 0xf1ff
	v_xor_b32_e32 v35, s19, v35
	v_cmp_gt_i32_e64 s19, 0, v39
	v_and_b32_e32 v34, v34, v92
	v_not_b32_e32 v39, v40
	v_ashrrev_i32_e32 v37, 31, v37
	v_xor_b32_e32 v36, s20, v36
	v_cmp_gt_i32_e64 s20, 0, v40
	v_and_b32_e32 v34, v34, v35
	v_not_b32_e32 v35, v91
	v_ashrrev_i32_e32 v39, 31, v39
	s_wait_alu 0xf1ff
	v_xor_b32_e32 v37, s19, v37
	v_cmp_gt_i32_e64 s19, 0, v91
	v_and_b32_e32 v34, v34, v36
	v_not_b32_e32 v36, v38
	v_ashrrev_i32_e32 v35, 31, v35
	v_xor_b32_e32 v39, s20, v39
	v_cmp_gt_i32_e64 s20, 0, v38
	v_and_b32_e32 v34, v34, v37
	v_ashrrev_i32_e32 v36, 31, v36
	s_wait_alu 0xf1ff
	v_xor_b32_e32 v35, s19, v35
	v_lshl_add_u32 v93, v33, 4, v0
	v_and_b32_e32 v34, v34, v39
	v_xor_b32_e32 v33, s20, v36
	ds_load_b32 v91, v93 offset:16
	v_and_b32_e32 v34, v34, v35
	; wave barrier
	s_delay_alu instid0(VALU_DEP_1) | instskip(NEXT) | instid1(VALU_DEP_1)
	v_and_b32_e32 v33, v34, v33
	v_mbcnt_lo_u32_b32 v92, v33, 0
	v_cmp_ne_u32_e64 s20, 0, v33
	s_delay_alu instid0(VALU_DEP_2)
	v_cmp_eq_u32_e64 s19, 0, v92
	s_and_b32 s20, s20, s19
	s_wait_alu 0xfffe
	s_and_saveexec_b32 s19, s20
	s_cbranch_execz .LBB257_75
; %bb.74:
	s_wait_dscnt 0x0
	v_bcnt_u32_b32 v33, v33, v91
	ds_store_b32 v93, v33 offset:16
.LBB257_75:
	s_wait_alu 0xfffe
	s_or_b32 exec_lo, exec_lo, s19
	v_lshrrev_b16 v33, 8, v76
	v_cmp_ne_u16_e64 s19, 0x7fff, v76
	; wave barrier
	s_wait_alu 0xf1ff
	s_delay_alu instid0(VALU_DEP_1) | instskip(NEXT) | instid1(VALU_DEP_1)
	v_cndmask_b32_e64 v33, 0x80, v33, s19
	v_and_b32_e32 v33, s21, v33
	s_delay_alu instid0(VALU_DEP_1)
	v_and_b32_e32 v34, 1, v33
	v_lshlrev_b32_e32 v35, 30, v33
	v_lshlrev_b32_e32 v36, 29, v33
	;; [unrolled: 1-line block ×4, first 2 shown]
	v_add_co_u32 v34, s19, v34, -1
	s_wait_alu 0xf1ff
	v_cndmask_b32_e64 v38, 0, 1, s19
	v_not_b32_e32 v95, v35
	v_cmp_gt_i32_e64 s20, 0, v35
	v_not_b32_e32 v35, v36
	v_lshlrev_b32_e32 v40, 26, v33
	v_cmp_ne_u32_e64 s19, 0, v38
	v_ashrrev_i32_e32 v95, 31, v95
	v_lshlrev_b32_e32 v94, 25, v33
	v_ashrrev_i32_e32 v35, 31, v35
	v_lshlrev_b32_e32 v38, 24, v33
	s_wait_alu 0xf1ff
	v_xor_b32_e32 v34, s19, v34
	v_cmp_gt_i32_e64 s19, 0, v36
	v_not_b32_e32 v36, v37
	v_xor_b32_e32 v95, s20, v95
	v_cmp_gt_i32_e64 s20, 0, v37
	v_and_b32_e32 v34, exec_lo, v34
	v_not_b32_e32 v37, v39
	v_ashrrev_i32_e32 v36, 31, v36
	s_wait_alu 0xf1ff
	v_xor_b32_e32 v35, s19, v35
	v_cmp_gt_i32_e64 s19, 0, v39
	v_and_b32_e32 v34, v34, v95
	v_not_b32_e32 v39, v40
	v_ashrrev_i32_e32 v37, 31, v37
	v_xor_b32_e32 v36, s20, v36
	v_cmp_gt_i32_e64 s20, 0, v40
	v_and_b32_e32 v34, v34, v35
	v_not_b32_e32 v35, v94
	v_ashrrev_i32_e32 v39, 31, v39
	s_wait_alu 0xf1ff
	v_xor_b32_e32 v37, s19, v37
	v_cmp_gt_i32_e64 s19, 0, v94
	v_and_b32_e32 v34, v34, v36
	v_not_b32_e32 v36, v38
	v_ashrrev_i32_e32 v35, 31, v35
	v_xor_b32_e32 v39, s20, v39
	v_cmp_gt_i32_e64 s20, 0, v38
	v_and_b32_e32 v34, v34, v37
	v_ashrrev_i32_e32 v36, 31, v36
	s_wait_alu 0xf1ff
	v_xor_b32_e32 v35, s19, v35
	v_lshl_add_u32 v96, v33, 4, v0
	v_and_b32_e32 v34, v34, v39
	v_xor_b32_e32 v33, s20, v36
	ds_load_b32 v94, v96 offset:16
	v_and_b32_e32 v34, v34, v35
	; wave barrier
	s_delay_alu instid0(VALU_DEP_1) | instskip(NEXT) | instid1(VALU_DEP_1)
	v_and_b32_e32 v33, v34, v33
	v_mbcnt_lo_u32_b32 v95, v33, 0
	v_cmp_ne_u32_e64 s20, 0, v33
	s_delay_alu instid0(VALU_DEP_2)
	v_cmp_eq_u32_e64 s19, 0, v95
	s_and_b32 s20, s20, s19
	s_wait_alu 0xfffe
	s_and_saveexec_b32 s19, s20
	s_cbranch_execz .LBB257_77
; %bb.76:
	s_wait_dscnt 0x0
	v_bcnt_u32_b32 v33, v33, v94
	ds_store_b32 v96, v33 offset:16
.LBB257_77:
	s_wait_alu 0xfffe
	s_or_b32 exec_lo, exec_lo, s19
	v_lshrrev_b16 v33, 8, v77
	v_cmp_ne_u16_e64 s19, 0x7fff, v77
	; wave barrier
	s_wait_alu 0xf1ff
	s_delay_alu instid0(VALU_DEP_1) | instskip(NEXT) | instid1(VALU_DEP_1)
	v_cndmask_b32_e64 v33, 0x80, v33, s19
	v_and_b32_e32 v33, s21, v33
	s_delay_alu instid0(VALU_DEP_1)
	v_and_b32_e32 v34, 1, v33
	v_lshlrev_b32_e32 v35, 30, v33
	v_lshlrev_b32_e32 v36, 29, v33
	;; [unrolled: 1-line block ×4, first 2 shown]
	v_add_co_u32 v34, s19, v34, -1
	s_wait_alu 0xf1ff
	v_cndmask_b32_e64 v38, 0, 1, s19
	v_not_b32_e32 v98, v35
	v_cmp_gt_i32_e64 s20, 0, v35
	v_not_b32_e32 v35, v36
	v_lshlrev_b32_e32 v40, 26, v33
	v_cmp_ne_u32_e64 s19, 0, v38
	v_ashrrev_i32_e32 v98, 31, v98
	v_lshlrev_b32_e32 v97, 25, v33
	v_ashrrev_i32_e32 v35, 31, v35
	v_lshlrev_b32_e32 v38, 24, v33
	s_wait_alu 0xf1ff
	v_xor_b32_e32 v34, s19, v34
	v_cmp_gt_i32_e64 s19, 0, v36
	v_not_b32_e32 v36, v37
	v_xor_b32_e32 v98, s20, v98
	v_cmp_gt_i32_e64 s20, 0, v37
	v_and_b32_e32 v34, exec_lo, v34
	v_not_b32_e32 v37, v39
	v_ashrrev_i32_e32 v36, 31, v36
	s_wait_alu 0xf1ff
	v_xor_b32_e32 v35, s19, v35
	v_cmp_gt_i32_e64 s19, 0, v39
	v_and_b32_e32 v34, v34, v98
	v_not_b32_e32 v39, v40
	v_ashrrev_i32_e32 v37, 31, v37
	v_xor_b32_e32 v36, s20, v36
	v_cmp_gt_i32_e64 s20, 0, v40
	v_and_b32_e32 v34, v34, v35
	v_not_b32_e32 v35, v97
	v_ashrrev_i32_e32 v39, 31, v39
	s_wait_alu 0xf1ff
	v_xor_b32_e32 v37, s19, v37
	v_cmp_gt_i32_e64 s19, 0, v97
	v_and_b32_e32 v34, v34, v36
	v_not_b32_e32 v36, v38
	v_ashrrev_i32_e32 v35, 31, v35
	v_xor_b32_e32 v39, s20, v39
	v_cmp_gt_i32_e64 s20, 0, v38
	v_and_b32_e32 v34, v34, v37
	v_ashrrev_i32_e32 v36, 31, v36
	s_wait_alu 0xf1ff
	v_xor_b32_e32 v35, s19, v35
	v_lshl_add_u32 v99, v33, 4, v0
	v_and_b32_e32 v34, v34, v39
	v_xor_b32_e32 v33, s20, v36
	ds_load_b32 v97, v99 offset:16
	v_and_b32_e32 v34, v34, v35
	; wave barrier
	s_delay_alu instid0(VALU_DEP_1) | instskip(NEXT) | instid1(VALU_DEP_1)
	v_and_b32_e32 v33, v34, v33
	v_mbcnt_lo_u32_b32 v98, v33, 0
	v_cmp_ne_u32_e64 s20, 0, v33
	s_delay_alu instid0(VALU_DEP_2)
	v_cmp_eq_u32_e64 s19, 0, v98
	s_and_b32 s20, s20, s19
	s_wait_alu 0xfffe
	s_and_saveexec_b32 s19, s20
	s_cbranch_execz .LBB257_79
; %bb.78:
	s_wait_dscnt 0x0
	v_bcnt_u32_b32 v33, v33, v97
	ds_store_b32 v99, v33 offset:16
.LBB257_79:
	s_wait_alu 0xfffe
	s_or_b32 exec_lo, exec_lo, s19
	v_lshrrev_b16 v33, 8, v78
	v_cmp_ne_u16_e64 s19, 0x7fff, v78
	; wave barrier
	s_wait_alu 0xf1ff
	s_delay_alu instid0(VALU_DEP_1) | instskip(NEXT) | instid1(VALU_DEP_1)
	v_cndmask_b32_e64 v33, 0x80, v33, s19
	v_and_b32_e32 v33, s21, v33
	s_delay_alu instid0(VALU_DEP_1)
	v_and_b32_e32 v34, 1, v33
	v_lshlrev_b32_e32 v35, 30, v33
	v_lshlrev_b32_e32 v36, 29, v33
	;; [unrolled: 1-line block ×4, first 2 shown]
	v_add_co_u32 v34, s19, v34, -1
	s_wait_alu 0xf1ff
	v_cndmask_b32_e64 v38, 0, 1, s19
	v_not_b32_e32 v101, v35
	v_cmp_gt_i32_e64 s20, 0, v35
	v_not_b32_e32 v35, v36
	v_lshlrev_b32_e32 v40, 26, v33
	v_cmp_ne_u32_e64 s19, 0, v38
	v_ashrrev_i32_e32 v101, 31, v101
	v_lshlrev_b32_e32 v100, 25, v33
	v_ashrrev_i32_e32 v35, 31, v35
	v_lshlrev_b32_e32 v38, 24, v33
	s_wait_alu 0xf1ff
	v_xor_b32_e32 v34, s19, v34
	v_cmp_gt_i32_e64 s19, 0, v36
	v_not_b32_e32 v36, v37
	v_xor_b32_e32 v101, s20, v101
	v_cmp_gt_i32_e64 s20, 0, v37
	v_and_b32_e32 v34, exec_lo, v34
	v_not_b32_e32 v37, v39
	v_ashrrev_i32_e32 v36, 31, v36
	s_wait_alu 0xf1ff
	v_xor_b32_e32 v35, s19, v35
	v_cmp_gt_i32_e64 s19, 0, v39
	v_and_b32_e32 v34, v34, v101
	v_not_b32_e32 v39, v40
	v_ashrrev_i32_e32 v37, 31, v37
	v_xor_b32_e32 v36, s20, v36
	v_cmp_gt_i32_e64 s20, 0, v40
	v_and_b32_e32 v34, v34, v35
	v_not_b32_e32 v35, v100
	v_ashrrev_i32_e32 v39, 31, v39
	s_wait_alu 0xf1ff
	v_xor_b32_e32 v37, s19, v37
	v_cmp_gt_i32_e64 s19, 0, v100
	v_and_b32_e32 v34, v34, v36
	v_not_b32_e32 v36, v38
	v_ashrrev_i32_e32 v35, 31, v35
	v_xor_b32_e32 v39, s20, v39
	v_cmp_gt_i32_e64 s20, 0, v38
	v_and_b32_e32 v34, v34, v37
	v_ashrrev_i32_e32 v36, 31, v36
	s_wait_alu 0xf1ff
	v_xor_b32_e32 v35, s19, v35
	v_lshl_add_u32 v102, v33, 4, v0
	v_and_b32_e32 v34, v34, v39
	v_xor_b32_e32 v33, s20, v36
	ds_load_b32 v100, v102 offset:16
	v_and_b32_e32 v34, v34, v35
	; wave barrier
	s_delay_alu instid0(VALU_DEP_1) | instskip(NEXT) | instid1(VALU_DEP_1)
	v_and_b32_e32 v33, v34, v33
	v_mbcnt_lo_u32_b32 v101, v33, 0
	v_cmp_ne_u32_e64 s20, 0, v33
	s_delay_alu instid0(VALU_DEP_2)
	v_cmp_eq_u32_e64 s19, 0, v101
	s_and_b32 s20, s20, s19
	s_wait_alu 0xfffe
	s_and_saveexec_b32 s19, s20
	s_cbranch_execz .LBB257_81
; %bb.80:
	s_wait_dscnt 0x0
	v_bcnt_u32_b32 v33, v33, v100
	ds_store_b32 v102, v33 offset:16
.LBB257_81:
	s_wait_alu 0xfffe
	s_or_b32 exec_lo, exec_lo, s19
	v_lshrrev_b16 v33, 8, v71
	v_cmp_ne_u16_e64 s19, 0x7fff, v71
	; wave barrier
	s_wait_alu 0xf1ff
	s_delay_alu instid0(VALU_DEP_1) | instskip(NEXT) | instid1(VALU_DEP_1)
	v_cndmask_b32_e64 v33, 0x80, v33, s19
	v_and_b32_e32 v33, s21, v33
	s_delay_alu instid0(VALU_DEP_1)
	v_and_b32_e32 v34, 1, v33
	v_lshlrev_b32_e32 v35, 30, v33
	v_lshlrev_b32_e32 v36, 29, v33
	;; [unrolled: 1-line block ×4, first 2 shown]
	v_add_co_u32 v34, s19, v34, -1
	s_wait_alu 0xf1ff
	v_cndmask_b32_e64 v38, 0, 1, s19
	v_not_b32_e32 v104, v35
	v_cmp_gt_i32_e64 s20, 0, v35
	v_not_b32_e32 v35, v36
	v_lshlrev_b32_e32 v40, 26, v33
	v_cmp_ne_u32_e64 s19, 0, v38
	v_ashrrev_i32_e32 v104, 31, v104
	v_lshlrev_b32_e32 v103, 25, v33
	v_ashrrev_i32_e32 v35, 31, v35
	v_lshlrev_b32_e32 v38, 24, v33
	s_wait_alu 0xf1ff
	v_xor_b32_e32 v34, s19, v34
	v_cmp_gt_i32_e64 s19, 0, v36
	v_not_b32_e32 v36, v37
	v_xor_b32_e32 v104, s20, v104
	v_cmp_gt_i32_e64 s20, 0, v37
	v_and_b32_e32 v34, exec_lo, v34
	v_not_b32_e32 v37, v39
	v_ashrrev_i32_e32 v36, 31, v36
	s_wait_alu 0xf1ff
	v_xor_b32_e32 v35, s19, v35
	v_cmp_gt_i32_e64 s19, 0, v39
	v_and_b32_e32 v34, v34, v104
	v_not_b32_e32 v39, v40
	v_ashrrev_i32_e32 v37, 31, v37
	v_xor_b32_e32 v36, s20, v36
	v_cmp_gt_i32_e64 s20, 0, v40
	v_and_b32_e32 v34, v34, v35
	v_not_b32_e32 v35, v103
	v_ashrrev_i32_e32 v39, 31, v39
	s_wait_alu 0xf1ff
	v_xor_b32_e32 v37, s19, v37
	v_cmp_gt_i32_e64 s19, 0, v103
	v_and_b32_e32 v34, v34, v36
	v_not_b32_e32 v36, v38
	v_ashrrev_i32_e32 v35, 31, v35
	v_xor_b32_e32 v39, s20, v39
	v_cmp_gt_i32_e64 s20, 0, v38
	v_and_b32_e32 v34, v34, v37
	v_ashrrev_i32_e32 v36, 31, v36
	s_wait_alu 0xf1ff
	v_xor_b32_e32 v35, s19, v35
	v_lshl_add_u32 v104, v33, 4, v0
	v_and_b32_e32 v34, v34, v39
	v_xor_b32_e32 v33, s20, v36
	ds_load_b32 v0, v104 offset:16
	v_and_b32_e32 v34, v34, v35
	; wave barrier
	s_delay_alu instid0(VALU_DEP_1) | instskip(NEXT) | instid1(VALU_DEP_1)
	v_and_b32_e32 v33, v34, v33
	v_mbcnt_lo_u32_b32 v103, v33, 0
	v_cmp_ne_u32_e64 s20, 0, v33
	s_delay_alu instid0(VALU_DEP_2)
	v_cmp_eq_u32_e64 s19, 0, v103
	s_and_b32 s20, s20, s19
	s_wait_alu 0xfffe
	s_and_saveexec_b32 s19, s20
	s_cbranch_execz .LBB257_83
; %bb.82:
	s_wait_dscnt 0x0
	v_bcnt_u32_b32 v33, v33, v0
	ds_store_b32 v104, v33 offset:16
.LBB257_83:
	s_wait_alu 0xfffe
	s_or_b32 exec_lo, exec_lo, s19
	; wave barrier
	s_wait_loadcnt_dscnt 0x0
	s_barrier_signal -1
	s_barrier_wait -1
	global_inv scope:SCOPE_SE
	ds_load_b128 v[37:40], v65 offset:16
	ds_load_b128 v[33:36], v65 offset:32
	s_wait_dscnt 0x1
	v_add_nc_u32_e32 v105, v38, v37
	s_delay_alu instid0(VALU_DEP_1) | instskip(SKIP_1) | instid1(VALU_DEP_1)
	v_add3_u32 v105, v105, v39, v40
	s_wait_dscnt 0x0
	v_add3_u32 v105, v105, v33, v34
	s_delay_alu instid0(VALU_DEP_1) | instskip(NEXT) | instid1(VALU_DEP_1)
	v_add3_u32 v36, v105, v35, v36
	v_mov_b32_dpp v105, v36 row_shr:1 row_mask:0xf bank_mask:0xf
	s_delay_alu instid0(VALU_DEP_1) | instskip(NEXT) | instid1(VALU_DEP_1)
	v_cndmask_b32_e64 v105, v105, 0, s0
	v_add_nc_u32_e32 v36, v105, v36
	s_delay_alu instid0(VALU_DEP_1) | instskip(NEXT) | instid1(VALU_DEP_1)
	v_mov_b32_dpp v105, v36 row_shr:2 row_mask:0xf bank_mask:0xf
	v_cndmask_b32_e64 v105, 0, v105, s10
	s_delay_alu instid0(VALU_DEP_1) | instskip(NEXT) | instid1(VALU_DEP_1)
	v_add_nc_u32_e32 v36, v36, v105
	v_mov_b32_dpp v105, v36 row_shr:4 row_mask:0xf bank_mask:0xf
	s_delay_alu instid0(VALU_DEP_1) | instskip(NEXT) | instid1(VALU_DEP_1)
	v_cndmask_b32_e64 v105, 0, v105, s11
	v_add_nc_u32_e32 v36, v36, v105
	s_delay_alu instid0(VALU_DEP_1) | instskip(NEXT) | instid1(VALU_DEP_1)
	v_mov_b32_dpp v105, v36 row_shr:8 row_mask:0xf bank_mask:0xf
	v_cndmask_b32_e64 v105, 0, v105, s13
	s_delay_alu instid0(VALU_DEP_1) | instskip(SKIP_3) | instid1(VALU_DEP_1)
	v_add_nc_u32_e32 v36, v36, v105
	ds_swizzle_b32 v105, v36 offset:swizzle(BROADCAST,32,15)
	s_wait_dscnt 0x0
	v_cndmask_b32_e64 v105, v105, 0, s16
	v_add_nc_u32_e32 v36, v36, v105
	s_and_saveexec_b32 s0, s14
; %bb.84:
	ds_store_b32 v80, v36
; %bb.85:
	s_wait_alu 0xfffe
	s_or_b32 exec_lo, exec_lo, s0
	s_wait_loadcnt_dscnt 0x0
	s_barrier_signal -1
	s_barrier_wait -1
	global_inv scope:SCOPE_SE
	s_and_saveexec_b32 s0, s15
	s_cbranch_execz .LBB257_87
; %bb.86:
	ds_load_b32 v80, v81
	s_wait_dscnt 0x0
	v_mov_b32_dpp v105, v80 row_shr:1 row_mask:0xf bank_mask:0xf
	s_delay_alu instid0(VALU_DEP_1) | instskip(NEXT) | instid1(VALU_DEP_1)
	v_cndmask_b32_e64 v105, v105, 0, s12
	v_add_nc_u32_e32 v80, v105, v80
	s_delay_alu instid0(VALU_DEP_1) | instskip(NEXT) | instid1(VALU_DEP_1)
	v_mov_b32_dpp v105, v80 row_shr:2 row_mask:0xf bank_mask:0xf
	v_cndmask_b32_e64 v105, 0, v105, s1
	s_delay_alu instid0(VALU_DEP_1)
	v_add_nc_u32_e32 v80, v80, v105
	ds_store_b32 v81, v80
.LBB257_87:
	s_wait_alu 0xfffe
	s_or_b32 exec_lo, exec_lo, s0
	v_mov_b32_e32 v80, 0
	s_wait_loadcnt_dscnt 0x0
	s_barrier_signal -1
	s_barrier_wait -1
	global_inv scope:SCOPE_SE
	s_and_saveexec_b32 s0, s17
; %bb.88:
	ds_load_b32 v80, v82
; %bb.89:
	s_wait_alu 0xfffe
	s_or_b32 exec_lo, exec_lo, s0
	s_wait_dscnt 0x0
	v_add_nc_u32_e32 v36, v80, v36
	ds_bpermute_b32 v36, v83, v36
	s_wait_dscnt 0x0
	v_cndmask_b32_e32 v36, v36, v80, vcc_lo
	s_delay_alu instid0(VALU_DEP_1) | instskip(NEXT) | instid1(VALU_DEP_1)
	v_cndmask_b32_e64 v36, v36, 0, s18
	v_add_nc_u32_e32 v37, v36, v37
	s_delay_alu instid0(VALU_DEP_1) | instskip(NEXT) | instid1(VALU_DEP_1)
	v_add_nc_u32_e32 v38, v37, v38
	v_add_nc_u32_e32 v39, v38, v39
	s_delay_alu instid0(VALU_DEP_1) | instskip(NEXT) | instid1(VALU_DEP_1)
	v_add_nc_u32_e32 v80, v39, v40
	;; [unrolled: 3-line block ×3, first 2 shown]
	v_add_nc_u32_e32 v83, v82, v35
	ds_store_b128 v65, v[36:39] offset:16
	ds_store_b128 v65, v[80:83] offset:32
	s_wait_loadcnt_dscnt 0x0
	s_barrier_signal -1
	s_barrier_wait -1
	global_inv scope:SCOPE_SE
	ds_load_b32 v33, v104 offset:16
	ds_load_b32 v34, v102 offset:16
	;; [unrolled: 1-line block ×8, first 2 shown]
	v_lshlrev_b32_e32 v80, 1, v64
	s_wait_loadcnt_dscnt 0x0
	s_barrier_signal -1
	s_barrier_wait -1
	global_inv scope:SCOPE_SE
	v_mad_u32_u24 v81, v41, 48, v80
	v_add3_u32 v82, v103, v0, v33
	v_add3_u32 v83, v101, v100, v34
	v_add3_u32 v84, v98, v97, v35
	v_add_nc_u32_e32 v79, v36, v79
	v_add3_u32 v85, v86, v85, v37
	v_add3_u32 v86, v89, v88, v38
	v_add3_u32 v87, v92, v91, v39
	v_add3_u32 v40, v95, v94, v40
	v_lshlrev_b32_e32 v0, 1, v79
	v_lshlrev_b32_e32 v33, 1, v85
	;; [unrolled: 1-line block ×8, first 2 shown]
	ds_store_b16 v0, v72
	ds_store_b16 v33, v73
	;; [unrolled: 1-line block ×8, first 2 shown]
	v_mad_co_u64_u32 v[71:72], null, v79, 6, v[0:1]
	v_mad_co_u64_u32 v[72:73], null, v85, 6, v[33:34]
	;; [unrolled: 1-line block ×4, first 2 shown]
	s_wait_loadcnt_dscnt 0x0
	s_barrier_signal -1
	s_barrier_wait -1
	global_inv scope:SCOPE_SE
	v_mad_co_u64_u32 v[75:76], null, v40, 6, v[36:37]
	ds_load_b128 v[33:36], v80
	v_mad_co_u64_u32 v[76:77], null, v84, 6, v[37:38]
	v_mad_co_u64_u32 v[37:38], null, v83, 6, v[38:39]
	;; [unrolled: 1-line block ×3, first 2 shown]
	s_wait_loadcnt_dscnt 0x0
	s_barrier_signal -1
	s_barrier_wait -1
	global_inv scope:SCOPE_SE
	ds_store_b64 v71, v[21:22]
	ds_store_b64 v72, v[23:24]
	;; [unrolled: 1-line block ×8, first 2 shown]
	s_wait_loadcnt_dscnt 0x0
	s_barrier_signal -1
	s_barrier_wait -1
	global_inv scope:SCOPE_SE
	ds_load_b128 v[29:32], v81
	ds_load_b128 v[25:28], v81 offset:16
	ds_load_b128 v[21:24], v81 offset:32
	;; [unrolled: 1-line block ×3, first 2 shown]
	v_cmp_lt_i16_e32 vcc_lo, -1, v33
	v_lshrrev_b32_e32 v0, 16, v33
	v_lshrrev_b32_e32 v38, 16, v34
	;; [unrolled: 1-line block ×4, first 2 shown]
	s_wait_alu 0xfffd
	v_cndmask_b32_e64 v37, 0xffff8000, -1, vcc_lo
	v_cmp_lt_i16_e32 vcc_lo, -1, v34
	s_wait_alu 0xfffd
	v_cndmask_b32_e64 v39, 0xffff8000, -1, vcc_lo
	v_cmp_lt_i16_e32 vcc_lo, -1, v35
	s_wait_alu 0xfffd
	v_cndmask_b32_e64 v71, 0xffff8000, -1, vcc_lo
	v_cmp_lt_i16_e32 vcc_lo, -1, v36
	s_wait_alu 0xfffd
	v_cndmask_b32_e64 v73, 0xffff8000, -1, vcc_lo
	v_cmp_lt_i16_e32 vcc_lo, -1, v0
	s_wait_alu 0xfffd
	v_cndmask_b32_e64 v0, 0xffff8000, -1, vcc_lo
	v_cmp_lt_i16_e32 vcc_lo, -1, v38
	s_delay_alu instid0(VALU_DEP_2) | instskip(SKIP_3) | instid1(VALU_DEP_3)
	v_perm_b32 v0, v0, v37, 0x5040100
	s_wait_alu 0xfffd
	v_cndmask_b32_e64 v38, 0xffff8000, -1, vcc_lo
	v_cmp_lt_i16_e32 vcc_lo, -1, v40
	v_xor_b32_e32 v0, v0, v33
	s_delay_alu instid0(VALU_DEP_3) | instskip(SKIP_3) | instid1(VALU_DEP_3)
	v_perm_b32 v37, v38, v39, 0x5040100
	s_wait_alu 0xfffd
	v_cndmask_b32_e64 v40, 0xffff8000, -1, vcc_lo
	v_cmp_lt_i16_e32 vcc_lo, -1, v72
	v_xor_b32_e32 v34, v37, v34
	s_delay_alu instid0(VALU_DEP_3) | instskip(SKIP_2) | instid1(VALU_DEP_2)
	v_perm_b32 v38, v40, v71, 0x5040100
	s_wait_alu 0xfffd
	v_cndmask_b32_e64 v72, 0xffff8000, -1, vcc_lo
	v_xor_b32_e32 v33, v38, v35
	s_delay_alu instid0(VALU_DEP_2) | instskip(NEXT) | instid1(VALU_DEP_1)
	v_perm_b32 v39, v72, v73, 0x5040100
	v_xor_b32_e32 v35, v39, v36
	s_branch .LBB257_142
.LBB257_90:
	v_mad_co_u64_u32 v[2:3], null, s28, v41, 0
	v_dual_mov_b32 v14, v1 :: v_dual_mov_b32 v15, v1
	v_mov_b32_e32 v16, v1
	v_dual_mov_b32 v6, v1 :: v_dual_mov_b32 v7, v1
	v_dual_mov_b32 v8, v1 :: v_dual_mov_b32 v9, v1
	v_mad_co_u64_u32 v[3:4], null, s29, v41, v[3:4]
	v_dual_mov_b32 v4, v1 :: v_dual_mov_b32 v5, v1
	v_dual_mov_b32 v10, v1 :: v_dual_mov_b32 v13, v1
	s_delay_alu instid0(VALU_DEP_3) | instskip(NEXT) | instid1(VALU_DEP_1)
	v_lshlrev_b64_e32 v[2:3], 3, v[2:3]
	v_add_co_u32 v2, vcc_lo, s34, v2
	s_wait_alu 0xfffd
	s_delay_alu instid0(VALU_DEP_2)
	v_add_co_ci_u32_e64 v3, null, s35, v3, vcc_lo
	global_load_b64 v[11:12], v[2:3], off
	v_dual_mov_b32 v2, v1 :: v_dual_mov_b32 v3, v1
	s_or_b32 exec_lo, exec_lo, s0
	s_and_saveexec_b32 s0, s3
	s_cbranch_execz .LBB257_36
.LBB257_91:
	v_mad_co_u64_u32 v[1:2], null, s28, v17, 0
	s_delay_alu instid0(VALU_DEP_1) | instskip(NEXT) | instid1(VALU_DEP_1)
	v_mad_co_u64_u32 v[24:25], null, s29, v17, v[2:3]
	v_mov_b32_e32 v2, v24
	s_delay_alu instid0(VALU_DEP_1) | instskip(NEXT) | instid1(VALU_DEP_1)
	v_lshlrev_b64_e32 v[1:2], 3, v[1:2]
	v_add_co_u32 v1, vcc_lo, s34, v1
	s_wait_alu 0xfffd
	s_delay_alu instid0(VALU_DEP_2)
	v_add_co_ci_u32_e64 v2, null, s35, v2, vcc_lo
	global_load_b64 v[1:2], v[1:2], off
	s_or_b32 exec_lo, exec_lo, s0
	s_and_saveexec_b32 s0, s4
	s_cbranch_execz .LBB257_37
.LBB257_92:
	v_mad_co_u64_u32 v[13:14], null, s28, v18, 0
	s_delay_alu instid0(VALU_DEP_1) | instskip(NEXT) | instid1(VALU_DEP_1)
	v_mad_co_u64_u32 v[24:25], null, s29, v18, v[14:15]
	v_mov_b32_e32 v14, v24
	s_delay_alu instid0(VALU_DEP_1) | instskip(NEXT) | instid1(VALU_DEP_1)
	v_lshlrev_b64_e32 v[13:14], 3, v[13:14]
	v_add_co_u32 v13, vcc_lo, s34, v13
	s_wait_alu 0xfffd
	s_delay_alu instid0(VALU_DEP_2)
	v_add_co_ci_u32_e64 v14, null, s35, v14, vcc_lo
	global_load_b64 v[13:14], v[13:14], off
	s_or_b32 exec_lo, exec_lo, s0
	s_and_saveexec_b32 s0, s5
	s_cbranch_execz .LBB257_38
.LBB257_93:
	v_mad_co_u64_u32 v[15:16], null, s28, v19, 0
	s_delay_alu instid0(VALU_DEP_1) | instskip(NEXT) | instid1(VALU_DEP_1)
	v_mad_co_u64_u32 v[24:25], null, s29, v19, v[16:17]
	v_mov_b32_e32 v16, v24
	s_delay_alu instid0(VALU_DEP_1) | instskip(NEXT) | instid1(VALU_DEP_1)
	v_lshlrev_b64_e32 v[15:16], 3, v[15:16]
	v_add_co_u32 v15, vcc_lo, s34, v15
	s_wait_alu 0xfffd
	s_delay_alu instid0(VALU_DEP_2)
	v_add_co_ci_u32_e64 v16, null, s35, v16, vcc_lo
	global_load_b64 v[15:16], v[15:16], off
	s_or_b32 exec_lo, exec_lo, s0
	s_and_saveexec_b32 s0, s6
	s_cbranch_execz .LBB257_39
.LBB257_94:
	v_mad_co_u64_u32 v[3:4], null, s28, v20, 0
	s_delay_alu instid0(VALU_DEP_1) | instskip(NEXT) | instid1(VALU_DEP_1)
	v_mad_co_u64_u32 v[24:25], null, s29, v20, v[4:5]
	v_mov_b32_e32 v4, v24
	s_delay_alu instid0(VALU_DEP_1) | instskip(NEXT) | instid1(VALU_DEP_1)
	v_lshlrev_b64_e32 v[3:4], 3, v[3:4]
	v_add_co_u32 v3, vcc_lo, s34, v3
	s_wait_alu 0xfffd
	s_delay_alu instid0(VALU_DEP_2)
	v_add_co_ci_u32_e64 v4, null, s35, v4, vcc_lo
	global_load_b64 v[3:4], v[3:4], off
	s_or_b32 exec_lo, exec_lo, s0
	s_and_saveexec_b32 s0, s7
	s_cbranch_execz .LBB257_40
.LBB257_95:
	v_mad_co_u64_u32 v[5:6], null, s28, v21, 0
	s_delay_alu instid0(VALU_DEP_1) | instskip(NEXT) | instid1(VALU_DEP_1)
	v_mad_co_u64_u32 v[24:25], null, s29, v21, v[6:7]
	v_mov_b32_e32 v6, v24
	s_delay_alu instid0(VALU_DEP_1) | instskip(NEXT) | instid1(VALU_DEP_1)
	v_lshlrev_b64_e32 v[5:6], 3, v[5:6]
	v_add_co_u32 v5, vcc_lo, s34, v5
	s_wait_alu 0xfffd
	s_delay_alu instid0(VALU_DEP_2)
	v_add_co_ci_u32_e64 v6, null, s35, v6, vcc_lo
	global_load_b64 v[5:6], v[5:6], off
	s_or_b32 exec_lo, exec_lo, s0
	s_and_saveexec_b32 s0, s8
	s_cbranch_execnz .LBB257_41
	s_branch .LBB257_42
.LBB257_96:
                                        ; implicit-def: $vgpr19_vgpr20
                                        ; implicit-def: $vgpr23_vgpr24
                                        ; implicit-def: $vgpr27_vgpr28
                                        ; implicit-def: $vgpr31_vgpr32
                                        ; implicit-def: $vgpr35
                                        ; implicit-def: $vgpr33
                                        ; implicit-def: $vgpr34
                                        ; implicit-def: $vgpr0
	s_cbranch_execz .LBB257_142
; %bb.97:
	v_lshrrev_b32_e32 v0, 16, v44
	v_cmp_gt_i16_e32 vcc_lo, 0, v44
	s_wait_dscnt 0x0
	v_lshrrev_b32_e32 v17, 16, v45
	v_lshrrev_b32_e32 v18, 16, v42
	;; [unrolled: 1-line block ×3, first 2 shown]
	v_or_b32_e32 v21, v67, v68
	s_wait_alu 0xfffd
	v_cndmask_b32_e64 v20, 0x7fff, 0, vcc_lo
	v_cmp_gt_i16_e32 vcc_lo, 0, v0
	v_and_or_b32 v36, 0x1f00, v64, v67
	s_mov_b32 s12, 0
	s_getpc_b64 s[0:1]
	s_sext_i32_i16 s1, s1
	s_add_co_u32 s0, s0, _ZN7rocprim17ROCPRIM_400000_NS16block_radix_sortI12hip_bfloat16Lj128ELj8ElLj1ELj1ELj0ELNS0_26block_radix_rank_algorithmE1ELNS0_18block_padding_hintE2ELNS0_4arch9wavefront6targetE0EE19radix_bits_per_passE@rel32@lo+8
	s_add_co_ci_u32 s1, s1, _ZN7rocprim17ROCPRIM_400000_NS16block_radix_sortI12hip_bfloat16Lj128ELj8ElLj1ELj1ELj0ELNS0_26block_radix_rank_algorithmE1ELNS0_18block_padding_hintE2ELNS0_4arch9wavefront6targetE0EE19radix_bits_per_passE@rel32@hi+16
	s_mov_b32 s13, s12
	s_wait_alu 0xfffd
	v_cndmask_b32_e64 v0, 0x7fff, 0, vcc_lo
	v_cmp_gt_i16_e32 vcc_lo, 0, v45
	s_mov_b32 s14, s12
	s_mov_b32 s15, s12
	v_lshlrev_b32_e32 v25, 1, v36
	v_perm_b32 v0, v0, v20, 0x5040100
	s_wait_alu 0xfffd
	v_cndmask_b32_e64 v22, 0x7fff, 0, vcc_lo
	v_cmp_gt_i16_e32 vcc_lo, 0, v17
	s_load_b32 s19, s[0:1], 0x0
	v_cndmask_b32_e64 v17, 0x7fff, 0, vcc_lo
	v_cmp_gt_i16_e32 vcc_lo, 0, v42
	s_delay_alu instid0(VALU_DEP_2)
	v_perm_b32 v20, v17, v22, 0x5040100
	s_wait_alu 0xfffd
	v_cndmask_b32_e64 v23, 0x7fff, 0, vcc_lo
	v_cmp_gt_i16_e32 vcc_lo, 0, v18
	v_xor_b32_e32 v17, v0, v44
	s_wait_alu 0xfffd
	v_cndmask_b32_e64 v18, 0x7fff, 0, vcc_lo
	v_cmp_gt_i16_e32 vcc_lo, 0, v43
	s_wait_kmcnt 0x0
	s_min_u32 s0, s19, 16
	s_delay_alu instid0(VALU_DEP_2)
	v_perm_b32 v22, v18, v23, 0x5040100
	s_wait_alu 0xfffd
	v_cndmask_b32_e64 v24, 0x7fff, 0, vcc_lo
	v_cmp_gt_i16_e32 vcc_lo, 0, v19
	v_lshlrev_b32_e32 v23, 4, v21
	v_xor_b32_e32 v18, v20, v45
	s_lshl_b32 s0, -1, s0
	s_wait_alu 0xfffd
	v_cndmask_b32_e64 v19, 0x7fff, 0, vcc_lo
	s_not_b32 s1, s0
	s_delay_alu instid0(VALU_DEP_1) | instskip(SKIP_1) | instid1(VALU_DEP_2)
	v_perm_b32 v24, v19, v24, 0x5040100
	v_xor_b32_e32 v19, v22, v42
	v_xor_b32_e32 v20, v24, v43
	ds_store_b128 v23, v[17:20]
	; wave barrier
	ds_load_u16 v26, v25
	ds_load_u16 v27, v25 offset:64
	ds_load_u16 v28, v25 offset:128
	ds_load_u16 v29, v25 offset:192
	ds_load_u16 v30, v25 offset:256
	ds_load_u16 v31, v25 offset:320
	ds_load_u16 v32, v25 offset:384
	ds_load_u16 v33, v25 offset:448
	s_wait_loadcnt_dscnt 0x0
	s_barrier_signal -1
	s_barrier_wait -1
	global_inv scope:SCOPE_SE
	v_cmp_ne_u16_e32 vcc_lo, 0x8000, v26
	s_wait_alu 0xfffd
	v_cndmask_b32_e32 v0, 0x7fff, v26, vcc_lo
	v_mad_u32_u24 v17, v21, 48, v23
	ds_store_b128 v17, v[13:16]
	ds_store_b128 v17, v[9:12] offset:16
	v_and_b32_e32 v0, 0xffff, v0
	ds_store_b128 v17, v[5:8] offset:32
	ds_store_b128 v17, v[1:4] offset:48
	v_mad_u32_u24 v12, v36, 6, v25
	; wave barrier
	v_and_b32_e32 v23, s1, v0
	ds_load_2addr_b64 v[8:11], v12 offset1:32
	ds_load_2addr_b64 v[0:3], v12 offset0:64 offset1:96
	v_and_b32_e32 v4, 1, v23
	v_lshlrev_b32_e32 v18, 30, v23
	v_lshlrev_b32_e32 v19, 29, v23
	;; [unrolled: 1-line block ×3, first 2 shown]
	s_delay_alu instid0(VALU_DEP_4)
	v_add_co_u32 v16, s0, v4, -1
	s_wait_alu 0xf1ff
	v_cndmask_b32_e64 v17, 0, 1, s0
	ds_load_2addr_b64 v[4:7], v12 offset0:128 offset1:160
	ds_load_2addr_b64 v[12:15], v12 offset0:192 offset1:224
	s_wait_loadcnt_dscnt 0x0
	s_barrier_signal -1
	v_cmp_ne_u32_e32 vcc_lo, 0, v17
	v_not_b32_e32 v17, v18
	s_barrier_wait -1
	global_inv scope:SCOPE_SE
	s_load_b32 s0, s[36:37], 0xc
	v_xor_b32_e32 v16, vcc_lo, v16
	v_cmp_gt_i32_e32 vcc_lo, 0, v18
	v_ashrrev_i32_e32 v17, 31, v17
	v_not_b32_e32 v18, v19
	s_delay_alu instid0(VALU_DEP_4) | instskip(SKIP_1) | instid1(VALU_DEP_3)
	v_and_b32_e32 v16, exec_lo, v16
	s_wait_alu 0xfffd
	v_xor_b32_e32 v17, vcc_lo, v17
	v_cmp_gt_i32_e32 vcc_lo, 0, v19
	v_ashrrev_i32_e32 v18, 31, v18
	v_not_b32_e32 v19, v20
	s_delay_alu instid0(VALU_DEP_4)
	v_and_b32_e32 v16, v16, v17
	v_lshlrev_b32_e32 v17, 27, v23
	s_wait_alu 0xfffd
	v_xor_b32_e32 v18, vcc_lo, v18
	v_cmp_gt_i32_e32 vcc_lo, 0, v20
	v_ashrrev_i32_e32 v19, 31, v19
	v_not_b32_e32 v20, v17
	s_delay_alu instid0(VALU_DEP_4)
	v_and_b32_e32 v16, v16, v18
	v_lshlrev_b32_e32 v18, 26, v23
	s_wait_alu 0xfffd
	v_xor_b32_e32 v19, vcc_lo, v19
	v_cmp_gt_i32_e32 vcc_lo, 0, v17
	v_ashrrev_i32_e32 v17, 31, v20
	s_wait_kmcnt 0x0
	s_lshr_b32 s10, s0, 16
	v_not_b32_e32 v20, v18
	v_and_b32_e32 v16, v16, v19
	v_lshlrev_b32_e32 v19, 25, v23
	s_wait_alu 0xfffd
	v_xor_b32_e32 v17, vcc_lo, v17
	v_cmp_gt_i32_e32 vcc_lo, 0, v18
	v_ashrrev_i32_e32 v18, 31, v20
	s_wait_alu 0xfffe
	v_mad_u32_u24 v21, v70, s10, v69
	v_not_b32_e32 v20, v19
	v_and_b32_e32 v16, v16, v17
	v_lshlrev_b32_e32 v17, 24, v23
	s_wait_alu 0xfffd
	v_xor_b32_e32 v18, vcc_lo, v18
	v_cmp_gt_i32_e32 vcc_lo, 0, v19
	v_ashrrev_i32_e32 v19, 31, v20
	s_and_b32 s0, s0, 0xffff
	v_not_b32_e32 v20, v17
	v_and_b32_e32 v16, v16, v18
	s_wait_alu 0xfffe
	v_mad_co_u64_u32 v[21:22], null, v21, s0, v[41:42]
	s_wait_alu 0xfffd
	v_xor_b32_e32 v18, vcc_lo, v19
	v_cmp_gt_i32_e32 vcc_lo, 0, v17
	v_ashrrev_i32_e32 v17, 31, v20
	s_delay_alu instid0(VALU_DEP_3) | instskip(SKIP_2) | instid1(VALU_DEP_3)
	v_and_b32_e32 v16, v16, v18
	v_lshrrev_b32_e32 v21, 5, v21
	s_wait_alu 0xfffd
	v_xor_b32_e32 v22, vcc_lo, v17
	v_dual_mov_b32 v20, s15 :: v_dual_mov_b32 v19, s14
	v_dual_mov_b32 v18, s13 :: v_dual_mov_b32 v17, s12
	s_delay_alu instid0(VALU_DEP_3)
	v_and_b32_e32 v16, v16, v22
	ds_store_b128 v65, v[17:20] offset:16
	ds_store_b128 v65, v[17:20] offset:32
	v_mbcnt_lo_u32_b32 v38, v16, 0
	v_lshlrev_b32_e32 v24, 2, v21
	v_lshlrev_b32_e32 v17, 4, v23
	v_cmp_ne_u32_e64 s0, 0, v16
	s_wait_loadcnt_dscnt 0x0
	v_cmp_eq_u32_e32 vcc_lo, 0, v38
	s_barrier_signal -1
	v_add_nc_u32_e32 v39, v24, v17
	s_barrier_wait -1
	global_inv scope:SCOPE_SE
	s_and_b32 s10, s0, vcc_lo
	; wave barrier
	s_wait_alu 0xfffe
	s_and_saveexec_b32 s0, s10
; %bb.98:
	v_bcnt_u32_b32 v16, v16, 0
	ds_store_b32 v39, v16 offset:16
; %bb.99:
	s_wait_alu 0xfffe
	s_or_b32 exec_lo, exec_lo, s0
	v_cmp_ne_u16_e32 vcc_lo, 0x8000, v27
	; wave barrier
	s_wait_alu 0xfffd
	v_cndmask_b32_e32 v16, 0x7fff, v27, vcc_lo
	s_delay_alu instid0(VALU_DEP_1) | instskip(NEXT) | instid1(VALU_DEP_1)
	v_and_b32_e32 v16, 0xffff, v16
	v_and_b32_e32 v16, s1, v16
	s_delay_alu instid0(VALU_DEP_1)
	v_and_b32_e32 v17, 1, v16
	v_lshlrev_b32_e32 v18, 30, v16
	v_lshlrev_b32_e32 v19, 29, v16
	v_lshlrev_b32_e32 v20, 28, v16
	v_lshlrev_b32_e32 v22, 27, v16
	v_add_co_u32 v17, s0, v17, -1
	s_wait_alu 0xf1ff
	v_cndmask_b32_e64 v21, 0, 1, s0
	v_not_b32_e32 v35, v18
	v_cmp_gt_i32_e64 s0, 0, v18
	v_not_b32_e32 v18, v19
	v_lshlrev_b32_e32 v23, 26, v16
	v_cmp_ne_u32_e32 vcc_lo, 0, v21
	v_ashrrev_i32_e32 v35, 31, v35
	v_lshlrev_b32_e32 v34, 25, v16
	v_ashrrev_i32_e32 v18, 31, v18
	v_lshlrev_b32_e32 v21, 24, v16
	s_wait_alu 0xfffd
	v_xor_b32_e32 v17, vcc_lo, v17
	v_cmp_gt_i32_e32 vcc_lo, 0, v19
	v_not_b32_e32 v19, v20
	s_wait_alu 0xf1ff
	v_xor_b32_e32 v35, s0, v35
	v_cmp_gt_i32_e64 s0, 0, v20
	v_and_b32_e32 v17, exec_lo, v17
	v_not_b32_e32 v20, v22
	v_ashrrev_i32_e32 v19, 31, v19
	s_wait_alu 0xfffd
	v_xor_b32_e32 v18, vcc_lo, v18
	v_cmp_gt_i32_e32 vcc_lo, 0, v22
	v_and_b32_e32 v17, v17, v35
	v_not_b32_e32 v22, v23
	v_ashrrev_i32_e32 v20, 31, v20
	s_wait_alu 0xf1ff
	v_xor_b32_e32 v19, s0, v19
	v_cmp_gt_i32_e64 s0, 0, v23
	v_and_b32_e32 v17, v17, v18
	v_not_b32_e32 v18, v34
	v_ashrrev_i32_e32 v22, 31, v22
	s_wait_alu 0xfffd
	v_xor_b32_e32 v20, vcc_lo, v20
	v_cmp_gt_i32_e32 vcc_lo, 0, v34
	v_and_b32_e32 v17, v17, v19
	v_not_b32_e32 v19, v21
	v_ashrrev_i32_e32 v18, 31, v18
	s_wait_alu 0xf1ff
	v_xor_b32_e32 v22, s0, v22
	v_lshlrev_b32_e32 v16, 4, v16
	v_and_b32_e32 v17, v17, v20
	v_cmp_gt_i32_e64 s0, 0, v21
	v_ashrrev_i32_e32 v19, 31, v19
	s_wait_alu 0xfffd
	v_xor_b32_e32 v18, vcc_lo, v18
	v_add_nc_u32_e32 v43, v24, v16
	v_and_b32_e32 v17, v17, v22
	s_wait_alu 0xf1ff
	v_xor_b32_e32 v16, s0, v19
	ds_load_b32 v40, v43 offset:16
	v_and_b32_e32 v17, v17, v18
	; wave barrier
	s_delay_alu instid0(VALU_DEP_1) | instskip(NEXT) | instid1(VALU_DEP_1)
	v_and_b32_e32 v16, v17, v16
	v_mbcnt_lo_u32_b32 v42, v16, 0
	v_cmp_ne_u32_e64 s0, 0, v16
	s_delay_alu instid0(VALU_DEP_2)
	v_cmp_eq_u32_e32 vcc_lo, 0, v42
	s_and_b32 s10, s0, vcc_lo
	s_wait_alu 0xfffe
	s_and_saveexec_b32 s0, s10
	s_cbranch_execz .LBB257_101
; %bb.100:
	s_wait_dscnt 0x0
	v_bcnt_u32_b32 v16, v16, v40
	ds_store_b32 v43, v16 offset:16
.LBB257_101:
	s_wait_alu 0xfffe
	s_or_b32 exec_lo, exec_lo, s0
	v_cmp_ne_u16_e32 vcc_lo, 0x8000, v28
	; wave barrier
	s_wait_alu 0xfffd
	v_cndmask_b32_e32 v16, 0x7fff, v28, vcc_lo
	s_delay_alu instid0(VALU_DEP_1) | instskip(NEXT) | instid1(VALU_DEP_1)
	v_and_b32_e32 v16, 0xffff, v16
	v_and_b32_e32 v16, s1, v16
	s_delay_alu instid0(VALU_DEP_1)
	v_and_b32_e32 v17, 1, v16
	v_lshlrev_b32_e32 v18, 30, v16
	v_lshlrev_b32_e32 v19, 29, v16
	;; [unrolled: 1-line block ×4, first 2 shown]
	v_add_co_u32 v17, s0, v17, -1
	s_wait_alu 0xf1ff
	v_cndmask_b32_e64 v21, 0, 1, s0
	v_not_b32_e32 v35, v18
	v_cmp_gt_i32_e64 s0, 0, v18
	v_not_b32_e32 v18, v19
	v_lshlrev_b32_e32 v23, 26, v16
	v_cmp_ne_u32_e32 vcc_lo, 0, v21
	v_ashrrev_i32_e32 v35, 31, v35
	v_lshlrev_b32_e32 v34, 25, v16
	v_ashrrev_i32_e32 v18, 31, v18
	v_lshlrev_b32_e32 v21, 24, v16
	s_wait_alu 0xfffd
	v_xor_b32_e32 v17, vcc_lo, v17
	v_cmp_gt_i32_e32 vcc_lo, 0, v19
	v_not_b32_e32 v19, v20
	s_wait_alu 0xf1ff
	v_xor_b32_e32 v35, s0, v35
	v_cmp_gt_i32_e64 s0, 0, v20
	v_and_b32_e32 v17, exec_lo, v17
	v_not_b32_e32 v20, v22
	v_ashrrev_i32_e32 v19, 31, v19
	s_wait_alu 0xfffd
	v_xor_b32_e32 v18, vcc_lo, v18
	v_cmp_gt_i32_e32 vcc_lo, 0, v22
	v_and_b32_e32 v17, v17, v35
	v_not_b32_e32 v22, v23
	v_ashrrev_i32_e32 v20, 31, v20
	s_wait_alu 0xf1ff
	v_xor_b32_e32 v19, s0, v19
	v_cmp_gt_i32_e64 s0, 0, v23
	v_and_b32_e32 v17, v17, v18
	v_not_b32_e32 v18, v34
	v_ashrrev_i32_e32 v22, 31, v22
	s_wait_alu 0xfffd
	v_xor_b32_e32 v20, vcc_lo, v20
	v_cmp_gt_i32_e32 vcc_lo, 0, v34
	v_and_b32_e32 v17, v17, v19
	v_not_b32_e32 v19, v21
	v_ashrrev_i32_e32 v18, 31, v18
	s_wait_alu 0xf1ff
	v_xor_b32_e32 v22, s0, v22
	v_lshlrev_b32_e32 v16, 4, v16
	v_and_b32_e32 v17, v17, v20
	v_cmp_gt_i32_e64 s0, 0, v21
	v_ashrrev_i32_e32 v19, 31, v19
	s_wait_alu 0xfffd
	v_xor_b32_e32 v18, vcc_lo, v18
	v_add_nc_u32_e32 v69, v24, v16
	v_and_b32_e32 v17, v17, v22
	s_wait_alu 0xf1ff
	v_xor_b32_e32 v16, s0, v19
	ds_load_b32 v44, v69 offset:16
	v_and_b32_e32 v17, v17, v18
	; wave barrier
	s_delay_alu instid0(VALU_DEP_1) | instskip(NEXT) | instid1(VALU_DEP_1)
	v_and_b32_e32 v16, v17, v16
	v_mbcnt_lo_u32_b32 v45, v16, 0
	v_cmp_ne_u32_e64 s0, 0, v16
	s_delay_alu instid0(VALU_DEP_2)
	v_cmp_eq_u32_e32 vcc_lo, 0, v45
	s_and_b32 s10, s0, vcc_lo
	s_wait_alu 0xfffe
	s_and_saveexec_b32 s0, s10
	s_cbranch_execz .LBB257_103
; %bb.102:
	s_wait_dscnt 0x0
	v_bcnt_u32_b32 v16, v16, v44
	ds_store_b32 v69, v16 offset:16
.LBB257_103:
	s_wait_alu 0xfffe
	s_or_b32 exec_lo, exec_lo, s0
	v_cmp_ne_u16_e32 vcc_lo, 0x8000, v29
	; wave barrier
	s_wait_alu 0xfffd
	v_cndmask_b32_e32 v16, 0x7fff, v29, vcc_lo
	s_delay_alu instid0(VALU_DEP_1) | instskip(NEXT) | instid1(VALU_DEP_1)
	v_and_b32_e32 v16, 0xffff, v16
	v_and_b32_e32 v16, s1, v16
	s_delay_alu instid0(VALU_DEP_1)
	v_and_b32_e32 v17, 1, v16
	v_lshlrev_b32_e32 v18, 30, v16
	v_lshlrev_b32_e32 v19, 29, v16
	;; [unrolled: 1-line block ×4, first 2 shown]
	v_add_co_u32 v17, s0, v17, -1
	s_wait_alu 0xf1ff
	v_cndmask_b32_e64 v21, 0, 1, s0
	v_not_b32_e32 v35, v18
	v_cmp_gt_i32_e64 s0, 0, v18
	v_not_b32_e32 v18, v19
	v_lshlrev_b32_e32 v23, 26, v16
	v_cmp_ne_u32_e32 vcc_lo, 0, v21
	v_ashrrev_i32_e32 v35, 31, v35
	v_lshlrev_b32_e32 v34, 25, v16
	v_ashrrev_i32_e32 v18, 31, v18
	v_lshlrev_b32_e32 v21, 24, v16
	s_wait_alu 0xfffd
	v_xor_b32_e32 v17, vcc_lo, v17
	v_cmp_gt_i32_e32 vcc_lo, 0, v19
	v_not_b32_e32 v19, v20
	s_wait_alu 0xf1ff
	v_xor_b32_e32 v35, s0, v35
	v_cmp_gt_i32_e64 s0, 0, v20
	v_and_b32_e32 v17, exec_lo, v17
	v_not_b32_e32 v20, v22
	v_ashrrev_i32_e32 v19, 31, v19
	s_wait_alu 0xfffd
	v_xor_b32_e32 v18, vcc_lo, v18
	v_cmp_gt_i32_e32 vcc_lo, 0, v22
	v_and_b32_e32 v17, v17, v35
	v_not_b32_e32 v22, v23
	v_ashrrev_i32_e32 v20, 31, v20
	s_wait_alu 0xf1ff
	v_xor_b32_e32 v19, s0, v19
	v_cmp_gt_i32_e64 s0, 0, v23
	v_and_b32_e32 v17, v17, v18
	v_not_b32_e32 v18, v34
	v_ashrrev_i32_e32 v22, 31, v22
	s_wait_alu 0xfffd
	v_xor_b32_e32 v20, vcc_lo, v20
	v_cmp_gt_i32_e32 vcc_lo, 0, v34
	v_and_b32_e32 v17, v17, v19
	v_not_b32_e32 v19, v21
	v_ashrrev_i32_e32 v18, 31, v18
	s_wait_alu 0xf1ff
	v_xor_b32_e32 v22, s0, v22
	v_lshlrev_b32_e32 v16, 4, v16
	v_and_b32_e32 v17, v17, v20
	v_cmp_gt_i32_e64 s0, 0, v21
	v_ashrrev_i32_e32 v19, 31, v19
	s_wait_alu 0xfffd
	v_xor_b32_e32 v18, vcc_lo, v18
	v_add_nc_u32_e32 v72, v24, v16
	v_and_b32_e32 v17, v17, v22
	s_wait_alu 0xf1ff
	v_xor_b32_e32 v16, s0, v19
	ds_load_b32 v70, v72 offset:16
	v_and_b32_e32 v17, v17, v18
	; wave barrier
	s_delay_alu instid0(VALU_DEP_1) | instskip(NEXT) | instid1(VALU_DEP_1)
	v_and_b32_e32 v16, v17, v16
	v_mbcnt_lo_u32_b32 v71, v16, 0
	v_cmp_ne_u32_e64 s0, 0, v16
	s_delay_alu instid0(VALU_DEP_2)
	v_cmp_eq_u32_e32 vcc_lo, 0, v71
	s_and_b32 s10, s0, vcc_lo
	s_wait_alu 0xfffe
	s_and_saveexec_b32 s0, s10
	s_cbranch_execz .LBB257_105
; %bb.104:
	s_wait_dscnt 0x0
	v_bcnt_u32_b32 v16, v16, v70
	ds_store_b32 v72, v16 offset:16
.LBB257_105:
	s_wait_alu 0xfffe
	s_or_b32 exec_lo, exec_lo, s0
	v_cmp_ne_u16_e32 vcc_lo, 0x8000, v30
	; wave barrier
	s_wait_alu 0xfffd
	v_cndmask_b32_e32 v16, 0x7fff, v30, vcc_lo
	s_delay_alu instid0(VALU_DEP_1) | instskip(NEXT) | instid1(VALU_DEP_1)
	v_and_b32_e32 v16, 0xffff, v16
	v_and_b32_e32 v16, s1, v16
	s_delay_alu instid0(VALU_DEP_1)
	v_and_b32_e32 v17, 1, v16
	v_lshlrev_b32_e32 v18, 30, v16
	v_lshlrev_b32_e32 v19, 29, v16
	;; [unrolled: 1-line block ×4, first 2 shown]
	v_add_co_u32 v17, s0, v17, -1
	s_wait_alu 0xf1ff
	v_cndmask_b32_e64 v21, 0, 1, s0
	v_not_b32_e32 v35, v18
	v_cmp_gt_i32_e64 s0, 0, v18
	v_not_b32_e32 v18, v19
	v_lshlrev_b32_e32 v23, 26, v16
	v_cmp_ne_u32_e32 vcc_lo, 0, v21
	v_ashrrev_i32_e32 v35, 31, v35
	v_lshlrev_b32_e32 v34, 25, v16
	v_ashrrev_i32_e32 v18, 31, v18
	v_lshlrev_b32_e32 v21, 24, v16
	s_wait_alu 0xfffd
	v_xor_b32_e32 v17, vcc_lo, v17
	v_cmp_gt_i32_e32 vcc_lo, 0, v19
	v_not_b32_e32 v19, v20
	s_wait_alu 0xf1ff
	v_xor_b32_e32 v35, s0, v35
	v_cmp_gt_i32_e64 s0, 0, v20
	v_and_b32_e32 v17, exec_lo, v17
	v_not_b32_e32 v20, v22
	v_ashrrev_i32_e32 v19, 31, v19
	s_wait_alu 0xfffd
	v_xor_b32_e32 v18, vcc_lo, v18
	v_cmp_gt_i32_e32 vcc_lo, 0, v22
	v_and_b32_e32 v17, v17, v35
	v_not_b32_e32 v22, v23
	v_ashrrev_i32_e32 v20, 31, v20
	s_wait_alu 0xf1ff
	v_xor_b32_e32 v19, s0, v19
	v_cmp_gt_i32_e64 s0, 0, v23
	v_and_b32_e32 v17, v17, v18
	v_not_b32_e32 v18, v34
	v_ashrrev_i32_e32 v22, 31, v22
	s_wait_alu 0xfffd
	v_xor_b32_e32 v20, vcc_lo, v20
	v_cmp_gt_i32_e32 vcc_lo, 0, v34
	v_and_b32_e32 v17, v17, v19
	v_not_b32_e32 v19, v21
	v_ashrrev_i32_e32 v18, 31, v18
	s_wait_alu 0xf1ff
	v_xor_b32_e32 v22, s0, v22
	v_lshlrev_b32_e32 v16, 4, v16
	v_and_b32_e32 v17, v17, v20
	v_cmp_gt_i32_e64 s0, 0, v21
	v_ashrrev_i32_e32 v19, 31, v19
	s_wait_alu 0xfffd
	v_xor_b32_e32 v18, vcc_lo, v18
	v_add_nc_u32_e32 v75, v24, v16
	v_and_b32_e32 v17, v17, v22
	s_wait_alu 0xf1ff
	v_xor_b32_e32 v16, s0, v19
	ds_load_b32 v73, v75 offset:16
	v_and_b32_e32 v17, v17, v18
	; wave barrier
	s_delay_alu instid0(VALU_DEP_1) | instskip(NEXT) | instid1(VALU_DEP_1)
	v_and_b32_e32 v16, v17, v16
	v_mbcnt_lo_u32_b32 v74, v16, 0
	v_cmp_ne_u32_e64 s0, 0, v16
	s_delay_alu instid0(VALU_DEP_2)
	v_cmp_eq_u32_e32 vcc_lo, 0, v74
	s_and_b32 s10, s0, vcc_lo
	s_wait_alu 0xfffe
	s_and_saveexec_b32 s0, s10
	s_cbranch_execz .LBB257_107
; %bb.106:
	s_wait_dscnt 0x0
	v_bcnt_u32_b32 v16, v16, v73
	ds_store_b32 v75, v16 offset:16
.LBB257_107:
	s_wait_alu 0xfffe
	s_or_b32 exec_lo, exec_lo, s0
	v_cmp_ne_u16_e32 vcc_lo, 0x8000, v31
	; wave barrier
	s_wait_alu 0xfffd
	v_cndmask_b32_e32 v16, 0x7fff, v31, vcc_lo
	s_delay_alu instid0(VALU_DEP_1) | instskip(NEXT) | instid1(VALU_DEP_1)
	v_and_b32_e32 v16, 0xffff, v16
	v_and_b32_e32 v16, s1, v16
	s_delay_alu instid0(VALU_DEP_1)
	v_and_b32_e32 v17, 1, v16
	v_lshlrev_b32_e32 v18, 30, v16
	v_lshlrev_b32_e32 v19, 29, v16
	;; [unrolled: 1-line block ×4, first 2 shown]
	v_add_co_u32 v17, s0, v17, -1
	s_wait_alu 0xf1ff
	v_cndmask_b32_e64 v21, 0, 1, s0
	v_not_b32_e32 v35, v18
	v_cmp_gt_i32_e64 s0, 0, v18
	v_not_b32_e32 v18, v19
	v_lshlrev_b32_e32 v23, 26, v16
	v_cmp_ne_u32_e32 vcc_lo, 0, v21
	v_ashrrev_i32_e32 v35, 31, v35
	v_lshlrev_b32_e32 v34, 25, v16
	v_ashrrev_i32_e32 v18, 31, v18
	v_lshlrev_b32_e32 v21, 24, v16
	s_wait_alu 0xfffd
	v_xor_b32_e32 v17, vcc_lo, v17
	v_cmp_gt_i32_e32 vcc_lo, 0, v19
	v_not_b32_e32 v19, v20
	s_wait_alu 0xf1ff
	v_xor_b32_e32 v35, s0, v35
	v_cmp_gt_i32_e64 s0, 0, v20
	v_and_b32_e32 v17, exec_lo, v17
	v_not_b32_e32 v20, v22
	v_ashrrev_i32_e32 v19, 31, v19
	s_wait_alu 0xfffd
	v_xor_b32_e32 v18, vcc_lo, v18
	v_cmp_gt_i32_e32 vcc_lo, 0, v22
	v_and_b32_e32 v17, v17, v35
	v_not_b32_e32 v22, v23
	v_ashrrev_i32_e32 v20, 31, v20
	s_wait_alu 0xf1ff
	v_xor_b32_e32 v19, s0, v19
	v_cmp_gt_i32_e64 s0, 0, v23
	v_and_b32_e32 v17, v17, v18
	v_not_b32_e32 v18, v34
	v_ashrrev_i32_e32 v22, 31, v22
	s_wait_alu 0xfffd
	v_xor_b32_e32 v20, vcc_lo, v20
	v_cmp_gt_i32_e32 vcc_lo, 0, v34
	v_and_b32_e32 v17, v17, v19
	v_not_b32_e32 v19, v21
	v_ashrrev_i32_e32 v18, 31, v18
	s_wait_alu 0xf1ff
	v_xor_b32_e32 v22, s0, v22
	v_lshlrev_b32_e32 v16, 4, v16
	v_and_b32_e32 v17, v17, v20
	v_cmp_gt_i32_e64 s0, 0, v21
	v_ashrrev_i32_e32 v19, 31, v19
	s_wait_alu 0xfffd
	v_xor_b32_e32 v18, vcc_lo, v18
	v_add_nc_u32_e32 v78, v24, v16
	v_and_b32_e32 v17, v17, v22
	s_wait_alu 0xf1ff
	v_xor_b32_e32 v16, s0, v19
	ds_load_b32 v76, v78 offset:16
	v_and_b32_e32 v17, v17, v18
	; wave barrier
	s_delay_alu instid0(VALU_DEP_1) | instskip(NEXT) | instid1(VALU_DEP_1)
	v_and_b32_e32 v16, v17, v16
	v_mbcnt_lo_u32_b32 v77, v16, 0
	v_cmp_ne_u32_e64 s0, 0, v16
	s_delay_alu instid0(VALU_DEP_2)
	v_cmp_eq_u32_e32 vcc_lo, 0, v77
	s_and_b32 s10, s0, vcc_lo
	s_wait_alu 0xfffe
	s_and_saveexec_b32 s0, s10
	s_cbranch_execz .LBB257_109
; %bb.108:
	s_wait_dscnt 0x0
	v_bcnt_u32_b32 v16, v16, v76
	ds_store_b32 v78, v16 offset:16
.LBB257_109:
	s_wait_alu 0xfffe
	s_or_b32 exec_lo, exec_lo, s0
	v_cmp_ne_u16_e32 vcc_lo, 0x8000, v32
	; wave barrier
	s_wait_alu 0xfffd
	v_cndmask_b32_e32 v16, 0x7fff, v32, vcc_lo
	s_delay_alu instid0(VALU_DEP_1) | instskip(NEXT) | instid1(VALU_DEP_1)
	v_and_b32_e32 v16, 0xffff, v16
	v_and_b32_e32 v16, s1, v16
	s_delay_alu instid0(VALU_DEP_1)
	v_and_b32_e32 v17, 1, v16
	v_lshlrev_b32_e32 v18, 30, v16
	v_lshlrev_b32_e32 v19, 29, v16
	v_lshlrev_b32_e32 v20, 28, v16
	v_lshlrev_b32_e32 v22, 27, v16
	v_add_co_u32 v17, s0, v17, -1
	s_wait_alu 0xf1ff
	v_cndmask_b32_e64 v21, 0, 1, s0
	v_not_b32_e32 v35, v18
	v_cmp_gt_i32_e64 s0, 0, v18
	v_not_b32_e32 v18, v19
	v_lshlrev_b32_e32 v23, 26, v16
	v_cmp_ne_u32_e32 vcc_lo, 0, v21
	v_ashrrev_i32_e32 v35, 31, v35
	v_lshlrev_b32_e32 v34, 25, v16
	v_ashrrev_i32_e32 v18, 31, v18
	v_lshlrev_b32_e32 v21, 24, v16
	s_wait_alu 0xfffd
	v_xor_b32_e32 v17, vcc_lo, v17
	v_cmp_gt_i32_e32 vcc_lo, 0, v19
	v_not_b32_e32 v19, v20
	s_wait_alu 0xf1ff
	v_xor_b32_e32 v35, s0, v35
	v_cmp_gt_i32_e64 s0, 0, v20
	v_and_b32_e32 v17, exec_lo, v17
	v_not_b32_e32 v20, v22
	v_ashrrev_i32_e32 v19, 31, v19
	s_wait_alu 0xfffd
	v_xor_b32_e32 v18, vcc_lo, v18
	v_cmp_gt_i32_e32 vcc_lo, 0, v22
	v_and_b32_e32 v17, v17, v35
	v_not_b32_e32 v22, v23
	v_ashrrev_i32_e32 v20, 31, v20
	s_wait_alu 0xf1ff
	v_xor_b32_e32 v19, s0, v19
	v_cmp_gt_i32_e64 s0, 0, v23
	v_and_b32_e32 v17, v17, v18
	v_not_b32_e32 v18, v34
	v_ashrrev_i32_e32 v22, 31, v22
	s_wait_alu 0xfffd
	v_xor_b32_e32 v20, vcc_lo, v20
	v_cmp_gt_i32_e32 vcc_lo, 0, v34
	v_and_b32_e32 v17, v17, v19
	v_not_b32_e32 v19, v21
	v_ashrrev_i32_e32 v18, 31, v18
	s_wait_alu 0xf1ff
	v_xor_b32_e32 v22, s0, v22
	v_lshlrev_b32_e32 v16, 4, v16
	v_and_b32_e32 v17, v17, v20
	v_cmp_gt_i32_e64 s0, 0, v21
	v_ashrrev_i32_e32 v19, 31, v19
	s_wait_alu 0xfffd
	v_xor_b32_e32 v18, vcc_lo, v18
	v_add_nc_u32_e32 v81, v24, v16
	v_and_b32_e32 v17, v17, v22
	s_wait_alu 0xf1ff
	v_xor_b32_e32 v16, s0, v19
	ds_load_b32 v79, v81 offset:16
	v_and_b32_e32 v17, v17, v18
	; wave barrier
	s_delay_alu instid0(VALU_DEP_1) | instskip(NEXT) | instid1(VALU_DEP_1)
	v_and_b32_e32 v16, v17, v16
	v_mbcnt_lo_u32_b32 v80, v16, 0
	v_cmp_ne_u32_e64 s0, 0, v16
	s_delay_alu instid0(VALU_DEP_2)
	v_cmp_eq_u32_e32 vcc_lo, 0, v80
	s_and_b32 s10, s0, vcc_lo
	s_wait_alu 0xfffe
	s_and_saveexec_b32 s0, s10
	s_cbranch_execz .LBB257_111
; %bb.110:
	s_wait_dscnt 0x0
	v_bcnt_u32_b32 v16, v16, v79
	ds_store_b32 v81, v16 offset:16
.LBB257_111:
	s_wait_alu 0xfffe
	s_or_b32 exec_lo, exec_lo, s0
	v_cmp_ne_u16_e32 vcc_lo, 0x8000, v33
	; wave barrier
	s_wait_alu 0xfffd
	v_cndmask_b32_e32 v16, 0x7fff, v33, vcc_lo
	s_delay_alu instid0(VALU_DEP_1) | instskip(NEXT) | instid1(VALU_DEP_1)
	v_and_b32_e32 v16, 0xffff, v16
	v_and_b32_e32 v16, s1, v16
	s_delay_alu instid0(VALU_DEP_1)
	v_and_b32_e32 v17, 1, v16
	v_lshlrev_b32_e32 v18, 30, v16
	v_lshlrev_b32_e32 v19, 29, v16
	;; [unrolled: 1-line block ×4, first 2 shown]
	v_add_co_u32 v17, s0, v17, -1
	s_wait_alu 0xf1ff
	v_cndmask_b32_e64 v21, 0, 1, s0
	v_not_b32_e32 v35, v18
	v_cmp_gt_i32_e64 s0, 0, v18
	v_not_b32_e32 v18, v19
	v_lshlrev_b32_e32 v23, 26, v16
	v_cmp_ne_u32_e32 vcc_lo, 0, v21
	v_ashrrev_i32_e32 v35, 31, v35
	v_lshlrev_b32_e32 v34, 25, v16
	v_ashrrev_i32_e32 v18, 31, v18
	v_lshlrev_b32_e32 v21, 24, v16
	s_wait_alu 0xfffd
	v_xor_b32_e32 v17, vcc_lo, v17
	v_cmp_gt_i32_e32 vcc_lo, 0, v19
	v_not_b32_e32 v19, v20
	s_wait_alu 0xf1ff
	v_xor_b32_e32 v35, s0, v35
	v_cmp_gt_i32_e64 s0, 0, v20
	v_and_b32_e32 v17, exec_lo, v17
	v_not_b32_e32 v20, v22
	v_ashrrev_i32_e32 v19, 31, v19
	s_wait_alu 0xfffd
	v_xor_b32_e32 v18, vcc_lo, v18
	v_cmp_gt_i32_e32 vcc_lo, 0, v22
	v_and_b32_e32 v17, v17, v35
	v_not_b32_e32 v22, v23
	v_ashrrev_i32_e32 v20, 31, v20
	s_wait_alu 0xf1ff
	v_xor_b32_e32 v19, s0, v19
	v_cmp_gt_i32_e64 s0, 0, v23
	v_and_b32_e32 v17, v17, v18
	v_not_b32_e32 v18, v34
	v_ashrrev_i32_e32 v22, 31, v22
	s_wait_alu 0xfffd
	v_xor_b32_e32 v20, vcc_lo, v20
	v_cmp_gt_i32_e32 vcc_lo, 0, v34
	v_and_b32_e32 v17, v17, v19
	v_not_b32_e32 v19, v21
	v_ashrrev_i32_e32 v18, 31, v18
	s_wait_alu 0xf1ff
	v_xor_b32_e32 v22, s0, v22
	v_lshlrev_b32_e32 v16, 4, v16
	v_and_b32_e32 v17, v17, v20
	v_cmp_gt_i32_e64 s0, 0, v21
	v_ashrrev_i32_e32 v19, 31, v19
	s_wait_alu 0xfffd
	v_xor_b32_e32 v18, vcc_lo, v18
	v_add_nc_u32_e32 v84, v24, v16
	v_and_b32_e32 v17, v17, v22
	v_min_u32_e32 v34, 0x60, v68
	s_wait_alu 0xf1ff
	v_xor_b32_e32 v16, s0, v19
	ds_load_b32 v82, v84 offset:16
	v_and_b32_e32 v17, v17, v18
	; wave barrier
	s_delay_alu instid0(VALU_DEP_1) | instskip(NEXT) | instid1(VALU_DEP_1)
	v_and_b32_e32 v16, v17, v16
	v_mbcnt_lo_u32_b32 v83, v16, 0
	v_cmp_ne_u32_e64 s0, 0, v16
	s_delay_alu instid0(VALU_DEP_2)
	v_cmp_eq_u32_e32 vcc_lo, 0, v83
	s_and_b32 s1, s0, vcc_lo
	s_wait_alu 0xfffe
	s_and_saveexec_b32 s0, s1
	s_cbranch_execz .LBB257_113
; %bb.112:
	s_wait_dscnt 0x0
	v_bcnt_u32_b32 v16, v16, v82
	ds_store_b32 v84, v16 offset:16
.LBB257_113:
	s_wait_alu 0xfffe
	s_or_b32 exec_lo, exec_lo, s0
	; wave barrier
	s_wait_loadcnt_dscnt 0x0
	s_barrier_signal -1
	s_barrier_wait -1
	global_inv scope:SCOPE_SE
	ds_load_b128 v[20:23], v65 offset:16
	ds_load_b128 v[16:19], v65 offset:32
	v_and_b32_e32 v68, 16, v67
	v_or_b32_e32 v34, 31, v34
	s_delay_alu instid0(VALU_DEP_2) | instskip(NEXT) | instid1(VALU_DEP_2)
	v_cmp_eq_u32_e64 s16, 0, v68
	v_cmp_eq_u32_e64 s14, v41, v34
	v_lshlrev_b32_e32 v34, 2, v66
	s_wait_dscnt 0x1
	v_add_nc_u32_e32 v35, v21, v20
	s_delay_alu instid0(VALU_DEP_1) | instskip(SKIP_1) | instid1(VALU_DEP_1)
	v_add3_u32 v35, v35, v22, v23
	s_wait_dscnt 0x0
	v_add3_u32 v35, v35, v16, v17
	s_delay_alu instid0(VALU_DEP_1) | instskip(SKIP_1) | instid1(VALU_DEP_2)
	v_add3_u32 v19, v35, v18, v19
	v_and_b32_e32 v35, 15, v67
	v_mov_b32_dpp v37, v19 row_shr:1 row_mask:0xf bank_mask:0xf
	s_delay_alu instid0(VALU_DEP_2)
	v_cmp_eq_u32_e64 s0, 0, v35
	v_cmp_lt_u32_e64 s10, 1, v35
	v_cmp_lt_u32_e64 s11, 3, v35
	;; [unrolled: 1-line block ×3, first 2 shown]
	s_wait_alu 0xf1ff
	v_cndmask_b32_e64 v37, v37, 0, s0
	s_delay_alu instid0(VALU_DEP_1) | instskip(NEXT) | instid1(VALU_DEP_1)
	v_add_nc_u32_e32 v19, v37, v19
	v_mov_b32_dpp v37, v19 row_shr:2 row_mask:0xf bank_mask:0xf
	s_delay_alu instid0(VALU_DEP_1) | instskip(NEXT) | instid1(VALU_DEP_1)
	v_cndmask_b32_e64 v37, 0, v37, s10
	v_add_nc_u32_e32 v19, v19, v37
	s_delay_alu instid0(VALU_DEP_1) | instskip(NEXT) | instid1(VALU_DEP_1)
	v_mov_b32_dpp v37, v19 row_shr:4 row_mask:0xf bank_mask:0xf
	v_cndmask_b32_e64 v37, 0, v37, s11
	s_delay_alu instid0(VALU_DEP_1) | instskip(NEXT) | instid1(VALU_DEP_1)
	v_add_nc_u32_e32 v19, v19, v37
	v_mov_b32_dpp v37, v19 row_shr:8 row_mask:0xf bank_mask:0xf
	s_delay_alu instid0(VALU_DEP_1) | instskip(SKIP_1) | instid1(VALU_DEP_2)
	v_cndmask_b32_e64 v35, 0, v37, s13
	v_bfe_i32 v37, v67, 4, 1
	v_add_nc_u32_e32 v35, v19, v35
	ds_swizzle_b32 v19, v35 offset:swizzle(BROADCAST,32,15)
	s_wait_dscnt 0x0
	v_and_b32_e32 v37, v37, v19
	v_mul_i32_i24_e32 v19, 0xffffffe4, v41
	s_delay_alu instid0(VALU_DEP_2)
	v_add_nc_u32_e32 v37, v35, v37
	s_and_saveexec_b32 s1, s14
; %bb.114:
	ds_store_b32 v34, v37
; %bb.115:
	s_wait_alu 0xfffe
	s_or_b32 exec_lo, exec_lo, s1
	v_and_b32_e32 v35, 3, v67
	v_cmp_gt_u32_e64 s15, 4, v41
	s_wait_loadcnt_dscnt 0x0
	s_barrier_signal -1
	s_barrier_wait -1
	v_cmp_eq_u32_e64 s12, 0, v35
	v_cmp_lt_u32_e64 s1, 1, v35
	v_add_nc_u32_e32 v35, v65, v19
	global_inv scope:SCOPE_SE
	s_and_saveexec_b32 s17, s15
	s_cbranch_execz .LBB257_117
; %bb.116:
	ds_load_b32 v19, v35
	s_wait_dscnt 0x0
	v_mov_b32_dpp v66, v19 row_shr:1 row_mask:0xf bank_mask:0xf
	s_delay_alu instid0(VALU_DEP_1) | instskip(NEXT) | instid1(VALU_DEP_1)
	v_cndmask_b32_e64 v66, v66, 0, s12
	v_add_nc_u32_e32 v19, v66, v19
	s_delay_alu instid0(VALU_DEP_1) | instskip(NEXT) | instid1(VALU_DEP_1)
	v_mov_b32_dpp v66, v19 row_shr:2 row_mask:0xf bank_mask:0xf
	v_cndmask_b32_e64 v66, 0, v66, s1
	s_delay_alu instid0(VALU_DEP_1)
	v_add_nc_u32_e32 v19, v19, v66
	ds_store_b32 v35, v19
.LBB257_117:
	s_wait_alu 0xfffe
	s_or_b32 exec_lo, exec_lo, s17
	v_mul_u32_u24_e32 v19, 6, v36
	v_sub_co_u32 v66, vcc_lo, v67, 1
	v_cmp_lt_u32_e64 s17, 31, v41
	v_add_nc_u32_e32 v36, -4, v34
	v_mov_b32_e32 v68, 0
	s_wait_loadcnt_dscnt 0x0
	s_barrier_signal -1
	s_barrier_wait -1
	global_inv scope:SCOPE_SE
	s_and_saveexec_b32 s18, s17
; %bb.118:
	ds_load_b32 v68, v36
; %bb.119:
	s_wait_alu 0xfffe
	s_or_b32 exec_lo, exec_lo, s18
	v_cmp_gt_i32_e64 s18, 0, v66
	s_mov_b32 s24, 0
	s_min_u32 s19, s19, 8
	s_mov_b32 s25, s24
	s_mov_b32 s26, s24
	v_cndmask_b32_e64 v66, v66, v67, s18
	s_wait_dscnt 0x0
	v_add_nc_u32_e32 v67, v68, v37
	s_mov_b32 s27, s24
	v_cmp_eq_u32_e64 s18, 0, v41
	s_wait_alu 0xfffe
	s_lshl_b32 s19, -1, s19
	v_lshlrev_b32_e32 v37, 2, v66
	s_wait_alu 0xfffe
	s_not_b32 s21, s19
	ds_bpermute_b32 v66, v37, v67
	s_wait_dscnt 0x0
	s_wait_alu 0xfffd
	v_cndmask_b32_e32 v66, v66, v68, vcc_lo
	s_delay_alu instid0(VALU_DEP_1) | instskip(NEXT) | instid1(VALU_DEP_1)
	v_cndmask_b32_e64 v85, v66, 0, s18
	v_add_nc_u32_e32 v86, v85, v20
	s_delay_alu instid0(VALU_DEP_1) | instskip(NEXT) | instid1(VALU_DEP_1)
	v_add_nc_u32_e32 v87, v86, v21
	v_add_nc_u32_e32 v88, v87, v22
	s_delay_alu instid0(VALU_DEP_1) | instskip(NEXT) | instid1(VALU_DEP_1)
	v_add_nc_u32_e32 v20, v88, v23
	;; [unrolled: 3-line block ×3, first 2 shown]
	v_add_nc_u32_e32 v23, v22, v18
	ds_store_b128 v65, v[85:88] offset:16
	ds_store_b128 v65, v[20:23] offset:32
	s_wait_loadcnt_dscnt 0x0
	s_barrier_signal -1
	s_barrier_wait -1
	global_inv scope:SCOPE_SE
	ds_load_b32 v16, v39 offset:16
	ds_load_b32 v17, v43 offset:16
	;; [unrolled: 1-line block ×8, first 2 shown]
	v_add_nc_u32_e32 v43, v25, v19
	s_wait_loadcnt_dscnt 0x0
	s_barrier_signal -1
	s_barrier_wait -1
	global_inv scope:SCOPE_SE
	v_add_nc_u32_e32 v38, v16, v38
	v_add3_u32 v40, v42, v40, v17
	v_add3_u32 v42, v45, v44, v18
	;; [unrolled: 1-line block ×7, first 2 shown]
	v_lshlrev_b32_e32 v16, 1, v38
	v_lshlrev_b32_e32 v17, 1, v40
	v_lshlrev_b32_e32 v18, 1, v42
	v_lshlrev_b32_e32 v19, 1, v44
	v_lshlrev_b32_e32 v20, 1, v45
	v_lshlrev_b32_e32 v21, 1, v66
	v_lshlrev_b32_e32 v22, 1, v67
	v_lshlrev_b32_e32 v23, 1, v68
	ds_store_b16 v16, v26
	ds_store_b16 v17, v27
	;; [unrolled: 1-line block ×8, first 2 shown]
	s_wait_loadcnt_dscnt 0x0
	s_barrier_signal -1
	s_barrier_wait -1
	global_inv scope:SCOPE_SE
	ds_load_u16 v26, v25
	ds_load_u16 v27, v25 offset:64
	ds_load_u16 v28, v25 offset:128
	;; [unrolled: 1-line block ×7, first 2 shown]
	v_mad_co_u64_u32 v[38:39], null, v38, 6, v[16:17]
	v_mad_co_u64_u32 v[16:17], null, v40, 6, v[17:18]
	;; [unrolled: 1-line block ×3, first 2 shown]
	s_wait_loadcnt_dscnt 0x0
	s_barrier_signal -1
	s_barrier_wait -1
	global_inv scope:SCOPE_SE
	v_mad_co_u64_u32 v[18:19], null, v44, 6, v[19:20]
	v_lshrrev_b16 v33, 8, v26
	v_cmp_ne_u16_e64 s19, 0x8000, v26
	ds_store_b64 v38, v[8:9]
	v_mad_co_u64_u32 v[19:20], null, v45, 6, v[20:21]
	v_mad_co_u64_u32 v[20:21], null, v66, 6, v[21:22]
	s_wait_alu 0xf1ff
	v_cndmask_b32_e64 v33, 0x7f, v33, s19
	v_mad_co_u64_u32 v[21:22], null, v67, 6, v[22:23]
	v_mad_co_u64_u32 v[22:23], null, v68, 6, v[23:24]
	s_delay_alu instid0(VALU_DEP_3)
	v_and_b32_e32 v8, 0xffff, v33
	ds_store_b64 v16, v[10:11]
	ds_store_b64 v17, v[0:1]
	;; [unrolled: 1-line block ×7, first 2 shown]
	s_wait_alu 0xfffe
	v_and_b32_e32 v23, s21, v8
	s_wait_loadcnt_dscnt 0x0
	s_barrier_signal -1
	s_barrier_wait -1
	global_inv scope:SCOPE_SE
	v_and_b32_e32 v0, 1, v23
	v_lshlrev_b32_e32 v1, 30, v23
	v_lshlrev_b32_e32 v2, 29, v23
	;; [unrolled: 1-line block ×4, first 2 shown]
	v_add_co_u32 v0, s19, v0, -1
	s_wait_alu 0xf1ff
	v_cndmask_b32_e64 v4, 0, 1, s19
	v_not_b32_e32 v8, v1
	v_cmp_gt_i32_e64 s20, 0, v1
	v_not_b32_e32 v1, v2
	v_lshlrev_b32_e32 v6, 26, v23
	v_cmp_ne_u32_e64 s19, 0, v4
	v_ashrrev_i32_e32 v8, 31, v8
	v_lshlrev_b32_e32 v7, 25, v23
	v_ashrrev_i32_e32 v1, 31, v1
	v_lshlrev_b32_e32 v4, 24, v23
	s_wait_alu 0xf1ff
	v_xor_b32_e32 v0, s19, v0
	v_cmp_gt_i32_e64 s19, 0, v2
	v_not_b32_e32 v2, v3
	v_xor_b32_e32 v8, s20, v8
	v_cmp_gt_i32_e64 s20, 0, v3
	v_and_b32_e32 v0, exec_lo, v0
	v_not_b32_e32 v3, v5
	v_ashrrev_i32_e32 v2, 31, v2
	s_wait_alu 0xf1ff
	v_xor_b32_e32 v1, s19, v1
	v_cmp_gt_i32_e64 s19, 0, v5
	v_and_b32_e32 v0, v0, v8
	v_not_b32_e32 v5, v6
	v_ashrrev_i32_e32 v3, 31, v3
	v_xor_b32_e32 v2, s20, v2
	v_cmp_gt_i32_e64 s20, 0, v6
	v_and_b32_e32 v0, v0, v1
	v_not_b32_e32 v1, v7
	v_ashrrev_i32_e32 v5, 31, v5
	s_wait_alu 0xf1ff
	v_xor_b32_e32 v3, s19, v3
	v_cmp_gt_i32_e64 s19, 0, v7
	v_and_b32_e32 v0, v0, v2
	v_not_b32_e32 v2, v4
	v_ashrrev_i32_e32 v1, 31, v1
	v_xor_b32_e32 v5, s20, v5
	v_cmp_gt_i32_e64 s20, 0, v4
	v_and_b32_e32 v0, v0, v3
	v_ashrrev_i32_e32 v2, 31, v2
	s_wait_alu 0xf1ff
	v_xor_b32_e32 v1, s19, v1
	v_dual_mov_b32 v17, s24 :: v_dual_mov_b32 v18, s25
	v_and_b32_e32 v0, v0, v5
	v_xor_b32_e32 v16, s20, v2
	ds_load_2addr_b64 v[4:7], v43 offset1:32
	v_dual_mov_b32 v19, s26 :: v_dual_mov_b32 v20, s27
	v_and_b32_e32 v21, v0, v1
	ds_load_2addr_b64 v[12:15], v43 offset0:64 offset1:96
	ds_load_2addr_b64 v[8:11], v43 offset0:128 offset1:160
	;; [unrolled: 1-line block ×3, first 2 shown]
	v_lshl_add_u32 v38, v23, 4, v24
	s_wait_loadcnt_dscnt 0x0
	s_barrier_signal -1
	v_and_b32_e32 v16, v21, v16
	s_barrier_wait -1
	global_inv scope:SCOPE_SE
	ds_store_b128 v65, v[17:20] offset:16
	ds_store_b128 v65, v[17:20] offset:32
	s_wait_loadcnt_dscnt 0x0
	v_mbcnt_lo_u32_b32 v33, v16, 0
	v_cmp_ne_u32_e64 s20, 0, v16
	s_barrier_signal -1
	s_barrier_wait -1
	global_inv scope:SCOPE_SE
	v_cmp_eq_u32_e64 s19, 0, v33
	; wave barrier
	s_and_b32 s20, s20, s19
	s_wait_alu 0xfffe
	s_and_saveexec_b32 s19, s20
; %bb.120:
	v_bcnt_u32_b32 v16, v16, 0
	ds_store_b32 v38, v16 offset:16
; %bb.121:
	s_wait_alu 0xfffe
	s_or_b32 exec_lo, exec_lo, s19
	v_lshrrev_b16 v16, 8, v27
	v_cmp_ne_u16_e64 s19, 0x8000, v27
	; wave barrier
	s_wait_alu 0xf1ff
	s_delay_alu instid0(VALU_DEP_1) | instskip(NEXT) | instid1(VALU_DEP_1)
	v_cndmask_b32_e64 v16, 0x7f, v16, s19
	v_and_b32_e32 v16, s21, v16
	s_delay_alu instid0(VALU_DEP_1)
	v_and_b32_e32 v17, 1, v16
	v_lshlrev_b32_e32 v18, 30, v16
	v_lshlrev_b32_e32 v19, 29, v16
	v_lshlrev_b32_e32 v20, 28, v16
	v_lshlrev_b32_e32 v22, 27, v16
	v_add_co_u32 v17, s19, v17, -1
	s_wait_alu 0xf1ff
	v_cndmask_b32_e64 v21, 0, 1, s19
	v_not_b32_e32 v40, v18
	v_cmp_gt_i32_e64 s20, 0, v18
	v_not_b32_e32 v18, v19
	v_lshlrev_b32_e32 v23, 26, v16
	v_cmp_ne_u32_e64 s19, 0, v21
	v_ashrrev_i32_e32 v40, 31, v40
	v_lshlrev_b32_e32 v39, 25, v16
	v_ashrrev_i32_e32 v18, 31, v18
	v_lshlrev_b32_e32 v21, 24, v16
	s_wait_alu 0xf1ff
	v_xor_b32_e32 v17, s19, v17
	v_cmp_gt_i32_e64 s19, 0, v19
	v_not_b32_e32 v19, v20
	v_xor_b32_e32 v40, s20, v40
	v_cmp_gt_i32_e64 s20, 0, v20
	v_and_b32_e32 v17, exec_lo, v17
	v_not_b32_e32 v20, v22
	v_ashrrev_i32_e32 v19, 31, v19
	s_wait_alu 0xf1ff
	v_xor_b32_e32 v18, s19, v18
	v_cmp_gt_i32_e64 s19, 0, v22
	v_and_b32_e32 v17, v17, v40
	v_not_b32_e32 v22, v23
	v_ashrrev_i32_e32 v20, 31, v20
	v_xor_b32_e32 v19, s20, v19
	v_cmp_gt_i32_e64 s20, 0, v23
	v_and_b32_e32 v17, v17, v18
	v_not_b32_e32 v18, v39
	v_ashrrev_i32_e32 v22, 31, v22
	s_wait_alu 0xf1ff
	v_xor_b32_e32 v20, s19, v20
	v_cmp_gt_i32_e64 s19, 0, v39
	v_and_b32_e32 v17, v17, v19
	v_not_b32_e32 v19, v21
	v_ashrrev_i32_e32 v18, 31, v18
	v_xor_b32_e32 v22, s20, v22
	v_cmp_gt_i32_e64 s20, 0, v21
	v_and_b32_e32 v17, v17, v20
	v_ashrrev_i32_e32 v19, 31, v19
	s_wait_alu 0xf1ff
	v_xor_b32_e32 v18, s19, v18
	v_lshl_add_u32 v42, v16, 4, v24
	v_and_b32_e32 v17, v17, v22
	v_xor_b32_e32 v16, s20, v19
	ds_load_b32 v39, v42 offset:16
	v_and_b32_e32 v17, v17, v18
	; wave barrier
	s_delay_alu instid0(VALU_DEP_1) | instskip(NEXT) | instid1(VALU_DEP_1)
	v_and_b32_e32 v16, v17, v16
	v_mbcnt_lo_u32_b32 v40, v16, 0
	v_cmp_ne_u32_e64 s20, 0, v16
	s_delay_alu instid0(VALU_DEP_2)
	v_cmp_eq_u32_e64 s19, 0, v40
	s_and_b32 s20, s20, s19
	s_wait_alu 0xfffe
	s_and_saveexec_b32 s19, s20
	s_cbranch_execz .LBB257_123
; %bb.122:
	s_wait_dscnt 0x0
	v_bcnt_u32_b32 v16, v16, v39
	ds_store_b32 v42, v16 offset:16
.LBB257_123:
	s_wait_alu 0xfffe
	s_or_b32 exec_lo, exec_lo, s19
	v_lshrrev_b16 v16, 8, v28
	v_cmp_ne_u16_e64 s19, 0x8000, v28
	; wave barrier
	s_wait_alu 0xf1ff
	s_delay_alu instid0(VALU_DEP_1) | instskip(NEXT) | instid1(VALU_DEP_1)
	v_cndmask_b32_e64 v16, 0x7f, v16, s19
	v_and_b32_e32 v16, s21, v16
	s_delay_alu instid0(VALU_DEP_1)
	v_and_b32_e32 v17, 1, v16
	v_lshlrev_b32_e32 v18, 30, v16
	v_lshlrev_b32_e32 v19, 29, v16
	;; [unrolled: 1-line block ×4, first 2 shown]
	v_add_co_u32 v17, s19, v17, -1
	s_wait_alu 0xf1ff
	v_cndmask_b32_e64 v21, 0, 1, s19
	v_not_b32_e32 v44, v18
	v_cmp_gt_i32_e64 s20, 0, v18
	v_not_b32_e32 v18, v19
	v_lshlrev_b32_e32 v23, 26, v16
	v_cmp_ne_u32_e64 s19, 0, v21
	v_ashrrev_i32_e32 v44, 31, v44
	v_lshlrev_b32_e32 v43, 25, v16
	v_ashrrev_i32_e32 v18, 31, v18
	v_lshlrev_b32_e32 v21, 24, v16
	s_wait_alu 0xf1ff
	v_xor_b32_e32 v17, s19, v17
	v_cmp_gt_i32_e64 s19, 0, v19
	v_not_b32_e32 v19, v20
	v_xor_b32_e32 v44, s20, v44
	v_cmp_gt_i32_e64 s20, 0, v20
	v_and_b32_e32 v17, exec_lo, v17
	v_not_b32_e32 v20, v22
	v_ashrrev_i32_e32 v19, 31, v19
	s_wait_alu 0xf1ff
	v_xor_b32_e32 v18, s19, v18
	v_cmp_gt_i32_e64 s19, 0, v22
	v_and_b32_e32 v17, v17, v44
	v_not_b32_e32 v22, v23
	v_ashrrev_i32_e32 v20, 31, v20
	v_xor_b32_e32 v19, s20, v19
	v_cmp_gt_i32_e64 s20, 0, v23
	v_and_b32_e32 v17, v17, v18
	v_not_b32_e32 v18, v43
	v_ashrrev_i32_e32 v22, 31, v22
	s_wait_alu 0xf1ff
	v_xor_b32_e32 v20, s19, v20
	v_cmp_gt_i32_e64 s19, 0, v43
	v_and_b32_e32 v17, v17, v19
	v_not_b32_e32 v19, v21
	v_ashrrev_i32_e32 v18, 31, v18
	v_xor_b32_e32 v22, s20, v22
	v_cmp_gt_i32_e64 s20, 0, v21
	v_and_b32_e32 v17, v17, v20
	v_ashrrev_i32_e32 v19, 31, v19
	s_wait_alu 0xf1ff
	v_xor_b32_e32 v18, s19, v18
	v_lshl_add_u32 v45, v16, 4, v24
	v_and_b32_e32 v17, v17, v22
	v_xor_b32_e32 v16, s20, v19
	ds_load_b32 v43, v45 offset:16
	v_and_b32_e32 v17, v17, v18
	; wave barrier
	s_delay_alu instid0(VALU_DEP_1) | instskip(NEXT) | instid1(VALU_DEP_1)
	v_and_b32_e32 v16, v17, v16
	v_mbcnt_lo_u32_b32 v44, v16, 0
	v_cmp_ne_u32_e64 s20, 0, v16
	s_delay_alu instid0(VALU_DEP_2)
	v_cmp_eq_u32_e64 s19, 0, v44
	s_and_b32 s20, s20, s19
	s_wait_alu 0xfffe
	s_and_saveexec_b32 s19, s20
	s_cbranch_execz .LBB257_125
; %bb.124:
	s_wait_dscnt 0x0
	v_bcnt_u32_b32 v16, v16, v43
	ds_store_b32 v45, v16 offset:16
.LBB257_125:
	s_wait_alu 0xfffe
	s_or_b32 exec_lo, exec_lo, s19
	v_lshrrev_b16 v16, 8, v29
	v_cmp_ne_u16_e64 s19, 0x8000, v29
	; wave barrier
	s_wait_alu 0xf1ff
	s_delay_alu instid0(VALU_DEP_1) | instskip(NEXT) | instid1(VALU_DEP_1)
	v_cndmask_b32_e64 v16, 0x7f, v16, s19
	v_and_b32_e32 v16, s21, v16
	s_delay_alu instid0(VALU_DEP_1)
	v_and_b32_e32 v17, 1, v16
	v_lshlrev_b32_e32 v18, 30, v16
	v_lshlrev_b32_e32 v19, 29, v16
	;; [unrolled: 1-line block ×4, first 2 shown]
	v_add_co_u32 v17, s19, v17, -1
	s_wait_alu 0xf1ff
	v_cndmask_b32_e64 v21, 0, 1, s19
	v_not_b32_e32 v67, v18
	v_cmp_gt_i32_e64 s20, 0, v18
	v_not_b32_e32 v18, v19
	v_lshlrev_b32_e32 v23, 26, v16
	v_cmp_ne_u32_e64 s19, 0, v21
	v_ashrrev_i32_e32 v67, 31, v67
	v_lshlrev_b32_e32 v66, 25, v16
	v_ashrrev_i32_e32 v18, 31, v18
	v_lshlrev_b32_e32 v21, 24, v16
	s_wait_alu 0xf1ff
	v_xor_b32_e32 v17, s19, v17
	v_cmp_gt_i32_e64 s19, 0, v19
	v_not_b32_e32 v19, v20
	v_xor_b32_e32 v67, s20, v67
	v_cmp_gt_i32_e64 s20, 0, v20
	v_and_b32_e32 v17, exec_lo, v17
	v_not_b32_e32 v20, v22
	v_ashrrev_i32_e32 v19, 31, v19
	s_wait_alu 0xf1ff
	v_xor_b32_e32 v18, s19, v18
	v_cmp_gt_i32_e64 s19, 0, v22
	v_and_b32_e32 v17, v17, v67
	v_not_b32_e32 v22, v23
	v_ashrrev_i32_e32 v20, 31, v20
	v_xor_b32_e32 v19, s20, v19
	v_cmp_gt_i32_e64 s20, 0, v23
	v_and_b32_e32 v17, v17, v18
	v_not_b32_e32 v18, v66
	v_ashrrev_i32_e32 v22, 31, v22
	s_wait_alu 0xf1ff
	v_xor_b32_e32 v20, s19, v20
	v_cmp_gt_i32_e64 s19, 0, v66
	v_and_b32_e32 v17, v17, v19
	v_not_b32_e32 v19, v21
	v_ashrrev_i32_e32 v18, 31, v18
	v_xor_b32_e32 v22, s20, v22
	v_cmp_gt_i32_e64 s20, 0, v21
	v_and_b32_e32 v17, v17, v20
	v_ashrrev_i32_e32 v19, 31, v19
	s_wait_alu 0xf1ff
	v_xor_b32_e32 v18, s19, v18
	v_lshl_add_u32 v68, v16, 4, v24
	v_and_b32_e32 v17, v17, v22
	v_xor_b32_e32 v16, s20, v19
	ds_load_b32 v66, v68 offset:16
	v_and_b32_e32 v17, v17, v18
	; wave barrier
	s_delay_alu instid0(VALU_DEP_1) | instskip(NEXT) | instid1(VALU_DEP_1)
	v_and_b32_e32 v16, v17, v16
	v_mbcnt_lo_u32_b32 v67, v16, 0
	v_cmp_ne_u32_e64 s20, 0, v16
	s_delay_alu instid0(VALU_DEP_2)
	v_cmp_eq_u32_e64 s19, 0, v67
	s_and_b32 s20, s20, s19
	s_wait_alu 0xfffe
	s_and_saveexec_b32 s19, s20
	s_cbranch_execz .LBB257_127
; %bb.126:
	s_wait_dscnt 0x0
	v_bcnt_u32_b32 v16, v16, v66
	ds_store_b32 v68, v16 offset:16
.LBB257_127:
	s_wait_alu 0xfffe
	s_or_b32 exec_lo, exec_lo, s19
	v_lshrrev_b16 v16, 8, v30
	v_cmp_ne_u16_e64 s19, 0x8000, v30
	; wave barrier
	s_wait_alu 0xf1ff
	s_delay_alu instid0(VALU_DEP_1) | instskip(NEXT) | instid1(VALU_DEP_1)
	v_cndmask_b32_e64 v16, 0x7f, v16, s19
	v_and_b32_e32 v16, s21, v16
	s_delay_alu instid0(VALU_DEP_1)
	v_and_b32_e32 v17, 1, v16
	v_lshlrev_b32_e32 v18, 30, v16
	v_lshlrev_b32_e32 v19, 29, v16
	;; [unrolled: 1-line block ×4, first 2 shown]
	v_add_co_u32 v17, s19, v17, -1
	s_wait_alu 0xf1ff
	v_cndmask_b32_e64 v21, 0, 1, s19
	v_not_b32_e32 v70, v18
	v_cmp_gt_i32_e64 s20, 0, v18
	v_not_b32_e32 v18, v19
	v_lshlrev_b32_e32 v23, 26, v16
	v_cmp_ne_u32_e64 s19, 0, v21
	v_ashrrev_i32_e32 v70, 31, v70
	v_lshlrev_b32_e32 v69, 25, v16
	v_ashrrev_i32_e32 v18, 31, v18
	v_lshlrev_b32_e32 v21, 24, v16
	s_wait_alu 0xf1ff
	v_xor_b32_e32 v17, s19, v17
	v_cmp_gt_i32_e64 s19, 0, v19
	v_not_b32_e32 v19, v20
	v_xor_b32_e32 v70, s20, v70
	v_cmp_gt_i32_e64 s20, 0, v20
	v_and_b32_e32 v17, exec_lo, v17
	v_not_b32_e32 v20, v22
	v_ashrrev_i32_e32 v19, 31, v19
	s_wait_alu 0xf1ff
	v_xor_b32_e32 v18, s19, v18
	v_cmp_gt_i32_e64 s19, 0, v22
	v_and_b32_e32 v17, v17, v70
	v_not_b32_e32 v22, v23
	v_ashrrev_i32_e32 v20, 31, v20
	v_xor_b32_e32 v19, s20, v19
	v_cmp_gt_i32_e64 s20, 0, v23
	v_and_b32_e32 v17, v17, v18
	v_not_b32_e32 v18, v69
	v_ashrrev_i32_e32 v22, 31, v22
	s_wait_alu 0xf1ff
	v_xor_b32_e32 v20, s19, v20
	v_cmp_gt_i32_e64 s19, 0, v69
	v_and_b32_e32 v17, v17, v19
	v_not_b32_e32 v19, v21
	v_ashrrev_i32_e32 v18, 31, v18
	v_xor_b32_e32 v22, s20, v22
	v_cmp_gt_i32_e64 s20, 0, v21
	v_and_b32_e32 v17, v17, v20
	v_ashrrev_i32_e32 v19, 31, v19
	s_wait_alu 0xf1ff
	v_xor_b32_e32 v18, s19, v18
	v_lshl_add_u32 v71, v16, 4, v24
	v_and_b32_e32 v17, v17, v22
	v_xor_b32_e32 v16, s20, v19
	ds_load_b32 v69, v71 offset:16
	v_and_b32_e32 v17, v17, v18
	; wave barrier
	s_delay_alu instid0(VALU_DEP_1) | instskip(NEXT) | instid1(VALU_DEP_1)
	v_and_b32_e32 v16, v17, v16
	v_mbcnt_lo_u32_b32 v70, v16, 0
	v_cmp_ne_u32_e64 s20, 0, v16
	s_delay_alu instid0(VALU_DEP_2)
	v_cmp_eq_u32_e64 s19, 0, v70
	s_and_b32 s20, s20, s19
	s_wait_alu 0xfffe
	s_and_saveexec_b32 s19, s20
	s_cbranch_execz .LBB257_129
; %bb.128:
	s_wait_dscnt 0x0
	v_bcnt_u32_b32 v16, v16, v69
	ds_store_b32 v71, v16 offset:16
.LBB257_129:
	s_wait_alu 0xfffe
	s_or_b32 exec_lo, exec_lo, s19
	v_lshrrev_b16 v16, 8, v31
	v_cmp_ne_u16_e64 s19, 0x8000, v31
	; wave barrier
	s_wait_alu 0xf1ff
	s_delay_alu instid0(VALU_DEP_1) | instskip(NEXT) | instid1(VALU_DEP_1)
	v_cndmask_b32_e64 v16, 0x7f, v16, s19
	v_and_b32_e32 v16, s21, v16
	s_delay_alu instid0(VALU_DEP_1)
	v_and_b32_e32 v17, 1, v16
	v_lshlrev_b32_e32 v18, 30, v16
	v_lshlrev_b32_e32 v19, 29, v16
	;; [unrolled: 1-line block ×4, first 2 shown]
	v_add_co_u32 v17, s19, v17, -1
	s_wait_alu 0xf1ff
	v_cndmask_b32_e64 v21, 0, 1, s19
	v_not_b32_e32 v73, v18
	v_cmp_gt_i32_e64 s20, 0, v18
	v_not_b32_e32 v18, v19
	v_lshlrev_b32_e32 v23, 26, v16
	v_cmp_ne_u32_e64 s19, 0, v21
	v_ashrrev_i32_e32 v73, 31, v73
	v_lshlrev_b32_e32 v72, 25, v16
	v_ashrrev_i32_e32 v18, 31, v18
	v_lshlrev_b32_e32 v21, 24, v16
	s_wait_alu 0xf1ff
	v_xor_b32_e32 v17, s19, v17
	v_cmp_gt_i32_e64 s19, 0, v19
	v_not_b32_e32 v19, v20
	v_xor_b32_e32 v73, s20, v73
	v_cmp_gt_i32_e64 s20, 0, v20
	v_and_b32_e32 v17, exec_lo, v17
	v_not_b32_e32 v20, v22
	v_ashrrev_i32_e32 v19, 31, v19
	s_wait_alu 0xf1ff
	v_xor_b32_e32 v18, s19, v18
	v_cmp_gt_i32_e64 s19, 0, v22
	v_and_b32_e32 v17, v17, v73
	v_not_b32_e32 v22, v23
	v_ashrrev_i32_e32 v20, 31, v20
	v_xor_b32_e32 v19, s20, v19
	v_cmp_gt_i32_e64 s20, 0, v23
	v_and_b32_e32 v17, v17, v18
	v_not_b32_e32 v18, v72
	v_ashrrev_i32_e32 v22, 31, v22
	s_wait_alu 0xf1ff
	v_xor_b32_e32 v20, s19, v20
	v_cmp_gt_i32_e64 s19, 0, v72
	v_and_b32_e32 v17, v17, v19
	v_not_b32_e32 v19, v21
	v_ashrrev_i32_e32 v18, 31, v18
	v_xor_b32_e32 v22, s20, v22
	v_cmp_gt_i32_e64 s20, 0, v21
	v_and_b32_e32 v17, v17, v20
	v_ashrrev_i32_e32 v19, 31, v19
	s_wait_alu 0xf1ff
	v_xor_b32_e32 v18, s19, v18
	v_lshl_add_u32 v74, v16, 4, v24
	v_and_b32_e32 v17, v17, v22
	v_xor_b32_e32 v16, s20, v19
	ds_load_b32 v72, v74 offset:16
	v_and_b32_e32 v17, v17, v18
	; wave barrier
	s_delay_alu instid0(VALU_DEP_1) | instskip(NEXT) | instid1(VALU_DEP_1)
	v_and_b32_e32 v16, v17, v16
	v_mbcnt_lo_u32_b32 v73, v16, 0
	v_cmp_ne_u32_e64 s20, 0, v16
	s_delay_alu instid0(VALU_DEP_2)
	v_cmp_eq_u32_e64 s19, 0, v73
	s_and_b32 s20, s20, s19
	s_wait_alu 0xfffe
	s_and_saveexec_b32 s19, s20
	s_cbranch_execz .LBB257_131
; %bb.130:
	s_wait_dscnt 0x0
	v_bcnt_u32_b32 v16, v16, v72
	ds_store_b32 v74, v16 offset:16
.LBB257_131:
	s_wait_alu 0xfffe
	s_or_b32 exec_lo, exec_lo, s19
	v_lshrrev_b16 v16, 8, v32
	v_cmp_ne_u16_e64 s19, 0x8000, v32
	; wave barrier
	s_wait_alu 0xf1ff
	s_delay_alu instid0(VALU_DEP_1) | instskip(NEXT) | instid1(VALU_DEP_1)
	v_cndmask_b32_e64 v16, 0x7f, v16, s19
	v_and_b32_e32 v16, s21, v16
	s_delay_alu instid0(VALU_DEP_1)
	v_and_b32_e32 v17, 1, v16
	v_lshlrev_b32_e32 v18, 30, v16
	v_lshlrev_b32_e32 v19, 29, v16
	;; [unrolled: 1-line block ×4, first 2 shown]
	v_add_co_u32 v17, s19, v17, -1
	s_wait_alu 0xf1ff
	v_cndmask_b32_e64 v21, 0, 1, s19
	v_not_b32_e32 v76, v18
	v_cmp_gt_i32_e64 s20, 0, v18
	v_not_b32_e32 v18, v19
	v_lshlrev_b32_e32 v23, 26, v16
	v_cmp_ne_u32_e64 s19, 0, v21
	v_ashrrev_i32_e32 v76, 31, v76
	v_lshlrev_b32_e32 v75, 25, v16
	v_ashrrev_i32_e32 v18, 31, v18
	v_lshlrev_b32_e32 v21, 24, v16
	s_wait_alu 0xf1ff
	v_xor_b32_e32 v17, s19, v17
	v_cmp_gt_i32_e64 s19, 0, v19
	v_not_b32_e32 v19, v20
	v_xor_b32_e32 v76, s20, v76
	v_cmp_gt_i32_e64 s20, 0, v20
	v_and_b32_e32 v17, exec_lo, v17
	v_not_b32_e32 v20, v22
	v_ashrrev_i32_e32 v19, 31, v19
	s_wait_alu 0xf1ff
	v_xor_b32_e32 v18, s19, v18
	v_cmp_gt_i32_e64 s19, 0, v22
	v_and_b32_e32 v17, v17, v76
	v_not_b32_e32 v22, v23
	v_ashrrev_i32_e32 v20, 31, v20
	v_xor_b32_e32 v19, s20, v19
	v_cmp_gt_i32_e64 s20, 0, v23
	v_and_b32_e32 v17, v17, v18
	v_not_b32_e32 v18, v75
	v_ashrrev_i32_e32 v22, 31, v22
	s_wait_alu 0xf1ff
	v_xor_b32_e32 v20, s19, v20
	v_cmp_gt_i32_e64 s19, 0, v75
	v_and_b32_e32 v17, v17, v19
	v_not_b32_e32 v19, v21
	v_ashrrev_i32_e32 v18, 31, v18
	v_xor_b32_e32 v22, s20, v22
	v_cmp_gt_i32_e64 s20, 0, v21
	v_and_b32_e32 v17, v17, v20
	v_ashrrev_i32_e32 v19, 31, v19
	s_wait_alu 0xf1ff
	v_xor_b32_e32 v18, s19, v18
	v_lshl_add_u32 v77, v16, 4, v24
	v_and_b32_e32 v17, v17, v22
	v_xor_b32_e32 v16, s20, v19
	ds_load_b32 v75, v77 offset:16
	v_and_b32_e32 v17, v17, v18
	; wave barrier
	s_delay_alu instid0(VALU_DEP_1) | instskip(NEXT) | instid1(VALU_DEP_1)
	v_and_b32_e32 v16, v17, v16
	v_mbcnt_lo_u32_b32 v76, v16, 0
	v_cmp_ne_u32_e64 s20, 0, v16
	s_delay_alu instid0(VALU_DEP_2)
	v_cmp_eq_u32_e64 s19, 0, v76
	s_and_b32 s20, s20, s19
	s_wait_alu 0xfffe
	s_and_saveexec_b32 s19, s20
	s_cbranch_execz .LBB257_133
; %bb.132:
	s_wait_dscnt 0x0
	v_bcnt_u32_b32 v16, v16, v75
	ds_store_b32 v77, v16 offset:16
.LBB257_133:
	s_wait_alu 0xfffe
	s_or_b32 exec_lo, exec_lo, s19
	v_lshrrev_b16 v16, 8, v25
	v_cmp_ne_u16_e64 s19, 0x8000, v25
	; wave barrier
	s_wait_alu 0xf1ff
	s_delay_alu instid0(VALU_DEP_1) | instskip(NEXT) | instid1(VALU_DEP_1)
	v_cndmask_b32_e64 v16, 0x7f, v16, s19
	v_and_b32_e32 v16, s21, v16
	s_delay_alu instid0(VALU_DEP_1)
	v_and_b32_e32 v17, 1, v16
	v_lshlrev_b32_e32 v18, 30, v16
	v_lshlrev_b32_e32 v19, 29, v16
	;; [unrolled: 1-line block ×4, first 2 shown]
	v_add_co_u32 v17, s19, v17, -1
	s_wait_alu 0xf1ff
	v_cndmask_b32_e64 v21, 0, 1, s19
	v_not_b32_e32 v79, v18
	v_cmp_gt_i32_e64 s20, 0, v18
	v_not_b32_e32 v18, v19
	v_lshlrev_b32_e32 v23, 26, v16
	v_cmp_ne_u32_e64 s19, 0, v21
	v_ashrrev_i32_e32 v79, 31, v79
	v_lshlrev_b32_e32 v78, 25, v16
	v_ashrrev_i32_e32 v18, 31, v18
	v_lshlrev_b32_e32 v21, 24, v16
	s_wait_alu 0xf1ff
	v_xor_b32_e32 v17, s19, v17
	v_cmp_gt_i32_e64 s19, 0, v19
	v_not_b32_e32 v19, v20
	v_xor_b32_e32 v79, s20, v79
	v_cmp_gt_i32_e64 s20, 0, v20
	v_and_b32_e32 v17, exec_lo, v17
	v_not_b32_e32 v20, v22
	v_ashrrev_i32_e32 v19, 31, v19
	s_wait_alu 0xf1ff
	v_xor_b32_e32 v18, s19, v18
	v_cmp_gt_i32_e64 s19, 0, v22
	v_and_b32_e32 v17, v17, v79
	v_not_b32_e32 v22, v23
	v_ashrrev_i32_e32 v20, 31, v20
	v_xor_b32_e32 v19, s20, v19
	v_cmp_gt_i32_e64 s20, 0, v23
	v_and_b32_e32 v17, v17, v18
	v_not_b32_e32 v18, v78
	v_ashrrev_i32_e32 v22, 31, v22
	s_wait_alu 0xf1ff
	v_xor_b32_e32 v20, s19, v20
	v_cmp_gt_i32_e64 s19, 0, v78
	v_and_b32_e32 v17, v17, v19
	v_not_b32_e32 v19, v21
	v_ashrrev_i32_e32 v18, 31, v18
	v_xor_b32_e32 v22, s20, v22
	v_cmp_gt_i32_e64 s20, 0, v21
	v_and_b32_e32 v17, v17, v20
	v_ashrrev_i32_e32 v19, 31, v19
	s_wait_alu 0xf1ff
	v_xor_b32_e32 v18, s19, v18
	v_lshl_add_u32 v79, v16, 4, v24
	v_and_b32_e32 v17, v17, v22
	v_xor_b32_e32 v16, s20, v19
	ds_load_b32 v24, v79 offset:16
	v_and_b32_e32 v17, v17, v18
	; wave barrier
	s_delay_alu instid0(VALU_DEP_1) | instskip(NEXT) | instid1(VALU_DEP_1)
	v_and_b32_e32 v16, v17, v16
	v_mbcnt_lo_u32_b32 v78, v16, 0
	v_cmp_ne_u32_e64 s20, 0, v16
	s_delay_alu instid0(VALU_DEP_2)
	v_cmp_eq_u32_e64 s19, 0, v78
	s_and_b32 s20, s20, s19
	s_wait_alu 0xfffe
	s_and_saveexec_b32 s19, s20
	s_cbranch_execz .LBB257_135
; %bb.134:
	s_wait_dscnt 0x0
	v_bcnt_u32_b32 v16, v16, v24
	ds_store_b32 v79, v16 offset:16
.LBB257_135:
	s_wait_alu 0xfffe
	s_or_b32 exec_lo, exec_lo, s19
	; wave barrier
	s_wait_loadcnt_dscnt 0x0
	s_barrier_signal -1
	s_barrier_wait -1
	global_inv scope:SCOPE_SE
	ds_load_b128 v[20:23], v65 offset:16
	ds_load_b128 v[16:19], v65 offset:32
	s_wait_dscnt 0x1
	v_add_nc_u32_e32 v80, v21, v20
	s_delay_alu instid0(VALU_DEP_1) | instskip(SKIP_1) | instid1(VALU_DEP_1)
	v_add3_u32 v80, v80, v22, v23
	s_wait_dscnt 0x0
	v_add3_u32 v80, v80, v16, v17
	s_delay_alu instid0(VALU_DEP_1) | instskip(NEXT) | instid1(VALU_DEP_1)
	v_add3_u32 v19, v80, v18, v19
	v_mov_b32_dpp v80, v19 row_shr:1 row_mask:0xf bank_mask:0xf
	s_delay_alu instid0(VALU_DEP_1) | instskip(NEXT) | instid1(VALU_DEP_1)
	v_cndmask_b32_e64 v80, v80, 0, s0
	v_add_nc_u32_e32 v19, v80, v19
	s_delay_alu instid0(VALU_DEP_1) | instskip(NEXT) | instid1(VALU_DEP_1)
	v_mov_b32_dpp v80, v19 row_shr:2 row_mask:0xf bank_mask:0xf
	v_cndmask_b32_e64 v80, 0, v80, s10
	s_delay_alu instid0(VALU_DEP_1) | instskip(NEXT) | instid1(VALU_DEP_1)
	v_add_nc_u32_e32 v19, v19, v80
	v_mov_b32_dpp v80, v19 row_shr:4 row_mask:0xf bank_mask:0xf
	s_delay_alu instid0(VALU_DEP_1) | instskip(NEXT) | instid1(VALU_DEP_1)
	v_cndmask_b32_e64 v80, 0, v80, s11
	v_add_nc_u32_e32 v19, v19, v80
	s_delay_alu instid0(VALU_DEP_1) | instskip(NEXT) | instid1(VALU_DEP_1)
	v_mov_b32_dpp v80, v19 row_shr:8 row_mask:0xf bank_mask:0xf
	v_cndmask_b32_e64 v80, 0, v80, s13
	s_delay_alu instid0(VALU_DEP_1) | instskip(SKIP_3) | instid1(VALU_DEP_1)
	v_add_nc_u32_e32 v19, v19, v80
	ds_swizzle_b32 v80, v19 offset:swizzle(BROADCAST,32,15)
	s_wait_dscnt 0x0
	v_cndmask_b32_e64 v80, v80, 0, s16
	v_add_nc_u32_e32 v19, v19, v80
	s_and_saveexec_b32 s0, s14
; %bb.136:
	ds_store_b32 v34, v19
; %bb.137:
	s_wait_alu 0xfffe
	s_or_b32 exec_lo, exec_lo, s0
	s_wait_loadcnt_dscnt 0x0
	s_barrier_signal -1
	s_barrier_wait -1
	global_inv scope:SCOPE_SE
	s_and_saveexec_b32 s0, s15
	s_cbranch_execz .LBB257_139
; %bb.138:
	ds_load_b32 v34, v35
	s_wait_dscnt 0x0
	v_mov_b32_dpp v80, v34 row_shr:1 row_mask:0xf bank_mask:0xf
	s_delay_alu instid0(VALU_DEP_1) | instskip(NEXT) | instid1(VALU_DEP_1)
	v_cndmask_b32_e64 v80, v80, 0, s12
	v_add_nc_u32_e32 v34, v80, v34
	s_delay_alu instid0(VALU_DEP_1) | instskip(NEXT) | instid1(VALU_DEP_1)
	v_mov_b32_dpp v80, v34 row_shr:2 row_mask:0xf bank_mask:0xf
	v_cndmask_b32_e64 v80, 0, v80, s1
	s_delay_alu instid0(VALU_DEP_1)
	v_add_nc_u32_e32 v34, v34, v80
	ds_store_b32 v35, v34
.LBB257_139:
	s_wait_alu 0xfffe
	s_or_b32 exec_lo, exec_lo, s0
	v_mov_b32_e32 v34, 0
	s_wait_loadcnt_dscnt 0x0
	s_barrier_signal -1
	s_barrier_wait -1
	global_inv scope:SCOPE_SE
	s_and_saveexec_b32 s0, s17
; %bb.140:
	ds_load_b32 v34, v36
; %bb.141:
	s_wait_alu 0xfffe
	s_or_b32 exec_lo, exec_lo, s0
	s_wait_dscnt 0x0
	v_add_nc_u32_e32 v19, v34, v19
	ds_bpermute_b32 v19, v37, v19
	s_wait_dscnt 0x0
	v_cndmask_b32_e32 v19, v19, v34, vcc_lo
	s_delay_alu instid0(VALU_DEP_1) | instskip(NEXT) | instid1(VALU_DEP_1)
	v_cndmask_b32_e64 v19, v19, 0, s18
	v_add_nc_u32_e32 v20, v19, v20
	s_delay_alu instid0(VALU_DEP_1) | instskip(NEXT) | instid1(VALU_DEP_1)
	v_add_nc_u32_e32 v21, v20, v21
	v_add_nc_u32_e32 v22, v21, v22
	s_delay_alu instid0(VALU_DEP_1) | instskip(NEXT) | instid1(VALU_DEP_1)
	v_add_nc_u32_e32 v34, v22, v23
	;; [unrolled: 3-line block ×3, first 2 shown]
	v_add_nc_u32_e32 v37, v36, v18
	ds_store_b128 v65, v[19:22] offset:16
	ds_store_b128 v65, v[34:37] offset:32
	s_wait_loadcnt_dscnt 0x0
	s_barrier_signal -1
	s_barrier_wait -1
	global_inv scope:SCOPE_SE
	ds_load_b32 v16, v79 offset:16
	ds_load_b32 v17, v77 offset:16
	;; [unrolled: 1-line block ×8, first 2 shown]
	s_wait_loadcnt_dscnt 0x0
	s_barrier_signal -1
	s_barrier_wait -1
	global_inv scope:SCOPE_SE
	v_lshlrev_b32_e32 v34, 1, v64
	s_delay_alu instid0(VALU_DEP_1)
	v_mad_u32_u24 v37, v41, 48, v34
	v_add3_u32 v35, v78, v24, v16
	v_add3_u32 v36, v76, v75, v17
	;; [unrolled: 1-line block ×3, first 2 shown]
	v_add_nc_u32_e32 v24, v19, v33
	v_add3_u32 v33, v40, v39, v20
	v_add3_u32 v39, v44, v43, v21
	;; [unrolled: 1-line block ×4, first 2 shown]
	v_lshlrev_b32_e32 v16, 1, v24
	v_lshlrev_b32_e32 v17, 1, v33
	;; [unrolled: 1-line block ×8, first 2 shown]
	ds_store_b16 v16, v26
	ds_store_b16 v17, v27
	;; [unrolled: 1-line block ×8, first 2 shown]
	v_mad_co_u64_u32 v[24:25], null, v24, 6, v[16:17]
	v_mad_co_u64_u32 v[16:17], null, v33, 6, v[17:18]
	;; [unrolled: 1-line block ×7, first 2 shown]
	s_wait_loadcnt_dscnt 0x0
	s_barrier_signal -1
	s_barrier_wait -1
	global_inv scope:SCOPE_SE
	v_mad_co_u64_u32 v[22:23], null, v35, 6, v[23:24]
	ds_load_b128 v[33:36], v34
	s_wait_loadcnt_dscnt 0x0
	s_barrier_signal -1
	s_barrier_wait -1
	global_inv scope:SCOPE_SE
	ds_store_b64 v24, v[4:5]
	ds_store_b64 v16, v[6:7]
	;; [unrolled: 1-line block ×8, first 2 shown]
	s_wait_loadcnt_dscnt 0x0
	s_barrier_signal -1
	s_barrier_wait -1
	global_inv scope:SCOPE_SE
	ds_load_b128 v[29:32], v37
	ds_load_b128 v[25:28], v37 offset:16
	ds_load_b128 v[21:24], v37 offset:32
	;; [unrolled: 1-line block ×3, first 2 shown]
	v_cmp_gt_i16_e32 vcc_lo, 0, v33
	v_lshrrev_b32_e32 v0, 16, v33
	v_lshrrev_b32_e32 v2, 16, v34
	;; [unrolled: 1-line block ×4, first 2 shown]
	s_wait_alu 0xfffd
	v_cndmask_b32_e64 v1, 0x7fff, 0, vcc_lo
	v_cmp_gt_i16_e32 vcc_lo, 0, v34
	s_wait_alu 0xfffd
	v_cndmask_b32_e64 v3, 0x7fff, 0, vcc_lo
	v_cmp_gt_i16_e32 vcc_lo, 0, v35
	;; [unrolled: 3-line block ×5, first 2 shown]
	s_delay_alu instid0(VALU_DEP_2) | instskip(SKIP_3) | instid1(VALU_DEP_3)
	v_perm_b32 v0, v0, v1, 0x5040100
	s_wait_alu 0xfffd
	v_cndmask_b32_e64 v2, 0x7fff, 0, vcc_lo
	v_cmp_gt_i16_e32 vcc_lo, 0, v4
	v_xor_b32_e32 v0, v0, v33
	s_delay_alu instid0(VALU_DEP_3) | instskip(SKIP_3) | instid1(VALU_DEP_3)
	v_perm_b32 v1, v2, v3, 0x5040100
	s_wait_alu 0xfffd
	v_cndmask_b32_e64 v4, 0x7fff, 0, vcc_lo
	v_cmp_gt_i16_e32 vcc_lo, 0, v6
	v_xor_b32_e32 v34, v1, v34
	s_delay_alu instid0(VALU_DEP_3) | instskip(SKIP_2) | instid1(VALU_DEP_2)
	v_perm_b32 v2, v4, v5, 0x5040100
	s_wait_alu 0xfffd
	v_cndmask_b32_e64 v6, 0x7fff, 0, vcc_lo
	v_xor_b32_e32 v33, v2, v35
	s_delay_alu instid0(VALU_DEP_2) | instskip(NEXT) | instid1(VALU_DEP_1)
	v_perm_b32 v3, v6, v7, 0x5040100
	v_xor_b32_e32 v35, v3, v36
.LBB257_142:
	v_mad_co_u64_u32 v[9:10], null, s22, v41, 0
	s_wait_loadcnt_dscnt 0x0
	s_barrier_signal -1
	s_barrier_wait -1
	global_inv scope:SCOPE_SE
	ds_store_2addr_b32 v54, v0, v34 offset1:1
	ds_store_2addr_b32 v54, v33, v35 offset0:2 offset1:3
	s_wait_loadcnt_dscnt 0x0
	v_mov_b32_e32 v0, v10
	s_barrier_signal -1
	s_barrier_wait -1
	global_inv scope:SCOPE_SE
	ds_load_u16 v8, v47 offset:256
	ds_load_u16 v7, v48 offset:512
	;; [unrolled: 1-line block ×7, first 2 shown]
	v_mad_co_u64_u32 v[0:1], null, s23, v41, v[0:1]
	s_delay_alu instid0(VALU_DEP_1) | instskip(NEXT) | instid1(VALU_DEP_1)
	v_mov_b32_e32 v10, v0
	v_lshlrev_b64_e32 v[0:1], 1, v[9:10]
	s_delay_alu instid0(VALU_DEP_1) | instskip(SKIP_1) | instid1(VALU_DEP_2)
	v_add_co_u32 v0, vcc_lo, s30, v0
	s_wait_alu 0xfffd
	v_add_co_ci_u32_e64 v1, null, s31, v1, vcc_lo
	s_and_saveexec_b32 s0, s2
	s_cbranch_execnz .LBB257_161
; %bb.143:
	s_wait_alu 0xfffe
	s_or_b32 exec_lo, exec_lo, s0
	s_and_saveexec_b32 s0, s3
	s_cbranch_execnz .LBB257_162
.LBB257_144:
	s_wait_alu 0xfffe
	s_or_b32 exec_lo, exec_lo, s0
	s_and_saveexec_b32 s0, s4
	s_cbranch_execnz .LBB257_163
.LBB257_145:
	s_wait_alu 0xfffe
	s_or_b32 exec_lo, exec_lo, s0
	s_and_saveexec_b32 s0, s5
	s_cbranch_execnz .LBB257_164
.LBB257_146:
	s_wait_alu 0xfffe
	s_or_b32 exec_lo, exec_lo, s0
	s_and_saveexec_b32 s0, s6
	s_cbranch_execnz .LBB257_165
.LBB257_147:
	s_wait_alu 0xfffe
	s_or_b32 exec_lo, exec_lo, s0
	s_and_saveexec_b32 s0, s7
	s_cbranch_execnz .LBB257_166
.LBB257_148:
	s_wait_alu 0xfffe
	s_or_b32 exec_lo, exec_lo, s0
	s_and_saveexec_b32 s0, s8
	s_cbranch_execnz .LBB257_167
.LBB257_149:
	s_wait_alu 0xfffe
	s_or_b32 exec_lo, exec_lo, s0
	s_and_saveexec_b32 s0, s9
	s_cbranch_execz .LBB257_151
.LBB257_150:
	v_mad_co_u64_u32 v[0:1], null, 0x700, s22, v[0:1]
	s_wait_dscnt 0x0
	s_delay_alu instid0(VALU_DEP_1) | instskip(NEXT) | instid1(VALU_DEP_1)
	v_mad_co_u64_u32 v[3:4], null, 0x700, s23, v[1:2]
	v_mov_b32_e32 v1, v3
	global_store_b16 v[0:1], v2, off
.LBB257_151:
	s_wait_alu 0xfffe
	s_or_b32 exec_lo, exec_lo, s0
	s_wait_dscnt 0x0
	v_mad_co_u64_u32 v[2:3], null, s28, v41, 0
	s_wait_loadcnt 0x0
	s_wait_storecnt 0x0
	s_barrier_signal -1
	s_barrier_wait -1
	global_inv scope:SCOPE_SE
	ds_store_2addr_b64 v63, v[29:30], v[31:32] offset1:1
	ds_store_2addr_b64 v63, v[25:26], v[27:28] offset0:2 offset1:3
	ds_store_2addr_b64 v63, v[21:22], v[23:24] offset0:4 offset1:5
	ds_store_2addr_b64 v63, v[17:18], v[19:20] offset0:6 offset1:7
	s_wait_loadcnt_dscnt 0x0
	v_mov_b32_e32 v0, v3
	s_barrier_signal -1
	s_barrier_wait -1
	global_inv scope:SCOPE_SE
	v_mad_co_u64_u32 v[3:4], null, s29, v41, v[0:1]
	ds_load_b64 v[14:15], v56 offset:1024
	ds_load_b64 v[12:13], v57 offset:2048
	;; [unrolled: 1-line block ×7, first 2 shown]
	v_lshlrev_b64_e32 v[2:3], 3, v[2:3]
	s_delay_alu instid0(VALU_DEP_1) | instskip(SKIP_1) | instid1(VALU_DEP_2)
	v_add_co_u32 v2, vcc_lo, s34, v2
	s_wait_alu 0xfffd
	v_add_co_ci_u32_e64 v3, null, s35, v3, vcc_lo
	s_and_saveexec_b32 s0, s2
	s_cbranch_execnz .LBB257_168
; %bb.152:
	s_wait_alu 0xfffe
	s_or_b32 exec_lo, exec_lo, s0
	s_and_saveexec_b32 s0, s3
	s_cbranch_execnz .LBB257_169
.LBB257_153:
	s_wait_alu 0xfffe
	s_or_b32 exec_lo, exec_lo, s0
	s_and_saveexec_b32 s0, s4
	s_cbranch_execnz .LBB257_170
.LBB257_154:
	s_wait_alu 0xfffe
	s_or_b32 exec_lo, exec_lo, s0
	s_and_saveexec_b32 s0, s5
	s_cbranch_execnz .LBB257_171
.LBB257_155:
	s_wait_alu 0xfffe
	s_or_b32 exec_lo, exec_lo, s0
	s_and_saveexec_b32 s0, s6
	s_cbranch_execnz .LBB257_172
.LBB257_156:
	s_wait_alu 0xfffe
	s_or_b32 exec_lo, exec_lo, s0
	s_and_saveexec_b32 s0, s7
	s_cbranch_execnz .LBB257_173
.LBB257_157:
	s_wait_alu 0xfffe
	s_or_b32 exec_lo, exec_lo, s0
	s_and_saveexec_b32 s0, s8
	s_cbranch_execnz .LBB257_174
.LBB257_158:
	s_wait_alu 0xfffe
	s_or_b32 exec_lo, exec_lo, s0
	s_and_saveexec_b32 s0, s9
	s_cbranch_execz .LBB257_160
.LBB257_159:
	v_mad_co_u64_u32 v[2:3], null, 0x1c00, s28, v[2:3]
	s_wait_dscnt 0x1
	s_delay_alu instid0(VALU_DEP_1)
	v_mad_co_u64_u32 v[3:4], null, 0x1c00, s29, v[3:4]
	s_wait_dscnt 0x0
	global_store_b64 v[2:3], v[0:1], off
.LBB257_160:
	s_nop 0
	s_sendmsg sendmsg(MSG_DEALLOC_VGPRS)
	s_endpgm
.LBB257_161:
	ds_load_u16 v9, v46
	s_wait_dscnt 0x0
	global_store_b16 v[0:1], v9, off
	s_wait_alu 0xfffe
	s_or_b32 exec_lo, exec_lo, s0
	s_and_saveexec_b32 s0, s3
	s_cbranch_execz .LBB257_144
.LBB257_162:
	s_lshl_b64 s[10:11], s[22:23], 8
	s_wait_alu 0xfffe
	v_add_co_u32 v9, vcc_lo, v0, s10
	s_wait_alu 0xfffd
	v_add_co_ci_u32_e64 v10, null, s11, v1, vcc_lo
	s_wait_dscnt 0x6
	global_store_b16 v[9:10], v8, off
	s_or_b32 exec_lo, exec_lo, s0
	s_and_saveexec_b32 s0, s4
	s_cbranch_execz .LBB257_145
.LBB257_163:
	s_lshl_b64 s[10:11], s[22:23], 9
	s_wait_dscnt 0x6
	s_wait_alu 0xfffe
	v_add_co_u32 v8, vcc_lo, v0, s10
	s_wait_alu 0xfffd
	v_add_co_ci_u32_e64 v9, null, s11, v1, vcc_lo
	s_wait_dscnt 0x5
	global_store_b16 v[8:9], v7, off
	s_or_b32 exec_lo, exec_lo, s0
	s_and_saveexec_b32 s0, s5
	s_cbranch_execz .LBB257_146
.LBB257_164:
	s_wait_dscnt 0x5
	v_mad_co_u64_u32 v[7:8], null, 0x300, s22, v[0:1]
	s_delay_alu instid0(VALU_DEP_1)
	v_mad_co_u64_u32 v[8:9], null, 0x300, s23, v[8:9]
	s_wait_dscnt 0x4
	global_store_b16 v[7:8], v6, off
	s_wait_alu 0xfffe
	s_or_b32 exec_lo, exec_lo, s0
	s_and_saveexec_b32 s0, s6
	s_cbranch_execz .LBB257_147
.LBB257_165:
	s_lshl_b64 s[10:11], s[22:23], 10
	s_wait_dscnt 0x4
	s_wait_alu 0xfffe
	v_add_co_u32 v6, vcc_lo, v0, s10
	s_wait_alu 0xfffd
	v_add_co_ci_u32_e64 v7, null, s11, v1, vcc_lo
	s_wait_dscnt 0x3
	global_store_b16 v[6:7], v5, off
	s_or_b32 exec_lo, exec_lo, s0
	s_and_saveexec_b32 s0, s7
	s_cbranch_execz .LBB257_148
.LBB257_166:
	s_wait_dscnt 0x3
	v_mad_co_u64_u32 v[5:6], null, 0x500, s22, v[0:1]
	s_delay_alu instid0(VALU_DEP_1)
	v_mad_co_u64_u32 v[6:7], null, 0x500, s23, v[6:7]
	s_wait_dscnt 0x2
	global_store_b16 v[5:6], v4, off
	s_wait_alu 0xfffe
	s_or_b32 exec_lo, exec_lo, s0
	s_and_saveexec_b32 s0, s8
	s_cbranch_execz .LBB257_149
.LBB257_167:
	s_wait_dscnt 0x2
	v_mad_co_u64_u32 v[4:5], null, 0x600, s22, v[0:1]
	s_delay_alu instid0(VALU_DEP_1)
	v_mad_co_u64_u32 v[5:6], null, 0x600, s23, v[5:6]
	s_wait_dscnt 0x1
	global_store_b16 v[4:5], v3, off
	s_wait_alu 0xfffe
	s_or_b32 exec_lo, exec_lo, s0
	s_and_saveexec_b32 s0, s9
	s_cbranch_execnz .LBB257_150
	s_branch .LBB257_151
.LBB257_168:
	ds_load_b64 v[16:17], v55
	s_wait_dscnt 0x0
	global_store_b64 v[2:3], v[16:17], off
	s_wait_alu 0xfffe
	s_or_b32 exec_lo, exec_lo, s0
	s_and_saveexec_b32 s0, s3
	s_cbranch_execz .LBB257_153
.LBB257_169:
	s_lshl_b64 s[2:3], s[28:29], 10
	s_wait_alu 0xfffe
	v_add_co_u32 v16, vcc_lo, v2, s2
	s_wait_alu 0xfffd
	v_add_co_ci_u32_e64 v17, null, s3, v3, vcc_lo
	s_wait_dscnt 0x6
	global_store_b64 v[16:17], v[14:15], off
	s_or_b32 exec_lo, exec_lo, s0
	s_and_saveexec_b32 s0, s4
	s_cbranch_execz .LBB257_154
.LBB257_170:
	s_lshl_b64 s[2:3], s[28:29], 11
	s_wait_dscnt 0x6
	s_wait_alu 0xfffe
	v_add_co_u32 v14, vcc_lo, v2, s2
	s_wait_alu 0xfffd
	v_add_co_ci_u32_e64 v15, null, s3, v3, vcc_lo
	s_wait_dscnt 0x5
	global_store_b64 v[14:15], v[12:13], off
	s_or_b32 exec_lo, exec_lo, s0
	s_and_saveexec_b32 s0, s5
	s_cbranch_execz .LBB257_155
.LBB257_171:
	s_wait_dscnt 0x5
	v_mad_co_u64_u32 v[12:13], null, 0xc00, s28, v[2:3]
	s_delay_alu instid0(VALU_DEP_1)
	v_mad_co_u64_u32 v[13:14], null, 0xc00, s29, v[13:14]
	s_wait_dscnt 0x4
	global_store_b64 v[12:13], v[10:11], off
	s_wait_alu 0xfffe
	s_or_b32 exec_lo, exec_lo, s0
	s_and_saveexec_b32 s0, s6
	s_cbranch_execz .LBB257_156
.LBB257_172:
	s_lshl_b64 s[2:3], s[28:29], 12
	s_wait_dscnt 0x4
	s_wait_alu 0xfffe
	v_add_co_u32 v10, vcc_lo, v2, s2
	s_wait_alu 0xfffd
	v_add_co_ci_u32_e64 v11, null, s3, v3, vcc_lo
	s_wait_dscnt 0x3
	global_store_b64 v[10:11], v[8:9], off
	s_or_b32 exec_lo, exec_lo, s0
	s_and_saveexec_b32 s0, s7
	s_cbranch_execz .LBB257_157
.LBB257_173:
	s_wait_dscnt 0x3
	v_mad_co_u64_u32 v[8:9], null, 0x1400, s28, v[2:3]
	s_delay_alu instid0(VALU_DEP_1)
	v_mad_co_u64_u32 v[9:10], null, 0x1400, s29, v[9:10]
	s_wait_dscnt 0x2
	global_store_b64 v[8:9], v[6:7], off
	s_wait_alu 0xfffe
	s_or_b32 exec_lo, exec_lo, s0
	s_and_saveexec_b32 s0, s8
	s_cbranch_execz .LBB257_158
.LBB257_174:
	s_wait_dscnt 0x2
	v_mad_co_u64_u32 v[6:7], null, 0x1800, s28, v[2:3]
	s_delay_alu instid0(VALU_DEP_1)
	v_mad_co_u64_u32 v[7:8], null, 0x1800, s29, v[7:8]
	s_wait_dscnt 0x1
	global_store_b64 v[6:7], v[4:5], off
	s_wait_alu 0xfffe
	s_or_b32 exec_lo, exec_lo, s0
	s_and_saveexec_b32 s0, s9
	s_cbranch_execnz .LBB257_159
	s_branch .LBB257_160
	.section	.rodata,"a",@progbits
	.p2align	6, 0x0
	.amdhsa_kernel _ZN2at6native18radixSortKVInPlaceILin1ELin1ELi128ELi8EN3c108BFloat16ElmEEvNS_4cuda6detail10TensorInfoIT3_T5_EES8_S8_S8_NS6_IT4_S8_EES8_b
		.amdhsa_group_segment_fixed_size 8448
		.amdhsa_private_segment_fixed_size 0
		.amdhsa_kernarg_size 1128
		.amdhsa_user_sgpr_count 2
		.amdhsa_user_sgpr_dispatch_ptr 0
		.amdhsa_user_sgpr_queue_ptr 0
		.amdhsa_user_sgpr_kernarg_segment_ptr 1
		.amdhsa_user_sgpr_dispatch_id 0
		.amdhsa_user_sgpr_private_segment_size 0
		.amdhsa_wavefront_size32 1
		.amdhsa_uses_dynamic_stack 0
		.amdhsa_enable_private_segment 0
		.amdhsa_system_sgpr_workgroup_id_x 1
		.amdhsa_system_sgpr_workgroup_id_y 1
		.amdhsa_system_sgpr_workgroup_id_z 1
		.amdhsa_system_sgpr_workgroup_info 0
		.amdhsa_system_vgpr_workitem_id 2
		.amdhsa_next_free_vgpr 111
		.amdhsa_next_free_sgpr 38
		.amdhsa_reserve_vcc 1
		.amdhsa_float_round_mode_32 0
		.amdhsa_float_round_mode_16_64 0
		.amdhsa_float_denorm_mode_32 3
		.amdhsa_float_denorm_mode_16_64 3
		.amdhsa_fp16_overflow 0
		.amdhsa_workgroup_processor_mode 1
		.amdhsa_memory_ordered 1
		.amdhsa_forward_progress 1
		.amdhsa_inst_pref_size 190
		.amdhsa_round_robin_scheduling 0
		.amdhsa_exception_fp_ieee_invalid_op 0
		.amdhsa_exception_fp_denorm_src 0
		.amdhsa_exception_fp_ieee_div_zero 0
		.amdhsa_exception_fp_ieee_overflow 0
		.amdhsa_exception_fp_ieee_underflow 0
		.amdhsa_exception_fp_ieee_inexact 0
		.amdhsa_exception_int_div_zero 0
	.end_amdhsa_kernel
	.section	.text._ZN2at6native18radixSortKVInPlaceILin1ELin1ELi128ELi8EN3c108BFloat16ElmEEvNS_4cuda6detail10TensorInfoIT3_T5_EES8_S8_S8_NS6_IT4_S8_EES8_b,"axG",@progbits,_ZN2at6native18radixSortKVInPlaceILin1ELin1ELi128ELi8EN3c108BFloat16ElmEEvNS_4cuda6detail10TensorInfoIT3_T5_EES8_S8_S8_NS6_IT4_S8_EES8_b,comdat
.Lfunc_end257:
	.size	_ZN2at6native18radixSortKVInPlaceILin1ELin1ELi128ELi8EN3c108BFloat16ElmEEvNS_4cuda6detail10TensorInfoIT3_T5_EES8_S8_S8_NS6_IT4_S8_EES8_b, .Lfunc_end257-_ZN2at6native18radixSortKVInPlaceILin1ELin1ELi128ELi8EN3c108BFloat16ElmEEvNS_4cuda6detail10TensorInfoIT3_T5_EES8_S8_S8_NS6_IT4_S8_EES8_b
                                        ; -- End function
	.set _ZN2at6native18radixSortKVInPlaceILin1ELin1ELi128ELi8EN3c108BFloat16ElmEEvNS_4cuda6detail10TensorInfoIT3_T5_EES8_S8_S8_NS6_IT4_S8_EES8_b.num_vgpr, 111
	.set _ZN2at6native18radixSortKVInPlaceILin1ELin1ELi128ELi8EN3c108BFloat16ElmEEvNS_4cuda6detail10TensorInfoIT3_T5_EES8_S8_S8_NS6_IT4_S8_EES8_b.num_agpr, 0
	.set _ZN2at6native18radixSortKVInPlaceILin1ELin1ELi128ELi8EN3c108BFloat16ElmEEvNS_4cuda6detail10TensorInfoIT3_T5_EES8_S8_S8_NS6_IT4_S8_EES8_b.numbered_sgpr, 38
	.set _ZN2at6native18radixSortKVInPlaceILin1ELin1ELi128ELi8EN3c108BFloat16ElmEEvNS_4cuda6detail10TensorInfoIT3_T5_EES8_S8_S8_NS6_IT4_S8_EES8_b.num_named_barrier, 0
	.set _ZN2at6native18radixSortKVInPlaceILin1ELin1ELi128ELi8EN3c108BFloat16ElmEEvNS_4cuda6detail10TensorInfoIT3_T5_EES8_S8_S8_NS6_IT4_S8_EES8_b.private_seg_size, 0
	.set _ZN2at6native18radixSortKVInPlaceILin1ELin1ELi128ELi8EN3c108BFloat16ElmEEvNS_4cuda6detail10TensorInfoIT3_T5_EES8_S8_S8_NS6_IT4_S8_EES8_b.uses_vcc, 1
	.set _ZN2at6native18radixSortKVInPlaceILin1ELin1ELi128ELi8EN3c108BFloat16ElmEEvNS_4cuda6detail10TensorInfoIT3_T5_EES8_S8_S8_NS6_IT4_S8_EES8_b.uses_flat_scratch, 0
	.set _ZN2at6native18radixSortKVInPlaceILin1ELin1ELi128ELi8EN3c108BFloat16ElmEEvNS_4cuda6detail10TensorInfoIT3_T5_EES8_S8_S8_NS6_IT4_S8_EES8_b.has_dyn_sized_stack, 0
	.set _ZN2at6native18radixSortKVInPlaceILin1ELin1ELi128ELi8EN3c108BFloat16ElmEEvNS_4cuda6detail10TensorInfoIT3_T5_EES8_S8_S8_NS6_IT4_S8_EES8_b.has_recursion, 0
	.set _ZN2at6native18radixSortKVInPlaceILin1ELin1ELi128ELi8EN3c108BFloat16ElmEEvNS_4cuda6detail10TensorInfoIT3_T5_EES8_S8_S8_NS6_IT4_S8_EES8_b.has_indirect_call, 0
	.section	.AMDGPU.csdata,"",@progbits
; Kernel info:
; codeLenInByte = 24260
; TotalNumSgprs: 40
; NumVgprs: 111
; ScratchSize: 0
; MemoryBound: 0
; FloatMode: 240
; IeeeMode: 1
; LDSByteSize: 8448 bytes/workgroup (compile time only)
; SGPRBlocks: 0
; VGPRBlocks: 13
; NumSGPRsForWavesPerEU: 40
; NumVGPRsForWavesPerEU: 111
; Occupancy: 12
; WaveLimiterHint : 1
; COMPUTE_PGM_RSRC2:SCRATCH_EN: 0
; COMPUTE_PGM_RSRC2:USER_SGPR: 2
; COMPUTE_PGM_RSRC2:TRAP_HANDLER: 0
; COMPUTE_PGM_RSRC2:TGID_X_EN: 1
; COMPUTE_PGM_RSRC2:TGID_Y_EN: 1
; COMPUTE_PGM_RSRC2:TGID_Z_EN: 1
; COMPUTE_PGM_RSRC2:TIDIG_COMP_CNT: 2
	.section	.text._ZN2at6native18radixSortKVInPlaceILin1ELin1ELi32ELi4EN3c108BFloat16ElmEEvNS_4cuda6detail10TensorInfoIT3_T5_EES8_S8_S8_NS6_IT4_S8_EES8_b,"axG",@progbits,_ZN2at6native18radixSortKVInPlaceILin1ELin1ELi32ELi4EN3c108BFloat16ElmEEvNS_4cuda6detail10TensorInfoIT3_T5_EES8_S8_S8_NS6_IT4_S8_EES8_b,comdat
	.protected	_ZN2at6native18radixSortKVInPlaceILin1ELin1ELi32ELi4EN3c108BFloat16ElmEEvNS_4cuda6detail10TensorInfoIT3_T5_EES8_S8_S8_NS6_IT4_S8_EES8_b ; -- Begin function _ZN2at6native18radixSortKVInPlaceILin1ELin1ELi32ELi4EN3c108BFloat16ElmEEvNS_4cuda6detail10TensorInfoIT3_T5_EES8_S8_S8_NS6_IT4_S8_EES8_b
	.globl	_ZN2at6native18radixSortKVInPlaceILin1ELin1ELi32ELi4EN3c108BFloat16ElmEEvNS_4cuda6detail10TensorInfoIT3_T5_EES8_S8_S8_NS6_IT4_S8_EES8_b
	.p2align	8
	.type	_ZN2at6native18radixSortKVInPlaceILin1ELin1ELi32ELi4EN3c108BFloat16ElmEEvNS_4cuda6detail10TensorInfoIT3_T5_EES8_S8_S8_NS6_IT4_S8_EES8_b,@function
_ZN2at6native18radixSortKVInPlaceILin1ELin1ELi32ELi4EN3c108BFloat16ElmEEvNS_4cuda6detail10TensorInfoIT3_T5_EES8_S8_S8_NS6_IT4_S8_EES8_b: ; @_ZN2at6native18radixSortKVInPlaceILin1ELin1ELi32ELi4EN3c108BFloat16ElmEEvNS_4cuda6detail10TensorInfoIT3_T5_EES8_S8_S8_NS6_IT4_S8_EES8_b
; %bb.0:
	s_clause 0x1
	s_load_b64 s[2:3], s[0:1], 0x368
	s_load_b128 s[4:7], s[0:1], 0x1a0
	s_wait_kmcnt 0x0
	s_lshr_b32 s7, ttmp7, 16
	s_and_b32 s8, ttmp7, 0xffff
	s_mul_i32 s3, s3, s7
	s_delay_alu instid0(SALU_CYCLE_1) | instskip(NEXT) | instid1(SALU_CYCLE_1)
	s_add_co_i32 s3, s3, s8
	s_mul_i32 s2, s3, s2
	s_mov_b32 s3, 0
	s_add_co_i32 s2, s2, ttmp9
	s_delay_alu instid0(SALU_CYCLE_1)
	v_cmp_le_u64_e64 s4, s[4:5], s[2:3]
	s_and_b32 vcc_lo, exec_lo, s4
	s_cbranch_vccnz .LBB258_88
; %bb.1:
	s_clause 0x1
	s_load_b32 s7, s[0:1], 0x198
	s_load_b64 s[14:15], s[0:1], 0x1b0
	s_mov_b64 s[4:5], 0
	s_mov_b64 s[10:11], s[2:3]
	s_wait_kmcnt 0x0
	s_cmp_lt_i32 s7, 2
	s_cbranch_scc1 .LBB258_9
; %bb.2:
	s_mov_b32 s8, 0
	s_add_co_i32 s4, s7, -1
	s_mov_b32 s5, s8
	s_add_co_i32 s7, s7, 1
	s_wait_alu 0xfffe
	s_lshl_b64 s[4:5], s[4:5], 3
	s_mov_b64 s[16:17], s[2:3]
	s_wait_alu 0xfffe
	s_add_nc_u64 s[10:11], s[0:1], s[4:5]
	s_mov_b64 s[4:5], 0
	s_add_nc_u64 s[12:13], s[10:11], 8
.LBB258_3:                              ; =>This Inner Loop Header: Depth=1
	s_load_b64 s[18:19], s[12:13], 0x0
	s_wait_kmcnt 0x0
	s_or_b64 s[10:11], s[16:17], s[18:19]
	s_delay_alu instid0(SALU_CYCLE_1)
	s_mov_b32 s9, s11
                                        ; implicit-def: $sgpr10_sgpr11
	s_wait_alu 0xfffe
	s_cmp_lg_u64 s[8:9], 0
	s_mov_b32 s9, -1
	s_cbranch_scc0 .LBB258_5
; %bb.4:                                ;   in Loop: Header=BB258_3 Depth=1
	s_cvt_f32_u32 s9, s18
	s_cvt_f32_u32 s10, s19
	s_sub_nc_u64 s[20:21], 0, s[18:19]
	s_mov_b32 s23, s8
	s_mov_b32 s27, s8
	s_wait_alu 0xfffe
	s_fmamk_f32 s9, s10, 0x4f800000, s9
	s_wait_alu 0xfffe
	s_delay_alu instid0(SALU_CYCLE_2) | instskip(NEXT) | instid1(TRANS32_DEP_1)
	v_s_rcp_f32 s9, s9
	s_mul_f32 s9, s9, 0x5f7ffffc
	s_wait_alu 0xfffe
	s_delay_alu instid0(SALU_CYCLE_2) | instskip(NEXT) | instid1(SALU_CYCLE_3)
	s_mul_f32 s10, s9, 0x2f800000
	s_trunc_f32 s10, s10
	s_delay_alu instid0(SALU_CYCLE_3) | instskip(SKIP_2) | instid1(SALU_CYCLE_1)
	s_fmamk_f32 s9, s10, 0xcf800000, s9
	s_cvt_u32_f32 s11, s10
	s_wait_alu 0xfffe
	s_cvt_u32_f32 s10, s9
	s_delay_alu instid0(SALU_CYCLE_3) | instskip(NEXT) | instid1(SALU_CYCLE_1)
	s_mul_u64 s[24:25], s[20:21], s[10:11]
	s_mul_hi_u32 s29, s10, s25
	s_mul_i32 s28, s10, s25
	s_mul_hi_u32 s22, s10, s24
	s_mul_i32 s26, s11, s24
	s_add_nc_u64 s[22:23], s[22:23], s[28:29]
	s_mul_hi_u32 s9, s11, s24
	s_mul_hi_u32 s30, s11, s25
	s_add_co_u32 s22, s22, s26
	s_wait_alu 0xfffe
	s_add_co_ci_u32 s26, s23, s9
	s_mul_i32 s24, s11, s25
	s_add_co_ci_u32 s25, s30, 0
	s_delay_alu instid0(SALU_CYCLE_1)
	s_add_nc_u64 s[22:23], s[26:27], s[24:25]
	s_mov_b32 s25, s8
	s_add_co_u32 s10, s10, s22
	s_cselect_b32 s9, -1, 0
	s_wait_alu 0xfffe
	s_cmp_lg_u32 s9, 0
	s_add_co_ci_u32 s11, s11, s23
	s_mov_b32 s23, s8
	s_mul_u64 s[20:21], s[20:21], s[10:11]
	s_delay_alu instid0(SALU_CYCLE_1)
	s_mul_hi_u32 s27, s10, s21
	s_mul_i32 s26, s10, s21
	s_mul_hi_u32 s22, s10, s20
	s_mul_i32 s24, s11, s20
	s_add_nc_u64 s[22:23], s[22:23], s[26:27]
	s_mul_hi_u32 s9, s11, s20
	s_mul_hi_u32 s28, s11, s21
	s_mul_i32 s20, s11, s21
	s_add_co_u32 s21, s22, s24
	s_wait_alu 0xfffe
	s_add_co_ci_u32 s24, s23, s9
	s_add_co_ci_u32 s21, s28, 0
	s_mov_b32 s23, s8
	s_add_nc_u64 s[20:21], s[24:25], s[20:21]
	s_delay_alu instid0(SALU_CYCLE_1)
	s_add_co_u32 s9, s10, s20
	s_cselect_b32 s10, -1, 0
	s_wait_alu 0xfffe
	s_mul_hi_u32 s22, s16, s9
	s_cmp_lg_u32 s10, 0
	s_mul_hi_u32 s24, s17, s9
	s_add_co_ci_u32 s20, s11, s21
	s_mul_i32 s9, s17, s9
	s_mul_hi_u32 s11, s16, s20
	s_mul_i32 s10, s16, s20
	s_mul_hi_u32 s21, s17, s20
	s_add_nc_u64 s[10:11], s[22:23], s[10:11]
	s_mul_i32 s20, s17, s20
	s_wait_alu 0xfffe
	s_add_co_u32 s9, s10, s9
	s_add_co_ci_u32 s24, s11, s24
	s_add_co_ci_u32 s21, s21, 0
	s_delay_alu instid0(SALU_CYCLE_1) | instskip(NEXT) | instid1(SALU_CYCLE_1)
	s_add_nc_u64 s[10:11], s[24:25], s[20:21]
	s_mul_u64 s[20:21], s[18:19], s[10:11]
	s_delay_alu instid0(SALU_CYCLE_1)
	s_sub_co_u32 s9, s16, s20
	s_cselect_b32 s20, -1, 0
	s_sub_co_i32 s22, s17, s21
	s_cmp_lg_u32 s20, 0
	s_sub_co_ci_u32 s22, s22, s19
	s_wait_alu 0xfffe
	s_sub_co_u32 s23, s9, s18
	s_cselect_b32 s24, -1, 0
	s_delay_alu instid0(SALU_CYCLE_1) | instskip(SKIP_1) | instid1(SALU_CYCLE_1)
	s_cmp_lg_u32 s24, 0
	s_sub_co_ci_u32 s22, s22, 0
	s_cmp_ge_u32 s22, s19
	s_cselect_b32 s24, -1, 0
	s_cmp_ge_u32 s23, s18
	s_cselect_b32 s25, -1, 0
	s_cmp_eq_u32 s22, s19
	s_add_nc_u64 s[22:23], s[10:11], 1
	s_cselect_b32 s26, s25, s24
	s_add_nc_u64 s[24:25], s[10:11], 2
	s_cmp_lg_u32 s26, 0
	s_cselect_b32 s22, s24, s22
	s_cselect_b32 s23, s25, s23
	s_cmp_lg_u32 s20, 0
	s_sub_co_ci_u32 s20, s17, s21
	s_delay_alu instid0(SALU_CYCLE_1)
	s_cmp_ge_u32 s20, s19
	s_cselect_b32 s21, -1, 0
	s_cmp_ge_u32 s9, s18
	s_cselect_b32 s9, -1, 0
	s_cmp_eq_u32 s20, s19
	s_wait_alu 0xfffe
	s_cselect_b32 s9, s9, s21
	s_wait_alu 0xfffe
	s_cmp_lg_u32 s9, 0
	s_mov_b32 s9, 0
	s_cselect_b32 s11, s23, s11
	s_cselect_b32 s10, s22, s10
.LBB258_5:                              ;   in Loop: Header=BB258_3 Depth=1
	s_wait_alu 0xfffe
	s_and_not1_b32 vcc_lo, exec_lo, s9
	s_cbranch_vccnz .LBB258_7
; %bb.6:                                ;   in Loop: Header=BB258_3 Depth=1
	v_cvt_f32_u32_e32 v1, s18
	s_sub_co_i32 s10, 0, s18
	s_delay_alu instid0(VALU_DEP_1) | instskip(NEXT) | instid1(TRANS32_DEP_1)
	v_rcp_iflag_f32_e32 v1, v1
	v_mul_f32_e32 v1, 0x4f7ffffe, v1
	s_delay_alu instid0(VALU_DEP_1) | instskip(NEXT) | instid1(VALU_DEP_1)
	v_cvt_u32_f32_e32 v1, v1
	v_readfirstlane_b32 s9, v1
	s_mul_i32 s10, s10, s9
	s_delay_alu instid0(SALU_CYCLE_1) | instskip(NEXT) | instid1(SALU_CYCLE_1)
	s_mul_hi_u32 s10, s9, s10
	s_add_co_i32 s9, s9, s10
	s_wait_alu 0xfffe
	s_mul_hi_u32 s9, s16, s9
	s_wait_alu 0xfffe
	s_mul_i32 s10, s9, s18
	s_add_co_i32 s11, s9, 1
	s_sub_co_i32 s10, s16, s10
	s_delay_alu instid0(SALU_CYCLE_1)
	s_sub_co_i32 s20, s10, s18
	s_cmp_ge_u32 s10, s18
	s_cselect_b32 s9, s11, s9
	s_cselect_b32 s10, s20, s10
	s_wait_alu 0xfffe
	s_add_co_i32 s11, s9, 1
	s_cmp_ge_u32 s10, s18
	s_cselect_b32 s10, s11, s9
	s_mov_b32 s11, s8
.LBB258_7:                              ;   in Loop: Header=BB258_3 Depth=1
	s_load_b64 s[20:21], s[12:13], 0xc8
	s_mul_u64 s[18:19], s[10:11], s[18:19]
	s_add_co_i32 s7, s7, -1
	s_wait_alu 0xfffe
	s_sub_nc_u64 s[16:17], s[16:17], s[18:19]
	s_cmp_gt_u32 s7, 2
	s_add_nc_u64 s[12:13], s[12:13], -8
	s_wait_kmcnt 0x0
	s_mul_u64 s[16:17], s[20:21], s[16:17]
	s_delay_alu instid0(SALU_CYCLE_1)
	s_add_nc_u64 s[4:5], s[16:17], s[4:5]
	s_cbranch_scc0 .LBB258_9
; %bb.8:                                ;   in Loop: Header=BB258_3 Depth=1
	s_mov_b64 s[16:17], s[10:11]
	s_branch .LBB258_3
.LBB258_9:
	s_load_b32 s7, s[0:1], 0x350
	s_add_nc_u64 s[22:23], s[0:1], 0x368
	s_mov_b64 s[8:9], 0
	s_wait_kmcnt 0x0
	s_cmp_lt_i32 s7, 2
	s_cbranch_scc1 .LBB258_17
; %bb.10:
	s_mov_b32 s12, 0
	s_add_co_i32 s8, s7, -1
	s_mov_b32 s9, s12
	s_add_co_i32 s7, s7, 1
	s_wait_alu 0xfffe
	s_lshl_b64 s[8:9], s[8:9], 3
	s_wait_alu 0xfffe
	s_add_nc_u64 s[8:9], s[0:1], s[8:9]
	s_wait_alu 0xfffe
	s_add_nc_u64 s[16:17], s[8:9], 0x1c0
	s_mov_b64 s[8:9], 0
.LBB258_11:                             ; =>This Inner Loop Header: Depth=1
	s_load_b64 s[18:19], s[16:17], 0x0
	s_wait_kmcnt 0x0
	s_or_b64 s[20:21], s[2:3], s[18:19]
	s_delay_alu instid0(SALU_CYCLE_1)
	s_mov_b32 s13, s21
                                        ; implicit-def: $sgpr20_sgpr21
	s_wait_alu 0xfffe
	s_cmp_lg_u64 s[12:13], 0
	s_mov_b32 s13, -1
	s_cbranch_scc0 .LBB258_13
; %bb.12:                               ;   in Loop: Header=BB258_11 Depth=1
	s_cvt_f32_u32 s13, s18
	s_cvt_f32_u32 s20, s19
	s_sub_nc_u64 s[24:25], 0, s[18:19]
	s_mov_b32 s27, s12
	s_mov_b32 s31, s12
	s_wait_alu 0xfffe
	s_fmamk_f32 s13, s20, 0x4f800000, s13
	s_wait_alu 0xfffe
	s_delay_alu instid0(SALU_CYCLE_2) | instskip(NEXT) | instid1(TRANS32_DEP_1)
	v_s_rcp_f32 s13, s13
	s_mul_f32 s13, s13, 0x5f7ffffc
	s_wait_alu 0xfffe
	s_delay_alu instid0(SALU_CYCLE_2) | instskip(NEXT) | instid1(SALU_CYCLE_3)
	s_mul_f32 s20, s13, 0x2f800000
	s_trunc_f32 s20, s20
	s_delay_alu instid0(SALU_CYCLE_3) | instskip(SKIP_2) | instid1(SALU_CYCLE_1)
	s_fmamk_f32 s13, s20, 0xcf800000, s13
	s_cvt_u32_f32 s21, s20
	s_wait_alu 0xfffe
	s_cvt_u32_f32 s20, s13
	s_delay_alu instid0(SALU_CYCLE_3) | instskip(NEXT) | instid1(SALU_CYCLE_1)
	s_mul_u64 s[28:29], s[24:25], s[20:21]
	s_mul_hi_u32 s35, s20, s29
	s_mul_i32 s34, s20, s29
	s_mul_hi_u32 s26, s20, s28
	s_mul_i32 s30, s21, s28
	s_add_nc_u64 s[26:27], s[26:27], s[34:35]
	s_mul_hi_u32 s13, s21, s28
	s_mul_hi_u32 s33, s21, s29
	s_add_co_u32 s26, s26, s30
	s_wait_alu 0xfffe
	s_add_co_ci_u32 s30, s27, s13
	s_mul_i32 s28, s21, s29
	s_add_co_ci_u32 s29, s33, 0
	s_delay_alu instid0(SALU_CYCLE_1)
	s_add_nc_u64 s[26:27], s[30:31], s[28:29]
	s_mov_b32 s29, s12
	s_add_co_u32 s20, s20, s26
	s_cselect_b32 s13, -1, 0
	s_wait_alu 0xfffe
	s_cmp_lg_u32 s13, 0
	s_add_co_ci_u32 s21, s21, s27
	s_mov_b32 s27, s12
	s_mul_u64 s[24:25], s[24:25], s[20:21]
	s_delay_alu instid0(SALU_CYCLE_1)
	s_mul_hi_u32 s31, s20, s25
	s_mul_i32 s30, s20, s25
	s_mul_hi_u32 s26, s20, s24
	s_mul_i32 s28, s21, s24
	s_add_nc_u64 s[26:27], s[26:27], s[30:31]
	s_mul_hi_u32 s13, s21, s24
	s_mul_hi_u32 s33, s21, s25
	s_mul_i32 s24, s21, s25
	s_add_co_u32 s25, s26, s28
	s_wait_alu 0xfffe
	s_add_co_ci_u32 s28, s27, s13
	s_add_co_ci_u32 s25, s33, 0
	s_mov_b32 s27, s12
	s_add_nc_u64 s[24:25], s[28:29], s[24:25]
	s_delay_alu instid0(SALU_CYCLE_1)
	s_add_co_u32 s13, s20, s24
	s_cselect_b32 s20, -1, 0
	s_wait_alu 0xfffe
	s_mul_hi_u32 s26, s2, s13
	s_cmp_lg_u32 s20, 0
	s_mul_hi_u32 s28, s3, s13
	s_add_co_ci_u32 s24, s21, s25
	s_mul_i32 s13, s3, s13
	s_mul_hi_u32 s21, s2, s24
	s_mul_i32 s20, s2, s24
	s_mul_hi_u32 s25, s3, s24
	s_add_nc_u64 s[20:21], s[26:27], s[20:21]
	s_mul_i32 s24, s3, s24
	s_wait_alu 0xfffe
	s_add_co_u32 s13, s20, s13
	s_add_co_ci_u32 s28, s21, s28
	s_add_co_ci_u32 s25, s25, 0
	s_delay_alu instid0(SALU_CYCLE_1) | instskip(NEXT) | instid1(SALU_CYCLE_1)
	s_add_nc_u64 s[20:21], s[28:29], s[24:25]
	s_mul_u64 s[24:25], s[18:19], s[20:21]
	s_delay_alu instid0(SALU_CYCLE_1)
	s_sub_co_u32 s13, s2, s24
	s_cselect_b32 s24, -1, 0
	s_sub_co_i32 s26, s3, s25
	s_cmp_lg_u32 s24, 0
	s_sub_co_ci_u32 s26, s26, s19
	s_wait_alu 0xfffe
	s_sub_co_u32 s27, s13, s18
	s_cselect_b32 s28, -1, 0
	s_delay_alu instid0(SALU_CYCLE_1) | instskip(SKIP_1) | instid1(SALU_CYCLE_1)
	s_cmp_lg_u32 s28, 0
	s_sub_co_ci_u32 s26, s26, 0
	s_cmp_ge_u32 s26, s19
	s_cselect_b32 s28, -1, 0
	s_cmp_ge_u32 s27, s18
	s_cselect_b32 s29, -1, 0
	s_cmp_eq_u32 s26, s19
	s_add_nc_u64 s[26:27], s[20:21], 1
	s_cselect_b32 s30, s29, s28
	s_add_nc_u64 s[28:29], s[20:21], 2
	s_cmp_lg_u32 s30, 0
	s_cselect_b32 s26, s28, s26
	s_cselect_b32 s27, s29, s27
	s_cmp_lg_u32 s24, 0
	s_sub_co_ci_u32 s24, s3, s25
	s_delay_alu instid0(SALU_CYCLE_1)
	s_cmp_ge_u32 s24, s19
	s_cselect_b32 s25, -1, 0
	s_cmp_ge_u32 s13, s18
	s_cselect_b32 s13, -1, 0
	s_cmp_eq_u32 s24, s19
	s_wait_alu 0xfffe
	s_cselect_b32 s13, s13, s25
	s_wait_alu 0xfffe
	s_cmp_lg_u32 s13, 0
	s_mov_b32 s13, 0
	s_cselect_b32 s21, s27, s21
	s_cselect_b32 s20, s26, s20
.LBB258_13:                             ;   in Loop: Header=BB258_11 Depth=1
	s_wait_alu 0xfffe
	s_and_not1_b32 vcc_lo, exec_lo, s13
	s_cbranch_vccnz .LBB258_15
; %bb.14:                               ;   in Loop: Header=BB258_11 Depth=1
	v_cvt_f32_u32_e32 v1, s18
	s_sub_co_i32 s20, 0, s18
	s_delay_alu instid0(VALU_DEP_1) | instskip(NEXT) | instid1(TRANS32_DEP_1)
	v_rcp_iflag_f32_e32 v1, v1
	v_mul_f32_e32 v1, 0x4f7ffffe, v1
	s_delay_alu instid0(VALU_DEP_1) | instskip(NEXT) | instid1(VALU_DEP_1)
	v_cvt_u32_f32_e32 v1, v1
	v_readfirstlane_b32 s13, v1
	s_mul_i32 s20, s20, s13
	s_delay_alu instid0(SALU_CYCLE_1) | instskip(NEXT) | instid1(SALU_CYCLE_1)
	s_mul_hi_u32 s20, s13, s20
	s_add_co_i32 s13, s13, s20
	s_wait_alu 0xfffe
	s_mul_hi_u32 s13, s2, s13
	s_wait_alu 0xfffe
	s_mul_i32 s20, s13, s18
	s_add_co_i32 s21, s13, 1
	s_sub_co_i32 s20, s2, s20
	s_delay_alu instid0(SALU_CYCLE_1)
	s_sub_co_i32 s24, s20, s18
	s_cmp_ge_u32 s20, s18
	s_cselect_b32 s13, s21, s13
	s_cselect_b32 s20, s24, s20
	s_wait_alu 0xfffe
	s_add_co_i32 s21, s13, 1
	s_cmp_ge_u32 s20, s18
	s_cselect_b32 s20, s21, s13
	s_mov_b32 s21, s12
.LBB258_15:                             ;   in Loop: Header=BB258_11 Depth=1
	s_load_b64 s[24:25], s[16:17], 0xc8
	s_mul_u64 s[18:19], s[20:21], s[18:19]
	s_add_co_i32 s7, s7, -1
	s_wait_alu 0xfffe
	s_sub_nc_u64 s[2:3], s[2:3], s[18:19]
	s_cmp_gt_u32 s7, 2
	s_add_nc_u64 s[16:17], s[16:17], -8
	s_wait_kmcnt 0x0
	s_wait_alu 0xfffe
	s_mul_u64 s[2:3], s[24:25], s[2:3]
	s_wait_alu 0xfffe
	s_add_nc_u64 s[8:9], s[2:3], s[8:9]
	s_cbranch_scc0 .LBB258_18
; %bb.16:                               ;   in Loop: Header=BB258_11 Depth=1
	s_mov_b64 s[2:3], s[20:21]
	s_branch .LBB258_11
.LBB258_17:
	s_mov_b64 s[20:21], s[2:3]
.LBB258_18:
	s_clause 0x2
	s_load_b64 s[2:3], s[0:1], 0xd0
	s_load_b32 s7, s[0:1], 0x360
	s_load_b64 s[12:13], s[0:1], 0x0
	v_and_b32_e32 v17, 0x3ff, v0
	s_wait_kmcnt 0x0
	s_mul_u64 s[2:3], s[2:3], s[10:11]
	s_bitcmp1_b32 s7, 0
	s_mov_b32 s10, 0xffff
	s_cselect_b32 s7, -1, 0
	s_delay_alu instid0(SALU_CYCLE_1)
	s_and_b32 s11, s7, exec_lo
	s_cselect_b32 s16, s10, 0x7fff
	s_wait_alu 0xfffe
	s_lshl_b64 s[10:11], s[2:3], 1
	v_cmp_gt_u32_e64 s2, s6, v17
	v_mov_b32_e32 v1, s16
	s_add_nc_u64 s[10:11], s[12:13], s[10:11]
	s_lshl_b64 s[4:5], s[4:5], 1
	s_wait_alu 0xfffe
	s_add_nc_u64 s[18:19], s[10:11], s[4:5]
	s_and_saveexec_b32 s3, s2
	s_cbranch_execz .LBB258_20
; %bb.19:
	v_mad_co_u64_u32 v[1:2], null, s14, v17, 0
	s_delay_alu instid0(VALU_DEP_1) | instskip(NEXT) | instid1(VALU_DEP_1)
	v_mad_co_u64_u32 v[2:3], null, s15, v17, v[2:3]
	v_lshlrev_b64_e32 v[1:2], 1, v[1:2]
	s_wait_alu 0xfffe
	s_delay_alu instid0(VALU_DEP_1) | instskip(NEXT) | instid1(VALU_DEP_1)
	v_add_co_u32 v1, vcc_lo, s18, v1
	v_add_co_ci_u32_e64 v2, null, s19, v2, vcc_lo
	global_load_u16 v1, v[1:2], off
.LBB258_20:
	s_wait_alu 0xfffe
	s_or_b32 exec_lo, exec_lo, s3
	v_dual_mov_b32 v2, s16 :: v_dual_add_nc_u32 v9, 32, v17
	s_delay_alu instid0(VALU_DEP_1)
	v_cmp_gt_u32_e64 s3, s6, v9
	s_and_saveexec_b32 s4, s3
	s_cbranch_execz .LBB258_22
; %bb.21:
	v_mad_co_u64_u32 v[2:3], null, s14, v9, 0
	s_delay_alu instid0(VALU_DEP_1) | instskip(NEXT) | instid1(VALU_DEP_1)
	v_mad_co_u64_u32 v[3:4], null, s15, v9, v[3:4]
	v_lshlrev_b64_e32 v[2:3], 1, v[2:3]
	s_delay_alu instid0(VALU_DEP_1) | instskip(SKIP_1) | instid1(VALU_DEP_2)
	v_add_co_u32 v2, vcc_lo, s18, v2
	s_wait_alu 0xfffd
	v_add_co_ci_u32_e64 v3, null, s19, v3, vcc_lo
	global_load_u16 v2, v[2:3], off
.LBB258_22:
	s_wait_alu 0xfffe
	s_or_b32 exec_lo, exec_lo, s4
	v_dual_mov_b32 v3, s16 :: v_dual_add_nc_u32 v10, 64, v17
	s_delay_alu instid0(VALU_DEP_1)
	v_cmp_gt_u32_e64 s4, s6, v10
	s_and_saveexec_b32 s5, s4
	s_cbranch_execz .LBB258_24
; %bb.23:
	v_mad_co_u64_u32 v[3:4], null, s14, v10, 0
	s_delay_alu instid0(VALU_DEP_1) | instskip(NEXT) | instid1(VALU_DEP_1)
	v_mad_co_u64_u32 v[4:5], null, s15, v10, v[4:5]
	v_lshlrev_b64_e32 v[3:4], 1, v[3:4]
	s_delay_alu instid0(VALU_DEP_1) | instskip(SKIP_1) | instid1(VALU_DEP_2)
	v_add_co_u32 v3, vcc_lo, s18, v3
	s_wait_alu 0xfffd
	v_add_co_ci_u32_e64 v4, null, s19, v4, vcc_lo
	global_load_u16 v3, v[3:4], off
.LBB258_24:
	s_wait_alu 0xfffe
	s_or_b32 exec_lo, exec_lo, s5
	s_clause 0x1
	s_load_b64 s[12:13], s[0:1], 0x288
	s_load_b64 s[10:11], s[0:1], 0x1b8
	v_dual_mov_b32 v4, s16 :: v_dual_add_nc_u32 v11, 0x60, v17
	s_delay_alu instid0(VALU_DEP_1)
	v_cmp_gt_u32_e64 s5, s6, v11
	s_and_saveexec_b32 s6, s5
	s_cbranch_execz .LBB258_26
; %bb.25:
	v_mad_co_u64_u32 v[4:5], null, s14, v11, 0
	s_delay_alu instid0(VALU_DEP_1) | instskip(NEXT) | instid1(VALU_DEP_1)
	v_mad_co_u64_u32 v[5:6], null, s15, v11, v[5:6]
	v_lshlrev_b64_e32 v[4:5], 1, v[4:5]
	s_delay_alu instid0(VALU_DEP_1) | instskip(SKIP_1) | instid1(VALU_DEP_2)
	v_add_co_u32 v4, vcc_lo, s18, v4
	s_wait_alu 0xfffd
	v_add_co_ci_u32_e64 v5, null, s19, v5, vcc_lo
	global_load_u16 v4, v[4:5], off
.LBB258_26:
	s_wait_alu 0xfffe
	s_or_b32 exec_lo, exec_lo, s6
	v_lshrrev_b32_e32 v5, 4, v17
	v_lshrrev_b32_e32 v6, 4, v9
	;; [unrolled: 1-line block ×3, first 2 shown]
	v_lshlrev_b32_e32 v12, 1, v17
	v_lshrrev_b32_e32 v13, 2, v17
	v_and_b32_e32 v5, 60, v5
	v_lshrrev_b32_e32 v8, 4, v11
	v_and_b32_e32 v6, 0x7c, v6
	v_and_b32_e32 v7, 0x7c, v7
	s_load_b64 s[16:17], s[0:1], 0x358
	v_add_nc_u32_e32 v28, v5, v12
	v_and_b32_e32 v5, 0xfc, v13
	v_and_b32_e32 v8, 0x7c, v8
	v_add_nc_u32_e32 v29, v6, v12
	s_wait_kmcnt 0x0
	s_mul_u64 s[0:1], s[12:13], s[20:21]
	s_wait_loadcnt 0x0
	ds_store_b16 v28, v1
	ds_store_b16 v29, v2 offset:64
	v_lshl_add_u32 v32, v17, 3, v5
	v_dual_mov_b32 v1, 0 :: v_dual_add_nc_u32 v30, v7, v12
	v_add_nc_u32_e32 v31, v8, v12
	ds_store_b16 v30, v3 offset:128
	ds_store_b16 v31, v4 offset:192
	s_wait_dscnt 0x0
	; wave barrier
	global_inv scope:SCOPE_SE
	ds_load_2addr_b32 v[18:19], v32 offset1:1
	s_lshl_b64 s[0:1], s[0:1], 3
	v_dual_mov_b32 v3, 0 :: v_dual_mov_b32 v2, 0
	v_mov_b32_e32 v4, 0
	s_add_nc_u64 s[0:1], s[10:11], s[0:1]
	s_lshl_b64 s[8:9], s[8:9], 3
	s_wait_loadcnt_dscnt 0x0
	s_wait_alu 0xfffe
	s_add_nc_u64 s[20:21], s[0:1], s[8:9]
	; wave barrier
	global_inv scope:SCOPE_SE
	s_and_saveexec_b32 s0, s2
	s_cbranch_execz .LBB258_28
; %bb.27:
	v_mad_co_u64_u32 v[3:4], null, s16, v17, 0
	s_delay_alu instid0(VALU_DEP_1) | instskip(NEXT) | instid1(VALU_DEP_1)
	v_mad_co_u64_u32 v[4:5], null, s17, v17, v[4:5]
	v_lshlrev_b64_e32 v[3:4], 3, v[3:4]
	s_delay_alu instid0(VALU_DEP_1) | instskip(SKIP_1) | instid1(VALU_DEP_2)
	v_add_co_u32 v3, vcc_lo, s20, v3
	s_wait_alu 0xfffd
	v_add_co_ci_u32_e64 v4, null, s21, v4, vcc_lo
	global_load_b64 v[3:4], v[3:4], off
.LBB258_28:
	s_or_b32 exec_lo, exec_lo, s0
	s_and_saveexec_b32 s0, s3
	s_cbranch_execz .LBB258_30
; %bb.29:
	v_mad_co_u64_u32 v[1:2], null, s16, v9, 0
	s_wait_loadcnt 0x0
	s_delay_alu instid0(VALU_DEP_1) | instskip(NEXT) | instid1(VALU_DEP_1)
	v_mad_co_u64_u32 v[5:6], null, s17, v9, v[2:3]
	v_mov_b32_e32 v2, v5
	s_delay_alu instid0(VALU_DEP_1) | instskip(NEXT) | instid1(VALU_DEP_1)
	v_lshlrev_b64_e32 v[1:2], 3, v[1:2]
	v_add_co_u32 v1, vcc_lo, s20, v1
	s_wait_alu 0xfffd
	s_delay_alu instid0(VALU_DEP_2)
	v_add_co_ci_u32_e64 v2, null, s21, v2, vcc_lo
	global_load_b64 v[1:2], v[1:2], off
.LBB258_30:
	s_or_b32 exec_lo, exec_lo, s0
	v_mov_b32_e32 v5, 0
	v_dual_mov_b32 v6, 0 :: v_dual_mov_b32 v7, 0
	v_mov_b32_e32 v8, 0
	s_and_saveexec_b32 s0, s4
	s_cbranch_execz .LBB258_32
; %bb.31:
	v_mad_co_u64_u32 v[7:8], null, s16, v10, 0
	s_delay_alu instid0(VALU_DEP_1) | instskip(NEXT) | instid1(VALU_DEP_1)
	v_mad_co_u64_u32 v[12:13], null, s17, v10, v[8:9]
	v_mov_b32_e32 v8, v12
	s_delay_alu instid0(VALU_DEP_1) | instskip(NEXT) | instid1(VALU_DEP_1)
	v_lshlrev_b64_e32 v[7:8], 3, v[7:8]
	v_add_co_u32 v7, vcc_lo, s20, v7
	s_wait_alu 0xfffd
	s_delay_alu instid0(VALU_DEP_2)
	v_add_co_ci_u32_e64 v8, null, s21, v8, vcc_lo
	global_load_b64 v[7:8], v[7:8], off
.LBB258_32:
	s_or_b32 exec_lo, exec_lo, s0
	v_lshrrev_b32_e32 v12, 5, v17
	v_lshrrev_b32_e32 v9, 5, v9
	;; [unrolled: 1-line block ×4, first 2 shown]
	v_lshlrev_b32_e32 v39, 2, v17
	v_lshrrev_b32_e32 v14, 3, v17
	s_xor_b32 s6, s7, -1
	s_and_saveexec_b32 s0, s5
	s_cbranch_execz .LBB258_34
; %bb.33:
	v_mad_co_u64_u32 v[5:6], null, s16, v11, 0
	s_wait_loadcnt 0x0
	s_delay_alu instid0(VALU_DEP_1) | instskip(NEXT) | instid1(VALU_DEP_1)
	v_mad_co_u64_u32 v[15:16], null, s17, v11, v[6:7]
	v_mov_b32_e32 v6, v15
	s_delay_alu instid0(VALU_DEP_1) | instskip(NEXT) | instid1(VALU_DEP_1)
	v_lshlrev_b64_e32 v[5:6], 3, v[5:6]
	v_add_co_u32 v5, vcc_lo, s20, v5
	s_wait_alu 0xfffd
	s_delay_alu instid0(VALU_DEP_2)
	v_add_co_ci_u32_e64 v6, null, s21, v6, vcc_lo
	global_load_b64 v[5:6], v[5:6], off
.LBB258_34:
	s_or_b32 exec_lo, exec_lo, s0
	v_lshlrev_b32_e32 v11, 3, v17
	v_lshlrev_b32_e32 v38, 3, v39
	v_mbcnt_lo_u32_b32 v42, -1, 0
	v_lshrrev_b32_e32 v46, 16, v18
	v_lshrrev_b32_e32 v45, 16, v19
	v_lshl_add_u32 v33, v12, 3, v11
	v_lshl_add_u32 v37, v14, 3, v38
	;; [unrolled: 1-line block ×5, first 2 shown]
	s_wait_loadcnt 0x0
	ds_store_b64 v33, v[3:4]
	ds_store_b64 v34, v[1:2] offset:256
	ds_store_b64 v35, v[7:8] offset:512
	ds_store_b64 v36, v[5:6] offset:768
	s_wait_dscnt 0x0
	; wave barrier
	global_inv scope:SCOPE_SE
	ds_load_2addr_b64 v[5:8], v37 offset1:1
	ds_load_2addr_b64 v[1:4], v37 offset0:2 offset1:3
	v_and_b32_e32 v41, 3, v42
	v_and_b32_e32 v43, 28, v42
	s_wait_alu 0xfffe
	s_and_b32 vcc_lo, exec_lo, s6
	v_bfe_u32 v44, v0, 10, 10
	v_bfe_u32 v0, v0, 20, 10
	v_cmp_eq_u32_e64 s1, 1, v41
	v_cmp_eq_u32_e64 s0, 2, v41
	;; [unrolled: 1-line block ×3, first 2 shown]
	v_lshlrev_b32_e32 v40, 5, v17
	s_mov_b32 s7, -1
	; wave barrier
	s_wait_loadcnt_dscnt 0x0
	global_inv scope:SCOPE_SE
                                        ; implicit-def: $vgpr14
                                        ; implicit-def: $vgpr13
	s_wait_alu 0xfffe
	s_cbranch_vccz .LBB258_56
; %bb.35:
	v_cmp_lt_i16_e32 vcc_lo, -1, v18
	s_getpc_b64 s[8:9]
	s_wait_alu 0xfffe
	s_sext_i32_i16 s9, s9
	s_add_co_u32 s8, s8, _ZN7rocprim17ROCPRIM_400000_NS16block_radix_sortI12hip_bfloat16Lj32ELj4ElLj1ELj1ELj0ELNS0_26block_radix_rank_algorithmE1ELNS0_18block_padding_hintE2ELNS0_4arch9wavefront6targetE0EE19radix_bits_per_passE@rel32@lo+12
	s_wait_alu 0xfffe
	s_add_co_ci_u32 s9, s9, _ZN7rocprim17ROCPRIM_400000_NS16block_radix_sortI12hip_bfloat16Lj32ELj4ElLj1ELj1ELj0ELNS0_26block_radix_rank_algorithmE1ELNS0_18block_padding_hintE2ELNS0_4arch9wavefront6targetE0EE19radix_bits_per_passE@rel32@hi+24
	s_wait_loadcnt 0x0
	s_load_b32 s13, s[8:9], 0x0
	; wave barrier
	global_inv scope:SCOPE_SE
	v_cndmask_b32_e64 v9, -1, 0xffff8000, vcc_lo
	v_cmp_lt_i16_e32 vcc_lo, -1, v46
	s_load_b32 s9, s[22:23], 0xc
	ds_bpermute_b32 v54, v43, v5
	ds_bpermute_b32 v27, v43, v6
	v_xor_b32_e32 v9, v9, v18
	v_cndmask_b32_e64 v10, -1, 0xffff8000, vcc_lo
	v_cmp_lt_i16_e32 vcc_lo, -1, v19
	ds_bpermute_b32 v47, v43, v7
	ds_bpermute_b32 v24, v43, v8
	v_and_b32_e32 v9, 0xffff, v9
	v_xor_b32_e32 v10, v10, v46
	s_wait_alu 0xfffd
	v_cndmask_b32_e64 v11, -1, 0xffff8000, vcc_lo
	v_cmp_lt_i16_e32 vcc_lo, -1, v45
	ds_bpermute_b32 v25, v43, v1
	ds_bpermute_b32 v13, v43, v9
	v_dual_mov_b32 v81, 0 :: v_dual_and_b32 v10, 0xffff, v10
	s_wait_alu 0xfffd
	v_cndmask_b32_e64 v12, -1, 0xffff8000, vcc_lo
	v_xor_b32_e32 v11, v11, v19
	s_wait_kmcnt 0x0
	s_min_u32 s7, s13, 16
	ds_bpermute_b32 v14, v43, v10
	s_wait_alu 0xfffe
	s_lshl_b32 s7, -1, s7
	v_xor_b32_e32 v12, v12, v45
	v_and_b32_e32 v11, 0xffff, v11
	s_wait_alu 0xfffe
	s_not_b32 s8, s7
	ds_bpermute_b32 v21, v43, v2
	ds_bpermute_b32 v22, v43, v3
	v_and_b32_e32 v12, 0xffff, v12
	ds_bpermute_b32 v15, v43, v11
	ds_bpermute_b32 v23, v43, v4
	ds_bpermute_b32 v61, v43, v5 offset:32
	ds_bpermute_b32 v62, v43, v6 offset:32
	ds_bpermute_b32 v16, v43, v12
	ds_bpermute_b32 v53, v43, v7 offset:32
	ds_bpermute_b32 v55, v43, v8 offset:32
	;; [unrolled: 1-line block ×7, first 2 shown]
	s_wait_dscnt 0xe
	v_cndmask_b32_e64 v13, v13, v14, s1
	ds_bpermute_b32 v64, v43, v6 offset:64
	ds_bpermute_b32 v58, v43, v7 offset:64
	;; [unrolled: 1-line block ×7, first 2 shown]
	s_wait_dscnt 0x12
	v_cndmask_b32_e64 v13, v13, v15, s0
	ds_bpermute_b32 v65, v43, v5 offset:96
	ds_bpermute_b32 v66, v43, v9 offset:32
	;; [unrolled: 1-line block ×4, first 2 shown]
	s_wait_dscnt 0x12
	v_cndmask_b32_e64 v60, v13, v16, s6
	ds_bpermute_b32 v78, v43, v12 offset:32
	ds_bpermute_b32 v14, v43, v10 offset:64
	;; [unrolled: 1-line block ×4, first 2 shown]
	v_and_b32_e32 v13, 0xffff, v60
	v_cmp_ne_u16_e32 vcc_lo, 0x7fff, v60
	ds_bpermute_b32 v12, v43, v12 offset:96
	ds_store_2addr_b32 v40, v81, v81 offset0:1 offset1:2
	ds_store_2addr_b32 v40, v81, v81 offset0:3 offset1:4
	;; [unrolled: 1-line block ×4, first 2 shown]
	; wave barrier
	s_wait_loadcnt_dscnt 0x0
	global_inv scope:SCOPE_SE
	s_wait_alu 0xfffd
	v_cndmask_b32_e32 v13, 0x8000, v13, vcc_lo
	; wave barrier
	s_wait_alu 0xfffe
	s_delay_alu instid0(VALU_DEP_1)
	v_and_b32_e32 v76, s8, v13
	ds_bpermute_b32 v13, v43, v9 offset:64
	ds_bpermute_b32 v9, v43, v9 offset:96
	v_and_b32_e32 v15, 1, v76
	v_lshlrev_b32_e32 v20, 30, v76
	v_lshlrev_b32_e32 v70, 28, v76
	s_delay_alu instid0(VALU_DEP_3)
	v_add_co_u32 v67, s7, v15, -1
	s_wait_alu 0xf1ff
	v_cndmask_b32_e64 v68, 0, 1, s7
	v_not_b32_e32 v69, v20
	v_cmp_gt_i32_e64 s7, 0, v20
	ds_bpermute_b32 v15, v43, v11 offset:64
	ds_bpermute_b32 v11, v43, v11 offset:96
	v_cmp_ne_u32_e32 vcc_lo, 0, v68
	v_lshlrev_b32_e32 v68, 29, v76
	v_ashrrev_i32_e32 v20, 31, v69
	s_wait_alu 0xfffd
	v_xor_b32_e32 v67, vcc_lo, v67
	s_delay_alu instid0(VALU_DEP_3)
	v_not_b32_e32 v69, v68
	s_wait_alu 0xf1ff
	v_xor_b32_e32 v20, s7, v20
	v_cmp_gt_i32_e32 vcc_lo, 0, v68
	s_lshr_b32 s7, s9, 16
	v_and_b32_e32 v67, exec_lo, v67
	v_ashrrev_i32_e32 v68, 31, v69
	v_not_b32_e32 v69, v70
	s_wait_alu 0xfffe
	v_mad_u32_u24 v73, v0, s7, v44
	s_and_b32 s9, s9, 0xffff
	v_and_b32_e32 v20, v67, v20
	v_lshlrev_b32_e32 v67, 27, v76
	s_wait_alu 0xfffd
	v_xor_b32_e32 v68, vcc_lo, v68
	v_cmp_gt_i32_e32 vcc_lo, 0, v70
	v_ashrrev_i32_e32 v70, 31, v69
	s_wait_alu 0xfffe
	v_mad_co_u64_u32 v[79:80], null, v73, s9, v[17:18]
	v_not_b32_e32 v71, v67
	v_and_b32_e32 v20, v20, v68
	v_lshlrev_b32_e32 v68, 26, v76
	s_wait_alu 0xfffd
	v_xor_b32_e32 v70, vcc_lo, v70
	v_cmp_gt_i32_e32 vcc_lo, 0, v67
	v_ashrrev_i32_e32 v71, 31, v71
	ds_bpermute_b32 v69, v43, v6 offset:96
	v_not_b32_e32 v72, v68
	v_and_b32_e32 v20, v20, v70
	v_lshlrev_b32_e32 v70, 25, v76
	s_wait_alu 0xfffd
	v_xor_b32_e32 v71, vcc_lo, v71
	v_cmp_gt_i32_e32 vcc_lo, 0, v68
	v_ashrrev_i32_e32 v68, 31, v72
	ds_bpermute_b32 v67, v43, v7 offset:96
	;; [unrolled: 8-line block ×3, first 2 shown]
	v_not_b32_e32 v72, v71
	v_and_b32_e32 v20, v20, v68
	v_lshrrev_b32_e32 v80, 5, v79
	s_wait_alu 0xfffd
	v_xor_b32_e32 v68, vcc_lo, v70
	v_cmp_gt_i32_e32 vcc_lo, 0, v71
	v_ashrrev_i32_e32 v70, 31, v72
	ds_bpermute_b32 v71, v43, v1 offset:96
	ds_bpermute_b32 v72, v43, v2 offset:96
	v_and_b32_e32 v20, v20, v68
	ds_bpermute_b32 v68, v43, v3 offset:96
	s_wait_alu 0xfffd
	v_xor_b32_e32 v74, vcc_lo, v70
	ds_bpermute_b32 v70, v43, v4 offset:96
	v_and_b32_e32 v79, v20, v74
	v_lshlrev_b32_e32 v20, 2, v80
	s_delay_alu instid0(VALU_DEP_2) | instskip(SKIP_1) | instid1(VALU_DEP_3)
	v_mbcnt_lo_u32_b32 v74, v79, 0
	v_cmp_ne_u32_e64 s7, 0, v79
	v_lshl_add_u32 v76, v76, 2, v20
	s_delay_alu instid0(VALU_DEP_3)
	v_cmp_eq_u32_e32 vcc_lo, 0, v74
	s_and_b32 s9, s7, vcc_lo
	s_wait_alu 0xfffe
	s_and_saveexec_b32 s7, s9
; %bb.36:
	v_bcnt_u32_b32 v79, v79, 0
	ds_store_b32 v76, v79 offset:4
; %bb.37:
	s_wait_alu 0xfffe
	s_or_b32 exec_lo, exec_lo, s7
	v_cndmask_b32_e64 v66, v66, v75, s1
	; wave barrier
	s_delay_alu instid0(VALU_DEP_1) | instskip(NEXT) | instid1(VALU_DEP_1)
	v_cndmask_b32_e64 v66, v66, v77, s0
	v_cndmask_b32_e64 v75, v66, v78, s6
	s_delay_alu instid0(VALU_DEP_1) | instskip(SKIP_2) | instid1(VALU_DEP_2)
	v_and_b32_e32 v66, 0xffff, v75
	v_cmp_ne_u16_e32 vcc_lo, 0x7fff, v75
	s_wait_alu 0xfffd
	v_cndmask_b32_e32 v66, 0x8000, v66, vcc_lo
	s_delay_alu instid0(VALU_DEP_1) | instskip(NEXT) | instid1(VALU_DEP_1)
	v_and_b32_e32 v66, s8, v66
	v_and_b32_e32 v77, 1, v66
	v_lshlrev_b32_e32 v78, 30, v66
	v_lshlrev_b32_e32 v79, 29, v66
	;; [unrolled: 1-line block ×4, first 2 shown]
	v_add_co_u32 v77, s7, v77, -1
	s_wait_alu 0xf1ff
	v_cndmask_b32_e64 v81, 0, 1, s7
	v_not_b32_e32 v85, v78
	v_cmp_gt_i32_e64 s7, 0, v78
	v_not_b32_e32 v78, v79
	v_lshlrev_b32_e32 v83, 26, v66
	v_cmp_ne_u32_e32 vcc_lo, 0, v81
	v_ashrrev_i32_e32 v85, 31, v85
	v_lshlrev_b32_e32 v84, 25, v66
	v_ashrrev_i32_e32 v78, 31, v78
	v_lshlrev_b32_e32 v81, 24, v66
	s_wait_alu 0xfffd
	v_xor_b32_e32 v77, vcc_lo, v77
	v_cmp_gt_i32_e32 vcc_lo, 0, v79
	v_not_b32_e32 v79, v80
	s_wait_alu 0xf1ff
	v_xor_b32_e32 v85, s7, v85
	v_cmp_gt_i32_e64 s7, 0, v80
	v_and_b32_e32 v77, exec_lo, v77
	v_not_b32_e32 v80, v82
	v_ashrrev_i32_e32 v79, 31, v79
	s_wait_alu 0xfffd
	v_xor_b32_e32 v78, vcc_lo, v78
	v_cmp_gt_i32_e32 vcc_lo, 0, v82
	v_and_b32_e32 v77, v77, v85
	v_not_b32_e32 v82, v83
	v_ashrrev_i32_e32 v80, 31, v80
	s_wait_alu 0xf1ff
	v_xor_b32_e32 v79, s7, v79
	v_cmp_gt_i32_e64 s7, 0, v83
	v_and_b32_e32 v77, v77, v78
	v_not_b32_e32 v78, v84
	v_ashrrev_i32_e32 v82, 31, v82
	s_wait_alu 0xfffd
	v_xor_b32_e32 v80, vcc_lo, v80
	v_cmp_gt_i32_e32 vcc_lo, 0, v84
	v_and_b32_e32 v77, v77, v79
	v_not_b32_e32 v79, v81
	v_ashrrev_i32_e32 v78, 31, v78
	s_wait_alu 0xf1ff
	v_xor_b32_e32 v82, s7, v82
	v_cmp_gt_i32_e64 s7, 0, v81
	v_and_b32_e32 v77, v77, v80
	v_ashrrev_i32_e32 v79, 31, v79
	s_wait_alu 0xfffd
	v_xor_b32_e32 v78, vcc_lo, v78
	v_lshl_add_u32 v80, v66, 2, v20
	v_and_b32_e32 v77, v77, v82
	s_wait_alu 0xf1ff
	v_xor_b32_e32 v66, s7, v79
	s_delay_alu instid0(VALU_DEP_2) | instskip(SKIP_2) | instid1(VALU_DEP_1)
	v_and_b32_e32 v78, v77, v78
	ds_load_b32 v77, v80 offset:4
	; wave barrier
	v_and_b32_e32 v66, v78, v66
	v_mbcnt_lo_u32_b32 v78, v66, 0
	v_cmp_ne_u32_e64 s7, 0, v66
	s_delay_alu instid0(VALU_DEP_2)
	v_cmp_eq_u32_e32 vcc_lo, 0, v78
	s_and_b32 s9, s7, vcc_lo
	s_wait_alu 0xfffe
	s_and_saveexec_b32 s7, s9
	s_cbranch_execz .LBB258_39
; %bb.38:
	s_wait_dscnt 0x0
	v_bcnt_u32_b32 v66, v66, v77
	ds_store_b32 v80, v66 offset:4
.LBB258_39:
	s_wait_alu 0xfffe
	s_or_b32 exec_lo, exec_lo, s7
	s_wait_dscnt 0xb
	v_cndmask_b32_e64 v13, v13, v14, s1
	; wave barrier
	s_wait_dscnt 0x9
	s_delay_alu instid0(VALU_DEP_1) | instskip(NEXT) | instid1(VALU_DEP_1)
	v_cndmask_b32_e64 v13, v13, v15, s0
	v_cndmask_b32_e64 v79, v13, v16, s6
	s_delay_alu instid0(VALU_DEP_1) | instskip(SKIP_2) | instid1(VALU_DEP_2)
	v_and_b32_e32 v13, 0xffff, v79
	v_cmp_ne_u16_e32 vcc_lo, 0x7fff, v79
	s_wait_alu 0xfffd
	v_cndmask_b32_e32 v13, 0x8000, v13, vcc_lo
	s_delay_alu instid0(VALU_DEP_1) | instskip(NEXT) | instid1(VALU_DEP_1)
	v_and_b32_e32 v13, s8, v13
	v_and_b32_e32 v14, 1, v13
	v_lshlrev_b32_e32 v15, 30, v13
	v_lshlrev_b32_e32 v16, 29, v13
	;; [unrolled: 1-line block ×4, first 2 shown]
	v_add_co_u32 v14, s7, v14, -1
	s_wait_alu 0xf1ff
	v_cndmask_b32_e64 v81, 0, 1, s7
	v_not_b32_e32 v85, v15
	v_cmp_gt_i32_e64 s7, 0, v15
	v_not_b32_e32 v15, v16
	v_lshlrev_b32_e32 v83, 26, v13
	v_cmp_ne_u32_e32 vcc_lo, 0, v81
	v_ashrrev_i32_e32 v85, 31, v85
	v_lshlrev_b32_e32 v84, 25, v13
	v_ashrrev_i32_e32 v15, 31, v15
	v_lshlrev_b32_e32 v81, 24, v13
	s_wait_alu 0xfffd
	v_xor_b32_e32 v14, vcc_lo, v14
	v_cmp_gt_i32_e32 vcc_lo, 0, v16
	v_not_b32_e32 v16, v66
	s_wait_alu 0xf1ff
	v_xor_b32_e32 v85, s7, v85
	v_cmp_gt_i32_e64 s7, 0, v66
	v_and_b32_e32 v14, exec_lo, v14
	v_not_b32_e32 v66, v82
	v_ashrrev_i32_e32 v16, 31, v16
	s_wait_alu 0xfffd
	v_xor_b32_e32 v15, vcc_lo, v15
	v_cmp_gt_i32_e32 vcc_lo, 0, v82
	v_and_b32_e32 v14, v14, v85
	v_not_b32_e32 v82, v83
	v_ashrrev_i32_e32 v66, 31, v66
	s_wait_alu 0xf1ff
	v_xor_b32_e32 v16, s7, v16
	v_cmp_gt_i32_e64 s7, 0, v83
	v_and_b32_e32 v14, v14, v15
	v_not_b32_e32 v15, v84
	v_ashrrev_i32_e32 v82, 31, v82
	s_wait_alu 0xfffd
	v_xor_b32_e32 v66, vcc_lo, v66
	v_cmp_gt_i32_e32 vcc_lo, 0, v84
	v_and_b32_e32 v14, v14, v16
	v_not_b32_e32 v16, v81
	v_ashrrev_i32_e32 v15, 31, v15
	s_wait_alu 0xf1ff
	v_xor_b32_e32 v82, s7, v82
	v_cmp_gt_i32_e64 s7, 0, v81
	v_and_b32_e32 v14, v14, v66
	v_ashrrev_i32_e32 v16, 31, v16
	s_wait_alu 0xfffd
	v_xor_b32_e32 v15, vcc_lo, v15
	v_lshl_add_u32 v84, v13, 2, v20
	v_and_b32_e32 v14, v14, v82
	s_wait_alu 0xf1ff
	v_xor_b32_e32 v13, s7, v16
	ds_load_b32 v81, v84 offset:4
	v_and_b32_e32 v14, v14, v15
	; wave barrier
	s_delay_alu instid0(VALU_DEP_1) | instskip(NEXT) | instid1(VALU_DEP_1)
	v_and_b32_e32 v13, v14, v13
	v_mbcnt_lo_u32_b32 v82, v13, 0
	v_cmp_ne_u32_e64 s7, 0, v13
	s_delay_alu instid0(VALU_DEP_2)
	v_cmp_eq_u32_e32 vcc_lo, 0, v82
	s_and_b32 s9, s7, vcc_lo
	s_wait_alu 0xfffe
	s_and_saveexec_b32 s7, s9
	s_cbranch_execz .LBB258_41
; %bb.40:
	s_wait_dscnt 0x0
	v_bcnt_u32_b32 v13, v13, v81
	ds_store_b32 v84, v13 offset:4
.LBB258_41:
	s_wait_alu 0xfffe
	s_or_b32 exec_lo, exec_lo, s7
	v_cndmask_b32_e64 v9, v9, v10, s1
	; wave barrier
	v_and_or_b32 v88, 0xf80, v39, v42
	s_wait_dscnt 0x9
	s_delay_alu instid0(VALU_DEP_2) | instskip(NEXT) | instid1(VALU_DEP_1)
	v_cndmask_b32_e64 v9, v9, v11, s0
	v_cndmask_b32_e64 v83, v9, v12, s6
	s_delay_alu instid0(VALU_DEP_1) | instskip(SKIP_2) | instid1(VALU_DEP_2)
	v_and_b32_e32 v9, 0xffff, v83
	v_cmp_ne_u16_e32 vcc_lo, 0x7fff, v83
	s_wait_alu 0xfffd
	v_cndmask_b32_e32 v9, 0x8000, v9, vcc_lo
	s_delay_alu instid0(VALU_DEP_1) | instskip(NEXT) | instid1(VALU_DEP_1)
	v_and_b32_e32 v9, s8, v9
	v_and_b32_e32 v10, 1, v9
	v_lshlrev_b32_e32 v11, 30, v9
	v_lshlrev_b32_e32 v12, 29, v9
	;; [unrolled: 1-line block ×4, first 2 shown]
	v_add_co_u32 v10, s7, v10, -1
	s_wait_alu 0xf1ff
	v_cndmask_b32_e64 v14, 0, 1, s7
	v_not_b32_e32 v85, v11
	v_cmp_gt_i32_e64 s7, 0, v11
	v_not_b32_e32 v11, v12
	v_lshlrev_b32_e32 v16, 26, v9
	v_cmp_ne_u32_e32 vcc_lo, 0, v14
	v_ashrrev_i32_e32 v85, 31, v85
	v_lshlrev_b32_e32 v66, 25, v9
	v_ashrrev_i32_e32 v11, 31, v11
	v_lshlrev_b32_e32 v14, 24, v9
	s_wait_alu 0xfffd
	v_xor_b32_e32 v10, vcc_lo, v10
	v_cmp_gt_i32_e32 vcc_lo, 0, v12
	v_not_b32_e32 v12, v13
	s_wait_alu 0xf1ff
	v_xor_b32_e32 v85, s7, v85
	v_cmp_gt_i32_e64 s7, 0, v13
	v_and_b32_e32 v10, exec_lo, v10
	v_not_b32_e32 v13, v15
	v_ashrrev_i32_e32 v12, 31, v12
	s_wait_alu 0xfffd
	v_xor_b32_e32 v11, vcc_lo, v11
	v_cmp_gt_i32_e32 vcc_lo, 0, v15
	v_and_b32_e32 v10, v10, v85
	v_not_b32_e32 v15, v16
	v_ashrrev_i32_e32 v13, 31, v13
	s_wait_alu 0xf1ff
	v_xor_b32_e32 v12, s7, v12
	v_cmp_gt_i32_e64 s7, 0, v16
	v_and_b32_e32 v10, v10, v11
	v_not_b32_e32 v11, v66
	v_ashrrev_i32_e32 v15, 31, v15
	s_wait_alu 0xfffd
	v_xor_b32_e32 v13, vcc_lo, v13
	v_cmp_gt_i32_e32 vcc_lo, 0, v66
	v_and_b32_e32 v10, v10, v12
	v_not_b32_e32 v12, v14
	v_ashrrev_i32_e32 v11, 31, v11
	s_wait_alu 0xf1ff
	v_xor_b32_e32 v15, s7, v15
	v_cmp_gt_i32_e64 s7, 0, v14
	v_and_b32_e32 v10, v10, v13
	v_ashrrev_i32_e32 v12, 31, v12
	s_wait_alu 0xfffd
	v_xor_b32_e32 v11, vcc_lo, v11
	v_lshl_add_u32 v87, v9, 2, v20
	v_and_b32_e32 v10, v10, v15
	s_wait_alu 0xf1ff
	v_xor_b32_e32 v9, s7, v12
	ds_load_b32 v85, v87 offset:4
	v_and_b32_e32 v10, v10, v11
	; wave barrier
	s_delay_alu instid0(VALU_DEP_1) | instskip(NEXT) | instid1(VALU_DEP_1)
	v_and_b32_e32 v9, v10, v9
	v_mbcnt_lo_u32_b32 v86, v9, 0
	v_cmp_ne_u32_e64 s7, 0, v9
	s_delay_alu instid0(VALU_DEP_2)
	v_cmp_eq_u32_e32 vcc_lo, 0, v86
	s_and_b32 s8, s7, vcc_lo
	s_wait_alu 0xfffe
	s_and_saveexec_b32 s7, s8
	s_cbranch_execz .LBB258_43
; %bb.42:
	s_wait_dscnt 0x0
	v_bcnt_u32_b32 v9, v9, v85
	ds_store_b32 v87, v9 offset:4
.LBB258_43:
	s_wait_alu 0xfffe
	s_or_b32 exec_lo, exec_lo, s7
	; wave barrier
	; wave barrier
	s_wait_loadcnt_dscnt 0x0
	global_inv scope:SCOPE_SE
	ds_load_2addr_b32 v[15:16], v40 offset0:1 offset1:2
	ds_load_2addr_b32 v[13:14], v40 offset0:3 offset1:4
	ds_load_2addr_b32 v[11:12], v40 offset0:5 offset1:6
	ds_load_2addr_b32 v[9:10], v40 offset0:7 offset1:8
	v_and_b32_e32 v90, 16, v42
	v_cmp_eq_u32_e64 s10, 31, v17
	s_delay_alu instid0(VALU_DEP_2) | instskip(SKIP_3) | instid1(VALU_DEP_1)
	v_cmp_eq_u32_e64 s11, 0, v90
	s_wait_dscnt 0x3
	v_add_nc_u32_e32 v66, v16, v15
	s_wait_dscnt 0x2
	v_add3_u32 v66, v66, v13, v14
	s_wait_dscnt 0x1
	s_delay_alu instid0(VALU_DEP_1) | instskip(SKIP_1) | instid1(VALU_DEP_1)
	v_add3_u32 v66, v66, v11, v12
	s_wait_dscnt 0x0
	v_add3_u32 v10, v66, v9, v10
	v_and_b32_e32 v66, 15, v42
	s_delay_alu instid0(VALU_DEP_2) | instskip(NEXT) | instid1(VALU_DEP_2)
	v_mov_b32_dpp v89, v10 row_shr:1 row_mask:0xf bank_mask:0xf
	v_cmp_eq_u32_e32 vcc_lo, 0, v66
	v_cmp_lt_u32_e64 s7, 1, v66
	v_cmp_lt_u32_e64 s8, 3, v66
	;; [unrolled: 1-line block ×3, first 2 shown]
	s_wait_alu 0xfffd
	v_cndmask_b32_e64 v89, v89, 0, vcc_lo
	s_delay_alu instid0(VALU_DEP_1) | instskip(NEXT) | instid1(VALU_DEP_1)
	v_add_nc_u32_e32 v10, v89, v10
	v_mov_b32_dpp v89, v10 row_shr:2 row_mask:0xf bank_mask:0xf
	s_wait_alu 0xf1ff
	s_delay_alu instid0(VALU_DEP_1) | instskip(NEXT) | instid1(VALU_DEP_1)
	v_cndmask_b32_e64 v89, 0, v89, s7
	v_add_nc_u32_e32 v10, v10, v89
	s_delay_alu instid0(VALU_DEP_1) | instskip(NEXT) | instid1(VALU_DEP_1)
	v_mov_b32_dpp v89, v10 row_shr:4 row_mask:0xf bank_mask:0xf
	v_cndmask_b32_e64 v89, 0, v89, s8
	s_delay_alu instid0(VALU_DEP_1) | instskip(NEXT) | instid1(VALU_DEP_1)
	v_add_nc_u32_e32 v10, v10, v89
	v_mov_b32_dpp v89, v10 row_shr:8 row_mask:0xf bank_mask:0xf
	s_delay_alu instid0(VALU_DEP_1) | instskip(NEXT) | instid1(VALU_DEP_1)
	v_cndmask_b32_e64 v66, 0, v89, s9
	v_add_nc_u32_e32 v89, v10, v66
	v_bfe_i32 v66, v42, 4, 1
	ds_swizzle_b32 v10, v89 offset:swizzle(BROADCAST,32,15)
	s_wait_dscnt 0x0
	v_and_b32_e32 v91, v66, v10
	v_sub_co_u32 v66, s24, v42, 1
	v_mul_u32_u24_e32 v10, 6, v88
	s_delay_alu instid0(VALU_DEP_3)
	v_add_nc_u32_e32 v89, v89, v91
	s_and_saveexec_b32 s12, s10
; %bb.44:
	v_mov_b32_e32 v90, 0
	ds_store_b32 v90, v89
; %bb.45:
	s_wait_alu 0xfffe
	s_or_b32 exec_lo, exec_lo, s12
	v_cmp_gt_i32_e64 s12, 0, v66
	; wave barrier
	s_wait_loadcnt_dscnt 0x0
	global_inv scope:SCOPE_SE
	s_min_u32 s13, s13, 8
	s_wait_alu 0xfffe
	s_lshl_b32 s13, -1, s13
	v_cndmask_b32_e64 v66, v66, v42, s12
	v_cmp_eq_u32_e64 s12, 0, v17
	s_wait_alu 0xfffe
	s_not_b32 s13, s13
	v_lshlrev_b32_e32 v66, 2, v66
	s_or_b32 s24, s12, s24
	v_cmp_eq_u32_e64 s12, 0, v41
	ds_bpermute_b32 v89, v66, v89
	s_wait_dscnt 0x0
	v_cndmask_b32_e64 v89, v89, 0, s24
	s_delay_alu instid0(VALU_DEP_1) | instskip(NEXT) | instid1(VALU_DEP_1)
	v_add_nc_u32_e32 v15, v89, v15
	v_add_nc_u32_e32 v16, v15, v16
	s_delay_alu instid0(VALU_DEP_1) | instskip(NEXT) | instid1(VALU_DEP_1)
	v_add_nc_u32_e32 v13, v16, v13
	v_add_nc_u32_e32 v14, v13, v14
	;; [unrolled: 3-line block ×3, first 2 shown]
	s_delay_alu instid0(VALU_DEP_1)
	v_add_nc_u32_e32 v9, v12, v9
	ds_store_2addr_b32 v40, v89, v15 offset0:1 offset1:2
	ds_store_2addr_b32 v40, v16, v13 offset0:3 offset1:4
	;; [unrolled: 1-line block ×4, first 2 shown]
	; wave barrier
	s_wait_loadcnt_dscnt 0x0
	global_inv scope:SCOPE_SE
	ds_load_b32 v9, v76 offset:4
	ds_load_b32 v11, v80 offset:4
	;; [unrolled: 1-line block ×4, first 2 shown]
	s_wait_alu 0xf1ff
	v_cndmask_b32_e64 v14, 0, v54, s12
	v_lshlrev_b32_e32 v15, 1, v88
	v_cndmask_b32_e64 v54, 0, v62, s12
	v_cndmask_b32_e64 v62, 0, v64, s12
	;; [unrolled: 1-line block ×9, first 2 shown]
	v_add_nc_u32_e32 v65, v15, v10
	; wave barrier
	s_wait_loadcnt_dscnt 0x0
	global_inv scope:SCOPE_SE
	v_cndmask_b32_e64 v16, v16, v24, s1
	v_cndmask_b32_e64 v24, v54, v55, s1
	v_add_nc_u32_e32 v25, v9, v74
	v_add3_u32 v69, v78, v77, v11
	v_add3_u32 v74, v82, v81, v12
	;; [unrolled: 1-line block ×3, first 2 shown]
	v_cndmask_b32_e64 v27, v27, v53, s1
	v_lshlrev_b32_e32 v9, 1, v25
	v_lshlrev_b32_e32 v10, 1, v69
	v_lshlrev_b32_e32 v11, 1, v74
	v_lshlrev_b32_e32 v12, 1, v76
	ds_store_b16 v9, v60
	ds_store_b16 v10, v75
	ds_store_b16 v11, v79
	ds_store_b16 v12, v83
	; wave barrier
	s_wait_loadcnt_dscnt 0x0
	global_inv scope:SCOPE_SE
	ds_load_u16 v47, v15
	v_cndmask_b32_e64 v16, v16, v21, s0
	v_cndmask_b32_e64 v53, v62, v59, s1
	;; [unrolled: 1-line block ×10, first 2 shown]
	ds_load_u16 v48, v15 offset:64
	ds_load_u16 v50, v15 offset:128
	;; [unrolled: 1-line block ×3, first 2 shown]
	v_cndmask_b32_e64 v15, v21, v26, s6
	v_cndmask_b32_e64 v22, v27, v52, s6
	;; [unrolled: 1-line block ×5, first 2 shown]
	; wave barrier
	s_wait_loadcnt_dscnt 0x0
	global_inv scope:SCOPE_SE
	v_cndmask_b32_e64 v53, v58, v71, s0
	v_lshrrev_b16 v23, 8, v47
	v_cmp_ne_u16_e64 s12, 0x7fff, v47
	v_cndmask_b32_e64 v21, v24, v49, s6
	v_cndmask_b32_e64 v24, v54, v70, s6
	s_wait_alu 0xf1ff
	s_delay_alu instid0(VALU_DEP_3) | instskip(SKIP_1) | instid1(VALU_DEP_2)
	v_cndmask_b32_e64 v26, 0x80, v23, s12
	v_cndmask_b32_e64 v23, v53, v68, s6
	v_and_b32_e32 v27, 0xffff, v26
	v_mad_co_u64_u32 v[25:26], null, v25, 6, v[9:10]
	v_mad_co_u64_u32 v[9:10], null, v69, 6, v[10:11]
	s_wait_alu 0xfffe
	s_delay_alu instid0(VALU_DEP_3) | instskip(SKIP_2) | instid1(VALU_DEP_3)
	v_and_b32_e32 v26, s13, v27
	v_mad_co_u64_u32 v[10:11], null, v74, 6, v[11:12]
	v_mad_co_u64_u32 v[11:12], null, v76, 6, v[12:13]
	v_and_b32_e32 v12, 1, v26
	ds_store_b64 v25, v[13:14]
	v_lshlrev_b32_e32 v13, 30, v26
	v_lshlrev_b32_e32 v14, 29, v26
	;; [unrolled: 1-line block ×3, first 2 shown]
	v_add_co_u32 v12, s6, v12, -1
	s_wait_alu 0xf1ff
	v_cndmask_b32_e64 v27, 0, 1, s6
	v_not_b32_e32 v54, v13
	v_cmp_gt_i32_e64 s12, 0, v13
	v_not_b32_e32 v13, v14
	v_lshlrev_b32_e32 v49, 27, v26
	v_cmp_ne_u32_e64 s6, 0, v27
	v_ashrrev_i32_e32 v54, 31, v54
	v_lshlrev_b32_e32 v52, 26, v26
	v_ashrrev_i32_e32 v13, 31, v13
	v_lshlrev_b32_e32 v53, 25, v26
	s_wait_alu 0xf1ff
	v_xor_b32_e32 v12, s6, v12
	v_cmp_gt_i32_e64 s6, 0, v14
	v_not_b32_e32 v14, v25
	v_xor_b32_e32 v54, s12, v54
	v_cmp_gt_i32_e64 s12, 0, v25
	v_and_b32_e32 v12, exec_lo, v12
	v_not_b32_e32 v25, v49
	v_ashrrev_i32_e32 v14, 31, v14
	s_wait_alu 0xf1ff
	v_xor_b32_e32 v13, s6, v13
	v_cmp_gt_i32_e64 s6, 0, v49
	v_and_b32_e32 v12, v12, v54
	v_not_b32_e32 v49, v52
	v_ashrrev_i32_e32 v25, 31, v25
	v_xor_b32_e32 v14, s12, v14
	v_lshlrev_b32_e32 v27, 24, v26
	v_and_b32_e32 v12, v12, v13
	v_cmp_gt_i32_e64 s12, 0, v52
	v_not_b32_e32 v13, v53
	v_ashrrev_i32_e32 v49, 31, v49
	s_wait_alu 0xf1ff
	v_xor_b32_e32 v25, s6, v25
	v_and_b32_e32 v12, v12, v14
	v_cmp_gt_i32_e64 s6, 0, v53
	v_not_b32_e32 v14, v27
	v_ashrrev_i32_e32 v13, 31, v13
	v_xor_b32_e32 v49, s12, v49
	v_and_b32_e32 v12, v12, v25
	ds_store_b64 v9, v[15:16]
	v_cmp_gt_i32_e64 s12, 0, v27
	v_ashrrev_i32_e32 v9, 31, v14
	s_wait_alu 0xf1ff
	v_xor_b32_e32 v13, s6, v13
	v_and_b32_e32 v12, v12, v49
	ds_store_b64 v10, v[21:22]
	ds_store_b64 v11, v[23:24]
	s_wait_loadcnt_dscnt 0x0
	v_xor_b32_e32 v21, s12, v9
	; wave barrier
	global_inv scope:SCOPE_SE
	v_and_b32_e32 v22, v12, v13
	ds_load_2addr_b64 v[13:16], v65 offset1:32
	ds_load_2addr_b64 v[9:12], v65 offset0:64 offset1:96
	v_lshl_add_u32 v52, v26, 2, v20
	; wave barrier
	s_wait_loadcnt_dscnt 0x0
	global_inv scope:SCOPE_SE
	v_dual_mov_b32 v22, 0 :: v_dual_and_b32 v21, v22, v21
	ds_store_2addr_b32 v40, v22, v22 offset0:1 offset1:2
	ds_store_2addr_b32 v40, v22, v22 offset0:3 offset1:4
	;; [unrolled: 1-line block ×4, first 2 shown]
	v_mbcnt_lo_u32_b32 v49, v21, 0
	v_cmp_ne_u32_e64 s12, 0, v21
	; wave barrier
	s_wait_loadcnt_dscnt 0x0
	global_inv scope:SCOPE_SE
	v_cmp_eq_u32_e64 s6, 0, v49
	; wave barrier
	s_and_b32 s12, s12, s6
	s_wait_alu 0xfffe
	s_and_saveexec_b32 s6, s12
; %bb.46:
	v_bcnt_u32_b32 v21, v21, 0
	ds_store_b32 v52, v21 offset:4
; %bb.47:
	s_wait_alu 0xfffe
	s_or_b32 exec_lo, exec_lo, s6
	v_lshrrev_b16 v21, 8, v48
	v_cmp_ne_u16_e64 s6, 0x7fff, v48
	; wave barrier
	s_wait_alu 0xf1ff
	s_delay_alu instid0(VALU_DEP_1) | instskip(NEXT) | instid1(VALU_DEP_1)
	v_cndmask_b32_e64 v21, 0x80, v21, s6
	v_and_b32_e32 v21, s13, v21
	s_delay_alu instid0(VALU_DEP_1)
	v_and_b32_e32 v22, 1, v21
	v_lshlrev_b32_e32 v23, 30, v21
	v_lshlrev_b32_e32 v24, 29, v21
	;; [unrolled: 1-line block ×4, first 2 shown]
	v_add_co_u32 v22, s6, v22, -1
	s_wait_alu 0xf1ff
	v_cndmask_b32_e64 v26, 0, 1, s6
	v_not_b32_e32 v55, v23
	v_cmp_gt_i32_e64 s12, 0, v23
	v_not_b32_e32 v23, v24
	v_lshlrev_b32_e32 v53, 26, v21
	v_cmp_ne_u32_e64 s6, 0, v26
	v_ashrrev_i32_e32 v55, 31, v55
	v_lshlrev_b32_e32 v54, 25, v21
	v_ashrrev_i32_e32 v23, 31, v23
	v_lshlrev_b32_e32 v26, 24, v21
	s_wait_alu 0xf1ff
	v_xor_b32_e32 v22, s6, v22
	v_cmp_gt_i32_e64 s6, 0, v24
	v_not_b32_e32 v24, v25
	v_xor_b32_e32 v55, s12, v55
	v_cmp_gt_i32_e64 s12, 0, v25
	v_and_b32_e32 v22, exec_lo, v22
	v_not_b32_e32 v25, v27
	v_ashrrev_i32_e32 v24, 31, v24
	s_wait_alu 0xf1ff
	v_xor_b32_e32 v23, s6, v23
	v_cmp_gt_i32_e64 s6, 0, v27
	v_and_b32_e32 v22, v22, v55
	v_not_b32_e32 v27, v53
	v_ashrrev_i32_e32 v25, 31, v25
	v_xor_b32_e32 v24, s12, v24
	v_cmp_gt_i32_e64 s12, 0, v53
	v_and_b32_e32 v22, v22, v23
	v_not_b32_e32 v23, v54
	v_ashrrev_i32_e32 v27, 31, v27
	s_wait_alu 0xf1ff
	v_xor_b32_e32 v25, s6, v25
	v_cmp_gt_i32_e64 s6, 0, v54
	v_and_b32_e32 v22, v22, v24
	v_not_b32_e32 v24, v26
	v_ashrrev_i32_e32 v23, 31, v23
	v_xor_b32_e32 v27, s12, v27
	v_cmp_gt_i32_e64 s12, 0, v26
	v_and_b32_e32 v22, v22, v25
	v_ashrrev_i32_e32 v24, 31, v24
	s_wait_alu 0xf1ff
	v_xor_b32_e32 v23, s6, v23
	v_lshl_add_u32 v55, v21, 2, v20
	v_and_b32_e32 v22, v22, v27
	v_xor_b32_e32 v21, s12, v24
	ds_load_b32 v53, v55 offset:4
	v_and_b32_e32 v22, v22, v23
	; wave barrier
	s_delay_alu instid0(VALU_DEP_1) | instskip(NEXT) | instid1(VALU_DEP_1)
	v_and_b32_e32 v21, v22, v21
	v_mbcnt_lo_u32_b32 v54, v21, 0
	v_cmp_ne_u32_e64 s12, 0, v21
	s_delay_alu instid0(VALU_DEP_2)
	v_cmp_eq_u32_e64 s6, 0, v54
	s_and_b32 s12, s12, s6
	s_wait_alu 0xfffe
	s_and_saveexec_b32 s6, s12
	s_cbranch_execz .LBB258_49
; %bb.48:
	s_wait_dscnt 0x0
	v_bcnt_u32_b32 v21, v21, v53
	ds_store_b32 v55, v21 offset:4
.LBB258_49:
	s_wait_alu 0xfffe
	s_or_b32 exec_lo, exec_lo, s6
	v_lshrrev_b16 v21, 8, v50
	v_cmp_ne_u16_e64 s6, 0x7fff, v50
	; wave barrier
	s_wait_alu 0xf1ff
	s_delay_alu instid0(VALU_DEP_1) | instskip(NEXT) | instid1(VALU_DEP_1)
	v_cndmask_b32_e64 v21, 0x80, v21, s6
	v_and_b32_e32 v21, s13, v21
	s_delay_alu instid0(VALU_DEP_1)
	v_and_b32_e32 v22, 1, v21
	v_lshlrev_b32_e32 v23, 30, v21
	v_lshlrev_b32_e32 v24, 29, v21
	;; [unrolled: 1-line block ×4, first 2 shown]
	v_add_co_u32 v22, s6, v22, -1
	s_wait_alu 0xf1ff
	v_cndmask_b32_e64 v26, 0, 1, s6
	v_not_b32_e32 v58, v23
	v_cmp_gt_i32_e64 s12, 0, v23
	v_not_b32_e32 v23, v24
	v_lshlrev_b32_e32 v56, 26, v21
	v_cmp_ne_u32_e64 s6, 0, v26
	v_ashrrev_i32_e32 v58, 31, v58
	v_lshlrev_b32_e32 v57, 25, v21
	v_ashrrev_i32_e32 v23, 31, v23
	v_lshlrev_b32_e32 v26, 24, v21
	s_wait_alu 0xf1ff
	v_xor_b32_e32 v22, s6, v22
	v_cmp_gt_i32_e64 s6, 0, v24
	v_not_b32_e32 v24, v25
	v_xor_b32_e32 v58, s12, v58
	v_cmp_gt_i32_e64 s12, 0, v25
	v_and_b32_e32 v22, exec_lo, v22
	v_not_b32_e32 v25, v27
	v_ashrrev_i32_e32 v24, 31, v24
	s_wait_alu 0xf1ff
	v_xor_b32_e32 v23, s6, v23
	v_cmp_gt_i32_e64 s6, 0, v27
	v_and_b32_e32 v22, v22, v58
	v_not_b32_e32 v27, v56
	v_ashrrev_i32_e32 v25, 31, v25
	v_xor_b32_e32 v24, s12, v24
	v_cmp_gt_i32_e64 s12, 0, v56
	v_and_b32_e32 v22, v22, v23
	v_not_b32_e32 v23, v57
	v_ashrrev_i32_e32 v27, 31, v27
	s_wait_alu 0xf1ff
	v_xor_b32_e32 v25, s6, v25
	v_cmp_gt_i32_e64 s6, 0, v57
	v_and_b32_e32 v22, v22, v24
	v_not_b32_e32 v24, v26
	v_ashrrev_i32_e32 v23, 31, v23
	v_xor_b32_e32 v27, s12, v27
	v_cmp_gt_i32_e64 s12, 0, v26
	v_and_b32_e32 v22, v22, v25
	v_ashrrev_i32_e32 v24, 31, v24
	s_wait_alu 0xf1ff
	v_xor_b32_e32 v23, s6, v23
	v_lshl_add_u32 v58, v21, 2, v20
	v_and_b32_e32 v22, v22, v27
	v_xor_b32_e32 v21, s12, v24
	ds_load_b32 v56, v58 offset:4
	v_and_b32_e32 v22, v22, v23
	; wave barrier
	s_delay_alu instid0(VALU_DEP_1) | instskip(NEXT) | instid1(VALU_DEP_1)
	v_and_b32_e32 v21, v22, v21
	v_mbcnt_lo_u32_b32 v57, v21, 0
	v_cmp_ne_u32_e64 s12, 0, v21
	s_delay_alu instid0(VALU_DEP_2)
	v_cmp_eq_u32_e64 s6, 0, v57
	s_and_b32 s12, s12, s6
	s_wait_alu 0xfffe
	s_and_saveexec_b32 s6, s12
	s_cbranch_execz .LBB258_51
; %bb.50:
	s_wait_dscnt 0x0
	v_bcnt_u32_b32 v21, v21, v56
	ds_store_b32 v58, v21 offset:4
.LBB258_51:
	s_wait_alu 0xfffe
	s_or_b32 exec_lo, exec_lo, s6
	v_lshrrev_b16 v21, 8, v51
	v_cmp_ne_u16_e64 s6, 0x7fff, v51
	; wave barrier
	s_wait_alu 0xf1ff
	s_delay_alu instid0(VALU_DEP_1) | instskip(NEXT) | instid1(VALU_DEP_1)
	v_cndmask_b32_e64 v21, 0x80, v21, s6
	v_and_b32_e32 v21, s13, v21
	s_delay_alu instid0(VALU_DEP_1)
	v_and_b32_e32 v22, 1, v21
	v_lshlrev_b32_e32 v23, 30, v21
	v_lshlrev_b32_e32 v24, 29, v21
	;; [unrolled: 1-line block ×4, first 2 shown]
	v_add_co_u32 v22, s6, v22, -1
	s_wait_alu 0xf1ff
	v_cndmask_b32_e64 v26, 0, 1, s6
	v_not_b32_e32 v61, v23
	v_cmp_gt_i32_e64 s12, 0, v23
	v_not_b32_e32 v23, v24
	v_lshlrev_b32_e32 v59, 26, v21
	v_cmp_ne_u32_e64 s6, 0, v26
	v_ashrrev_i32_e32 v61, 31, v61
	v_lshlrev_b32_e32 v60, 25, v21
	v_ashrrev_i32_e32 v23, 31, v23
	v_lshlrev_b32_e32 v26, 24, v21
	s_wait_alu 0xf1ff
	v_xor_b32_e32 v22, s6, v22
	v_cmp_gt_i32_e64 s6, 0, v24
	v_not_b32_e32 v24, v25
	v_xor_b32_e32 v61, s12, v61
	v_cmp_gt_i32_e64 s12, 0, v25
	v_and_b32_e32 v22, exec_lo, v22
	v_not_b32_e32 v25, v27
	v_ashrrev_i32_e32 v24, 31, v24
	s_wait_alu 0xf1ff
	v_xor_b32_e32 v23, s6, v23
	v_cmp_gt_i32_e64 s6, 0, v27
	v_and_b32_e32 v22, v22, v61
	v_not_b32_e32 v27, v59
	v_ashrrev_i32_e32 v25, 31, v25
	v_xor_b32_e32 v24, s12, v24
	v_cmp_gt_i32_e64 s12, 0, v59
	v_and_b32_e32 v22, v22, v23
	v_not_b32_e32 v23, v60
	v_ashrrev_i32_e32 v27, 31, v27
	s_wait_alu 0xf1ff
	v_xor_b32_e32 v25, s6, v25
	v_cmp_gt_i32_e64 s6, 0, v60
	v_and_b32_e32 v22, v22, v24
	v_not_b32_e32 v24, v26
	v_ashrrev_i32_e32 v23, 31, v23
	v_xor_b32_e32 v27, s12, v27
	v_cmp_gt_i32_e64 s12, 0, v26
	v_and_b32_e32 v22, v22, v25
	v_ashrrev_i32_e32 v24, 31, v24
	s_wait_alu 0xf1ff
	v_xor_b32_e32 v23, s6, v23
	v_lshl_add_u32 v61, v21, 2, v20
	v_and_b32_e32 v22, v22, v27
	v_xor_b32_e32 v20, s12, v24
	ds_load_b32 v59, v61 offset:4
	v_and_b32_e32 v21, v22, v23
	; wave barrier
	s_delay_alu instid0(VALU_DEP_1) | instskip(NEXT) | instid1(VALU_DEP_1)
	v_and_b32_e32 v20, v21, v20
	v_mbcnt_lo_u32_b32 v60, v20, 0
	v_cmp_ne_u32_e64 s12, 0, v20
	s_delay_alu instid0(VALU_DEP_2)
	v_cmp_eq_u32_e64 s6, 0, v60
	s_and_b32 s12, s12, s6
	s_wait_alu 0xfffe
	s_and_saveexec_b32 s6, s12
	s_cbranch_execz .LBB258_53
; %bb.52:
	s_wait_dscnt 0x0
	v_bcnt_u32_b32 v20, v20, v59
	ds_store_b32 v61, v20 offset:4
.LBB258_53:
	s_wait_alu 0xfffe
	s_or_b32 exec_lo, exec_lo, s6
	; wave barrier
	; wave barrier
	s_wait_loadcnt_dscnt 0x0
	global_inv scope:SCOPE_SE
	ds_load_2addr_b32 v[26:27], v40 offset0:1 offset1:2
	ds_load_2addr_b32 v[24:25], v40 offset0:3 offset1:4
	ds_load_2addr_b32 v[22:23], v40 offset0:5 offset1:6
	ds_load_2addr_b32 v[20:21], v40 offset0:7 offset1:8
	s_wait_dscnt 0x3
	v_add_nc_u32_e32 v62, v27, v26
	s_wait_dscnt 0x2
	s_delay_alu instid0(VALU_DEP_1) | instskip(SKIP_1) | instid1(VALU_DEP_1)
	v_add3_u32 v62, v62, v24, v25
	s_wait_dscnt 0x1
	v_add3_u32 v62, v62, v22, v23
	s_wait_dscnt 0x0
	s_delay_alu instid0(VALU_DEP_1) | instskip(NEXT) | instid1(VALU_DEP_1)
	v_add3_u32 v21, v62, v20, v21
	v_mov_b32_dpp v62, v21 row_shr:1 row_mask:0xf bank_mask:0xf
	s_delay_alu instid0(VALU_DEP_1) | instskip(NEXT) | instid1(VALU_DEP_1)
	v_cndmask_b32_e64 v62, v62, 0, vcc_lo
	v_add_nc_u32_e32 v21, v62, v21
	s_delay_alu instid0(VALU_DEP_1) | instskip(NEXT) | instid1(VALU_DEP_1)
	v_mov_b32_dpp v62, v21 row_shr:2 row_mask:0xf bank_mask:0xf
	v_cndmask_b32_e64 v62, 0, v62, s7
	s_mov_b32 s7, 0
	s_delay_alu instid0(VALU_DEP_1) | instskip(NEXT) | instid1(VALU_DEP_1)
	v_add_nc_u32_e32 v21, v21, v62
	v_mov_b32_dpp v62, v21 row_shr:4 row_mask:0xf bank_mask:0xf
	s_delay_alu instid0(VALU_DEP_1) | instskip(NEXT) | instid1(VALU_DEP_1)
	v_cndmask_b32_e64 v62, 0, v62, s8
	v_add_nc_u32_e32 v21, v21, v62
	s_delay_alu instid0(VALU_DEP_1) | instskip(NEXT) | instid1(VALU_DEP_1)
	v_mov_b32_dpp v62, v21 row_shr:8 row_mask:0xf bank_mask:0xf
	v_cndmask_b32_e64 v62, 0, v62, s9
	s_delay_alu instid0(VALU_DEP_1) | instskip(SKIP_3) | instid1(VALU_DEP_1)
	v_add_nc_u32_e32 v21, v21, v62
	ds_swizzle_b32 v62, v21 offset:swizzle(BROADCAST,32,15)
	s_wait_dscnt 0x0
	v_cndmask_b32_e64 v62, v62, 0, s11
	v_add_nc_u32_e32 v21, v21, v62
	s_and_saveexec_b32 s6, s10
; %bb.54:
	v_mov_b32_e32 v62, 0
	ds_store_b32 v62, v21
; %bb.55:
	s_wait_alu 0xfffe
	s_or_b32 exec_lo, exec_lo, s6
	ds_bpermute_b32 v21, v66, v21
	; wave barrier
	s_wait_loadcnt_dscnt 0x0
	global_inv scope:SCOPE_SE
	v_cndmask_b32_e64 v21, v21, 0, s24
	s_delay_alu instid0(VALU_DEP_1) | instskip(NEXT) | instid1(VALU_DEP_1)
	v_add_nc_u32_e32 v26, v21, v26
	v_add_nc_u32_e32 v27, v26, v27
	s_delay_alu instid0(VALU_DEP_1) | instskip(NEXT) | instid1(VALU_DEP_1)
	v_add_nc_u32_e32 v24, v27, v24
	v_add_nc_u32_e32 v25, v24, v25
	;; [unrolled: 3-line block ×3, first 2 shown]
	s_delay_alu instid0(VALU_DEP_1)
	v_add_nc_u32_e32 v20, v23, v20
	ds_store_2addr_b32 v40, v21, v26 offset0:1 offset1:2
	ds_store_2addr_b32 v40, v27, v24 offset0:3 offset1:4
	;; [unrolled: 1-line block ×4, first 2 shown]
	; wave barrier
	s_wait_loadcnt_dscnt 0x0
	global_inv scope:SCOPE_SE
	ds_load_b32 v20, v52 offset:4
	ds_load_b32 v21, v55 offset:4
	;; [unrolled: 1-line block ×4, first 2 shown]
	v_lshlrev_b32_e32 v24, 1, v39
	; wave barrier
	s_wait_loadcnt_dscnt 0x0
	global_inv scope:SCOPE_SE
	v_add_nc_u32_e32 v26, v20, v49
	v_add3_u32 v49, v54, v53, v21
	v_add3_u32 v52, v57, v56, v22
	v_add3_u32 v53, v60, v59, v23
	s_delay_alu instid0(VALU_DEP_4) | instskip(NEXT) | instid1(VALU_DEP_4)
	v_lshlrev_b32_e32 v20, 1, v26
	v_lshlrev_b32_e32 v21, 1, v49
	s_delay_alu instid0(VALU_DEP_4) | instskip(NEXT) | instid1(VALU_DEP_4)
	v_lshlrev_b32_e32 v22, 1, v52
	v_lshlrev_b32_e32 v23, 1, v53
	ds_store_b16 v20, v47
	ds_store_b16 v21, v48
	;; [unrolled: 1-line block ×4, first 2 shown]
	; wave barrier
	s_wait_loadcnt_dscnt 0x0
	global_inv scope:SCOPE_SE
	ds_load_b64 v[24:25], v24
	v_mad_co_u64_u32 v[26:27], null, v26, 6, v[20:21]
	v_mad_co_u64_u32 v[20:21], null, v49, 6, v[21:22]
	;; [unrolled: 1-line block ×3, first 2 shown]
	; wave barrier
	s_wait_loadcnt_dscnt 0x0
	global_inv scope:SCOPE_SE
	ds_store_b64 v26, v[13:14]
	ds_store_b64 v20, v[15:16]
	v_cmp_lt_i16_e32 vcc_lo, -1, v24
	v_lshrrev_b32_e32 v22, 16, v24
	v_lshrrev_b32_e32 v47, 16, v25
	s_wait_alu 0xfffd
	v_cndmask_b32_e64 v27, 0xffff8000, -1, vcc_lo
	v_cmp_lt_i16_e32 vcc_lo, -1, v25
	s_wait_alu 0xfffd
	v_cndmask_b32_e64 v48, 0xffff8000, -1, vcc_lo
	v_cmp_lt_i16_e32 vcc_lo, -1, v22
	v_mad_co_u64_u32 v[22:23], null, v53, 6, v[23:24]
	ds_store_b64 v21, v[9:10]
	ds_store_b64 v22, v[11:12]
	s_wait_alu 0xfffd
	v_cndmask_b32_e64 v49, 0xffff8000, -1, vcc_lo
	v_cmp_lt_i16_e32 vcc_lo, -1, v47
	; wave barrier
	s_wait_loadcnt_dscnt 0x0
	global_inv scope:SCOPE_SE
	v_perm_b32 v23, v49, v27, 0x5040100
	s_wait_alu 0xfffd
	v_cndmask_b32_e64 v47, 0xffff8000, -1, vcc_lo
	s_delay_alu instid0(VALU_DEP_2) | instskip(NEXT) | instid1(VALU_DEP_2)
	v_xor_b32_e32 v13, v23, v24
	v_perm_b32 v27, v47, v48, 0x5040100
	s_delay_alu instid0(VALU_DEP_1)
	v_xor_b32_e32 v14, v27, v25
.LBB258_56:
	s_and_b32 vcc_lo, exec_lo, s7
	s_wait_alu 0xfffe
	s_cbranch_vccz .LBB258_78
; %bb.57:
	v_cmp_gt_i16_e32 vcc_lo, 0, v18
	s_getpc_b64 s[6:7]
	s_wait_alu 0xfffe
	s_sext_i32_i16 s7, s7
	s_add_co_u32 s6, s6, _ZN7rocprim17ROCPRIM_400000_NS16block_radix_sortI12hip_bfloat16Lj32ELj4ElLj1ELj1ELj0ELNS0_26block_radix_rank_algorithmE1ELNS0_18block_padding_hintE2ELNS0_4arch9wavefront6targetE0EE19radix_bits_per_passE@rel32@lo+12
	s_wait_alu 0xfffe
	s_add_co_ci_u32 s7, s7, _ZN7rocprim17ROCPRIM_400000_NS16block_radix_sortI12hip_bfloat16Lj32ELj4ElLj1ELj1ELj0ELNS0_26block_radix_rank_algorithmE1ELNS0_18block_padding_hintE2ELNS0_4arch9wavefront6targetE0EE19radix_bits_per_passE@rel32@hi+24
	ds_bpermute_b32 v23, v43, v5
	s_load_b32 s13, s[6:7], 0x0
	ds_bpermute_b32 v48, v43, v5 offset:32
	v_cndmask_b32_e64 v9, 0x7fff, 0, vcc_lo
	v_cmp_gt_i16_e32 vcc_lo, 0, v46
	ds_bpermute_b32 v50, v43, v5 offset:64
	ds_bpermute_b32 v52, v43, v5 offset:96
	ds_bpermute_b32 v15, v43, v6
	v_xor_b32_e32 v9, v9, v18
	s_wait_alu 0xfffd
	v_cndmask_b32_e64 v10, 0x7fff, 0, vcc_lo
	v_cmp_gt_i16_e32 vcc_lo, 0, v19
	ds_bpermute_b32 v49, v43, v6 offset:32
	ds_bpermute_b32 v51, v43, v6 offset:64
	v_and_b32_e32 v53, 0xffff, v9
	v_xor_b32_e32 v10, v10, v46
	s_wait_alu 0xfffd
	v_cndmask_b32_e64 v11, 0x7fff, 0, vcc_lo
	v_cmp_gt_i16_e32 vcc_lo, 0, v45
	s_wait_loadcnt_dscnt 0x0
	ds_bpermute_b32 v14, v43, v53
	ds_bpermute_b32 v59, v43, v53 offset:32
	v_xor_b32_e32 v11, v11, v19
	s_wait_alu 0xfffd
	v_cndmask_b32_e64 v12, 0x7fff, 0, vcc_lo
	v_cmp_eq_u32_e32 vcc_lo, 3, v41
	s_wait_kmcnt 0x0
	s_min_u32 s7, s13, 16
	ds_bpermute_b32 v63, v43, v53 offset:64
	v_and_b32_e32 v55, 0xffff, v11
	v_xor_b32_e32 v9, v12, v45
	; wave barrier
	s_wait_dscnt 0x0
	global_inv scope:SCOPE_SE
	ds_bpermute_b32 v16, v43, v7
	ds_bpermute_b32 v22, v43, v7 offset:32
	ds_bpermute_b32 v19, v43, v55
	v_and_b32_e32 v56, 0xffff, v9
	ds_bpermute_b32 v62, v43, v55 offset:32
	ds_bpermute_b32 v67, v43, v55 offset:64
	;; [unrolled: 1-line block ×4, first 2 shown]
	ds_bpermute_b32 v25, v43, v56
	v_and_b32_e32 v54, 0xffff, v10
	ds_bpermute_b32 v64, v43, v56 offset:32
	ds_bpermute_b32 v70, v43, v56 offset:64
	ds_bpermute_b32 v13, v43, v1
	ds_bpermute_b32 v20, v43, v1 offset:32
	ds_bpermute_b32 v18, v43, v54
	ds_bpermute_b32 v12, v43, v8
	;; [unrolled: 1-line block ×5, first 2 shown]
	ds_bpermute_b32 v24, v43, v8 offset:32
	ds_bpermute_b32 v21, v43, v2 offset:32
	;; [unrolled: 1-line block ×4, first 2 shown]
	s_wait_dscnt 0x8
	v_cndmask_b32_e64 v26, v14, v18, s1
	ds_bpermute_b32 v18, v43, v4 offset:32
	ds_bpermute_b32 v14, v43, v3 offset:32
	v_cndmask_b32_e64 v19, v26, v19, s0
	ds_bpermute_b32 v26, v43, v2 offset:64
	s_wait_alu 0xfffd
	v_cndmask_b32_e32 v47, v19, v25, vcc_lo
	ds_bpermute_b32 v61, v43, v54 offset:32
	ds_bpermute_b32 v65, v43, v54 offset:64
	;; [unrolled: 1-line block ×4, first 2 shown]
	v_and_b32_e32 v57, 0xffff, v47
	v_cmp_ne_u16_e64 s6, 0x8000, v47
	ds_bpermute_b32 v19, v43, v3 offset:64
	s_wait_alu 0xf1ff
	v_cndmask_b32_e64 v5, 0x7fff, v57, s6
	s_wait_alu 0xfffe
	s_lshl_b32 s6, -1, s7
	s_wait_alu 0xfffe
	s_not_b32 s8, s6
	s_wait_alu 0xfffe
	v_and_b32_e32 v60, s8, v5
	s_delay_alu instid0(VALU_DEP_1) | instskip(SKIP_2) | instid1(VALU_DEP_3)
	v_and_b32_e32 v5, 1, v60
	v_lshlrev_b32_e32 v69, 30, v60
	v_lshlrev_b32_e32 v54, 29, v60
	v_add_co_u32 v57, s6, v5, -1
	s_wait_alu 0xf1ff
	v_cndmask_b32_e64 v58, 0, 1, s6
	ds_bpermute_b32 v5, v43, v53 offset:96
	v_not_b32_e32 v53, v69
	v_cmp_gt_i32_e64 s7, 0, v69
	ds_bpermute_b32 v69, v43, v56 offset:96
	v_cmp_ne_u32_e64 s6, 0, v58
	v_not_b32_e32 v56, v54
	v_ashrrev_i32_e32 v53, 31, v53
	s_wait_alu 0xf1ff
	s_delay_alu instid0(VALU_DEP_3) | instskip(SKIP_1) | instid1(VALU_DEP_3)
	v_xor_b32_e32 v55, s6, v57
	v_lshlrev_b32_e32 v57, 28, v60
	v_xor_b32_e32 v53, s7, v53
	v_cmp_gt_i32_e64 s6, 0, v54
	v_ashrrev_i32_e32 v54, 31, v56
	v_and_b32_e32 v55, exec_lo, v55
	v_not_b32_e32 v56, v57
	s_load_b32 s7, s[22:23], 0xc
	s_delay_alu instid0(VALU_DEP_3) | instskip(NEXT) | instid1(VALU_DEP_3)
	v_xor_b32_e32 v58, s6, v54
	v_and_b32_e32 v53, v55, v53
	v_lshlrev_b32_e32 v55, 27, v60
	v_cmp_gt_i32_e64 s6, 0, v57
	v_ashrrev_i32_e32 v56, 31, v56
	ds_bpermute_b32 v54, v43, v6 offset:96
	v_and_b32_e32 v57, v53, v58
	v_not_b32_e32 v6, v55
	v_lshlrev_b32_e32 v58, 26, v60
	s_wait_alu 0xf1ff
	v_xor_b32_e32 v56, s6, v56
	v_cmp_gt_i32_e64 s6, 0, v55
	ds_bpermute_b32 v53, v43, v7 offset:96
	v_ashrrev_i32_e32 v6, 31, v6
	v_not_b32_e32 v7, v58
	v_and_b32_e32 v55, v57, v56
	v_lshlrev_b32_e32 v56, 25, v60
	s_wait_alu 0xf1ff
	v_xor_b32_e32 v6, s6, v6
	v_cmp_gt_i32_e64 s6, 0, v58
	v_ashrrev_i32_e32 v7, 31, v7
	v_not_b32_e32 v57, v56
	s_wait_kmcnt 0x0
	s_lshr_b32 s9, s7, 16
	v_and_b32_e32 v6, v55, v6
	v_lshlrev_b32_e32 v55, 24, v60
	v_xor_b32_e32 v7, s6, v7
	v_cmp_gt_i32_e64 s6, 0, v56
	v_ashrrev_i32_e32 v56, 31, v57
	s_wait_alu 0xfffe
	v_mad_u32_u24 v0, v0, s9, v44
	v_not_b32_e32 v57, v55
	v_and_b32_e32 v44, v6, v7
	s_and_b32 s7, s7, 0xffff
	v_xor_b32_e32 v56, s6, v56
	v_cmp_gt_i32_e64 s6, 0, v55
	v_ashrrev_i32_e32 v58, 31, v57
	s_wait_dscnt 0xb
	s_wait_alu 0xfffe
	v_mad_co_u64_u32 v[6:7], null, v0, s7, v[17:18]
	ds_bpermute_b32 v55, v43, v1 offset:96
	v_and_b32_e32 v0, v44, v56
	s_wait_alu 0xf1ff
	v_xor_b32_e32 v1, s6, v58
	ds_bpermute_b32 v57, v43, v8 offset:96
	ds_bpermute_b32 v56, v43, v2 offset:96
	;; [unrolled: 1-line block ×4, first 2 shown]
	v_and_b32_e32 v0, v0, v1
	v_lshrrev_b32_e32 v2, 5, v6
	v_mov_b32_e32 v1, 0
	ds_store_2addr_b32 v40, v1, v1 offset0:1 offset1:2
	ds_store_2addr_b32 v40, v1, v1 offset0:3 offset1:4
	;; [unrolled: 1-line block ×4, first 2 shown]
	v_mbcnt_lo_u32_b32 v58, v0, 0
	v_lshlrev_b32_e32 v8, 2, v2
	v_cmp_ne_u32_e64 s7, 0, v0
	; wave barrier
	s_wait_loadcnt_dscnt 0x0
	global_inv scope:SCOPE_SE
	v_cmp_eq_u32_e64 s6, 0, v58
	v_lshl_add_u32 v60, v60, 2, v8
	; wave barrier
	s_and_b32 s7, s7, s6
	s_wait_alu 0xfffe
	s_and_saveexec_b32 s6, s7
; %bb.58:
	v_bcnt_u32_b32 v0, v0, 0
	ds_store_b32 v60, v0 offset:4
; %bb.59:
	s_wait_alu 0xfffe
	s_or_b32 exec_lo, exec_lo, s6
	v_cndmask_b32_e64 v0, v59, v61, s1
	; wave barrier
	s_delay_alu instid0(VALU_DEP_1) | instskip(NEXT) | instid1(VALU_DEP_1)
	v_cndmask_b32_e64 v0, v0, v62, s0
	v_cndmask_b32_e32 v59, v0, v64, vcc_lo
	s_delay_alu instid0(VALU_DEP_1) | instskip(SKIP_2) | instid1(VALU_DEP_1)
	v_and_b32_e32 v0, 0xffff, v59
	v_cmp_ne_u16_e64 s6, 0x8000, v59
	s_wait_alu 0xf1ff
	v_cndmask_b32_e64 v0, 0x7fff, v0, s6
	s_delay_alu instid0(VALU_DEP_1) | instskip(NEXT) | instid1(VALU_DEP_1)
	v_and_b32_e32 v0, s8, v0
	v_and_b32_e32 v1, 1, v0
	v_lshlrev_b32_e32 v2, 30, v0
	v_lshlrev_b32_e32 v3, 29, v0
	v_lshlrev_b32_e32 v4, 28, v0
	v_lshlrev_b32_e32 v7, 27, v0
	v_add_co_u32 v1, s6, v1, -1
	s_wait_alu 0xf1ff
	v_cndmask_b32_e64 v6, 0, 1, s6
	v_not_b32_e32 v64, v2
	v_cmp_gt_i32_e64 s7, 0, v2
	v_not_b32_e32 v2, v3
	v_lshlrev_b32_e32 v61, 26, v0
	v_cmp_ne_u32_e64 s6, 0, v6
	v_ashrrev_i32_e32 v64, 31, v64
	v_lshlrev_b32_e32 v62, 25, v0
	v_ashrrev_i32_e32 v2, 31, v2
	v_lshlrev_b32_e32 v6, 24, v0
	s_wait_alu 0xf1ff
	v_xor_b32_e32 v1, s6, v1
	v_cmp_gt_i32_e64 s6, 0, v3
	v_not_b32_e32 v3, v4
	v_xor_b32_e32 v64, s7, v64
	v_cmp_gt_i32_e64 s7, 0, v4
	v_and_b32_e32 v1, exec_lo, v1
	v_not_b32_e32 v4, v7
	v_ashrrev_i32_e32 v3, 31, v3
	s_wait_alu 0xf1ff
	v_xor_b32_e32 v2, s6, v2
	v_cmp_gt_i32_e64 s6, 0, v7
	v_and_b32_e32 v1, v1, v64
	v_not_b32_e32 v7, v61
	v_ashrrev_i32_e32 v4, 31, v4
	v_xor_b32_e32 v3, s7, v3
	v_cmp_gt_i32_e64 s7, 0, v61
	v_and_b32_e32 v1, v1, v2
	v_not_b32_e32 v2, v62
	v_ashrrev_i32_e32 v7, 31, v7
	s_wait_alu 0xf1ff
	v_xor_b32_e32 v4, s6, v4
	v_cmp_gt_i32_e64 s6, 0, v62
	v_and_b32_e32 v1, v1, v3
	v_not_b32_e32 v3, v6
	v_ashrrev_i32_e32 v2, 31, v2
	v_xor_b32_e32 v7, s7, v7
	v_cmp_gt_i32_e64 s7, 0, v6
	v_and_b32_e32 v1, v1, v4
	v_ashrrev_i32_e32 v3, 31, v3
	s_wait_alu 0xf1ff
	v_xor_b32_e32 v2, s6, v2
	v_lshl_add_u32 v64, v0, 2, v8
	v_and_b32_e32 v1, v1, v7
	v_xor_b32_e32 v0, s7, v3
	ds_load_b32 v61, v64 offset:4
	v_and_b32_e32 v1, v1, v2
	; wave barrier
	s_delay_alu instid0(VALU_DEP_1) | instskip(NEXT) | instid1(VALU_DEP_1)
	v_and_b32_e32 v0, v1, v0
	v_mbcnt_lo_u32_b32 v62, v0, 0
	v_cmp_ne_u32_e64 s7, 0, v0
	s_delay_alu instid0(VALU_DEP_2)
	v_cmp_eq_u32_e64 s6, 0, v62
	s_and_b32 s7, s7, s6
	s_wait_alu 0xfffe
	s_and_saveexec_b32 s6, s7
	s_cbranch_execz .LBB258_61
; %bb.60:
	s_wait_dscnt 0x0
	v_bcnt_u32_b32 v0, v0, v61
	ds_store_b32 v64, v0 offset:4
.LBB258_61:
	s_wait_alu 0xfffe
	s_or_b32 exec_lo, exec_lo, s6
	v_cndmask_b32_e64 v0, v63, v65, s1
	; wave barrier
	s_delay_alu instid0(VALU_DEP_1) | instskip(NEXT) | instid1(VALU_DEP_1)
	v_cndmask_b32_e64 v0, v0, v67, s0
	v_cndmask_b32_e32 v63, v0, v70, vcc_lo
	s_delay_alu instid0(VALU_DEP_1) | instskip(SKIP_2) | instid1(VALU_DEP_1)
	v_and_b32_e32 v0, 0xffff, v63
	v_cmp_ne_u16_e64 s6, 0x8000, v63
	s_wait_alu 0xf1ff
	v_cndmask_b32_e64 v0, 0x7fff, v0, s6
	s_delay_alu instid0(VALU_DEP_1) | instskip(NEXT) | instid1(VALU_DEP_1)
	v_and_b32_e32 v0, s8, v0
	v_and_b32_e32 v1, 1, v0
	v_lshlrev_b32_e32 v2, 30, v0
	v_lshlrev_b32_e32 v3, 29, v0
	;; [unrolled: 1-line block ×4, first 2 shown]
	v_add_co_u32 v1, s6, v1, -1
	s_wait_alu 0xf1ff
	v_cndmask_b32_e64 v6, 0, 1, s6
	v_not_b32_e32 v70, v2
	v_cmp_gt_i32_e64 s7, 0, v2
	v_not_b32_e32 v2, v3
	v_lshlrev_b32_e32 v65, 26, v0
	v_cmp_ne_u32_e64 s6, 0, v6
	v_ashrrev_i32_e32 v70, 31, v70
	v_lshlrev_b32_e32 v67, 25, v0
	v_ashrrev_i32_e32 v2, 31, v2
	v_lshlrev_b32_e32 v6, 24, v0
	s_wait_alu 0xf1ff
	v_xor_b32_e32 v1, s6, v1
	v_cmp_gt_i32_e64 s6, 0, v3
	v_not_b32_e32 v3, v4
	v_xor_b32_e32 v70, s7, v70
	v_cmp_gt_i32_e64 s7, 0, v4
	v_and_b32_e32 v1, exec_lo, v1
	v_not_b32_e32 v4, v7
	v_ashrrev_i32_e32 v3, 31, v3
	s_wait_alu 0xf1ff
	v_xor_b32_e32 v2, s6, v2
	v_cmp_gt_i32_e64 s6, 0, v7
	v_and_b32_e32 v1, v1, v70
	v_not_b32_e32 v7, v65
	v_ashrrev_i32_e32 v4, 31, v4
	v_xor_b32_e32 v3, s7, v3
	v_cmp_gt_i32_e64 s7, 0, v65
	v_and_b32_e32 v1, v1, v2
	v_not_b32_e32 v2, v67
	v_ashrrev_i32_e32 v7, 31, v7
	s_wait_alu 0xf1ff
	v_xor_b32_e32 v4, s6, v4
	v_cmp_gt_i32_e64 s6, 0, v67
	v_and_b32_e32 v1, v1, v3
	v_not_b32_e32 v3, v6
	v_ashrrev_i32_e32 v2, 31, v2
	v_xor_b32_e32 v7, s7, v7
	v_cmp_gt_i32_e64 s7, 0, v6
	v_and_b32_e32 v1, v1, v4
	v_ashrrev_i32_e32 v3, 31, v3
	s_wait_alu 0xf1ff
	v_xor_b32_e32 v2, s6, v2
	v_lshl_add_u32 v70, v0, 2, v8
	v_and_b32_e32 v1, v1, v7
	v_xor_b32_e32 v0, s7, v3
	ds_load_b32 v65, v70 offset:4
	v_and_b32_e32 v1, v1, v2
	; wave barrier
	s_delay_alu instid0(VALU_DEP_1) | instskip(NEXT) | instid1(VALU_DEP_1)
	v_and_b32_e32 v0, v1, v0
	v_mbcnt_lo_u32_b32 v67, v0, 0
	v_cmp_ne_u32_e64 s7, 0, v0
	s_delay_alu instid0(VALU_DEP_2)
	v_cmp_eq_u32_e64 s6, 0, v67
	s_and_b32 s7, s7, s6
	s_wait_alu 0xfffe
	s_and_saveexec_b32 s6, s7
	s_cbranch_execz .LBB258_63
; %bb.62:
	s_wait_dscnt 0x0
	v_bcnt_u32_b32 v0, v0, v65
	ds_store_b32 v70, v0 offset:4
.LBB258_63:
	s_wait_alu 0xfffe
	s_or_b32 exec_lo, exec_lo, s6
	v_cndmask_b32_e64 v0, v5, v66, s1
	; wave barrier
	v_and_or_b32 v72, 0xf80, v39, v42
	s_delay_alu instid0(VALU_DEP_2) | instskip(NEXT) | instid1(VALU_DEP_1)
	v_cndmask_b32_e64 v0, v0, v68, s0
	v_cndmask_b32_e32 v66, v0, v69, vcc_lo
	s_delay_alu instid0(VALU_DEP_1) | instskip(SKIP_2) | instid1(VALU_DEP_1)
	v_and_b32_e32 v0, 0xffff, v66
	v_cmp_ne_u16_e64 s6, 0x8000, v66
	s_wait_alu 0xf1ff
	v_cndmask_b32_e64 v0, 0x7fff, v0, s6
	s_delay_alu instid0(VALU_DEP_1) | instskip(NEXT) | instid1(VALU_DEP_1)
	v_and_b32_e32 v0, s8, v0
	v_and_b32_e32 v1, 1, v0
	v_lshlrev_b32_e32 v2, 30, v0
	v_lshlrev_b32_e32 v3, 29, v0
	v_lshlrev_b32_e32 v4, 28, v0
	v_lshlrev_b32_e32 v6, 27, v0
	v_add_co_u32 v1, s6, v1, -1
	s_wait_alu 0xf1ff
	v_cndmask_b32_e64 v5, 0, 1, s6
	v_not_b32_e32 v69, v2
	v_cmp_gt_i32_e64 s7, 0, v2
	v_not_b32_e32 v2, v3
	v_lshlrev_b32_e32 v7, 26, v0
	v_cmp_ne_u32_e64 s6, 0, v5
	v_ashrrev_i32_e32 v69, 31, v69
	v_lshlrev_b32_e32 v68, 25, v0
	v_ashrrev_i32_e32 v2, 31, v2
	v_lshlrev_b32_e32 v5, 24, v0
	s_wait_alu 0xf1ff
	v_xor_b32_e32 v1, s6, v1
	v_cmp_gt_i32_e64 s6, 0, v3
	v_not_b32_e32 v3, v4
	v_xor_b32_e32 v69, s7, v69
	v_cmp_gt_i32_e64 s7, 0, v4
	v_and_b32_e32 v1, exec_lo, v1
	v_not_b32_e32 v4, v6
	v_ashrrev_i32_e32 v3, 31, v3
	s_wait_alu 0xf1ff
	v_xor_b32_e32 v2, s6, v2
	v_cmp_gt_i32_e64 s6, 0, v6
	v_and_b32_e32 v1, v1, v69
	v_not_b32_e32 v6, v7
	v_ashrrev_i32_e32 v4, 31, v4
	v_xor_b32_e32 v3, s7, v3
	v_cmp_gt_i32_e64 s7, 0, v7
	v_and_b32_e32 v1, v1, v2
	v_not_b32_e32 v2, v68
	v_ashrrev_i32_e32 v6, 31, v6
	s_wait_alu 0xf1ff
	v_xor_b32_e32 v4, s6, v4
	v_cmp_gt_i32_e64 s6, 0, v68
	v_and_b32_e32 v1, v1, v3
	v_not_b32_e32 v3, v5
	v_ashrrev_i32_e32 v2, 31, v2
	v_xor_b32_e32 v6, s7, v6
	v_cmp_gt_i32_e64 s7, 0, v5
	v_and_b32_e32 v1, v1, v4
	v_ashrrev_i32_e32 v3, 31, v3
	s_wait_alu 0xf1ff
	v_xor_b32_e32 v2, s6, v2
	v_lshl_add_u32 v71, v0, 2, v8
	v_and_b32_e32 v1, v1, v6
	v_xor_b32_e32 v0, s7, v3
	ds_load_b32 v68, v71 offset:4
	v_and_b32_e32 v1, v1, v2
	; wave barrier
	s_delay_alu instid0(VALU_DEP_1) | instskip(NEXT) | instid1(VALU_DEP_1)
	v_and_b32_e32 v0, v1, v0
	v_mbcnt_lo_u32_b32 v69, v0, 0
	v_cmp_ne_u32_e64 s7, 0, v0
	s_delay_alu instid0(VALU_DEP_2)
	v_cmp_eq_u32_e64 s6, 0, v69
	s_and_b32 s7, s7, s6
	s_wait_alu 0xfffe
	s_and_saveexec_b32 s6, s7
	s_cbranch_execz .LBB258_65
; %bb.64:
	s_wait_dscnt 0x0
	v_bcnt_u32_b32 v0, v0, v68
	ds_store_b32 v71, v0 offset:4
.LBB258_65:
	s_wait_alu 0xfffe
	s_or_b32 exec_lo, exec_lo, s6
	; wave barrier
	; wave barrier
	s_wait_loadcnt_dscnt 0x0
	global_inv scope:SCOPE_SE
	ds_load_2addr_b32 v[6:7], v40 offset0:1 offset1:2
	ds_load_2addr_b32 v[4:5], v40 offset0:3 offset1:4
	;; [unrolled: 1-line block ×4, first 2 shown]
	v_and_b32_e32 v75, 16, v42
	v_cmp_eq_u32_e64 s10, 31, v17
	s_delay_alu instid0(VALU_DEP_2) | instskip(SKIP_3) | instid1(VALU_DEP_1)
	v_cmp_eq_u32_e64 s11, 0, v75
	s_wait_dscnt 0x3
	v_add_nc_u32_e32 v73, v7, v6
	s_wait_dscnt 0x2
	v_add3_u32 v73, v73, v4, v5
	s_wait_dscnt 0x1
	s_delay_alu instid0(VALU_DEP_1) | instskip(SKIP_1) | instid1(VALU_DEP_1)
	v_add3_u32 v73, v73, v2, v3
	s_wait_dscnt 0x0
	v_add3_u32 v1, v73, v0, v1
	v_and_b32_e32 v73, 15, v42
	s_delay_alu instid0(VALU_DEP_2) | instskip(NEXT) | instid1(VALU_DEP_2)
	v_mov_b32_dpp v74, v1 row_shr:1 row_mask:0xf bank_mask:0xf
	v_cmp_eq_u32_e64 s6, 0, v73
	v_cmp_lt_u32_e64 s7, 1, v73
	v_cmp_lt_u32_e64 s8, 3, v73
	;; [unrolled: 1-line block ×3, first 2 shown]
	s_wait_alu 0xf1ff
	v_cndmask_b32_e64 v74, v74, 0, s6
	s_delay_alu instid0(VALU_DEP_1) | instskip(NEXT) | instid1(VALU_DEP_1)
	v_add_nc_u32_e32 v1, v74, v1
	v_mov_b32_dpp v74, v1 row_shr:2 row_mask:0xf bank_mask:0xf
	s_delay_alu instid0(VALU_DEP_1) | instskip(NEXT) | instid1(VALU_DEP_1)
	v_cndmask_b32_e64 v74, 0, v74, s7
	v_add_nc_u32_e32 v1, v1, v74
	s_delay_alu instid0(VALU_DEP_1) | instskip(NEXT) | instid1(VALU_DEP_1)
	v_mov_b32_dpp v74, v1 row_shr:4 row_mask:0xf bank_mask:0xf
	v_cndmask_b32_e64 v74, 0, v74, s8
	s_delay_alu instid0(VALU_DEP_1) | instskip(NEXT) | instid1(VALU_DEP_1)
	v_add_nc_u32_e32 v1, v1, v74
	v_mov_b32_dpp v74, v1 row_shr:8 row_mask:0xf bank_mask:0xf
	s_delay_alu instid0(VALU_DEP_1) | instskip(SKIP_1) | instid1(VALU_DEP_2)
	v_cndmask_b32_e64 v73, 0, v74, s9
	v_bfe_i32 v74, v42, 4, 1
	v_add_nc_u32_e32 v73, v1, v73
	ds_swizzle_b32 v1, v73 offset:swizzle(BROADCAST,32,15)
	s_wait_dscnt 0x0
	v_and_b32_e32 v76, v74, v1
	v_sub_co_u32 v74, s22, v42, 1
	v_mul_u32_u24_e32 v1, 6, v72
	s_delay_alu instid0(VALU_DEP_3)
	v_add_nc_u32_e32 v73, v73, v76
	s_and_saveexec_b32 s12, s10
; %bb.66:
	v_mov_b32_e32 v75, 0
	ds_store_b32 v75, v73
; %bb.67:
	s_wait_alu 0xfffe
	s_or_b32 exec_lo, exec_lo, s12
	v_cmp_gt_i32_e64 s12, 0, v74
	; wave barrier
	s_wait_loadcnt_dscnt 0x0
	global_inv scope:SCOPE_SE
	s_min_u32 s13, s13, 8
	s_wait_alu 0xfffe
	s_lshl_b32 s13, -1, s13
	v_cndmask_b32_e64 v42, v74, v42, s12
	v_cmp_eq_u32_e64 s12, 0, v17
	s_wait_alu 0xfffe
	s_not_b32 s13, s13
	v_lshlrev_b32_e32 v42, 2, v42
	s_or_b32 s22, s12, s22
	v_cmp_eq_u32_e64 s12, 0, v41
	ds_bpermute_b32 v73, v42, v73
	s_wait_alu 0xf1ff
	v_cndmask_b32_e64 v41, 0, v50, s12
	v_cndmask_b32_e64 v50, 0, v54, s12
	s_wait_dscnt 0x0
	v_cndmask_b32_e64 v73, v73, 0, s22
	s_delay_alu instid0(VALU_DEP_1) | instskip(NEXT) | instid1(VALU_DEP_1)
	v_add_nc_u32_e32 v6, v73, v6
	v_add_nc_u32_e32 v7, v6, v7
	s_delay_alu instid0(VALU_DEP_1) | instskip(NEXT) | instid1(VALU_DEP_1)
	v_add_nc_u32_e32 v4, v7, v4
	v_add_nc_u32_e32 v5, v4, v5
	;; [unrolled: 3-line block ×3, first 2 shown]
	s_delay_alu instid0(VALU_DEP_1)
	v_add_nc_u32_e32 v0, v3, v0
	ds_store_2addr_b32 v40, v73, v6 offset0:1 offset1:2
	ds_store_2addr_b32 v40, v7, v4 offset0:3 offset1:4
	;; [unrolled: 1-line block ×4, first 2 shown]
	; wave barrier
	s_wait_loadcnt_dscnt 0x0
	global_inv scope:SCOPE_SE
	ds_load_b32 v0, v60 offset:4
	ds_load_b32 v2, v64 offset:4
	;; [unrolled: 1-line block ×4, first 2 shown]
	v_cndmask_b32_e64 v5, 0, v23, s12
	v_cndmask_b32_e64 v7, 0, v15, s12
	;; [unrolled: 1-line block ×3, first 2 shown]
	v_lshlrev_b32_e32 v6, 1, v72
	v_cndmask_b32_e64 v49, 0, v52, s12
	v_cndmask_b32_e64 v5, v5, v16, s1
	;; [unrolled: 1-line block ×9, first 2 shown]
	; wave barrier
	s_wait_loadcnt_dscnt 0x0
	global_inv scope:SCOPE_SE
	v_cndmask_b32_e64 v27, v49, v53, s1
	v_add_nc_u32_e32 v13, v0, v58
	v_add3_u32 v52, v62, v61, v2
	v_add3_u32 v54, v67, v65, v3
	;; [unrolled: 1-line block ×3, first 2 shown]
	v_cndmask_b32_e32 v4, v5, v10, vcc_lo
	v_lshlrev_b32_e32 v0, 1, v13
	v_cndmask_b32_e64 v10, v12, v21, s0
	v_cndmask_b32_e64 v12, v23, v25, s0
	;; [unrolled: 1-line block ×3, first 2 shown]
	v_add_nc_u32_e32 v51, v6, v1
	v_lshlrev_b32_e32 v1, 1, v52
	v_lshlrev_b32_e32 v2, 1, v54
	;; [unrolled: 1-line block ×3, first 2 shown]
	ds_store_b16 v0, v47
	ds_store_b16 v1, v59
	ds_store_b16 v2, v63
	ds_store_b16 v3, v66
	; wave barrier
	s_wait_loadcnt_dscnt 0x0
	global_inv scope:SCOPE_SE
	ds_load_u16 v16, v6
	v_cndmask_b32_e64 v15, v15, v22, s1
	v_cndmask_b32_e64 v22, v48, v45, s1
	;; [unrolled: 1-line block ×3, first 2 shown]
	s_delay_alu instid0(VALU_DEP_3) | instskip(NEXT) | instid1(VALU_DEP_3)
	v_cndmask_b32_e64 v9, v15, v20, s0
	v_cndmask_b32_e64 v15, v22, v26, s0
	;; [unrolled: 1-line block ×3, first 2 shown]
	s_delay_alu instid0(VALU_DEP_4)
	v_cndmask_b32_e32 v5, v7, v11, vcc_lo
	v_cndmask_b32_e32 v7, v10, v18, vcc_lo
	ds_load_u16 v18, v6 offset:64
	ds_load_u16 v20, v6 offset:128
	;; [unrolled: 1-line block ×3, first 2 shown]
	v_cndmask_b32_e32 v6, v9, v14, vcc_lo
	v_cndmask_b32_e32 v10, v15, v46, vcc_lo
	; wave barrier
	s_wait_loadcnt_dscnt 0x0
	global_inv scope:SCOPE_SE
	v_cndmask_b32_e32 v9, v12, v19, vcc_lo
	v_cndmask_b32_e32 v12, v23, v43, vcc_lo
	v_lshrrev_b16 v11, 8, v16
	v_cmp_ne_u16_e64 s0, 0x8000, v16
	s_wait_alu 0xf1ff
	s_delay_alu instid0(VALU_DEP_1) | instskip(SKIP_1) | instid1(VALU_DEP_2)
	v_cndmask_b32_e64 v14, 0x7f, v11, s0
	v_cndmask_b32_e32 v11, v22, v44, vcc_lo
	v_and_b32_e32 v15, 0xffff, v14
	v_mad_co_u64_u32 v[13:14], null, v13, 6, v[0:1]
	v_mad_co_u64_u32 v[0:1], null, v52, 6, v[1:2]
	s_wait_alu 0xfffe
	s_delay_alu instid0(VALU_DEP_3) | instskip(SKIP_2) | instid1(VALU_DEP_3)
	v_and_b32_e32 v14, s13, v15
	v_mad_co_u64_u32 v[1:2], null, v54, 6, v[2:3]
	v_mad_co_u64_u32 v[2:3], null, v58, 6, v[3:4]
	v_and_b32_e32 v3, 1, v14
	ds_store_b64 v13, v[4:5]
	v_lshlrev_b32_e32 v4, 30, v14
	v_lshlrev_b32_e32 v5, 29, v14
	;; [unrolled: 1-line block ×3, first 2 shown]
	v_add_co_u32 v3, s0, v3, -1
	s_wait_alu 0xf1ff
	v_cndmask_b32_e64 v15, 0, 1, s0
	v_not_b32_e32 v24, v4
	v_cmp_gt_i32_e64 s0, 0, v4
	v_not_b32_e32 v4, v5
	v_lshlrev_b32_e32 v19, 27, v14
	v_cmp_ne_u32_e32 vcc_lo, 0, v15
	v_ashrrev_i32_e32 v24, 31, v24
	v_lshlrev_b32_e32 v22, 26, v14
	v_ashrrev_i32_e32 v4, 31, v4
	v_lshlrev_b32_e32 v23, 25, v14
	s_wait_alu 0xfffd
	v_xor_b32_e32 v3, vcc_lo, v3
	v_cmp_gt_i32_e32 vcc_lo, 0, v5
	v_not_b32_e32 v5, v13
	s_wait_alu 0xf1ff
	v_xor_b32_e32 v24, s0, v24
	v_cmp_gt_i32_e64 s0, 0, v13
	v_and_b32_e32 v3, exec_lo, v3
	v_not_b32_e32 v13, v19
	v_ashrrev_i32_e32 v5, 31, v5
	s_wait_alu 0xfffd
	v_xor_b32_e32 v4, vcc_lo, v4
	v_cmp_gt_i32_e32 vcc_lo, 0, v19
	v_and_b32_e32 v3, v3, v24
	v_not_b32_e32 v19, v22
	v_ashrrev_i32_e32 v13, 31, v13
	s_wait_alu 0xf1ff
	v_xor_b32_e32 v5, s0, v5
	v_lshlrev_b32_e32 v15, 24, v14
	v_and_b32_e32 v3, v3, v4
	v_cmp_gt_i32_e64 s0, 0, v22
	v_not_b32_e32 v4, v23
	v_ashrrev_i32_e32 v19, 31, v19
	s_wait_alu 0xfffd
	v_xor_b32_e32 v13, vcc_lo, v13
	v_and_b32_e32 v3, v3, v5
	v_cmp_gt_i32_e32 vcc_lo, 0, v23
	v_not_b32_e32 v5, v15
	v_ashrrev_i32_e32 v4, 31, v4
	s_wait_alu 0xf1ff
	v_xor_b32_e32 v19, s0, v19
	v_and_b32_e32 v3, v3, v13
	ds_store_b64 v0, v[6:7]
	v_cmp_gt_i32_e64 s0, 0, v15
	v_ashrrev_i32_e32 v0, 31, v5
	s_wait_alu 0xfffd
	v_xor_b32_e32 v4, vcc_lo, v4
	v_and_b32_e32 v3, v3, v19
	ds_store_b64 v1, v[9:10]
	ds_store_b64 v2, v[11:12]
	s_wait_loadcnt_dscnt 0x0
	s_wait_alu 0xf1ff
	v_xor_b32_e32 v9, s0, v0
	; wave barrier
	global_inv scope:SCOPE_SE
	v_and_b32_e32 v10, v3, v4
	ds_load_2addr_b64 v[4:7], v51 offset1:32
	ds_load_2addr_b64 v[0:3], v51 offset0:64 offset1:96
	v_lshl_add_u32 v22, v14, 2, v8
	; wave barrier
	s_wait_loadcnt_dscnt 0x0
	global_inv scope:SCOPE_SE
	v_dual_mov_b32 v10, 0 :: v_dual_and_b32 v9, v10, v9
	ds_store_2addr_b32 v40, v10, v10 offset0:1 offset1:2
	ds_store_2addr_b32 v40, v10, v10 offset0:3 offset1:4
	;; [unrolled: 1-line block ×4, first 2 shown]
	v_mbcnt_lo_u32_b32 v19, v9, 0
	v_cmp_ne_u32_e64 s0, 0, v9
	; wave barrier
	s_wait_loadcnt_dscnt 0x0
	global_inv scope:SCOPE_SE
	v_cmp_eq_u32_e32 vcc_lo, 0, v19
	; wave barrier
	s_and_b32 s1, s0, vcc_lo
	s_wait_alu 0xfffe
	s_and_saveexec_b32 s0, s1
; %bb.68:
	v_bcnt_u32_b32 v9, v9, 0
	ds_store_b32 v22, v9 offset:4
; %bb.69:
	s_wait_alu 0xfffe
	s_or_b32 exec_lo, exec_lo, s0
	v_lshrrev_b16 v9, 8, v18
	v_cmp_ne_u16_e32 vcc_lo, 0x8000, v18
	; wave barrier
	s_wait_alu 0xfffd
	s_delay_alu instid0(VALU_DEP_2) | instskip(NEXT) | instid1(VALU_DEP_1)
	v_cndmask_b32_e32 v9, 0x7f, v9, vcc_lo
	v_and_b32_e32 v9, s13, v9
	s_delay_alu instid0(VALU_DEP_1)
	v_and_b32_e32 v10, 1, v9
	v_lshlrev_b32_e32 v11, 30, v9
	v_lshlrev_b32_e32 v12, 29, v9
	;; [unrolled: 1-line block ×4, first 2 shown]
	v_add_co_u32 v10, s0, v10, -1
	s_wait_alu 0xf1ff
	v_cndmask_b32_e64 v14, 0, 1, s0
	v_not_b32_e32 v25, v11
	v_cmp_gt_i32_e64 s0, 0, v11
	v_not_b32_e32 v11, v12
	v_lshlrev_b32_e32 v23, 26, v9
	v_cmp_ne_u32_e32 vcc_lo, 0, v14
	v_ashrrev_i32_e32 v25, 31, v25
	v_lshlrev_b32_e32 v24, 25, v9
	v_ashrrev_i32_e32 v11, 31, v11
	v_lshlrev_b32_e32 v14, 24, v9
	s_wait_alu 0xfffd
	v_xor_b32_e32 v10, vcc_lo, v10
	v_cmp_gt_i32_e32 vcc_lo, 0, v12
	v_not_b32_e32 v12, v13
	s_wait_alu 0xf1ff
	v_xor_b32_e32 v25, s0, v25
	v_cmp_gt_i32_e64 s0, 0, v13
	v_and_b32_e32 v10, exec_lo, v10
	v_not_b32_e32 v13, v15
	v_ashrrev_i32_e32 v12, 31, v12
	s_wait_alu 0xfffd
	v_xor_b32_e32 v11, vcc_lo, v11
	v_cmp_gt_i32_e32 vcc_lo, 0, v15
	v_and_b32_e32 v10, v10, v25
	v_not_b32_e32 v15, v23
	v_ashrrev_i32_e32 v13, 31, v13
	s_wait_alu 0xf1ff
	v_xor_b32_e32 v12, s0, v12
	v_cmp_gt_i32_e64 s0, 0, v23
	v_and_b32_e32 v10, v10, v11
	v_not_b32_e32 v11, v24
	v_ashrrev_i32_e32 v15, 31, v15
	s_wait_alu 0xfffd
	v_xor_b32_e32 v13, vcc_lo, v13
	v_cmp_gt_i32_e32 vcc_lo, 0, v24
	v_and_b32_e32 v10, v10, v12
	v_not_b32_e32 v12, v14
	v_ashrrev_i32_e32 v11, 31, v11
	s_wait_alu 0xf1ff
	v_xor_b32_e32 v15, s0, v15
	v_cmp_gt_i32_e64 s0, 0, v14
	v_and_b32_e32 v10, v10, v13
	v_ashrrev_i32_e32 v12, 31, v12
	s_wait_alu 0xfffd
	v_xor_b32_e32 v11, vcc_lo, v11
	v_lshl_add_u32 v25, v9, 2, v8
	v_and_b32_e32 v10, v10, v15
	s_wait_alu 0xf1ff
	v_xor_b32_e32 v9, s0, v12
	ds_load_b32 v23, v25 offset:4
	v_and_b32_e32 v10, v10, v11
	; wave barrier
	s_delay_alu instid0(VALU_DEP_1) | instskip(NEXT) | instid1(VALU_DEP_1)
	v_and_b32_e32 v9, v10, v9
	v_mbcnt_lo_u32_b32 v24, v9, 0
	v_cmp_ne_u32_e64 s0, 0, v9
	s_delay_alu instid0(VALU_DEP_2)
	v_cmp_eq_u32_e32 vcc_lo, 0, v24
	s_and_b32 s1, s0, vcc_lo
	s_wait_alu 0xfffe
	s_and_saveexec_b32 s0, s1
	s_cbranch_execz .LBB258_71
; %bb.70:
	s_wait_dscnt 0x0
	v_bcnt_u32_b32 v9, v9, v23
	ds_store_b32 v25, v9 offset:4
.LBB258_71:
	s_wait_alu 0xfffe
	s_or_b32 exec_lo, exec_lo, s0
	v_lshrrev_b16 v9, 8, v20
	v_cmp_ne_u16_e32 vcc_lo, 0x8000, v20
	; wave barrier
	s_wait_alu 0xfffd
	s_delay_alu instid0(VALU_DEP_2) | instskip(NEXT) | instid1(VALU_DEP_1)
	v_cndmask_b32_e32 v9, 0x7f, v9, vcc_lo
	v_and_b32_e32 v9, s13, v9
	s_delay_alu instid0(VALU_DEP_1)
	v_and_b32_e32 v10, 1, v9
	v_lshlrev_b32_e32 v11, 30, v9
	v_lshlrev_b32_e32 v12, 29, v9
	;; [unrolled: 1-line block ×4, first 2 shown]
	v_add_co_u32 v10, s0, v10, -1
	s_wait_alu 0xf1ff
	v_cndmask_b32_e64 v14, 0, 1, s0
	v_not_b32_e32 v41, v11
	v_cmp_gt_i32_e64 s0, 0, v11
	v_not_b32_e32 v11, v12
	v_lshlrev_b32_e32 v26, 26, v9
	v_cmp_ne_u32_e32 vcc_lo, 0, v14
	v_ashrrev_i32_e32 v41, 31, v41
	v_lshlrev_b32_e32 v27, 25, v9
	v_ashrrev_i32_e32 v11, 31, v11
	v_lshlrev_b32_e32 v14, 24, v9
	s_wait_alu 0xfffd
	v_xor_b32_e32 v10, vcc_lo, v10
	v_cmp_gt_i32_e32 vcc_lo, 0, v12
	v_not_b32_e32 v12, v13
	s_wait_alu 0xf1ff
	v_xor_b32_e32 v41, s0, v41
	v_cmp_gt_i32_e64 s0, 0, v13
	v_and_b32_e32 v10, exec_lo, v10
	v_not_b32_e32 v13, v15
	v_ashrrev_i32_e32 v12, 31, v12
	s_wait_alu 0xfffd
	v_xor_b32_e32 v11, vcc_lo, v11
	v_cmp_gt_i32_e32 vcc_lo, 0, v15
	v_and_b32_e32 v10, v10, v41
	v_not_b32_e32 v15, v26
	v_ashrrev_i32_e32 v13, 31, v13
	s_wait_alu 0xf1ff
	v_xor_b32_e32 v12, s0, v12
	v_cmp_gt_i32_e64 s0, 0, v26
	v_and_b32_e32 v10, v10, v11
	v_not_b32_e32 v11, v27
	v_ashrrev_i32_e32 v15, 31, v15
	s_wait_alu 0xfffd
	v_xor_b32_e32 v13, vcc_lo, v13
	v_cmp_gt_i32_e32 vcc_lo, 0, v27
	v_and_b32_e32 v10, v10, v12
	v_not_b32_e32 v12, v14
	v_ashrrev_i32_e32 v11, 31, v11
	s_wait_alu 0xf1ff
	v_xor_b32_e32 v15, s0, v15
	v_cmp_gt_i32_e64 s0, 0, v14
	v_and_b32_e32 v10, v10, v13
	v_ashrrev_i32_e32 v12, 31, v12
	s_wait_alu 0xfffd
	v_xor_b32_e32 v11, vcc_lo, v11
	v_lshl_add_u32 v41, v9, 2, v8
	v_and_b32_e32 v10, v10, v15
	s_wait_alu 0xf1ff
	v_xor_b32_e32 v9, s0, v12
	ds_load_b32 v26, v41 offset:4
	v_and_b32_e32 v10, v10, v11
	; wave barrier
	s_delay_alu instid0(VALU_DEP_1) | instskip(NEXT) | instid1(VALU_DEP_1)
	v_and_b32_e32 v9, v10, v9
	v_mbcnt_lo_u32_b32 v27, v9, 0
	v_cmp_ne_u32_e64 s0, 0, v9
	s_delay_alu instid0(VALU_DEP_2)
	v_cmp_eq_u32_e32 vcc_lo, 0, v27
	s_and_b32 s1, s0, vcc_lo
	s_wait_alu 0xfffe
	s_and_saveexec_b32 s0, s1
	s_cbranch_execz .LBB258_73
; %bb.72:
	s_wait_dscnt 0x0
	v_bcnt_u32_b32 v9, v9, v26
	ds_store_b32 v41, v9 offset:4
.LBB258_73:
	s_wait_alu 0xfffe
	s_or_b32 exec_lo, exec_lo, s0
	v_lshrrev_b16 v9, 8, v21
	v_cmp_ne_u16_e32 vcc_lo, 0x8000, v21
	; wave barrier
	s_wait_alu 0xfffd
	s_delay_alu instid0(VALU_DEP_2) | instskip(NEXT) | instid1(VALU_DEP_1)
	v_cndmask_b32_e32 v9, 0x7f, v9, vcc_lo
	v_and_b32_e32 v9, s13, v9
	s_delay_alu instid0(VALU_DEP_1)
	v_and_b32_e32 v10, 1, v9
	v_lshlrev_b32_e32 v11, 30, v9
	v_lshlrev_b32_e32 v12, 29, v9
	v_lshlrev_b32_e32 v13, 28, v9
	v_lshlrev_b32_e32 v15, 27, v9
	v_add_co_u32 v10, s0, v10, -1
	s_wait_alu 0xf1ff
	v_cndmask_b32_e64 v14, 0, 1, s0
	v_not_b32_e32 v45, v11
	v_cmp_gt_i32_e64 s0, 0, v11
	v_not_b32_e32 v11, v12
	v_lshlrev_b32_e32 v43, 26, v9
	v_cmp_ne_u32_e32 vcc_lo, 0, v14
	v_ashrrev_i32_e32 v45, 31, v45
	v_lshlrev_b32_e32 v44, 25, v9
	v_ashrrev_i32_e32 v11, 31, v11
	v_lshlrev_b32_e32 v14, 24, v9
	s_wait_alu 0xfffd
	v_xor_b32_e32 v10, vcc_lo, v10
	v_cmp_gt_i32_e32 vcc_lo, 0, v12
	v_not_b32_e32 v12, v13
	s_wait_alu 0xf1ff
	v_xor_b32_e32 v45, s0, v45
	v_cmp_gt_i32_e64 s0, 0, v13
	v_and_b32_e32 v10, exec_lo, v10
	v_not_b32_e32 v13, v15
	v_ashrrev_i32_e32 v12, 31, v12
	s_wait_alu 0xfffd
	v_xor_b32_e32 v11, vcc_lo, v11
	v_cmp_gt_i32_e32 vcc_lo, 0, v15
	v_and_b32_e32 v10, v10, v45
	v_not_b32_e32 v15, v43
	v_ashrrev_i32_e32 v13, 31, v13
	s_wait_alu 0xf1ff
	v_xor_b32_e32 v12, s0, v12
	v_cmp_gt_i32_e64 s0, 0, v43
	v_and_b32_e32 v10, v10, v11
	v_not_b32_e32 v11, v44
	v_ashrrev_i32_e32 v15, 31, v15
	s_wait_alu 0xfffd
	v_xor_b32_e32 v13, vcc_lo, v13
	v_cmp_gt_i32_e32 vcc_lo, 0, v44
	v_and_b32_e32 v10, v10, v12
	v_not_b32_e32 v12, v14
	v_ashrrev_i32_e32 v11, 31, v11
	s_wait_alu 0xf1ff
	v_xor_b32_e32 v15, s0, v15
	v_cmp_gt_i32_e64 s0, 0, v14
	v_and_b32_e32 v10, v10, v13
	v_ashrrev_i32_e32 v12, 31, v12
	s_wait_alu 0xfffd
	v_xor_b32_e32 v11, vcc_lo, v11
	v_lshl_add_u32 v45, v9, 2, v8
	v_and_b32_e32 v10, v10, v15
	s_wait_alu 0xf1ff
	v_xor_b32_e32 v8, s0, v12
	ds_load_b32 v43, v45 offset:4
	v_and_b32_e32 v9, v10, v11
	; wave barrier
	s_delay_alu instid0(VALU_DEP_1) | instskip(NEXT) | instid1(VALU_DEP_1)
	v_and_b32_e32 v8, v9, v8
	v_mbcnt_lo_u32_b32 v44, v8, 0
	v_cmp_ne_u32_e64 s0, 0, v8
	s_delay_alu instid0(VALU_DEP_2)
	v_cmp_eq_u32_e32 vcc_lo, 0, v44
	s_and_b32 s1, s0, vcc_lo
	s_wait_alu 0xfffe
	s_and_saveexec_b32 s0, s1
	s_cbranch_execz .LBB258_75
; %bb.74:
	s_wait_dscnt 0x0
	v_bcnt_u32_b32 v8, v8, v43
	ds_store_b32 v45, v8 offset:4
.LBB258_75:
	s_wait_alu 0xfffe
	s_or_b32 exec_lo, exec_lo, s0
	; wave barrier
	; wave barrier
	s_wait_loadcnt_dscnt 0x0
	global_inv scope:SCOPE_SE
	ds_load_2addr_b32 v[14:15], v40 offset0:1 offset1:2
	ds_load_2addr_b32 v[12:13], v40 offset0:3 offset1:4
	ds_load_2addr_b32 v[10:11], v40 offset0:5 offset1:6
	ds_load_2addr_b32 v[8:9], v40 offset0:7 offset1:8
	s_wait_dscnt 0x3
	v_add_nc_u32_e32 v46, v15, v14
	s_wait_dscnt 0x2
	s_delay_alu instid0(VALU_DEP_1) | instskip(SKIP_1) | instid1(VALU_DEP_1)
	v_add3_u32 v46, v46, v12, v13
	s_wait_dscnt 0x1
	v_add3_u32 v46, v46, v10, v11
	s_wait_dscnt 0x0
	s_delay_alu instid0(VALU_DEP_1) | instskip(NEXT) | instid1(VALU_DEP_1)
	v_add3_u32 v9, v46, v8, v9
	v_mov_b32_dpp v46, v9 row_shr:1 row_mask:0xf bank_mask:0xf
	s_delay_alu instid0(VALU_DEP_1) | instskip(NEXT) | instid1(VALU_DEP_1)
	v_cndmask_b32_e64 v46, v46, 0, s6
	v_add_nc_u32_e32 v9, v46, v9
	s_delay_alu instid0(VALU_DEP_1) | instskip(NEXT) | instid1(VALU_DEP_1)
	v_mov_b32_dpp v46, v9 row_shr:2 row_mask:0xf bank_mask:0xf
	v_cndmask_b32_e64 v46, 0, v46, s7
	s_delay_alu instid0(VALU_DEP_1) | instskip(NEXT) | instid1(VALU_DEP_1)
	v_add_nc_u32_e32 v9, v9, v46
	v_mov_b32_dpp v46, v9 row_shr:4 row_mask:0xf bank_mask:0xf
	s_delay_alu instid0(VALU_DEP_1) | instskip(NEXT) | instid1(VALU_DEP_1)
	v_cndmask_b32_e64 v46, 0, v46, s8
	v_add_nc_u32_e32 v9, v9, v46
	s_delay_alu instid0(VALU_DEP_1) | instskip(NEXT) | instid1(VALU_DEP_1)
	v_mov_b32_dpp v46, v9 row_shr:8 row_mask:0xf bank_mask:0xf
	v_cndmask_b32_e64 v46, 0, v46, s9
	s_delay_alu instid0(VALU_DEP_1) | instskip(SKIP_3) | instid1(VALU_DEP_1)
	v_add_nc_u32_e32 v9, v9, v46
	ds_swizzle_b32 v46, v9 offset:swizzle(BROADCAST,32,15)
	s_wait_dscnt 0x0
	v_cndmask_b32_e64 v46, v46, 0, s11
	v_add_nc_u32_e32 v9, v9, v46
	s_and_saveexec_b32 s0, s10
; %bb.76:
	v_mov_b32_e32 v46, 0
	ds_store_b32 v46, v9
; %bb.77:
	s_wait_alu 0xfffe
	s_or_b32 exec_lo, exec_lo, s0
	ds_bpermute_b32 v9, v42, v9
	; wave barrier
	s_wait_loadcnt_dscnt 0x0
	global_inv scope:SCOPE_SE
	v_cndmask_b32_e64 v9, v9, 0, s22
	s_delay_alu instid0(VALU_DEP_1) | instskip(NEXT) | instid1(VALU_DEP_1)
	v_add_nc_u32_e32 v14, v9, v14
	v_add_nc_u32_e32 v15, v14, v15
	s_delay_alu instid0(VALU_DEP_1) | instskip(NEXT) | instid1(VALU_DEP_1)
	v_add_nc_u32_e32 v12, v15, v12
	v_add_nc_u32_e32 v13, v12, v13
	;; [unrolled: 3-line block ×3, first 2 shown]
	s_delay_alu instid0(VALU_DEP_1)
	v_add_nc_u32_e32 v8, v11, v8
	ds_store_2addr_b32 v40, v9, v14 offset0:1 offset1:2
	ds_store_2addr_b32 v40, v15, v12 offset0:3 offset1:4
	;; [unrolled: 1-line block ×4, first 2 shown]
	; wave barrier
	s_wait_loadcnt_dscnt 0x0
	global_inv scope:SCOPE_SE
	ds_load_b32 v8, v22 offset:4
	ds_load_b32 v9, v25 offset:4
	;; [unrolled: 1-line block ×4, first 2 shown]
	v_lshlrev_b32_e32 v12, 1, v39
	; wave barrier
	s_wait_loadcnt_dscnt 0x0
	global_inv scope:SCOPE_SE
	v_add_nc_u32_e32 v15, v8, v19
	v_add3_u32 v19, v24, v23, v9
	v_add3_u32 v22, v27, v26, v10
	v_add3_u32 v23, v44, v43, v11
	s_delay_alu instid0(VALU_DEP_4) | instskip(NEXT) | instid1(VALU_DEP_4)
	v_lshlrev_b32_e32 v8, 1, v15
	v_lshlrev_b32_e32 v9, 1, v19
	s_delay_alu instid0(VALU_DEP_4) | instskip(NEXT) | instid1(VALU_DEP_4)
	v_lshlrev_b32_e32 v10, 1, v22
	v_lshlrev_b32_e32 v11, 1, v23
	ds_store_b16 v8, v16
	ds_store_b16 v9, v18
	;; [unrolled: 1-line block ×4, first 2 shown]
	; wave barrier
	s_wait_loadcnt_dscnt 0x0
	global_inv scope:SCOPE_SE
	ds_load_b64 v[13:14], v12
	v_mad_co_u64_u32 v[15:16], null, v15, 6, v[8:9]
	v_mad_co_u64_u32 v[8:9], null, v19, 6, v[9:10]
	;; [unrolled: 1-line block ×3, first 2 shown]
	; wave barrier
	s_wait_loadcnt_dscnt 0x0
	global_inv scope:SCOPE_SE
	ds_store_b64 v15, v[4:5]
	ds_store_b64 v8, v[6:7]
	v_cmp_gt_i16_e32 vcc_lo, 0, v13
	v_lshrrev_b32_e32 v10, 16, v13
	v_lshrrev_b32_e32 v16, 16, v14
	s_wait_alu 0xfffd
	v_cndmask_b32_e64 v12, 0x7fff, 0, vcc_lo
	v_cmp_gt_i16_e32 vcc_lo, 0, v14
	s_wait_alu 0xfffd
	v_cndmask_b32_e64 v18, 0x7fff, 0, vcc_lo
	v_cmp_gt_i16_e32 vcc_lo, 0, v10
	v_mad_co_u64_u32 v[10:11], null, v23, 6, v[11:12]
	ds_store_b64 v9, v[0:1]
	ds_store_b64 v10, v[2:3]
	s_wait_alu 0xfffd
	v_cndmask_b32_e64 v19, 0x7fff, 0, vcc_lo
	v_cmp_gt_i16_e32 vcc_lo, 0, v16
	; wave barrier
	s_wait_loadcnt_dscnt 0x0
	global_inv scope:SCOPE_SE
	v_perm_b32 v11, v19, v12, 0x5040100
	s_wait_alu 0xfffd
	v_cndmask_b32_e64 v16, 0x7fff, 0, vcc_lo
	s_delay_alu instid0(VALU_DEP_2) | instskip(NEXT) | instid1(VALU_DEP_2)
	v_xor_b32_e32 v13, v11, v13
	v_perm_b32 v12, v16, v18, 0x5040100
	s_delay_alu instid0(VALU_DEP_1)
	v_xor_b32_e32 v14, v12, v14
.LBB258_78:
	v_mad_co_u64_u32 v[8:9], null, s14, v17, 0
	ds_load_b128 v[4:7], v38
	ds_load_b128 v[0:3], v38 offset:16
	; wave barrier
	s_wait_loadcnt_dscnt 0x0
	global_inv scope:SCOPE_SE
	ds_store_2addr_b32 v32, v13, v14 offset1:1
	; wave barrier
	s_wait_loadcnt_dscnt 0x0
	global_inv scope:SCOPE_SE
	v_mad_co_u64_u32 v[9:10], null, s15, v17, v[9:10]
	ds_load_u16 v12, v29 offset:64
	ds_load_u16 v11, v30 offset:128
	ds_load_u16 v10, v31 offset:192
	v_lshlrev_b64_e32 v[8:9], 1, v[8:9]
	s_delay_alu instid0(VALU_DEP_1) | instskip(SKIP_1) | instid1(VALU_DEP_2)
	v_add_co_u32 v8, vcc_lo, s18, v8
	s_wait_alu 0xfffd
	v_add_co_ci_u32_e64 v9, null, s19, v9, vcc_lo
	s_and_saveexec_b32 s0, s2
	s_cbranch_execnz .LBB258_89
; %bb.79:
	s_wait_alu 0xfffe
	s_or_b32 exec_lo, exec_lo, s0
	s_and_saveexec_b32 s0, s3
	s_cbranch_execnz .LBB258_90
.LBB258_80:
	s_wait_alu 0xfffe
	s_or_b32 exec_lo, exec_lo, s0
	s_and_saveexec_b32 s0, s4
	s_cbranch_execnz .LBB258_91
.LBB258_81:
	s_wait_alu 0xfffe
	s_or_b32 exec_lo, exec_lo, s0
	s_and_saveexec_b32 s0, s5
	s_cbranch_execz .LBB258_83
.LBB258_82:
	v_mad_co_u64_u32 v[8:9], null, 0xc0, s14, v[8:9]
	s_wait_dscnt 0x0
	s_delay_alu instid0(VALU_DEP_1) | instskip(NEXT) | instid1(VALU_DEP_1)
	v_mad_co_u64_u32 v[11:12], null, 0xc0, s15, v[9:10]
	v_mov_b32_e32 v9, v11
	global_store_b16 v[8:9], v10, off
.LBB258_83:
	s_wait_alu 0xfffe
	s_or_b32 exec_lo, exec_lo, s0
	v_mad_co_u64_u32 v[8:9], null, s16, v17, 0
	s_wait_storecnt 0x0
	; wave barrier
	s_wait_loadcnt_dscnt 0x0
	global_inv scope:SCOPE_SE
	ds_store_2addr_b64 v37, v[4:5], v[6:7] offset1:1
	ds_store_2addr_b64 v37, v[0:1], v[2:3] offset0:2 offset1:3
	; wave barrier
	s_wait_loadcnt_dscnt 0x0
	global_inv scope:SCOPE_SE
	ds_load_b64 v[6:7], v34 offset:256
	ds_load_b64 v[4:5], v35 offset:512
	;; [unrolled: 1-line block ×3, first 2 shown]
	v_mad_co_u64_u32 v[9:10], null, s17, v17, v[9:10]
	s_delay_alu instid0(VALU_DEP_1) | instskip(NEXT) | instid1(VALU_DEP_1)
	v_lshlrev_b64_e32 v[2:3], 3, v[8:9]
	v_add_co_u32 v2, vcc_lo, s20, v2
	s_wait_alu 0xfffd
	s_delay_alu instid0(VALU_DEP_2)
	v_add_co_ci_u32_e64 v3, null, s21, v3, vcc_lo
	s_and_saveexec_b32 s0, s2
	s_cbranch_execnz .LBB258_92
; %bb.84:
	s_wait_alu 0xfffe
	s_or_b32 exec_lo, exec_lo, s0
	s_and_saveexec_b32 s0, s3
	s_cbranch_execnz .LBB258_93
.LBB258_85:
	s_wait_alu 0xfffe
	s_or_b32 exec_lo, exec_lo, s0
	s_and_saveexec_b32 s0, s4
	s_cbranch_execnz .LBB258_94
.LBB258_86:
	s_wait_alu 0xfffe
	s_or_b32 exec_lo, exec_lo, s0
	s_and_saveexec_b32 s0, s5
	s_cbranch_execz .LBB258_88
.LBB258_87:
	v_mad_co_u64_u32 v[2:3], null, 0x300, s16, v[2:3]
	s_wait_dscnt 0x1
	s_delay_alu instid0(VALU_DEP_1)
	v_mad_co_u64_u32 v[3:4], null, 0x300, s17, v[3:4]
	s_wait_dscnt 0x0
	global_store_b64 v[2:3], v[0:1], off
.LBB258_88:
	s_endpgm
.LBB258_89:
	ds_load_u16 v13, v28
	s_wait_dscnt 0x0
	global_store_b16 v[8:9], v13, off
	s_wait_alu 0xfffe
	s_or_b32 exec_lo, exec_lo, s0
	s_and_saveexec_b32 s0, s3
	s_cbranch_execz .LBB258_80
.LBB258_90:
	s_lshl_b64 s[6:7], s[14:15], 6
	s_wait_alu 0xfffe
	v_add_co_u32 v13, vcc_lo, v8, s6
	s_wait_alu 0xfffd
	v_add_co_ci_u32_e64 v14, null, s7, v9, vcc_lo
	s_wait_dscnt 0x2
	global_store_b16 v[13:14], v12, off
	s_or_b32 exec_lo, exec_lo, s0
	s_and_saveexec_b32 s0, s4
	s_cbranch_execz .LBB258_81
.LBB258_91:
	s_lshl_b64 s[6:7], s[14:15], 7
	s_wait_dscnt 0x2
	s_wait_alu 0xfffe
	v_add_co_u32 v12, vcc_lo, v8, s6
	s_wait_alu 0xfffd
	v_add_co_ci_u32_e64 v13, null, s7, v9, vcc_lo
	s_wait_dscnt 0x1
	global_store_b16 v[12:13], v11, off
	s_or_b32 exec_lo, exec_lo, s0
	s_and_saveexec_b32 s0, s5
	s_cbranch_execnz .LBB258_82
	s_branch .LBB258_83
.LBB258_92:
	ds_load_b64 v[8:9], v33
	s_wait_dscnt 0x0
	global_store_b64 v[2:3], v[8:9], off
	s_wait_alu 0xfffe
	s_or_b32 exec_lo, exec_lo, s0
	s_and_saveexec_b32 s0, s3
	s_cbranch_execz .LBB258_85
.LBB258_93:
	s_lshl_b64 s[2:3], s[16:17], 8
	s_wait_alu 0xfffe
	v_add_co_u32 v8, vcc_lo, v2, s2
	s_wait_alu 0xfffd
	v_add_co_ci_u32_e64 v9, null, s3, v3, vcc_lo
	s_wait_dscnt 0x2
	global_store_b64 v[8:9], v[6:7], off
	s_or_b32 exec_lo, exec_lo, s0
	s_and_saveexec_b32 s0, s4
	s_cbranch_execz .LBB258_86
.LBB258_94:
	s_lshl_b64 s[2:3], s[16:17], 9
	s_wait_dscnt 0x2
	s_wait_alu 0xfffe
	v_add_co_u32 v6, vcc_lo, v2, s2
	s_wait_alu 0xfffd
	v_add_co_ci_u32_e64 v7, null, s3, v3, vcc_lo
	s_wait_dscnt 0x1
	global_store_b64 v[6:7], v[4:5], off
	s_or_b32 exec_lo, exec_lo, s0
	s_and_saveexec_b32 s0, s5
	s_cbranch_execnz .LBB258_87
	s_branch .LBB258_88
	.section	.rodata,"a",@progbits
	.p2align	6, 0x0
	.amdhsa_kernel _ZN2at6native18radixSortKVInPlaceILin1ELin1ELi32ELi4EN3c108BFloat16ElmEEvNS_4cuda6detail10TensorInfoIT3_T5_EES8_S8_S8_NS6_IT4_S8_EES8_b
		.amdhsa_group_segment_fixed_size 1056
		.amdhsa_private_segment_fixed_size 0
		.amdhsa_kernarg_size 1128
		.amdhsa_user_sgpr_count 2
		.amdhsa_user_sgpr_dispatch_ptr 0
		.amdhsa_user_sgpr_queue_ptr 0
		.amdhsa_user_sgpr_kernarg_segment_ptr 1
		.amdhsa_user_sgpr_dispatch_id 0
		.amdhsa_user_sgpr_private_segment_size 0
		.amdhsa_wavefront_size32 1
		.amdhsa_uses_dynamic_stack 0
		.amdhsa_enable_private_segment 0
		.amdhsa_system_sgpr_workgroup_id_x 1
		.amdhsa_system_sgpr_workgroup_id_y 1
		.amdhsa_system_sgpr_workgroup_id_z 1
		.amdhsa_system_sgpr_workgroup_info 0
		.amdhsa_system_vgpr_workitem_id 2
		.amdhsa_next_free_vgpr 92
		.amdhsa_next_free_sgpr 36
		.amdhsa_reserve_vcc 1
		.amdhsa_float_round_mode_32 0
		.amdhsa_float_round_mode_16_64 0
		.amdhsa_float_denorm_mode_32 3
		.amdhsa_float_denorm_mode_16_64 3
		.amdhsa_fp16_overflow 0
		.amdhsa_workgroup_processor_mode 1
		.amdhsa_memory_ordered 1
		.amdhsa_forward_progress 1
		.amdhsa_inst_pref_size 120
		.amdhsa_round_robin_scheduling 0
		.amdhsa_exception_fp_ieee_invalid_op 0
		.amdhsa_exception_fp_denorm_src 0
		.amdhsa_exception_fp_ieee_div_zero 0
		.amdhsa_exception_fp_ieee_overflow 0
		.amdhsa_exception_fp_ieee_underflow 0
		.amdhsa_exception_fp_ieee_inexact 0
		.amdhsa_exception_int_div_zero 0
	.end_amdhsa_kernel
	.section	.text._ZN2at6native18radixSortKVInPlaceILin1ELin1ELi32ELi4EN3c108BFloat16ElmEEvNS_4cuda6detail10TensorInfoIT3_T5_EES8_S8_S8_NS6_IT4_S8_EES8_b,"axG",@progbits,_ZN2at6native18radixSortKVInPlaceILin1ELin1ELi32ELi4EN3c108BFloat16ElmEEvNS_4cuda6detail10TensorInfoIT3_T5_EES8_S8_S8_NS6_IT4_S8_EES8_b,comdat
.Lfunc_end258:
	.size	_ZN2at6native18radixSortKVInPlaceILin1ELin1ELi32ELi4EN3c108BFloat16ElmEEvNS_4cuda6detail10TensorInfoIT3_T5_EES8_S8_S8_NS6_IT4_S8_EES8_b, .Lfunc_end258-_ZN2at6native18radixSortKVInPlaceILin1ELin1ELi32ELi4EN3c108BFloat16ElmEEvNS_4cuda6detail10TensorInfoIT3_T5_EES8_S8_S8_NS6_IT4_S8_EES8_b
                                        ; -- End function
	.set _ZN2at6native18radixSortKVInPlaceILin1ELin1ELi32ELi4EN3c108BFloat16ElmEEvNS_4cuda6detail10TensorInfoIT3_T5_EES8_S8_S8_NS6_IT4_S8_EES8_b.num_vgpr, 92
	.set _ZN2at6native18radixSortKVInPlaceILin1ELin1ELi32ELi4EN3c108BFloat16ElmEEvNS_4cuda6detail10TensorInfoIT3_T5_EES8_S8_S8_NS6_IT4_S8_EES8_b.num_agpr, 0
	.set _ZN2at6native18radixSortKVInPlaceILin1ELin1ELi32ELi4EN3c108BFloat16ElmEEvNS_4cuda6detail10TensorInfoIT3_T5_EES8_S8_S8_NS6_IT4_S8_EES8_b.numbered_sgpr, 36
	.set _ZN2at6native18radixSortKVInPlaceILin1ELin1ELi32ELi4EN3c108BFloat16ElmEEvNS_4cuda6detail10TensorInfoIT3_T5_EES8_S8_S8_NS6_IT4_S8_EES8_b.num_named_barrier, 0
	.set _ZN2at6native18radixSortKVInPlaceILin1ELin1ELi32ELi4EN3c108BFloat16ElmEEvNS_4cuda6detail10TensorInfoIT3_T5_EES8_S8_S8_NS6_IT4_S8_EES8_b.private_seg_size, 0
	.set _ZN2at6native18radixSortKVInPlaceILin1ELin1ELi32ELi4EN3c108BFloat16ElmEEvNS_4cuda6detail10TensorInfoIT3_T5_EES8_S8_S8_NS6_IT4_S8_EES8_b.uses_vcc, 1
	.set _ZN2at6native18radixSortKVInPlaceILin1ELin1ELi32ELi4EN3c108BFloat16ElmEEvNS_4cuda6detail10TensorInfoIT3_T5_EES8_S8_S8_NS6_IT4_S8_EES8_b.uses_flat_scratch, 0
	.set _ZN2at6native18radixSortKVInPlaceILin1ELin1ELi32ELi4EN3c108BFloat16ElmEEvNS_4cuda6detail10TensorInfoIT3_T5_EES8_S8_S8_NS6_IT4_S8_EES8_b.has_dyn_sized_stack, 0
	.set _ZN2at6native18radixSortKVInPlaceILin1ELin1ELi32ELi4EN3c108BFloat16ElmEEvNS_4cuda6detail10TensorInfoIT3_T5_EES8_S8_S8_NS6_IT4_S8_EES8_b.has_recursion, 0
	.set _ZN2at6native18radixSortKVInPlaceILin1ELin1ELi32ELi4EN3c108BFloat16ElmEEvNS_4cuda6detail10TensorInfoIT3_T5_EES8_S8_S8_NS6_IT4_S8_EES8_b.has_indirect_call, 0
	.section	.AMDGPU.csdata,"",@progbits
; Kernel info:
; codeLenInByte = 15344
; TotalNumSgprs: 38
; NumVgprs: 92
; ScratchSize: 0
; MemoryBound: 0
; FloatMode: 240
; IeeeMode: 1
; LDSByteSize: 1056 bytes/workgroup (compile time only)
; SGPRBlocks: 0
; VGPRBlocks: 11
; NumSGPRsForWavesPerEU: 38
; NumVGPRsForWavesPerEU: 92
; Occupancy: 16
; WaveLimiterHint : 1
; COMPUTE_PGM_RSRC2:SCRATCH_EN: 0
; COMPUTE_PGM_RSRC2:USER_SGPR: 2
; COMPUTE_PGM_RSRC2:TRAP_HANDLER: 0
; COMPUTE_PGM_RSRC2:TGID_X_EN: 1
; COMPUTE_PGM_RSRC2:TGID_Y_EN: 1
; COMPUTE_PGM_RSRC2:TGID_Z_EN: 1
; COMPUTE_PGM_RSRC2:TIDIG_COMP_CNT: 2
	.section	.text._ZN2at6native18radixSortKVInPlaceILin1ELin1ELi16ELi2EN3c108BFloat16ElmEEvNS_4cuda6detail10TensorInfoIT3_T5_EES8_S8_S8_NS6_IT4_S8_EES8_b,"axG",@progbits,_ZN2at6native18radixSortKVInPlaceILin1ELin1ELi16ELi2EN3c108BFloat16ElmEEvNS_4cuda6detail10TensorInfoIT3_T5_EES8_S8_S8_NS6_IT4_S8_EES8_b,comdat
	.protected	_ZN2at6native18radixSortKVInPlaceILin1ELin1ELi16ELi2EN3c108BFloat16ElmEEvNS_4cuda6detail10TensorInfoIT3_T5_EES8_S8_S8_NS6_IT4_S8_EES8_b ; -- Begin function _ZN2at6native18radixSortKVInPlaceILin1ELin1ELi16ELi2EN3c108BFloat16ElmEEvNS_4cuda6detail10TensorInfoIT3_T5_EES8_S8_S8_NS6_IT4_S8_EES8_b
	.globl	_ZN2at6native18radixSortKVInPlaceILin1ELin1ELi16ELi2EN3c108BFloat16ElmEEvNS_4cuda6detail10TensorInfoIT3_T5_EES8_S8_S8_NS6_IT4_S8_EES8_b
	.p2align	8
	.type	_ZN2at6native18radixSortKVInPlaceILin1ELin1ELi16ELi2EN3c108BFloat16ElmEEvNS_4cuda6detail10TensorInfoIT3_T5_EES8_S8_S8_NS6_IT4_S8_EES8_b,@function
_ZN2at6native18radixSortKVInPlaceILin1ELin1ELi16ELi2EN3c108BFloat16ElmEEvNS_4cuda6detail10TensorInfoIT3_T5_EES8_S8_S8_NS6_IT4_S8_EES8_b: ; @_ZN2at6native18radixSortKVInPlaceILin1ELin1ELi16ELi2EN3c108BFloat16ElmEEvNS_4cuda6detail10TensorInfoIT3_T5_EES8_S8_S8_NS6_IT4_S8_EES8_b
; %bb.0:
	s_clause 0x1
	s_load_b64 s[2:3], s[0:1], 0x368
	s_load_b128 s[4:7], s[0:1], 0x1a0
	s_wait_kmcnt 0x0
	s_lshr_b32 s7, ttmp7, 16
	s_and_b32 s8, ttmp7, 0xffff
	s_mul_i32 s3, s3, s7
	s_delay_alu instid0(SALU_CYCLE_1) | instskip(NEXT) | instid1(SALU_CYCLE_1)
	s_add_co_i32 s3, s3, s8
	s_mul_i32 s2, s3, s2
	s_mov_b32 s3, 0
	s_add_co_i32 s2, s2, ttmp9
	s_delay_alu instid0(SALU_CYCLE_1)
	v_cmp_le_u64_e64 s4, s[4:5], s[2:3]
	s_and_b32 vcc_lo, exec_lo, s4
	s_cbranch_vccnz .LBB259_126
; %bb.1:
	s_clause 0x1
	s_load_b32 s7, s[0:1], 0x198
	s_load_b64 s[8:9], s[0:1], 0x1b0
	s_mov_b64 s[4:5], 0
	s_mov_b64 s[10:11], s[2:3]
	s_wait_kmcnt 0x0
	s_cmp_lt_i32 s7, 2
	s_cbranch_scc1 .LBB259_9
; %bb.2:
	s_mov_b32 s12, 0
	s_add_co_i32 s4, s7, -1
	s_mov_b32 s5, s12
	s_add_co_i32 s7, s7, 1
	s_wait_alu 0xfffe
	s_lshl_b64 s[4:5], s[4:5], 3
	s_mov_b64 s[16:17], s[2:3]
	s_wait_alu 0xfffe
	s_add_nc_u64 s[10:11], s[0:1], s[4:5]
	s_mov_b64 s[4:5], 0
	s_add_nc_u64 s[14:15], s[10:11], 8
.LBB259_3:                              ; =>This Inner Loop Header: Depth=1
	s_load_b64 s[18:19], s[14:15], 0x0
	s_wait_kmcnt 0x0
	s_or_b64 s[10:11], s[16:17], s[18:19]
	s_wait_alu 0xfffe
	s_mov_b32 s13, s11
                                        ; implicit-def: $sgpr10_sgpr11
	s_delay_alu instid0(SALU_CYCLE_1)
	s_cmp_lg_u64 s[12:13], 0
	s_mov_b32 s13, -1
	s_cbranch_scc0 .LBB259_5
; %bb.4:                                ;   in Loop: Header=BB259_3 Depth=1
	s_cvt_f32_u32 s10, s18
	s_cvt_f32_u32 s11, s19
	s_sub_nc_u64 s[20:21], 0, s[18:19]
	s_mov_b32 s23, s12
	s_mov_b32 s27, s12
	s_wait_alu 0xfffe
	s_fmamk_f32 s10, s11, 0x4f800000, s10
	s_wait_alu 0xfffe
	s_delay_alu instid0(SALU_CYCLE_2) | instskip(NEXT) | instid1(TRANS32_DEP_1)
	v_s_rcp_f32 s10, s10
	s_mul_f32 s10, s10, 0x5f7ffffc
	s_wait_alu 0xfffe
	s_delay_alu instid0(SALU_CYCLE_2) | instskip(SKIP_1) | instid1(SALU_CYCLE_2)
	s_mul_f32 s11, s10, 0x2f800000
	s_wait_alu 0xfffe
	s_trunc_f32 s11, s11
	s_wait_alu 0xfffe
	s_delay_alu instid0(SALU_CYCLE_2) | instskip(SKIP_2) | instid1(SALU_CYCLE_1)
	s_fmamk_f32 s10, s11, 0xcf800000, s10
	s_cvt_u32_f32 s11, s11
	s_wait_alu 0xfffe
	s_cvt_u32_f32 s10, s10
	s_wait_alu 0xfffe
	s_delay_alu instid0(SALU_CYCLE_2) | instskip(NEXT) | instid1(SALU_CYCLE_1)
	s_mul_u64 s[24:25], s[20:21], s[10:11]
	s_mul_hi_u32 s29, s10, s25
	s_mul_i32 s28, s10, s25
	s_mul_hi_u32 s22, s10, s24
	s_mul_i32 s26, s11, s24
	s_add_nc_u64 s[22:23], s[22:23], s[28:29]
	s_mul_hi_u32 s13, s11, s24
	s_mul_hi_u32 s30, s11, s25
	s_add_co_u32 s22, s22, s26
	s_add_co_ci_u32 s26, s23, s13
	s_mul_i32 s24, s11, s25
	s_add_co_ci_u32 s25, s30, 0
	s_delay_alu instid0(SALU_CYCLE_1) | instskip(SKIP_3) | instid1(SALU_CYCLE_1)
	s_add_nc_u64 s[22:23], s[26:27], s[24:25]
	s_mov_b32 s25, s12
	s_add_co_u32 s10, s10, s22
	s_cselect_b32 s13, -1, 0
	s_cmp_lg_u32 s13, 0
	s_add_co_ci_u32 s11, s11, s23
	s_mov_b32 s23, s12
	s_wait_alu 0xfffe
	s_mul_u64 s[20:21], s[20:21], s[10:11]
	s_delay_alu instid0(SALU_CYCLE_1)
	s_mul_hi_u32 s27, s10, s21
	s_mul_i32 s26, s10, s21
	s_mul_hi_u32 s22, s10, s20
	s_mul_i32 s24, s11, s20
	s_add_nc_u64 s[22:23], s[22:23], s[26:27]
	s_mul_hi_u32 s13, s11, s20
	s_mul_hi_u32 s28, s11, s21
	s_mul_i32 s20, s11, s21
	s_add_co_u32 s21, s22, s24
	s_add_co_ci_u32 s24, s23, s13
	s_add_co_ci_u32 s21, s28, 0
	s_mov_b32 s23, s12
	s_add_nc_u64 s[20:21], s[24:25], s[20:21]
	s_delay_alu instid0(SALU_CYCLE_1)
	s_add_co_u32 s10, s10, s20
	s_cselect_b32 s13, -1, 0
	s_wait_alu 0xfffe
	s_mul_hi_u32 s22, s16, s10
	s_cmp_lg_u32 s13, 0
	s_mul_hi_u32 s13, s17, s10
	s_add_co_ci_u32 s20, s11, s21
	s_mul_i32 s21, s17, s10
	s_mul_hi_u32 s11, s16, s20
	s_mul_i32 s10, s16, s20
	s_mul_hi_u32 s26, s17, s20
	s_wait_alu 0xfffe
	s_add_nc_u64 s[10:11], s[22:23], s[10:11]
	s_mul_i32 s20, s17, s20
	s_wait_alu 0xfffe
	s_add_co_u32 s10, s10, s21
	s_add_co_ci_u32 s24, s11, s13
	s_add_co_ci_u32 s21, s26, 0
	s_delay_alu instid0(SALU_CYCLE_1) | instskip(SKIP_2) | instid1(SALU_CYCLE_1)
	s_add_nc_u64 s[10:11], s[24:25], s[20:21]
	s_wait_alu 0xfffe
	s_mul_u64 s[20:21], s[18:19], s[10:11]
	s_sub_co_u32 s13, s16, s20
	s_cselect_b32 s20, -1, 0
	s_sub_co_i32 s22, s17, s21
	s_cmp_lg_u32 s20, 0
	s_sub_co_ci_u32 s22, s22, s19
	s_sub_co_u32 s23, s13, s18
	s_cselect_b32 s24, -1, 0
	s_delay_alu instid0(SALU_CYCLE_1) | instskip(SKIP_1) | instid1(SALU_CYCLE_1)
	s_cmp_lg_u32 s24, 0
	s_sub_co_ci_u32 s22, s22, 0
	s_cmp_ge_u32 s22, s19
	s_cselect_b32 s24, -1, 0
	s_cmp_ge_u32 s23, s18
	s_cselect_b32 s25, -1, 0
	s_cmp_eq_u32 s22, s19
	s_add_nc_u64 s[22:23], s[10:11], 1
	s_cselect_b32 s26, s25, s24
	s_add_nc_u64 s[24:25], s[10:11], 2
	s_cmp_lg_u32 s26, 0
	s_cselect_b32 s22, s24, s22
	s_cselect_b32 s23, s25, s23
	s_cmp_lg_u32 s20, 0
	s_sub_co_ci_u32 s20, s17, s21
	s_delay_alu instid0(SALU_CYCLE_1)
	s_cmp_ge_u32 s20, s19
	s_cselect_b32 s21, -1, 0
	s_cmp_ge_u32 s13, s18
	s_cselect_b32 s13, -1, 0
	s_cmp_eq_u32 s20, s19
	s_cselect_b32 s13, s13, s21
	s_delay_alu instid0(SALU_CYCLE_1)
	s_cmp_lg_u32 s13, 0
	s_mov_b32 s13, 0
	s_cselect_b32 s11, s23, s11
	s_cselect_b32 s10, s22, s10
.LBB259_5:                              ;   in Loop: Header=BB259_3 Depth=1
	s_and_not1_b32 vcc_lo, exec_lo, s13
	s_cbranch_vccnz .LBB259_7
; %bb.6:                                ;   in Loop: Header=BB259_3 Depth=1
	v_cvt_f32_u32_e32 v1, s18
	s_sub_co_i32 s11, 0, s18
	s_delay_alu instid0(VALU_DEP_1) | instskip(NEXT) | instid1(TRANS32_DEP_1)
	v_rcp_iflag_f32_e32 v1, v1
	v_mul_f32_e32 v1, 0x4f7ffffe, v1
	s_delay_alu instid0(VALU_DEP_1) | instskip(NEXT) | instid1(VALU_DEP_1)
	v_cvt_u32_f32_e32 v1, v1
	v_readfirstlane_b32 s10, v1
	s_wait_alu 0xfffe
	s_mul_i32 s11, s11, s10
	s_wait_alu 0xfffe
	s_mul_hi_u32 s11, s10, s11
	s_wait_alu 0xfffe
	s_add_co_i32 s10, s10, s11
	s_wait_alu 0xfffe
	s_mul_hi_u32 s10, s16, s10
	s_wait_alu 0xfffe
	s_mul_i32 s11, s10, s18
	s_add_co_i32 s13, s10, 1
	s_wait_alu 0xfffe
	s_sub_co_i32 s11, s16, s11
	s_wait_alu 0xfffe
	s_sub_co_i32 s20, s11, s18
	s_cmp_ge_u32 s11, s18
	s_cselect_b32 s10, s13, s10
	s_cselect_b32 s11, s20, s11
	s_wait_alu 0xfffe
	s_add_co_i32 s13, s10, 1
	s_cmp_ge_u32 s11, s18
	s_mov_b32 s11, s12
	s_cselect_b32 s10, s13, s10
.LBB259_7:                              ;   in Loop: Header=BB259_3 Depth=1
	s_load_b64 s[20:21], s[14:15], 0xc8
	s_mul_u64 s[18:19], s[10:11], s[18:19]
	s_add_co_i32 s7, s7, -1
	s_wait_alu 0xfffe
	s_sub_nc_u64 s[16:17], s[16:17], s[18:19]
	s_cmp_gt_u32 s7, 2
	s_add_nc_u64 s[14:15], s[14:15], -8
	s_wait_kmcnt 0x0
	s_mul_u64 s[16:17], s[20:21], s[16:17]
	s_delay_alu instid0(SALU_CYCLE_1)
	s_add_nc_u64 s[4:5], s[16:17], s[4:5]
	s_cbranch_scc0 .LBB259_9
; %bb.8:                                ;   in Loop: Header=BB259_3 Depth=1
	s_mov_b64 s[16:17], s[10:11]
	s_branch .LBB259_3
.LBB259_9:
	s_load_b32 s7, s[0:1], 0x350
	s_mov_b64 s[14:15], 0
	s_wait_kmcnt 0x0
	s_cmp_lt_i32 s7, 2
	s_cbranch_scc1 .LBB259_17
; %bb.10:
	s_mov_b32 s12, 0
	s_add_co_i32 s14, s7, -1
	s_mov_b32 s15, s12
	s_add_co_i32 s7, s7, 1
	s_lshl_b64 s[14:15], s[14:15], 3
	s_delay_alu instid0(SALU_CYCLE_1) | instskip(NEXT) | instid1(SALU_CYCLE_1)
	s_add_nc_u64 s[14:15], s[0:1], s[14:15]
	s_add_nc_u64 s[16:17], s[14:15], 0x1c0
	s_mov_b64 s[14:15], 0
.LBB259_11:                             ; =>This Inner Loop Header: Depth=1
	s_load_b64 s[18:19], s[16:17], 0x0
	s_wait_kmcnt 0x0
	s_or_b64 s[20:21], s[2:3], s[18:19]
	s_delay_alu instid0(SALU_CYCLE_1)
	s_mov_b32 s13, s21
                                        ; implicit-def: $sgpr20_sgpr21
	s_wait_alu 0xfffe
	s_cmp_lg_u64 s[12:13], 0
	s_mov_b32 s13, -1
	s_cbranch_scc0 .LBB259_13
; %bb.12:                               ;   in Loop: Header=BB259_11 Depth=1
	s_cvt_f32_u32 s13, s18
	s_cvt_f32_u32 s20, s19
	s_sub_nc_u64 s[22:23], 0, s[18:19]
	s_mov_b32 s25, s12
	s_mov_b32 s29, s12
	s_wait_alu 0xfffe
	s_fmamk_f32 s13, s20, 0x4f800000, s13
	s_wait_alu 0xfffe
	s_delay_alu instid0(SALU_CYCLE_2) | instskip(NEXT) | instid1(TRANS32_DEP_1)
	v_s_rcp_f32 s13, s13
	s_mul_f32 s13, s13, 0x5f7ffffc
	s_wait_alu 0xfffe
	s_delay_alu instid0(SALU_CYCLE_2) | instskip(NEXT) | instid1(SALU_CYCLE_3)
	s_mul_f32 s20, s13, 0x2f800000
	s_trunc_f32 s20, s20
	s_delay_alu instid0(SALU_CYCLE_3) | instskip(SKIP_2) | instid1(SALU_CYCLE_1)
	s_fmamk_f32 s13, s20, 0xcf800000, s13
	s_cvt_u32_f32 s21, s20
	s_wait_alu 0xfffe
	s_cvt_u32_f32 s20, s13
	s_delay_alu instid0(SALU_CYCLE_3) | instskip(NEXT) | instid1(SALU_CYCLE_1)
	s_mul_u64 s[26:27], s[22:23], s[20:21]
	s_mul_hi_u32 s31, s20, s27
	s_mul_i32 s30, s20, s27
	s_mul_hi_u32 s24, s20, s26
	s_mul_i32 s28, s21, s26
	s_add_nc_u64 s[24:25], s[24:25], s[30:31]
	s_mul_hi_u32 s13, s21, s26
	s_mul_hi_u32 s33, s21, s27
	s_add_co_u32 s24, s24, s28
	s_wait_alu 0xfffe
	s_add_co_ci_u32 s28, s25, s13
	s_mul_i32 s26, s21, s27
	s_add_co_ci_u32 s27, s33, 0
	s_delay_alu instid0(SALU_CYCLE_1)
	s_add_nc_u64 s[24:25], s[28:29], s[26:27]
	s_mov_b32 s27, s12
	s_add_co_u32 s20, s20, s24
	s_cselect_b32 s13, -1, 0
	s_wait_alu 0xfffe
	s_cmp_lg_u32 s13, 0
	s_add_co_ci_u32 s21, s21, s25
	s_mov_b32 s25, s12
	s_mul_u64 s[22:23], s[22:23], s[20:21]
	s_delay_alu instid0(SALU_CYCLE_1)
	s_mul_hi_u32 s29, s20, s23
	s_mul_i32 s28, s20, s23
	s_mul_hi_u32 s24, s20, s22
	s_mul_i32 s26, s21, s22
	s_add_nc_u64 s[24:25], s[24:25], s[28:29]
	s_mul_hi_u32 s13, s21, s22
	s_mul_hi_u32 s30, s21, s23
	s_mul_i32 s22, s21, s23
	s_add_co_u32 s23, s24, s26
	s_wait_alu 0xfffe
	s_add_co_ci_u32 s26, s25, s13
	s_add_co_ci_u32 s23, s30, 0
	s_mov_b32 s25, s12
	s_add_nc_u64 s[22:23], s[26:27], s[22:23]
	s_delay_alu instid0(SALU_CYCLE_1)
	s_add_co_u32 s13, s20, s22
	s_cselect_b32 s20, -1, 0
	s_wait_alu 0xfffe
	s_mul_hi_u32 s24, s2, s13
	s_cmp_lg_u32 s20, 0
	s_mul_hi_u32 s26, s3, s13
	s_add_co_ci_u32 s22, s21, s23
	s_mul_i32 s13, s3, s13
	s_mul_hi_u32 s21, s2, s22
	s_mul_i32 s20, s2, s22
	s_mul_hi_u32 s23, s3, s22
	s_add_nc_u64 s[20:21], s[24:25], s[20:21]
	s_mul_i32 s22, s3, s22
	s_wait_alu 0xfffe
	s_add_co_u32 s13, s20, s13
	s_add_co_ci_u32 s26, s21, s26
	s_add_co_ci_u32 s23, s23, 0
	s_delay_alu instid0(SALU_CYCLE_1) | instskip(NEXT) | instid1(SALU_CYCLE_1)
	s_add_nc_u64 s[20:21], s[26:27], s[22:23]
	s_mul_u64 s[22:23], s[18:19], s[20:21]
	s_delay_alu instid0(SALU_CYCLE_1)
	s_sub_co_u32 s13, s2, s22
	s_cselect_b32 s22, -1, 0
	s_sub_co_i32 s24, s3, s23
	s_cmp_lg_u32 s22, 0
	s_sub_co_ci_u32 s24, s24, s19
	s_wait_alu 0xfffe
	s_sub_co_u32 s25, s13, s18
	s_cselect_b32 s26, -1, 0
	s_delay_alu instid0(SALU_CYCLE_1) | instskip(SKIP_1) | instid1(SALU_CYCLE_1)
	s_cmp_lg_u32 s26, 0
	s_sub_co_ci_u32 s24, s24, 0
	s_cmp_ge_u32 s24, s19
	s_cselect_b32 s26, -1, 0
	s_cmp_ge_u32 s25, s18
	s_cselect_b32 s27, -1, 0
	s_cmp_eq_u32 s24, s19
	s_add_nc_u64 s[24:25], s[20:21], 1
	s_cselect_b32 s28, s27, s26
	s_add_nc_u64 s[26:27], s[20:21], 2
	s_cmp_lg_u32 s28, 0
	s_cselect_b32 s24, s26, s24
	s_cselect_b32 s25, s27, s25
	s_cmp_lg_u32 s22, 0
	s_sub_co_ci_u32 s22, s3, s23
	s_delay_alu instid0(SALU_CYCLE_1)
	s_cmp_ge_u32 s22, s19
	s_cselect_b32 s23, -1, 0
	s_cmp_ge_u32 s13, s18
	s_cselect_b32 s13, -1, 0
	s_cmp_eq_u32 s22, s19
	s_wait_alu 0xfffe
	s_cselect_b32 s13, s13, s23
	s_wait_alu 0xfffe
	s_cmp_lg_u32 s13, 0
	s_mov_b32 s13, 0
	s_cselect_b32 s21, s25, s21
	s_cselect_b32 s20, s24, s20
.LBB259_13:                             ;   in Loop: Header=BB259_11 Depth=1
	s_wait_alu 0xfffe
	s_and_not1_b32 vcc_lo, exec_lo, s13
	s_cbranch_vccnz .LBB259_15
; %bb.14:                               ;   in Loop: Header=BB259_11 Depth=1
	v_cvt_f32_u32_e32 v1, s18
	s_sub_co_i32 s20, 0, s18
	s_delay_alu instid0(VALU_DEP_1) | instskip(NEXT) | instid1(TRANS32_DEP_1)
	v_rcp_iflag_f32_e32 v1, v1
	v_mul_f32_e32 v1, 0x4f7ffffe, v1
	s_delay_alu instid0(VALU_DEP_1) | instskip(NEXT) | instid1(VALU_DEP_1)
	v_cvt_u32_f32_e32 v1, v1
	v_readfirstlane_b32 s13, v1
	s_mul_i32 s20, s20, s13
	s_delay_alu instid0(SALU_CYCLE_1) | instskip(NEXT) | instid1(SALU_CYCLE_1)
	s_mul_hi_u32 s20, s13, s20
	s_add_co_i32 s13, s13, s20
	s_wait_alu 0xfffe
	s_mul_hi_u32 s13, s2, s13
	s_wait_alu 0xfffe
	s_mul_i32 s20, s13, s18
	s_add_co_i32 s21, s13, 1
	s_sub_co_i32 s20, s2, s20
	s_delay_alu instid0(SALU_CYCLE_1)
	s_sub_co_i32 s22, s20, s18
	s_cmp_ge_u32 s20, s18
	s_cselect_b32 s13, s21, s13
	s_cselect_b32 s20, s22, s20
	s_wait_alu 0xfffe
	s_add_co_i32 s21, s13, 1
	s_cmp_ge_u32 s20, s18
	s_cselect_b32 s20, s21, s13
	s_mov_b32 s21, s12
.LBB259_15:                             ;   in Loop: Header=BB259_11 Depth=1
	s_load_b64 s[22:23], s[16:17], 0xc8
	s_mul_u64 s[18:19], s[20:21], s[18:19]
	s_add_co_i32 s7, s7, -1
	s_wait_alu 0xfffe
	s_sub_nc_u64 s[2:3], s[2:3], s[18:19]
	s_cmp_gt_u32 s7, 2
	s_add_nc_u64 s[16:17], s[16:17], -8
	s_wait_kmcnt 0x0
	s_wait_alu 0xfffe
	s_mul_u64 s[2:3], s[22:23], s[2:3]
	s_wait_alu 0xfffe
	s_add_nc_u64 s[14:15], s[2:3], s[14:15]
	s_cbranch_scc0 .LBB259_18
; %bb.16:                               ;   in Loop: Header=BB259_11 Depth=1
	s_mov_b64 s[2:3], s[20:21]
	s_branch .LBB259_11
.LBB259_17:
	s_mov_b64 s[20:21], s[2:3]
.LBB259_18:
	s_clause 0x2
	s_load_b64 s[2:3], s[0:1], 0xd0
	s_load_b32 s7, s[0:1], 0x360
	s_load_b64 s[12:13], s[0:1], 0x0
	s_wait_kmcnt 0x0
	s_mul_u64 s[2:3], s[2:3], s[10:11]
	s_bitcmp1_b32 s7, 0
	s_mov_b32 s10, 0xffff
	s_cselect_b32 s7, -1, 0
	s_delay_alu instid0(SALU_CYCLE_1)
	s_and_b32 s11, s7, exec_lo
	s_wait_alu 0xfffe
	s_cselect_b32 s10, s10, 0x7fff
	s_lshl_b64 s[16:17], s[2:3], 1
	v_cmp_gt_u32_e64 s2, s6, v0
	s_wait_alu 0xfffe
	v_mov_b32_e32 v1, s10
	s_add_nc_u64 s[12:13], s[12:13], s[16:17]
	s_lshl_b64 s[4:5], s[4:5], 1
	s_wait_alu 0xfffe
	s_add_nc_u64 s[12:13], s[12:13], s[4:5]
	s_and_saveexec_b32 s3, s2
	s_cbranch_execz .LBB259_20
; %bb.19:
	v_mad_co_u64_u32 v[1:2], null, s8, v0, 0
	s_delay_alu instid0(VALU_DEP_1) | instskip(NEXT) | instid1(VALU_DEP_1)
	v_mad_co_u64_u32 v[2:3], null, s9, v0, v[2:3]
	v_lshlrev_b64_e32 v[1:2], 1, v[1:2]
	s_wait_alu 0xfffe
	s_delay_alu instid0(VALU_DEP_1) | instskip(NEXT) | instid1(VALU_DEP_1)
	v_add_co_u32 v1, vcc_lo, s12, v1
	v_add_co_ci_u32_e64 v2, null, s13, v2, vcc_lo
	global_load_u16 v1, v[1:2], off
.LBB259_20:
	s_wait_alu 0xfffe
	s_or_b32 exec_lo, exec_lo, s3
	s_clause 0x1
	s_load_b64 s[16:17], s[0:1], 0x288
	s_load_b64 s[4:5], s[0:1], 0x1b8
	v_or_b32_e32 v5, 16, v0
	v_mov_b32_e32 v2, s10
	s_delay_alu instid0(VALU_DEP_2)
	v_cmp_gt_u32_e64 s3, s6, v5
	s_and_saveexec_b32 s6, s3
	s_cbranch_execz .LBB259_22
; %bb.21:
	v_mad_co_u64_u32 v[2:3], null, s8, v5, 0
	s_delay_alu instid0(VALU_DEP_1) | instskip(NEXT) | instid1(VALU_DEP_1)
	v_mad_co_u64_u32 v[3:4], null, s9, v5, v[3:4]
	v_lshlrev_b64_e32 v[2:3], 1, v[2:3]
	s_delay_alu instid0(VALU_DEP_1) | instskip(SKIP_1) | instid1(VALU_DEP_2)
	v_add_co_u32 v2, vcc_lo, s12, v2
	s_wait_alu 0xfffd
	v_add_co_ci_u32_e64 v3, null, s13, v3, vcc_lo
	global_load_u16 v2, v[2:3], off
.LBB259_22:
	s_wait_alu 0xfffe
	s_or_b32 exec_lo, exec_lo, s6
	v_lshlrev_b32_e32 v17, 1, v0
	v_dual_mov_b32 v3, 0 :: v_dual_lshlrev_b32 v18, 2, v0
	s_load_b64 s[10:11], s[0:1], 0x358
	v_mov_b32_e32 v4, 0
	s_wait_loadcnt 0x0
	ds_store_b16 v17, v1
	ds_store_b16 v17, v2 offset:32
	s_wait_dscnt 0x0
	; wave barrier
	global_inv scope:SCOPE_SE
	v_mov_b32_e32 v1, 0
	ds_load_b32 v25, v18
	s_wait_kmcnt 0x0
	s_mul_u64 s[0:1], s[16:17], s[20:21]
	s_wait_loadcnt_dscnt 0x0
	s_lshl_b64 s[0:1], s[0:1], 3
	v_mov_b32_e32 v2, v1
	s_add_nc_u64 s[0:1], s[4:5], s[0:1]
	s_lshl_b64 s[4:5], s[14:15], 3
	; wave barrier
	global_inv scope:SCOPE_SE
	s_wait_alu 0xfffe
	s_add_nc_u64 s[14:15], s[0:1], s[4:5]
	s_and_saveexec_b32 s0, s2
	s_cbranch_execz .LBB259_24
; %bb.23:
	v_mad_co_u64_u32 v[2:3], null, s10, v0, 0
	s_delay_alu instid0(VALU_DEP_1) | instskip(NEXT) | instid1(VALU_DEP_1)
	v_mad_co_u64_u32 v[3:4], null, s11, v0, v[3:4]
	v_lshlrev_b64_e32 v[2:3], 3, v[2:3]
	s_delay_alu instid0(VALU_DEP_1) | instskip(SKIP_1) | instid1(VALU_DEP_2)
	v_add_co_u32 v2, vcc_lo, s14, v2
	s_wait_alu 0xfffd
	v_add_co_ci_u32_e64 v3, null, s15, v3, vcc_lo
	global_load_b64 v[3:4], v[2:3], off
	v_mov_b32_e32 v2, v1
.LBB259_24:
	s_or_b32 exec_lo, exec_lo, s0
	s_xor_b32 s18, s7, -1
	s_and_saveexec_b32 s0, s3
	s_cbranch_execz .LBB259_26
; %bb.25:
	v_mad_co_u64_u32 v[1:2], null, s10, v5, 0
	s_wait_loadcnt 0x0
	s_delay_alu instid0(VALU_DEP_1) | instskip(NEXT) | instid1(VALU_DEP_1)
	v_mad_co_u64_u32 v[5:6], null, s11, v5, v[2:3]
	v_mov_b32_e32 v2, v5
	s_delay_alu instid0(VALU_DEP_1) | instskip(NEXT) | instid1(VALU_DEP_1)
	v_lshlrev_b64_e32 v[1:2], 3, v[1:2]
	v_add_co_u32 v1, vcc_lo, s14, v1
	s_wait_alu 0xfffd
	s_delay_alu instid0(VALU_DEP_2)
	v_add_co_ci_u32_e64 v2, null, s15, v2, vcc_lo
	global_load_b64 v[1:2], v[1:2], off
.LBB259_26:
	s_or_b32 exec_lo, exec_lo, s0
	v_lshlrev_b32_e32 v19, 3, v0
	v_lshlrev_b32_e32 v20, 3, v17
	v_mbcnt_lo_u32_b32 v5, -1, 0
	s_getpc_b64 s[0:1]
	s_sext_i32_i16 s1, s1
	s_add_co_u32 s0, s0, _ZN7rocprim17ROCPRIM_400000_NS16block_radix_sortI12hip_bfloat16Lj16ELj2ElLj1ELj1ELj0ELNS0_26block_radix_rank_algorithmE1ELNS0_18block_padding_hintE2ELNS0_4arch9wavefront6targetE0EE19radix_bits_per_passE@rel32@lo+8
	s_add_co_ci_u32 s1, s1, _ZN7rocprim17ROCPRIM_400000_NS16block_radix_sortI12hip_bfloat16Lj16ELj2ElLj1ELj1ELj0ELNS0_26block_radix_rank_algorithmE1ELNS0_18block_padding_hintE2ELNS0_4arch9wavefront6targetE0EE19radix_bits_per_passE@rel32@hi+16
	v_lshlrev_b32_e32 v23, 5, v0
	s_wait_loadcnt 0x0
	ds_store_2addr_b64 v19, v[3:4], v[1:2] offset1:16
	s_wait_dscnt 0x0
	; wave barrier
	global_inv scope:SCOPE_SE
	ds_load_2addr_b64 v[1:4], v20 offset1:1
	s_load_b32 s17, s[0:1], 0x0
	v_sub_co_u32 v7, s16, v5, 1
	v_and_b32_e32 v8, 16, v5
	v_and_b32_e32 v6, 15, v5
	v_mad_i32_i24 v22, 0xffffffe4, v0, v23
	v_lshrrev_b32_e32 v26, 16, v25
	v_cmp_gt_u32_e64 s7, 0x80, v0
	v_cmp_lt_i32_e32 vcc_lo, v7, v8
	v_cmp_eq_u32_e64 s5, 0, v6
	v_cmp_lt_u32_e64 s1, 1, v6
	v_cmp_lt_u32_e64 s6, 3, v6
	;; [unrolled: 1-line block ×3, first 2 shown]
	s_wait_alu 0xfffd
	v_cndmask_b32_e32 v5, v7, v5, vcc_lo
	v_cmp_eq_u32_e64 s0, 15, v0
	v_mad_u32_u24 v21, v0, 12, v22
	s_and_b32 vcc_lo, exec_lo, s18
	s_mov_b32 s18, -1
	v_lshlrev_b32_e32 v24, 2, v5
	; wave barrier
	s_wait_loadcnt_dscnt 0x0
	global_inv scope:SCOPE_SE
	s_wait_alu 0xfffe
	s_cbranch_vccz .LBB259_72
; %bb.27:
	s_and_saveexec_b32 s18, s7
	s_cbranch_execz .LBB259_36
; %bb.28:
	v_mov_b32_e32 v5, 0
	v_cmp_gt_u32_e32 vcc_lo, 0x70, v0
	ds_store_b32 v18, v5
	s_and_b32 exec_lo, exec_lo, vcc_lo
	s_cbranch_execz .LBB259_36
; %bb.29:
	v_cmp_gt_u32_e32 vcc_lo, 0x60, v0
	ds_store_b32 v18, v5 offset:64
	s_and_b32 exec_lo, exec_lo, vcc_lo
	s_cbranch_execz .LBB259_36
; %bb.30:
	v_mov_b32_e32 v5, 0
	v_cmp_gt_u32_e32 vcc_lo, 0x50, v0
	ds_store_b32 v18, v5 offset:128
	s_and_b32 exec_lo, exec_lo, vcc_lo
	s_cbranch_execz .LBB259_36
; %bb.31:
	v_cmp_gt_u32_e32 vcc_lo, 64, v0
	ds_store_b32 v18, v5 offset:192
	s_and_b32 exec_lo, exec_lo, vcc_lo
	s_cbranch_execz .LBB259_36
; %bb.32:
	v_mov_b32_e32 v5, 0
	v_cmp_gt_u32_e32 vcc_lo, 48, v0
	ds_store_b32 v18, v5 offset:256
	s_and_b32 exec_lo, exec_lo, vcc_lo
	s_cbranch_execz .LBB259_36
; %bb.33:
	v_cmp_gt_u32_e32 vcc_lo, 32, v0
	ds_store_b32 v18, v5 offset:320
	s_and_b32 exec_lo, exec_lo, vcc_lo
	s_cbranch_execz .LBB259_36
; %bb.34:
	v_mov_b32_e32 v5, 0
	v_cmp_gt_u32_e32 vcc_lo, 16, v0
	ds_store_b32 v18, v5 offset:384
	s_and_b32 exec_lo, exec_lo, vcc_lo
; %bb.35:
	ds_store_b32 v18, v5 offset:448
.LBB259_36:
	s_wait_alu 0xfffe
	s_or_b32 exec_lo, exec_lo, s18
	v_cmp_lt_i16_e32 vcc_lo, -1, v25
	s_wait_kmcnt 0x0
	s_min_u32 s18, s17, 16
	s_wait_alu 0xfffe
	s_lshl_b32 s18, -1, s18
	s_wait_alu 0xfffe
	s_not_b32 s18, s18
	s_wait_alu 0xfffd
	v_cndmask_b32_e64 v5, -1, 0xffff8000, vcc_lo
	s_delay_alu instid0(VALU_DEP_1) | instskip(NEXT) | instid1(VALU_DEP_1)
	v_xor_b32_e32 v13, v5, v25
	v_cmp_ne_u16_e32 vcc_lo, 0x7fff, v13
	s_wait_alu 0xfffd
	v_cndmask_b32_e32 v5, 0xffff8000, v13, vcc_lo
	v_cmp_lt_i16_e32 vcc_lo, -1, v26
	s_delay_alu instid0(VALU_DEP_2) | instskip(SKIP_3) | instid1(VALU_DEP_2)
	v_and_b32_e32 v5, 0xffff, v5
	s_wait_alu 0xfffd
	v_cndmask_b32_e64 v7, -1, 0xffff8000, vcc_lo
	s_wait_alu 0xfffe
	v_and_b32_e32 v5, s18, v5
	s_delay_alu instid0(VALU_DEP_2) | instskip(NEXT) | instid1(VALU_DEP_1)
	v_xor_b32_e32 v14, v7, v26
	v_cmp_ne_u16_e32 vcc_lo, 0x7fff, v14
	s_delay_alu instid0(VALU_DEP_3) | instskip(SKIP_1) | instid1(VALU_DEP_2)
	v_lshlrev_b32_e32 v6, 4, v5
	v_lshrrev_b32_e32 v5, 2, v5
	v_and_or_b32 v6, 0x70, v6, v0
	s_delay_alu instid0(VALU_DEP_2) | instskip(NEXT) | instid1(VALU_DEP_1)
	v_and_b32_e32 v5, 0x3ffe, v5
	v_lshl_add_u32 v15, v6, 2, v5
	s_wait_alu 0xfffd
	v_cndmask_b32_e32 v5, 0xffff8000, v14, vcc_lo
	ds_load_u16 v16, v15
	v_and_b32_e32 v5, 0xffff, v5
	s_delay_alu instid0(VALU_DEP_1) | instskip(NEXT) | instid1(VALU_DEP_1)
	v_and_b32_e32 v5, s18, v5
	v_lshlrev_b32_e32 v6, 4, v5
	v_lshrrev_b32_e32 v5, 2, v5
	s_delay_alu instid0(VALU_DEP_2) | instskip(NEXT) | instid1(VALU_DEP_2)
	v_and_or_b32 v6, 0x70, v6, v0
	v_and_b32_e32 v5, 0x3ffe, v5
	s_wait_dscnt 0x0
	v_add_nc_u16 v7, v16, 1
	s_delay_alu instid0(VALU_DEP_2)
	v_lshl_add_u32 v27, v6, 2, v5
	ds_store_b16 v15, v7
	ds_load_u16 v29, v27
	s_wait_dscnt 0x0
	v_add_nc_u16 v5, v29, 1
	ds_store_b16 v27, v5
	; wave barrier
	s_wait_loadcnt_dscnt 0x0
	global_inv scope:SCOPE_SE
	ds_load_b128 v[9:12], v23
	ds_load_b128 v[5:8], v23 offset:16
	s_wait_dscnt 0x1
	v_add_nc_u32_e32 v28, v10, v9
	s_delay_alu instid0(VALU_DEP_1) | instskip(SKIP_1) | instid1(VALU_DEP_1)
	v_add3_u32 v28, v28, v11, v12
	s_wait_dscnt 0x0
	v_add3_u32 v28, v28, v5, v6
	s_delay_alu instid0(VALU_DEP_1) | instskip(NEXT) | instid1(VALU_DEP_1)
	v_add3_u32 v8, v28, v7, v8
	v_mov_b32_dpp v28, v8 row_shr:1 row_mask:0xf bank_mask:0xf
	s_delay_alu instid0(VALU_DEP_1) | instskip(NEXT) | instid1(VALU_DEP_1)
	v_cndmask_b32_e64 v28, v28, 0, s5
	v_add_nc_u32_e32 v8, v28, v8
	s_delay_alu instid0(VALU_DEP_1) | instskip(NEXT) | instid1(VALU_DEP_1)
	v_mov_b32_dpp v28, v8 row_shr:2 row_mask:0xf bank_mask:0xf
	v_cndmask_b32_e64 v28, 0, v28, s1
	s_delay_alu instid0(VALU_DEP_1) | instskip(NEXT) | instid1(VALU_DEP_1)
	v_add_nc_u32_e32 v8, v8, v28
	v_mov_b32_dpp v28, v8 row_shr:4 row_mask:0xf bank_mask:0xf
	s_delay_alu instid0(VALU_DEP_1) | instskip(NEXT) | instid1(VALU_DEP_1)
	v_cndmask_b32_e64 v28, 0, v28, s6
	v_add_nc_u32_e32 v8, v8, v28
	s_delay_alu instid0(VALU_DEP_1) | instskip(NEXT) | instid1(VALU_DEP_1)
	v_mov_b32_dpp v28, v8 row_shr:8 row_mask:0xf bank_mask:0xf
	v_cndmask_b32_e64 v28, 0, v28, s4
	s_delay_alu instid0(VALU_DEP_1)
	v_add_nc_u32_e32 v8, v8, v28
	s_and_saveexec_b32 s18, s0
; %bb.37:
	v_mov_b32_e32 v28, 0
	ds_store_b32 v28, v8 offset:512
; %bb.38:
	s_wait_alu 0xfffe
	s_or_b32 exec_lo, exec_lo, s18
	ds_bpermute_b32 v8, v24, v8
	v_mov_b32_e32 v28, 0
	; wave barrier
	s_wait_loadcnt_dscnt 0x0
	global_inv scope:SCOPE_SE
	ds_load_b32 v30, v28 offset:512
	v_cndmask_b32_e64 v8, v8, 0, s16
	s_wait_dscnt 0x0
	s_delay_alu instid0(VALU_DEP_1) | instskip(NEXT) | instid1(VALU_DEP_1)
	v_lshl_add_u32 v8, v30, 16, v8
	v_add_nc_u32_e32 v9, v8, v9
	s_delay_alu instid0(VALU_DEP_1) | instskip(NEXT) | instid1(VALU_DEP_1)
	v_add_nc_u32_e32 v10, v9, v10
	v_add_nc_u32_e32 v11, v10, v11
	s_delay_alu instid0(VALU_DEP_1) | instskip(NEXT) | instid1(VALU_DEP_1)
	v_add_nc_u32_e32 v30, v11, v12
	;; [unrolled: 3-line block ×3, first 2 shown]
	v_add_nc_u32_e32 v33, v32, v7
	v_and_b32_e32 v7, 0xffff, v16
	ds_store_b128 v23, v[8:11]
	ds_store_b128 v23, v[30:33] offset:16
	; wave barrier
	s_wait_loadcnt_dscnt 0x0
	global_inv scope:SCOPE_SE
	ds_load_u16 v5, v15
	ds_load_u16 v6, v27
	v_and_b32_e32 v8, 0xffff, v29
	; wave barrier
	s_wait_loadcnt_dscnt 0x0
	global_inv scope:SCOPE_SE
	v_add_nc_u32_e32 v5, v5, v7
	v_add_nc_u32_e32 v6, v6, v8
	s_delay_alu instid0(VALU_DEP_2) | instskip(NEXT) | instid1(VALU_DEP_2)
	v_lshlrev_b32_e32 v7, 1, v5
	v_lshlrev_b32_e32 v8, 1, v6
	ds_store_b16 v7, v13
	ds_store_b16 v8, v14
	v_mad_u32_u24 v5, v5, 6, v7
	v_mad_u32_u24 v6, v6, 6, v8
	; wave barrier
	s_wait_loadcnt_dscnt 0x0
	global_inv scope:SCOPE_SE
	ds_load_b32 v27, v22
	; wave barrier
	s_wait_loadcnt_dscnt 0x0
	global_inv scope:SCOPE_SE
	ds_store_b64 v5, v[1:2]
	ds_store_b64 v6, v[3:4]
	; wave barrier
	s_wait_loadcnt_dscnt 0x0
	global_inv scope:SCOPE_SE
	ds_load_b128 v[5:8], v21
	; wave barrier
	s_wait_loadcnt_dscnt 0x0
	global_inv scope:SCOPE_SE
	s_and_saveexec_b32 s18, s7
	s_cbranch_execz .LBB259_47
; %bb.39:
	v_cmp_gt_u32_e32 vcc_lo, 0x70, v0
	ds_store_b32 v18, v28
	s_and_b32 exec_lo, exec_lo, vcc_lo
	s_cbranch_execz .LBB259_47
; %bb.40:
	v_mov_b32_e32 v9, 0
	v_cmp_gt_u32_e32 vcc_lo, 0x60, v0
	ds_store_b32 v18, v9 offset:64
	s_and_b32 exec_lo, exec_lo, vcc_lo
	s_cbranch_execz .LBB259_47
; %bb.41:
	v_cmp_gt_u32_e32 vcc_lo, 0x50, v0
	ds_store_b32 v18, v9 offset:128
	s_and_b32 exec_lo, exec_lo, vcc_lo
	s_cbranch_execz .LBB259_47
; %bb.42:
	v_mov_b32_e32 v9, 0
	v_cmp_gt_u32_e32 vcc_lo, 64, v0
	ds_store_b32 v18, v9 offset:192
	s_and_b32 exec_lo, exec_lo, vcc_lo
	s_cbranch_execz .LBB259_47
; %bb.43:
	v_cmp_gt_u32_e32 vcc_lo, 48, v0
	ds_store_b32 v18, v9 offset:256
	;; [unrolled: 11-line block ×3, first 2 shown]
	s_and_b32 exec_lo, exec_lo, vcc_lo
; %bb.46:
	v_mov_b32_e32 v9, 0
	ds_store_b32 v18, v9 offset:448
.LBB259_47:
	s_wait_alu 0xfffe
	s_or_b32 exec_lo, exec_lo, s18
	v_lshrrev_b16 v9, 4, v27
	v_cmp_ne_u16_e32 vcc_lo, 0x7fff, v27
	s_min_u32 s18, s17, 12
	v_lshrrev_b32_e32 v28, 16, v27
	s_wait_alu 0xfffe
	s_lshl_b32 s18, -1, s18
	v_lshrrev_b32_e32 v11, 20, v27
	s_wait_alu 0xfffd
	v_cndmask_b32_e32 v9, 0x800, v9, vcc_lo
	s_wait_alu 0xfffe
	s_not_b32 s18, s18
	v_cmp_ne_u16_e32 vcc_lo, 0x7fff, v28
	s_delay_alu instid0(VALU_DEP_2) | instskip(SKIP_1) | instid1(VALU_DEP_1)
	v_and_b32_e32 v9, 0xffff, v9
	s_wait_alu 0xfffe
	v_and_b32_e32 v9, s18, v9
	s_delay_alu instid0(VALU_DEP_1) | instskip(SKIP_1) | instid1(VALU_DEP_2)
	v_lshlrev_b32_e32 v10, 4, v9
	v_lshrrev_b32_e32 v9, 2, v9
	v_and_or_b32 v10, 0x70, v10, v0
	s_delay_alu instid0(VALU_DEP_2) | instskip(NEXT) | instid1(VALU_DEP_1)
	v_and_b32_e32 v9, 0x3fe, v9
	v_lshl_add_u32 v29, v10, 2, v9
	s_wait_alu 0xfffd
	v_cndmask_b32_e32 v9, 0x800, v11, vcc_lo
	ds_load_u16 v30, v29
	v_and_b32_e32 v9, 0xffff, v9
	s_delay_alu instid0(VALU_DEP_1) | instskip(NEXT) | instid1(VALU_DEP_1)
	v_and_b32_e32 v9, s18, v9
	v_lshlrev_b32_e32 v10, 4, v9
	v_lshrrev_b32_e32 v9, 2, v9
	s_delay_alu instid0(VALU_DEP_2) | instskip(NEXT) | instid1(VALU_DEP_2)
	v_and_or_b32 v10, 0x70, v10, v0
	v_and_b32_e32 v9, 0x3fe, v9
	s_wait_dscnt 0x0
	v_add_nc_u16 v11, v30, 1
	s_delay_alu instid0(VALU_DEP_2)
	v_lshl_add_u32 v31, v10, 2, v9
	ds_store_b16 v29, v11
	ds_load_u16 v32, v31
	s_wait_dscnt 0x0
	v_add_nc_u16 v9, v32, 1
	ds_store_b16 v31, v9
	; wave barrier
	s_wait_loadcnt_dscnt 0x0
	global_inv scope:SCOPE_SE
	ds_load_b128 v[13:16], v23
	ds_load_b128 v[9:12], v23 offset:16
	s_wait_dscnt 0x1
	v_add_nc_u32_e32 v33, v14, v13
	s_delay_alu instid0(VALU_DEP_1) | instskip(SKIP_1) | instid1(VALU_DEP_1)
	v_add3_u32 v33, v33, v15, v16
	s_wait_dscnt 0x0
	v_add3_u32 v33, v33, v9, v10
	s_delay_alu instid0(VALU_DEP_1) | instskip(NEXT) | instid1(VALU_DEP_1)
	v_add3_u32 v12, v33, v11, v12
	v_mov_b32_dpp v33, v12 row_shr:1 row_mask:0xf bank_mask:0xf
	s_delay_alu instid0(VALU_DEP_1) | instskip(NEXT) | instid1(VALU_DEP_1)
	v_cndmask_b32_e64 v33, v33, 0, s5
	v_add_nc_u32_e32 v12, v33, v12
	s_delay_alu instid0(VALU_DEP_1) | instskip(NEXT) | instid1(VALU_DEP_1)
	v_mov_b32_dpp v33, v12 row_shr:2 row_mask:0xf bank_mask:0xf
	v_cndmask_b32_e64 v33, 0, v33, s1
	s_delay_alu instid0(VALU_DEP_1) | instskip(NEXT) | instid1(VALU_DEP_1)
	v_add_nc_u32_e32 v12, v12, v33
	v_mov_b32_dpp v33, v12 row_shr:4 row_mask:0xf bank_mask:0xf
	s_delay_alu instid0(VALU_DEP_1) | instskip(NEXT) | instid1(VALU_DEP_1)
	v_cndmask_b32_e64 v33, 0, v33, s6
	v_add_nc_u32_e32 v12, v12, v33
	s_delay_alu instid0(VALU_DEP_1) | instskip(NEXT) | instid1(VALU_DEP_1)
	v_mov_b32_dpp v33, v12 row_shr:8 row_mask:0xf bank_mask:0xf
	v_cndmask_b32_e64 v33, 0, v33, s4
	s_delay_alu instid0(VALU_DEP_1)
	v_add_nc_u32_e32 v12, v12, v33
	s_and_saveexec_b32 s18, s0
; %bb.48:
	v_mov_b32_e32 v33, 0
	ds_store_b32 v33, v12 offset:512
; %bb.49:
	s_wait_alu 0xfffe
	s_or_b32 exec_lo, exec_lo, s18
	ds_bpermute_b32 v33, v24, v12
	v_mov_b32_e32 v12, 0
	; wave barrier
	s_wait_loadcnt_dscnt 0x0
	global_inv scope:SCOPE_SE
	ds_load_b32 v34, v12 offset:512
	v_cndmask_b32_e64 v33, v33, 0, s16
	s_wait_dscnt 0x0
	s_delay_alu instid0(VALU_DEP_1) | instskip(NEXT) | instid1(VALU_DEP_1)
	v_lshl_add_u32 v33, v34, 16, v33
	v_add_nc_u32_e32 v34, v33, v13
	s_delay_alu instid0(VALU_DEP_1) | instskip(NEXT) | instid1(VALU_DEP_1)
	v_add_nc_u32_e32 v35, v34, v14
	v_add_nc_u32_e32 v36, v35, v15
	s_delay_alu instid0(VALU_DEP_1) | instskip(NEXT) | instid1(VALU_DEP_1)
	v_add_nc_u32_e32 v13, v36, v16
	v_add_nc_u32_e32 v14, v13, v9
	s_delay_alu instid0(VALU_DEP_1) | instskip(NEXT) | instid1(VALU_DEP_1)
	v_add_nc_u32_e32 v15, v14, v10
	v_add_nc_u32_e32 v16, v15, v11
	v_and_b32_e32 v11, 0xffff, v30
	ds_store_b128 v23, v[33:36]
	ds_store_b128 v23, v[13:16] offset:16
	; wave barrier
	s_wait_loadcnt_dscnt 0x0
	global_inv scope:SCOPE_SE
	ds_load_u16 v9, v29
	ds_load_u16 v10, v31
	v_and_b32_e32 v13, 0xffff, v32
	; wave barrier
	s_wait_loadcnt_dscnt 0x0
	global_inv scope:SCOPE_SE
	v_add_nc_u32_e32 v9, v9, v11
	v_add_nc_u32_e32 v10, v10, v13
	s_delay_alu instid0(VALU_DEP_2) | instskip(NEXT) | instid1(VALU_DEP_2)
	v_lshlrev_b32_e32 v11, 1, v9
	v_lshlrev_b32_e32 v13, 1, v10
	ds_store_b16 v11, v27
	ds_store_b16 v13, v28
	v_mad_u32_u24 v9, v9, 6, v11
	v_mad_u32_u24 v10, v10, 6, v13
	; wave barrier
	s_wait_loadcnt_dscnt 0x0
	global_inv scope:SCOPE_SE
	ds_load_b32 v27, v22
	; wave barrier
	s_wait_loadcnt_dscnt 0x0
	global_inv scope:SCOPE_SE
	ds_store_b64 v9, v[5:6]
	ds_store_b64 v10, v[7:8]
	; wave barrier
	s_wait_loadcnt_dscnt 0x0
	global_inv scope:SCOPE_SE
	ds_load_b128 v[5:8], v21
	; wave barrier
	s_wait_loadcnt_dscnt 0x0
	global_inv scope:SCOPE_SE
	s_and_saveexec_b32 s18, s7
	s_cbranch_execz .LBB259_58
; %bb.50:
	v_cmp_gt_u32_e32 vcc_lo, 0x70, v0
	ds_store_b32 v18, v12
	s_and_b32 exec_lo, exec_lo, vcc_lo
	s_cbranch_execz .LBB259_58
; %bb.51:
	v_mov_b32_e32 v9, 0
	v_cmp_gt_u32_e32 vcc_lo, 0x60, v0
	ds_store_b32 v18, v9 offset:64
	s_and_b32 exec_lo, exec_lo, vcc_lo
	s_cbranch_execz .LBB259_58
; %bb.52:
	v_cmp_gt_u32_e32 vcc_lo, 0x50, v0
	ds_store_b32 v18, v9 offset:128
	s_and_b32 exec_lo, exec_lo, vcc_lo
	s_cbranch_execz .LBB259_58
; %bb.53:
	v_mov_b32_e32 v9, 0
	v_cmp_gt_u32_e32 vcc_lo, 64, v0
	ds_store_b32 v18, v9 offset:192
	s_and_b32 exec_lo, exec_lo, vcc_lo
	s_cbranch_execz .LBB259_58
; %bb.54:
	v_cmp_gt_u32_e32 vcc_lo, 48, v0
	ds_store_b32 v18, v9 offset:256
	;; [unrolled: 11-line block ×3, first 2 shown]
	s_and_b32 exec_lo, exec_lo, vcc_lo
; %bb.57:
	v_mov_b32_e32 v9, 0
	ds_store_b32 v18, v9 offset:448
.LBB259_58:
	s_wait_alu 0xfffe
	s_or_b32 exec_lo, exec_lo, s18
	v_lshrrev_b16 v9, 8, v27
	v_cmp_ne_u16_e32 vcc_lo, 0x7fff, v27
	s_min_u32 s18, s17, 8
	v_lshrrev_b32_e32 v28, 16, v27
	s_wait_alu 0xfffe
	s_lshl_b32 s18, -1, s18
	v_lshrrev_b32_e32 v11, 24, v27
	s_wait_alu 0xfffd
	v_cndmask_b32_e32 v9, 0x80, v9, vcc_lo
	s_wait_alu 0xfffe
	s_not_b32 s18, s18
	v_cmp_ne_u16_e32 vcc_lo, 0x7fff, v28
	s_delay_alu instid0(VALU_DEP_2) | instskip(SKIP_1) | instid1(VALU_DEP_1)
	v_and_b32_e32 v9, 0xffff, v9
	s_wait_alu 0xfffe
	v_and_b32_e32 v9, s18, v9
	s_delay_alu instid0(VALU_DEP_1) | instskip(SKIP_1) | instid1(VALU_DEP_2)
	v_lshlrev_b32_e32 v10, 4, v9
	v_lshrrev_b32_e32 v9, 2, v9
	v_and_or_b32 v10, 0x70, v10, v0
	s_delay_alu instid0(VALU_DEP_2) | instskip(NEXT) | instid1(VALU_DEP_1)
	v_and_b32_e32 v9, 62, v9
	v_lshl_add_u32 v29, v10, 2, v9
	s_wait_alu 0xfffd
	v_cndmask_b32_e32 v9, 0x80, v11, vcc_lo
	ds_load_u16 v30, v29
	v_and_b32_e32 v9, 0xffff, v9
	s_delay_alu instid0(VALU_DEP_1) | instskip(NEXT) | instid1(VALU_DEP_1)
	v_and_b32_e32 v9, s18, v9
	v_lshlrev_b32_e32 v10, 4, v9
	v_lshrrev_b32_e32 v9, 2, v9
	s_delay_alu instid0(VALU_DEP_2) | instskip(NEXT) | instid1(VALU_DEP_2)
	v_and_or_b32 v10, 0x70, v10, v0
	v_and_b32_e32 v9, 62, v9
	s_wait_dscnt 0x0
	v_add_nc_u16 v11, v30, 1
	s_delay_alu instid0(VALU_DEP_2)
	v_lshl_add_u32 v31, v10, 2, v9
	ds_store_b16 v29, v11
	ds_load_u16 v32, v31
	s_wait_dscnt 0x0
	v_add_nc_u16 v9, v32, 1
	ds_store_b16 v31, v9
	; wave barrier
	s_wait_loadcnt_dscnt 0x0
	global_inv scope:SCOPE_SE
	ds_load_b128 v[13:16], v23
	ds_load_b128 v[9:12], v23 offset:16
	s_wait_dscnt 0x1
	v_add_nc_u32_e32 v33, v14, v13
	s_delay_alu instid0(VALU_DEP_1) | instskip(SKIP_1) | instid1(VALU_DEP_1)
	v_add3_u32 v33, v33, v15, v16
	s_wait_dscnt 0x0
	v_add3_u32 v33, v33, v9, v10
	s_delay_alu instid0(VALU_DEP_1) | instskip(NEXT) | instid1(VALU_DEP_1)
	v_add3_u32 v12, v33, v11, v12
	v_mov_b32_dpp v33, v12 row_shr:1 row_mask:0xf bank_mask:0xf
	s_delay_alu instid0(VALU_DEP_1) | instskip(NEXT) | instid1(VALU_DEP_1)
	v_cndmask_b32_e64 v33, v33, 0, s5
	v_add_nc_u32_e32 v12, v33, v12
	s_delay_alu instid0(VALU_DEP_1) | instskip(NEXT) | instid1(VALU_DEP_1)
	v_mov_b32_dpp v33, v12 row_shr:2 row_mask:0xf bank_mask:0xf
	v_cndmask_b32_e64 v33, 0, v33, s1
	s_delay_alu instid0(VALU_DEP_1) | instskip(NEXT) | instid1(VALU_DEP_1)
	v_add_nc_u32_e32 v12, v12, v33
	v_mov_b32_dpp v33, v12 row_shr:4 row_mask:0xf bank_mask:0xf
	s_delay_alu instid0(VALU_DEP_1) | instskip(NEXT) | instid1(VALU_DEP_1)
	v_cndmask_b32_e64 v33, 0, v33, s6
	v_add_nc_u32_e32 v12, v12, v33
	s_delay_alu instid0(VALU_DEP_1) | instskip(NEXT) | instid1(VALU_DEP_1)
	v_mov_b32_dpp v33, v12 row_shr:8 row_mask:0xf bank_mask:0xf
	v_cndmask_b32_e64 v33, 0, v33, s4
	s_delay_alu instid0(VALU_DEP_1)
	v_add_nc_u32_e32 v12, v12, v33
	s_and_saveexec_b32 s18, s0
; %bb.59:
	v_mov_b32_e32 v33, 0
	ds_store_b32 v33, v12 offset:512
; %bb.60:
	s_wait_alu 0xfffe
	s_or_b32 exec_lo, exec_lo, s18
	ds_bpermute_b32 v33, v24, v12
	v_mov_b32_e32 v12, 0
	; wave barrier
	s_wait_loadcnt_dscnt 0x0
	global_inv scope:SCOPE_SE
	ds_load_b32 v34, v12 offset:512
	v_cndmask_b32_e64 v33, v33, 0, s16
	s_wait_dscnt 0x0
	s_delay_alu instid0(VALU_DEP_1) | instskip(NEXT) | instid1(VALU_DEP_1)
	v_lshl_add_u32 v33, v34, 16, v33
	v_add_nc_u32_e32 v34, v33, v13
	s_delay_alu instid0(VALU_DEP_1) | instskip(NEXT) | instid1(VALU_DEP_1)
	v_add_nc_u32_e32 v35, v34, v14
	v_add_nc_u32_e32 v36, v35, v15
	s_delay_alu instid0(VALU_DEP_1) | instskip(NEXT) | instid1(VALU_DEP_1)
	v_add_nc_u32_e32 v13, v36, v16
	;; [unrolled: 3-line block ×3, first 2 shown]
	v_add_nc_u32_e32 v16, v15, v11
	v_and_b32_e32 v11, 0xffff, v30
	ds_store_b128 v23, v[33:36]
	ds_store_b128 v23, v[13:16] offset:16
	; wave barrier
	s_wait_loadcnt_dscnt 0x0
	global_inv scope:SCOPE_SE
	ds_load_u16 v9, v29
	ds_load_u16 v10, v31
	v_and_b32_e32 v13, 0xffff, v32
	; wave barrier
	s_wait_loadcnt_dscnt 0x0
	global_inv scope:SCOPE_SE
	v_add_nc_u32_e32 v9, v9, v11
	v_add_nc_u32_e32 v10, v10, v13
	s_delay_alu instid0(VALU_DEP_2) | instskip(NEXT) | instid1(VALU_DEP_2)
	v_lshlrev_b32_e32 v11, 1, v9
	v_lshlrev_b32_e32 v13, 1, v10
	ds_store_b16 v11, v27
	ds_store_b16 v13, v28
	v_mad_u32_u24 v9, v9, 6, v11
	v_mad_u32_u24 v10, v10, 6, v13
	; wave barrier
	s_wait_loadcnt_dscnt 0x0
	global_inv scope:SCOPE_SE
	ds_load_b32 v27, v22
	; wave barrier
	s_wait_loadcnt_dscnt 0x0
	global_inv scope:SCOPE_SE
	ds_store_b64 v9, v[5:6]
	ds_store_b64 v10, v[7:8]
	; wave barrier
	s_wait_loadcnt_dscnt 0x0
	global_inv scope:SCOPE_SE
	ds_load_b128 v[5:8], v21
	; wave barrier
	s_wait_loadcnt_dscnt 0x0
	global_inv scope:SCOPE_SE
	s_and_saveexec_b32 s18, s7
	s_cbranch_execz .LBB259_69
; %bb.61:
	v_cmp_gt_u32_e32 vcc_lo, 0x70, v0
	ds_store_b32 v18, v12
	s_and_b32 exec_lo, exec_lo, vcc_lo
	s_cbranch_execz .LBB259_69
; %bb.62:
	v_mov_b32_e32 v9, 0
	v_cmp_gt_u32_e32 vcc_lo, 0x60, v0
	ds_store_b32 v18, v9 offset:64
	s_and_b32 exec_lo, exec_lo, vcc_lo
	s_cbranch_execz .LBB259_69
; %bb.63:
	v_cmp_gt_u32_e32 vcc_lo, 0x50, v0
	ds_store_b32 v18, v9 offset:128
	s_and_b32 exec_lo, exec_lo, vcc_lo
	s_cbranch_execz .LBB259_69
; %bb.64:
	v_mov_b32_e32 v9, 0
	v_cmp_gt_u32_e32 vcc_lo, 64, v0
	ds_store_b32 v18, v9 offset:192
	s_and_b32 exec_lo, exec_lo, vcc_lo
	s_cbranch_execz .LBB259_69
; %bb.65:
	v_cmp_gt_u32_e32 vcc_lo, 48, v0
	ds_store_b32 v18, v9 offset:256
	;; [unrolled: 11-line block ×3, first 2 shown]
	s_and_b32 exec_lo, exec_lo, vcc_lo
; %bb.68:
	v_mov_b32_e32 v9, 0
	ds_store_b32 v18, v9 offset:448
.LBB259_69:
	s_wait_alu 0xfffe
	s_or_b32 exec_lo, exec_lo, s18
	v_lshrrev_b16 v9, 12, v27
	v_cmp_ne_u16_e32 vcc_lo, 0x7fff, v27
	s_min_u32 s18, s17, 4
	v_lshrrev_b32_e32 v28, 16, v27
	s_wait_alu 0xfffe
	s_lshl_b32 s18, -1, s18
	v_lshrrev_b32_e32 v11, 28, v27
	s_wait_alu 0xfffd
	v_cndmask_b32_e32 v9, 8, v9, vcc_lo
	s_wait_alu 0xfffe
	s_not_b32 s18, s18
	v_cmp_ne_u16_e32 vcc_lo, 0x7fff, v28
	s_delay_alu instid0(VALU_DEP_2) | instskip(SKIP_1) | instid1(VALU_DEP_1)
	v_and_b32_e32 v9, 0xffff, v9
	s_wait_alu 0xfffe
	v_and_b32_e32 v9, s18, v9
	s_delay_alu instid0(VALU_DEP_1) | instskip(SKIP_1) | instid1(VALU_DEP_2)
	v_lshlrev_b32_e32 v10, 4, v9
	v_lshrrev_b32_e32 v9, 2, v9
	v_and_or_b32 v10, 0x70, v10, v0
	s_delay_alu instid0(VALU_DEP_2) | instskip(NEXT) | instid1(VALU_DEP_1)
	v_and_b32_e32 v9, 2, v9
	v_lshl_or_b32 v29, v10, 2, v9
	s_wait_alu 0xfffd
	v_cndmask_b32_e32 v9, 8, v11, vcc_lo
	ds_load_u16 v30, v29
	v_and_b32_e32 v9, 0xffff, v9
	s_delay_alu instid0(VALU_DEP_1) | instskip(SKIP_1) | instid1(VALU_DEP_1)
	v_and_b32_e32 v9, s18, v9
	s_mov_b32 s18, 0
	v_lshlrev_b32_e32 v10, 4, v9
	v_lshrrev_b32_e32 v9, 2, v9
	s_delay_alu instid0(VALU_DEP_2) | instskip(NEXT) | instid1(VALU_DEP_2)
	v_and_or_b32 v10, 0x70, v10, v0
	v_and_b32_e32 v9, 2, v9
	s_wait_dscnt 0x0
	v_add_nc_u16 v11, v30, 1
	s_delay_alu instid0(VALU_DEP_2)
	v_lshl_or_b32 v31, v10, 2, v9
	ds_store_b16 v29, v11
	ds_load_u16 v32, v31
	s_wait_dscnt 0x0
	v_add_nc_u16 v9, v32, 1
	ds_store_b16 v31, v9
	; wave barrier
	s_wait_loadcnt_dscnt 0x0
	global_inv scope:SCOPE_SE
	ds_load_b128 v[13:16], v23
	ds_load_b128 v[9:12], v23 offset:16
	s_wait_dscnt 0x1
	v_add_nc_u32_e32 v33, v14, v13
	s_delay_alu instid0(VALU_DEP_1) | instskip(SKIP_1) | instid1(VALU_DEP_1)
	v_add3_u32 v33, v33, v15, v16
	s_wait_dscnt 0x0
	v_add3_u32 v33, v33, v9, v10
	s_delay_alu instid0(VALU_DEP_1) | instskip(NEXT) | instid1(VALU_DEP_1)
	v_add3_u32 v12, v33, v11, v12
	v_mov_b32_dpp v33, v12 row_shr:1 row_mask:0xf bank_mask:0xf
	s_delay_alu instid0(VALU_DEP_1) | instskip(NEXT) | instid1(VALU_DEP_1)
	v_cndmask_b32_e64 v33, v33, 0, s5
	v_add_nc_u32_e32 v12, v33, v12
	s_delay_alu instid0(VALU_DEP_1) | instskip(NEXT) | instid1(VALU_DEP_1)
	v_mov_b32_dpp v33, v12 row_shr:2 row_mask:0xf bank_mask:0xf
	v_cndmask_b32_e64 v33, 0, v33, s1
	s_delay_alu instid0(VALU_DEP_1) | instskip(NEXT) | instid1(VALU_DEP_1)
	v_add_nc_u32_e32 v12, v12, v33
	v_mov_b32_dpp v33, v12 row_shr:4 row_mask:0xf bank_mask:0xf
	s_delay_alu instid0(VALU_DEP_1) | instskip(NEXT) | instid1(VALU_DEP_1)
	v_cndmask_b32_e64 v33, 0, v33, s6
	v_add_nc_u32_e32 v12, v12, v33
	s_delay_alu instid0(VALU_DEP_1) | instskip(NEXT) | instid1(VALU_DEP_1)
	v_mov_b32_dpp v33, v12 row_shr:8 row_mask:0xf bank_mask:0xf
	v_cndmask_b32_e64 v33, 0, v33, s4
	s_delay_alu instid0(VALU_DEP_1)
	v_add_nc_u32_e32 v12, v12, v33
	s_and_saveexec_b32 s19, s0
; %bb.70:
	v_mov_b32_e32 v33, 0
	ds_store_b32 v33, v12 offset:512
; %bb.71:
	s_wait_alu 0xfffe
	s_or_b32 exec_lo, exec_lo, s19
	ds_bpermute_b32 v12, v24, v12
	v_mov_b32_e32 v33, 0
	; wave barrier
	s_wait_loadcnt_dscnt 0x0
	global_inv scope:SCOPE_SE
	ds_load_b32 v33, v33 offset:512
	v_cndmask_b32_e64 v12, v12, 0, s16
	s_wait_dscnt 0x0
	s_delay_alu instid0(VALU_DEP_1) | instskip(NEXT) | instid1(VALU_DEP_1)
	v_lshl_add_u32 v12, v33, 16, v12
	v_add_nc_u32_e32 v13, v12, v13
	s_delay_alu instid0(VALU_DEP_1) | instskip(NEXT) | instid1(VALU_DEP_1)
	v_add_nc_u32_e32 v14, v13, v14
	v_add_nc_u32_e32 v15, v14, v15
	s_delay_alu instid0(VALU_DEP_1) | instskip(NEXT) | instid1(VALU_DEP_1)
	v_add_nc_u32_e32 v33, v15, v16
	;; [unrolled: 3-line block ×3, first 2 shown]
	v_add_nc_u32_e32 v36, v35, v11
	v_and_b32_e32 v11, 0xffff, v30
	ds_store_b128 v23, v[12:15]
	ds_store_b128 v23, v[33:36] offset:16
	; wave barrier
	s_wait_loadcnt_dscnt 0x0
	global_inv scope:SCOPE_SE
	ds_load_u16 v9, v29
	ds_load_u16 v10, v31
	v_and_b32_e32 v12, 0xffff, v32
	; wave barrier
	s_wait_loadcnt_dscnt 0x0
	global_inv scope:SCOPE_SE
	v_add_nc_u32_e32 v9, v9, v11
	v_add_nc_u32_e32 v10, v10, v12
	s_delay_alu instid0(VALU_DEP_2) | instskip(NEXT) | instid1(VALU_DEP_2)
	v_lshlrev_b32_e32 v11, 1, v9
	v_lshlrev_b32_e32 v12, 1, v10
	ds_store_b16 v11, v27
	ds_store_b16 v12, v28
	; wave barrier
	s_wait_loadcnt_dscnt 0x0
	global_inv scope:SCOPE_SE
	ds_load_b32 v13, v22
	v_mad_u32_u24 v9, v9, 6, v11
	v_mad_u32_u24 v10, v10, 6, v12
	; wave barrier
	s_wait_loadcnt_dscnt 0x0
	global_inv scope:SCOPE_SE
	ds_store_b64 v9, v[5:6]
	ds_store_b64 v10, v[7:8]
	; wave barrier
	s_wait_loadcnt_dscnt 0x0
	global_inv scope:SCOPE_SE
	ds_load_b128 v[5:8], v21
	v_lshrrev_b32_e32 v9, 16, v13
	v_cmp_lt_i16_e32 vcc_lo, -1, v13
	s_wait_alu 0xfffd
	v_cndmask_b32_e64 v10, 0xffff8000, -1, vcc_lo
	s_delay_alu instid0(VALU_DEP_3) | instskip(SKIP_2) | instid1(VALU_DEP_1)
	v_cmp_lt_i16_e32 vcc_lo, -1, v9
	s_wait_alu 0xfffd
	v_cndmask_b32_e64 v9, 0xffff8000, -1, vcc_lo
	v_perm_b32 v9, v9, v10, 0x5040100
	s_delay_alu instid0(VALU_DEP_1)
	v_xor_b32_e32 v9, v9, v13
	s_and_b32 vcc_lo, exec_lo, s18
	s_wait_alu 0xfffe
	s_cbranch_vccnz .LBB259_73
	s_branch .LBB259_118
.LBB259_72:
                                        ; implicit-def: $vgpr7_vgpr8
                                        ; implicit-def: $vgpr9
	s_and_b32 vcc_lo, exec_lo, s18
	s_wait_alu 0xfffe
	s_cbranch_vccz .LBB259_118
.LBB259_73:
	s_and_saveexec_b32 s18, s7
	s_cbranch_execz .LBB259_82
; %bb.74:
	s_wait_dscnt 0x0
	v_mad_i32_i24 v5, v0, -12, v21
	v_mov_b32_e32 v6, 0
	v_cmp_gt_u32_e32 vcc_lo, 0x70, v0
	ds_store_b32 v5, v6
	s_and_b32 exec_lo, exec_lo, vcc_lo
	s_cbranch_execz .LBB259_82
; %bb.75:
	v_mul_i32_i24_e32 v5, -12, v0
	v_cmp_gt_u32_e32 vcc_lo, 0x60, v0
	s_delay_alu instid0(VALU_DEP_2)
	v_add_nc_u32_e32 v5, v21, v5
	ds_store_b32 v5, v6 offset:64
	s_and_b32 exec_lo, exec_lo, vcc_lo
	s_cbranch_execz .LBB259_82
; %bb.76:
	v_mov_b32_e32 v6, 0
	v_cmp_gt_u32_e32 vcc_lo, 0x50, v0
	ds_store_b32 v5, v6 offset:128
	s_and_b32 exec_lo, exec_lo, vcc_lo
	s_cbranch_execz .LBB259_82
; %bb.77:
	v_cmp_gt_u32_e32 vcc_lo, 64, v0
	ds_store_b32 v5, v6 offset:192
	s_and_b32 exec_lo, exec_lo, vcc_lo
	s_cbranch_execz .LBB259_82
; %bb.78:
	v_mov_b32_e32 v6, 0
	v_cmp_gt_u32_e32 vcc_lo, 48, v0
	ds_store_b32 v5, v6 offset:256
	s_and_b32 exec_lo, exec_lo, vcc_lo
	s_cbranch_execz .LBB259_82
; %bb.79:
	v_cmp_gt_u32_e32 vcc_lo, 32, v0
	ds_store_b32 v5, v6 offset:320
	s_and_b32 exec_lo, exec_lo, vcc_lo
	s_cbranch_execz .LBB259_82
; %bb.80:
	v_mov_b32_e32 v6, 0
	v_cmp_gt_u32_e32 vcc_lo, 16, v0
	ds_store_b32 v5, v6 offset:384
	s_and_b32 exec_lo, exec_lo, vcc_lo
; %bb.81:
	ds_store_b32 v5, v6 offset:448
.LBB259_82:
	s_wait_alu 0xfffe
	s_or_b32 exec_lo, exec_lo, s18
	v_cmp_gt_i16_e32 vcc_lo, 0, v25
	s_wait_kmcnt 0x0
	s_min_u32 s18, s17, 16
	s_wait_alu 0xfffe
	s_lshl_b32 s18, -1, s18
	s_wait_alu 0xfffe
	s_not_b32 s18, s18
	s_wait_dscnt 0x0
	s_wait_alu 0xfffd
	v_cndmask_b32_e64 v5, 0x7fff, 0, vcc_lo
	s_delay_alu instid0(VALU_DEP_1) | instskip(NEXT) | instid1(VALU_DEP_1)
	v_xor_b32_e32 v13, v5, v25
	v_cmp_ne_u16_e32 vcc_lo, 0x8000, v13
	s_wait_alu 0xfffd
	v_cndmask_b32_e32 v5, 0x7fff, v13, vcc_lo
	v_cmp_gt_i16_e32 vcc_lo, 0, v26
	s_delay_alu instid0(VALU_DEP_2) | instskip(SKIP_3) | instid1(VALU_DEP_2)
	v_and_b32_e32 v5, 0xffff, v5
	s_wait_alu 0xfffd
	v_cndmask_b32_e64 v7, 0x7fff, 0, vcc_lo
	s_wait_alu 0xfffe
	v_and_b32_e32 v5, s18, v5
	s_delay_alu instid0(VALU_DEP_2) | instskip(NEXT) | instid1(VALU_DEP_1)
	v_xor_b32_e32 v14, v7, v26
	v_cmp_ne_u16_e32 vcc_lo, 0x8000, v14
	s_delay_alu instid0(VALU_DEP_3) | instskip(SKIP_1) | instid1(VALU_DEP_2)
	v_lshlrev_b32_e32 v6, 4, v5
	v_lshrrev_b32_e32 v5, 2, v5
	v_and_or_b32 v6, 0x70, v6, v0
	s_delay_alu instid0(VALU_DEP_2) | instskip(NEXT) | instid1(VALU_DEP_1)
	v_and_b32_e32 v5, 0x3ffe, v5
	v_lshl_add_u32 v15, v6, 2, v5
	s_wait_alu 0xfffd
	v_cndmask_b32_e32 v5, 0x7fff, v14, vcc_lo
	ds_load_u16 v16, v15
	v_and_b32_e32 v5, 0xffff, v5
	s_delay_alu instid0(VALU_DEP_1) | instskip(NEXT) | instid1(VALU_DEP_1)
	v_and_b32_e32 v5, s18, v5
	v_lshlrev_b32_e32 v6, 4, v5
	v_lshrrev_b32_e32 v5, 2, v5
	s_delay_alu instid0(VALU_DEP_2) | instskip(NEXT) | instid1(VALU_DEP_2)
	v_and_or_b32 v6, 0x70, v6, v0
	v_and_b32_e32 v5, 0x3ffe, v5
	s_wait_dscnt 0x0
	v_add_nc_u16 v7, v16, 1
	s_delay_alu instid0(VALU_DEP_2)
	v_lshl_add_u32 v25, v6, 2, v5
	ds_store_b16 v15, v7
	ds_load_u16 v26, v25
	s_wait_dscnt 0x0
	v_add_nc_u16 v5, v26, 1
	ds_store_b16 v25, v5
	; wave barrier
	s_wait_loadcnt_dscnt 0x0
	global_inv scope:SCOPE_SE
	ds_load_b128 v[9:12], v23
	ds_load_b128 v[5:8], v23 offset:16
	s_wait_dscnt 0x1
	v_add_nc_u32_e32 v27, v10, v9
	s_delay_alu instid0(VALU_DEP_1) | instskip(SKIP_1) | instid1(VALU_DEP_1)
	v_add3_u32 v27, v27, v11, v12
	s_wait_dscnt 0x0
	v_add3_u32 v27, v27, v5, v6
	s_delay_alu instid0(VALU_DEP_1) | instskip(NEXT) | instid1(VALU_DEP_1)
	v_add3_u32 v8, v27, v7, v8
	v_mov_b32_dpp v27, v8 row_shr:1 row_mask:0xf bank_mask:0xf
	s_delay_alu instid0(VALU_DEP_1) | instskip(NEXT) | instid1(VALU_DEP_1)
	v_cndmask_b32_e64 v27, v27, 0, s5
	v_add_nc_u32_e32 v8, v27, v8
	s_delay_alu instid0(VALU_DEP_1) | instskip(NEXT) | instid1(VALU_DEP_1)
	v_mov_b32_dpp v27, v8 row_shr:2 row_mask:0xf bank_mask:0xf
	v_cndmask_b32_e64 v27, 0, v27, s1
	s_delay_alu instid0(VALU_DEP_1) | instskip(NEXT) | instid1(VALU_DEP_1)
	v_add_nc_u32_e32 v8, v8, v27
	v_mov_b32_dpp v27, v8 row_shr:4 row_mask:0xf bank_mask:0xf
	s_delay_alu instid0(VALU_DEP_1) | instskip(NEXT) | instid1(VALU_DEP_1)
	v_cndmask_b32_e64 v27, 0, v27, s6
	v_add_nc_u32_e32 v8, v8, v27
	s_delay_alu instid0(VALU_DEP_1) | instskip(NEXT) | instid1(VALU_DEP_1)
	v_mov_b32_dpp v27, v8 row_shr:8 row_mask:0xf bank_mask:0xf
	v_cndmask_b32_e64 v27, 0, v27, s4
	s_delay_alu instid0(VALU_DEP_1)
	v_add_nc_u32_e32 v8, v8, v27
	s_and_saveexec_b32 s18, s0
; %bb.83:
	v_mov_b32_e32 v27, 0
	ds_store_b32 v27, v8 offset:512
; %bb.84:
	s_wait_alu 0xfffe
	s_or_b32 exec_lo, exec_lo, s18
	ds_bpermute_b32 v27, v24, v8
	v_mov_b32_e32 v8, 0
	; wave barrier
	s_wait_loadcnt_dscnt 0x0
	global_inv scope:SCOPE_SE
	ds_load_b32 v28, v8 offset:512
	v_cndmask_b32_e64 v27, v27, 0, s16
	s_wait_dscnt 0x0
	s_delay_alu instid0(VALU_DEP_1) | instskip(NEXT) | instid1(VALU_DEP_1)
	v_lshl_add_u32 v27, v28, 16, v27
	v_add_nc_u32_e32 v28, v27, v9
	s_delay_alu instid0(VALU_DEP_1) | instskip(NEXT) | instid1(VALU_DEP_1)
	v_add_nc_u32_e32 v29, v28, v10
	v_add_nc_u32_e32 v30, v29, v11
	s_delay_alu instid0(VALU_DEP_1) | instskip(NEXT) | instid1(VALU_DEP_1)
	v_add_nc_u32_e32 v9, v30, v12
	;; [unrolled: 3-line block ×3, first 2 shown]
	v_add_nc_u32_e32 v12, v11, v7
	v_and_b32_e32 v7, 0xffff, v16
	ds_store_b128 v23, v[27:30]
	ds_store_b128 v23, v[9:12] offset:16
	; wave barrier
	s_wait_loadcnt_dscnt 0x0
	global_inv scope:SCOPE_SE
	ds_load_u16 v5, v15
	ds_load_u16 v6, v25
	v_and_b32_e32 v9, 0xffff, v26
	; wave barrier
	s_wait_loadcnt_dscnt 0x0
	global_inv scope:SCOPE_SE
	v_add_nc_u32_e32 v5, v5, v7
	v_add_nc_u32_e32 v6, v6, v9
	s_delay_alu instid0(VALU_DEP_2) | instskip(NEXT) | instid1(VALU_DEP_2)
	v_lshlrev_b32_e32 v7, 1, v5
	v_lshlrev_b32_e32 v9, 1, v6
	ds_store_b16 v7, v13
	ds_store_b16 v9, v14
	v_mad_u32_u24 v5, v5, 6, v7
	v_mad_u32_u24 v6, v6, 6, v9
	; wave barrier
	s_wait_loadcnt_dscnt 0x0
	global_inv scope:SCOPE_SE
	ds_load_b32 v13, v22
	; wave barrier
	s_wait_loadcnt_dscnt 0x0
	global_inv scope:SCOPE_SE
	ds_store_b64 v5, v[1:2]
	ds_store_b64 v6, v[3:4]
	; wave barrier
	s_wait_loadcnt_dscnt 0x0
	global_inv scope:SCOPE_SE
	ds_load_b128 v[1:4], v21
	; wave barrier
	s_wait_loadcnt_dscnt 0x0
	global_inv scope:SCOPE_SE
	s_and_saveexec_b32 s18, s7
	s_cbranch_execz .LBB259_93
; %bb.85:
	v_cmp_gt_u32_e32 vcc_lo, 0x70, v0
	ds_store_b32 v18, v8
	s_and_b32 exec_lo, exec_lo, vcc_lo
	s_cbranch_execz .LBB259_93
; %bb.86:
	v_mov_b32_e32 v5, 0
	v_cmp_gt_u32_e32 vcc_lo, 0x60, v0
	ds_store_b32 v18, v5 offset:64
	s_and_b32 exec_lo, exec_lo, vcc_lo
	s_cbranch_execz .LBB259_93
; %bb.87:
	v_cmp_gt_u32_e32 vcc_lo, 0x50, v0
	ds_store_b32 v18, v5 offset:128
	s_and_b32 exec_lo, exec_lo, vcc_lo
	s_cbranch_execz .LBB259_93
; %bb.88:
	v_mov_b32_e32 v5, 0
	v_cmp_gt_u32_e32 vcc_lo, 64, v0
	ds_store_b32 v18, v5 offset:192
	s_and_b32 exec_lo, exec_lo, vcc_lo
	s_cbranch_execz .LBB259_93
; %bb.89:
	v_cmp_gt_u32_e32 vcc_lo, 48, v0
	ds_store_b32 v18, v5 offset:256
	;; [unrolled: 11-line block ×3, first 2 shown]
	s_and_b32 exec_lo, exec_lo, vcc_lo
; %bb.92:
	v_mov_b32_e32 v5, 0
	ds_store_b32 v18, v5 offset:448
.LBB259_93:
	s_wait_alu 0xfffe
	s_or_b32 exec_lo, exec_lo, s18
	v_lshrrev_b16 v5, 4, v13
	v_cmp_ne_u16_e32 vcc_lo, 0x8000, v13
	s_min_u32 s18, s17, 12
	v_lshrrev_b32_e32 v14, 16, v13
	s_wait_alu 0xfffe
	s_lshl_b32 s18, -1, s18
	v_lshrrev_b32_e32 v7, 20, v13
	s_wait_alu 0xfffd
	v_cndmask_b32_e32 v5, 0x7ff, v5, vcc_lo
	s_wait_alu 0xfffe
	s_not_b32 s18, s18
	v_cmp_ne_u16_e32 vcc_lo, 0x8000, v14
	s_delay_alu instid0(VALU_DEP_2) | instskip(SKIP_1) | instid1(VALU_DEP_1)
	v_and_b32_e32 v5, 0xffff, v5
	s_wait_alu 0xfffe
	v_and_b32_e32 v5, s18, v5
	s_delay_alu instid0(VALU_DEP_1) | instskip(SKIP_1) | instid1(VALU_DEP_2)
	v_lshlrev_b32_e32 v6, 4, v5
	v_lshrrev_b32_e32 v5, 2, v5
	v_and_or_b32 v6, 0x70, v6, v0
	s_delay_alu instid0(VALU_DEP_2) | instskip(NEXT) | instid1(VALU_DEP_1)
	v_and_b32_e32 v5, 0x3fe, v5
	v_lshl_add_u32 v15, v6, 2, v5
	s_wait_alu 0xfffd
	v_cndmask_b32_e32 v5, 0x7ff, v7, vcc_lo
	ds_load_u16 v16, v15
	v_and_b32_e32 v5, 0xffff, v5
	s_delay_alu instid0(VALU_DEP_1) | instskip(NEXT) | instid1(VALU_DEP_1)
	v_and_b32_e32 v5, s18, v5
	v_lshlrev_b32_e32 v6, 4, v5
	v_lshrrev_b32_e32 v5, 2, v5
	s_delay_alu instid0(VALU_DEP_2) | instskip(NEXT) | instid1(VALU_DEP_2)
	v_and_or_b32 v6, 0x70, v6, v0
	v_and_b32_e32 v5, 0x3fe, v5
	s_wait_dscnt 0x0
	v_add_nc_u16 v7, v16, 1
	s_delay_alu instid0(VALU_DEP_2)
	v_lshl_add_u32 v25, v6, 2, v5
	ds_store_b16 v15, v7
	ds_load_u16 v26, v25
	s_wait_dscnt 0x0
	v_add_nc_u16 v5, v26, 1
	ds_store_b16 v25, v5
	; wave barrier
	s_wait_loadcnt_dscnt 0x0
	global_inv scope:SCOPE_SE
	ds_load_b128 v[9:12], v23
	ds_load_b128 v[5:8], v23 offset:16
	s_wait_dscnt 0x1
	v_add_nc_u32_e32 v27, v10, v9
	s_delay_alu instid0(VALU_DEP_1) | instskip(SKIP_1) | instid1(VALU_DEP_1)
	v_add3_u32 v27, v27, v11, v12
	s_wait_dscnt 0x0
	v_add3_u32 v27, v27, v5, v6
	s_delay_alu instid0(VALU_DEP_1) | instskip(NEXT) | instid1(VALU_DEP_1)
	v_add3_u32 v8, v27, v7, v8
	v_mov_b32_dpp v27, v8 row_shr:1 row_mask:0xf bank_mask:0xf
	s_delay_alu instid0(VALU_DEP_1) | instskip(NEXT) | instid1(VALU_DEP_1)
	v_cndmask_b32_e64 v27, v27, 0, s5
	v_add_nc_u32_e32 v8, v27, v8
	s_delay_alu instid0(VALU_DEP_1) | instskip(NEXT) | instid1(VALU_DEP_1)
	v_mov_b32_dpp v27, v8 row_shr:2 row_mask:0xf bank_mask:0xf
	v_cndmask_b32_e64 v27, 0, v27, s1
	s_delay_alu instid0(VALU_DEP_1) | instskip(NEXT) | instid1(VALU_DEP_1)
	v_add_nc_u32_e32 v8, v8, v27
	v_mov_b32_dpp v27, v8 row_shr:4 row_mask:0xf bank_mask:0xf
	s_delay_alu instid0(VALU_DEP_1) | instskip(NEXT) | instid1(VALU_DEP_1)
	v_cndmask_b32_e64 v27, 0, v27, s6
	v_add_nc_u32_e32 v8, v8, v27
	s_delay_alu instid0(VALU_DEP_1) | instskip(NEXT) | instid1(VALU_DEP_1)
	v_mov_b32_dpp v27, v8 row_shr:8 row_mask:0xf bank_mask:0xf
	v_cndmask_b32_e64 v27, 0, v27, s4
	s_delay_alu instid0(VALU_DEP_1)
	v_add_nc_u32_e32 v8, v8, v27
	s_and_saveexec_b32 s18, s0
; %bb.94:
	v_mov_b32_e32 v27, 0
	ds_store_b32 v27, v8 offset:512
; %bb.95:
	s_wait_alu 0xfffe
	s_or_b32 exec_lo, exec_lo, s18
	ds_bpermute_b32 v27, v24, v8
	v_mov_b32_e32 v8, 0
	; wave barrier
	s_wait_loadcnt_dscnt 0x0
	global_inv scope:SCOPE_SE
	ds_load_b32 v28, v8 offset:512
	v_cndmask_b32_e64 v27, v27, 0, s16
	s_wait_dscnt 0x0
	s_delay_alu instid0(VALU_DEP_1) | instskip(NEXT) | instid1(VALU_DEP_1)
	v_lshl_add_u32 v27, v28, 16, v27
	v_add_nc_u32_e32 v28, v27, v9
	s_delay_alu instid0(VALU_DEP_1) | instskip(NEXT) | instid1(VALU_DEP_1)
	v_add_nc_u32_e32 v29, v28, v10
	v_add_nc_u32_e32 v30, v29, v11
	s_delay_alu instid0(VALU_DEP_1) | instskip(NEXT) | instid1(VALU_DEP_1)
	v_add_nc_u32_e32 v9, v30, v12
	;; [unrolled: 3-line block ×3, first 2 shown]
	v_add_nc_u32_e32 v12, v11, v7
	v_and_b32_e32 v7, 0xffff, v16
	ds_store_b128 v23, v[27:30]
	ds_store_b128 v23, v[9:12] offset:16
	; wave barrier
	s_wait_loadcnt_dscnt 0x0
	global_inv scope:SCOPE_SE
	ds_load_u16 v5, v15
	ds_load_u16 v6, v25
	v_and_b32_e32 v9, 0xffff, v26
	; wave barrier
	s_wait_loadcnt_dscnt 0x0
	global_inv scope:SCOPE_SE
	v_add_nc_u32_e32 v5, v5, v7
	v_add_nc_u32_e32 v6, v6, v9
	s_delay_alu instid0(VALU_DEP_2) | instskip(NEXT) | instid1(VALU_DEP_2)
	v_lshlrev_b32_e32 v7, 1, v5
	v_lshlrev_b32_e32 v9, 1, v6
	ds_store_b16 v7, v13
	ds_store_b16 v9, v14
	v_mad_u32_u24 v5, v5, 6, v7
	v_mad_u32_u24 v6, v6, 6, v9
	; wave barrier
	s_wait_loadcnt_dscnt 0x0
	global_inv scope:SCOPE_SE
	ds_load_b32 v13, v22
	; wave barrier
	s_wait_loadcnt_dscnt 0x0
	global_inv scope:SCOPE_SE
	ds_store_b64 v5, v[1:2]
	ds_store_b64 v6, v[3:4]
	; wave barrier
	s_wait_loadcnt_dscnt 0x0
	global_inv scope:SCOPE_SE
	ds_load_b128 v[1:4], v21
	; wave barrier
	s_wait_loadcnt_dscnt 0x0
	global_inv scope:SCOPE_SE
	s_and_saveexec_b32 s18, s7
	s_cbranch_execz .LBB259_104
; %bb.96:
	v_cmp_gt_u32_e32 vcc_lo, 0x70, v0
	ds_store_b32 v18, v8
	s_and_b32 exec_lo, exec_lo, vcc_lo
	s_cbranch_execz .LBB259_104
; %bb.97:
	v_mov_b32_e32 v5, 0
	v_cmp_gt_u32_e32 vcc_lo, 0x60, v0
	ds_store_b32 v18, v5 offset:64
	s_and_b32 exec_lo, exec_lo, vcc_lo
	s_cbranch_execz .LBB259_104
; %bb.98:
	v_cmp_gt_u32_e32 vcc_lo, 0x50, v0
	ds_store_b32 v18, v5 offset:128
	s_and_b32 exec_lo, exec_lo, vcc_lo
	s_cbranch_execz .LBB259_104
; %bb.99:
	v_mov_b32_e32 v5, 0
	v_cmp_gt_u32_e32 vcc_lo, 64, v0
	ds_store_b32 v18, v5 offset:192
	s_and_b32 exec_lo, exec_lo, vcc_lo
	s_cbranch_execz .LBB259_104
; %bb.100:
	v_cmp_gt_u32_e32 vcc_lo, 48, v0
	ds_store_b32 v18, v5 offset:256
	;; [unrolled: 11-line block ×3, first 2 shown]
	s_and_b32 exec_lo, exec_lo, vcc_lo
; %bb.103:
	v_mov_b32_e32 v5, 0
	ds_store_b32 v18, v5 offset:448
.LBB259_104:
	s_wait_alu 0xfffe
	s_or_b32 exec_lo, exec_lo, s18
	v_lshrrev_b16 v5, 8, v13
	v_cmp_ne_u16_e32 vcc_lo, 0x8000, v13
	s_min_u32 s18, s17, 8
	v_lshrrev_b32_e32 v14, 16, v13
	s_wait_alu 0xfffe
	s_lshl_b32 s18, -1, s18
	v_lshrrev_b32_e32 v7, 24, v13
	s_wait_alu 0xfffd
	v_cndmask_b32_e32 v5, 0x7f, v5, vcc_lo
	s_wait_alu 0xfffe
	s_not_b32 s18, s18
	v_cmp_ne_u16_e32 vcc_lo, 0x8000, v14
	s_delay_alu instid0(VALU_DEP_2) | instskip(SKIP_1) | instid1(VALU_DEP_1)
	v_and_b32_e32 v5, 0xffff, v5
	s_wait_alu 0xfffe
	v_and_b32_e32 v5, s18, v5
	s_delay_alu instid0(VALU_DEP_1) | instskip(SKIP_1) | instid1(VALU_DEP_2)
	v_lshlrev_b32_e32 v6, 4, v5
	v_lshrrev_b32_e32 v5, 2, v5
	v_and_or_b32 v6, 0x70, v6, v0
	s_delay_alu instid0(VALU_DEP_2) | instskip(NEXT) | instid1(VALU_DEP_1)
	v_and_b32_e32 v5, 62, v5
	v_lshl_add_u32 v15, v6, 2, v5
	s_wait_alu 0xfffd
	v_cndmask_b32_e32 v5, 0x7f, v7, vcc_lo
	ds_load_u16 v16, v15
	v_and_b32_e32 v5, 0xffff, v5
	s_delay_alu instid0(VALU_DEP_1) | instskip(NEXT) | instid1(VALU_DEP_1)
	v_and_b32_e32 v5, s18, v5
	v_lshlrev_b32_e32 v6, 4, v5
	v_lshrrev_b32_e32 v5, 2, v5
	s_delay_alu instid0(VALU_DEP_2) | instskip(NEXT) | instid1(VALU_DEP_2)
	v_and_or_b32 v6, 0x70, v6, v0
	v_and_b32_e32 v5, 62, v5
	s_wait_dscnt 0x0
	v_add_nc_u16 v7, v16, 1
	s_delay_alu instid0(VALU_DEP_2)
	v_lshl_add_u32 v25, v6, 2, v5
	ds_store_b16 v15, v7
	ds_load_u16 v26, v25
	s_wait_dscnt 0x0
	v_add_nc_u16 v5, v26, 1
	ds_store_b16 v25, v5
	; wave barrier
	s_wait_loadcnt_dscnt 0x0
	global_inv scope:SCOPE_SE
	ds_load_b128 v[9:12], v23
	ds_load_b128 v[5:8], v23 offset:16
	s_wait_dscnt 0x1
	v_add_nc_u32_e32 v27, v10, v9
	s_delay_alu instid0(VALU_DEP_1) | instskip(SKIP_1) | instid1(VALU_DEP_1)
	v_add3_u32 v27, v27, v11, v12
	s_wait_dscnt 0x0
	v_add3_u32 v27, v27, v5, v6
	s_delay_alu instid0(VALU_DEP_1) | instskip(NEXT) | instid1(VALU_DEP_1)
	v_add3_u32 v8, v27, v7, v8
	v_mov_b32_dpp v27, v8 row_shr:1 row_mask:0xf bank_mask:0xf
	s_delay_alu instid0(VALU_DEP_1) | instskip(NEXT) | instid1(VALU_DEP_1)
	v_cndmask_b32_e64 v27, v27, 0, s5
	v_add_nc_u32_e32 v8, v27, v8
	s_delay_alu instid0(VALU_DEP_1) | instskip(NEXT) | instid1(VALU_DEP_1)
	v_mov_b32_dpp v27, v8 row_shr:2 row_mask:0xf bank_mask:0xf
	v_cndmask_b32_e64 v27, 0, v27, s1
	s_delay_alu instid0(VALU_DEP_1) | instskip(NEXT) | instid1(VALU_DEP_1)
	v_add_nc_u32_e32 v8, v8, v27
	v_mov_b32_dpp v27, v8 row_shr:4 row_mask:0xf bank_mask:0xf
	s_delay_alu instid0(VALU_DEP_1) | instskip(NEXT) | instid1(VALU_DEP_1)
	v_cndmask_b32_e64 v27, 0, v27, s6
	v_add_nc_u32_e32 v8, v8, v27
	s_delay_alu instid0(VALU_DEP_1) | instskip(NEXT) | instid1(VALU_DEP_1)
	v_mov_b32_dpp v27, v8 row_shr:8 row_mask:0xf bank_mask:0xf
	v_cndmask_b32_e64 v27, 0, v27, s4
	s_delay_alu instid0(VALU_DEP_1)
	v_add_nc_u32_e32 v8, v8, v27
	s_and_saveexec_b32 s18, s0
; %bb.105:
	v_mov_b32_e32 v27, 0
	ds_store_b32 v27, v8 offset:512
; %bb.106:
	s_wait_alu 0xfffe
	s_or_b32 exec_lo, exec_lo, s18
	ds_bpermute_b32 v27, v24, v8
	v_mov_b32_e32 v8, 0
	; wave barrier
	s_wait_loadcnt_dscnt 0x0
	global_inv scope:SCOPE_SE
	ds_load_b32 v28, v8 offset:512
	v_cndmask_b32_e64 v27, v27, 0, s16
	s_wait_dscnt 0x0
	s_delay_alu instid0(VALU_DEP_1) | instskip(NEXT) | instid1(VALU_DEP_1)
	v_lshl_add_u32 v27, v28, 16, v27
	v_add_nc_u32_e32 v28, v27, v9
	s_delay_alu instid0(VALU_DEP_1) | instskip(NEXT) | instid1(VALU_DEP_1)
	v_add_nc_u32_e32 v29, v28, v10
	v_add_nc_u32_e32 v30, v29, v11
	s_delay_alu instid0(VALU_DEP_1) | instskip(NEXT) | instid1(VALU_DEP_1)
	v_add_nc_u32_e32 v9, v30, v12
	v_add_nc_u32_e32 v10, v9, v5
	s_delay_alu instid0(VALU_DEP_1) | instskip(NEXT) | instid1(VALU_DEP_1)
	v_add_nc_u32_e32 v11, v10, v6
	v_add_nc_u32_e32 v12, v11, v7
	v_and_b32_e32 v7, 0xffff, v16
	ds_store_b128 v23, v[27:30]
	ds_store_b128 v23, v[9:12] offset:16
	; wave barrier
	s_wait_loadcnt_dscnt 0x0
	global_inv scope:SCOPE_SE
	ds_load_u16 v5, v15
	ds_load_u16 v6, v25
	v_and_b32_e32 v9, 0xffff, v26
	; wave barrier
	s_wait_loadcnt_dscnt 0x0
	global_inv scope:SCOPE_SE
	v_add_nc_u32_e32 v5, v5, v7
	v_add_nc_u32_e32 v6, v6, v9
	s_delay_alu instid0(VALU_DEP_2) | instskip(NEXT) | instid1(VALU_DEP_2)
	v_lshlrev_b32_e32 v7, 1, v5
	v_lshlrev_b32_e32 v9, 1, v6
	ds_store_b16 v7, v13
	ds_store_b16 v9, v14
	v_mad_u32_u24 v5, v5, 6, v7
	v_mad_u32_u24 v6, v6, 6, v9
	; wave barrier
	s_wait_loadcnt_dscnt 0x0
	global_inv scope:SCOPE_SE
	ds_load_b32 v13, v22
	; wave barrier
	s_wait_loadcnt_dscnt 0x0
	global_inv scope:SCOPE_SE
	ds_store_b64 v5, v[1:2]
	ds_store_b64 v6, v[3:4]
	; wave barrier
	s_wait_loadcnt_dscnt 0x0
	global_inv scope:SCOPE_SE
	ds_load_b128 v[1:4], v21
	; wave barrier
	s_wait_loadcnt_dscnt 0x0
	global_inv scope:SCOPE_SE
	s_and_saveexec_b32 s18, s7
	s_cbranch_execz .LBB259_115
; %bb.107:
	v_cmp_gt_u32_e32 vcc_lo, 0x70, v0
	ds_store_b32 v18, v8
	s_and_b32 exec_lo, exec_lo, vcc_lo
	s_cbranch_execz .LBB259_115
; %bb.108:
	v_mov_b32_e32 v5, 0
	v_cmp_gt_u32_e32 vcc_lo, 0x60, v0
	ds_store_b32 v18, v5 offset:64
	s_and_b32 exec_lo, exec_lo, vcc_lo
	s_cbranch_execz .LBB259_115
; %bb.109:
	v_cmp_gt_u32_e32 vcc_lo, 0x50, v0
	ds_store_b32 v18, v5 offset:128
	s_and_b32 exec_lo, exec_lo, vcc_lo
	s_cbranch_execz .LBB259_115
; %bb.110:
	v_mov_b32_e32 v5, 0
	v_cmp_gt_u32_e32 vcc_lo, 64, v0
	ds_store_b32 v18, v5 offset:192
	s_and_b32 exec_lo, exec_lo, vcc_lo
	s_cbranch_execz .LBB259_115
; %bb.111:
	v_cmp_gt_u32_e32 vcc_lo, 48, v0
	ds_store_b32 v18, v5 offset:256
	;; [unrolled: 11-line block ×3, first 2 shown]
	s_and_b32 exec_lo, exec_lo, vcc_lo
; %bb.114:
	v_mov_b32_e32 v5, 0
	ds_store_b32 v18, v5 offset:448
.LBB259_115:
	s_wait_alu 0xfffe
	s_or_b32 exec_lo, exec_lo, s18
	v_lshrrev_b16 v5, 12, v13
	v_cmp_ne_u16_e32 vcc_lo, 0x8000, v13
	s_min_u32 s7, s17, 4
	v_lshrrev_b32_e32 v14, 16, v13
	s_wait_alu 0xfffe
	s_lshl_b32 s7, -1, s7
	v_lshrrev_b32_e32 v7, 28, v13
	s_wait_alu 0xfffd
	v_cndmask_b32_e32 v5, 7, v5, vcc_lo
	s_wait_alu 0xfffe
	s_not_b32 s7, s7
	v_cmp_ne_u16_e32 vcc_lo, 0x8000, v14
	s_delay_alu instid0(VALU_DEP_2) | instskip(SKIP_1) | instid1(VALU_DEP_1)
	v_and_b32_e32 v5, 0xffff, v5
	s_wait_alu 0xfffe
	v_and_b32_e32 v5, s7, v5
	s_delay_alu instid0(VALU_DEP_1) | instskip(SKIP_1) | instid1(VALU_DEP_2)
	v_lshlrev_b32_e32 v6, 4, v5
	v_lshrrev_b32_e32 v5, 2, v5
	v_and_or_b32 v6, 0x70, v6, v0
	s_delay_alu instid0(VALU_DEP_2) | instskip(NEXT) | instid1(VALU_DEP_1)
	v_and_b32_e32 v5, 2, v5
	v_lshl_or_b32 v15, v6, 2, v5
	s_wait_alu 0xfffd
	v_cndmask_b32_e32 v5, 7, v7, vcc_lo
	ds_load_u16 v16, v15
	v_and_b32_e32 v5, 0xffff, v5
	s_delay_alu instid0(VALU_DEP_1) | instskip(NEXT) | instid1(VALU_DEP_1)
	v_and_b32_e32 v5, s7, v5
	v_lshlrev_b32_e32 v6, 4, v5
	v_lshrrev_b32_e32 v5, 2, v5
	s_delay_alu instid0(VALU_DEP_2) | instskip(NEXT) | instid1(VALU_DEP_2)
	v_and_or_b32 v6, 0x70, v6, v0
	v_and_b32_e32 v5, 2, v5
	s_wait_dscnt 0x0
	v_add_nc_u16 v7, v16, 1
	s_delay_alu instid0(VALU_DEP_2)
	v_lshl_or_b32 v25, v6, 2, v5
	ds_store_b16 v15, v7
	ds_load_u16 v26, v25
	s_wait_dscnt 0x0
	v_add_nc_u16 v5, v26, 1
	ds_store_b16 v25, v5
	; wave barrier
	s_wait_loadcnt_dscnt 0x0
	global_inv scope:SCOPE_SE
	ds_load_b128 v[9:12], v23
	ds_load_b128 v[5:8], v23 offset:16
	s_wait_dscnt 0x1
	v_add_nc_u32_e32 v27, v10, v9
	s_delay_alu instid0(VALU_DEP_1) | instskip(SKIP_1) | instid1(VALU_DEP_1)
	v_add3_u32 v27, v27, v11, v12
	s_wait_dscnt 0x0
	v_add3_u32 v27, v27, v5, v6
	s_delay_alu instid0(VALU_DEP_1) | instskip(NEXT) | instid1(VALU_DEP_1)
	v_add3_u32 v8, v27, v7, v8
	v_mov_b32_dpp v27, v8 row_shr:1 row_mask:0xf bank_mask:0xf
	s_delay_alu instid0(VALU_DEP_1) | instskip(NEXT) | instid1(VALU_DEP_1)
	v_cndmask_b32_e64 v27, v27, 0, s5
	v_add_nc_u32_e32 v8, v27, v8
	s_delay_alu instid0(VALU_DEP_1) | instskip(NEXT) | instid1(VALU_DEP_1)
	v_mov_b32_dpp v27, v8 row_shr:2 row_mask:0xf bank_mask:0xf
	v_cndmask_b32_e64 v27, 0, v27, s1
	s_delay_alu instid0(VALU_DEP_1) | instskip(NEXT) | instid1(VALU_DEP_1)
	v_add_nc_u32_e32 v8, v8, v27
	v_mov_b32_dpp v27, v8 row_shr:4 row_mask:0xf bank_mask:0xf
	s_delay_alu instid0(VALU_DEP_1) | instskip(NEXT) | instid1(VALU_DEP_1)
	v_cndmask_b32_e64 v27, 0, v27, s6
	v_add_nc_u32_e32 v8, v8, v27
	s_delay_alu instid0(VALU_DEP_1) | instskip(NEXT) | instid1(VALU_DEP_1)
	v_mov_b32_dpp v27, v8 row_shr:8 row_mask:0xf bank_mask:0xf
	v_cndmask_b32_e64 v27, 0, v27, s4
	s_delay_alu instid0(VALU_DEP_1)
	v_add_nc_u32_e32 v8, v8, v27
	s_and_saveexec_b32 s1, s0
; %bb.116:
	v_mov_b32_e32 v27, 0
	ds_store_b32 v27, v8 offset:512
; %bb.117:
	s_wait_alu 0xfffe
	s_or_b32 exec_lo, exec_lo, s1
	ds_bpermute_b32 v8, v24, v8
	v_mov_b32_e32 v24, 0
	; wave barrier
	s_wait_loadcnt_dscnt 0x0
	global_inv scope:SCOPE_SE
	ds_load_b32 v24, v24 offset:512
	v_cndmask_b32_e64 v8, v8, 0, s16
	s_wait_dscnt 0x0
	s_delay_alu instid0(VALU_DEP_1) | instskip(NEXT) | instid1(VALU_DEP_1)
	v_lshl_add_u32 v8, v24, 16, v8
	v_add_nc_u32_e32 v9, v8, v9
	s_delay_alu instid0(VALU_DEP_1) | instskip(NEXT) | instid1(VALU_DEP_1)
	v_add_nc_u32_e32 v10, v9, v10
	v_add_nc_u32_e32 v11, v10, v11
	s_delay_alu instid0(VALU_DEP_1) | instskip(NEXT) | instid1(VALU_DEP_1)
	v_add_nc_u32_e32 v27, v11, v12
	v_add_nc_u32_e32 v28, v27, v5
	s_delay_alu instid0(VALU_DEP_1) | instskip(NEXT) | instid1(VALU_DEP_1)
	v_add_nc_u32_e32 v29, v28, v6
	v_add_nc_u32_e32 v30, v29, v7
	v_and_b32_e32 v7, 0xffff, v16
	ds_store_b128 v23, v[8:11]
	ds_store_b128 v23, v[27:30] offset:16
	; wave barrier
	s_wait_loadcnt_dscnt 0x0
	global_inv scope:SCOPE_SE
	ds_load_u16 v5, v15
	ds_load_u16 v6, v25
	v_and_b32_e32 v8, 0xffff, v26
	; wave barrier
	s_wait_loadcnt_dscnt 0x0
	global_inv scope:SCOPE_SE
	v_add_nc_u32_e32 v5, v5, v7
	v_add_nc_u32_e32 v6, v6, v8
	s_delay_alu instid0(VALU_DEP_2) | instskip(NEXT) | instid1(VALU_DEP_2)
	v_lshlrev_b32_e32 v7, 1, v5
	v_lshlrev_b32_e32 v8, 1, v6
	ds_store_b16 v7, v13
	ds_store_b16 v8, v14
	; wave barrier
	s_wait_loadcnt_dscnt 0x0
	global_inv scope:SCOPE_SE
	ds_load_b32 v9, v22
	v_mad_u32_u24 v5, v5, 6, v7
	v_mad_u32_u24 v6, v6, 6, v8
	; wave barrier
	s_wait_loadcnt_dscnt 0x0
	global_inv scope:SCOPE_SE
	ds_store_b64 v5, v[1:2]
	ds_store_b64 v6, v[3:4]
	; wave barrier
	s_wait_loadcnt_dscnt 0x0
	global_inv scope:SCOPE_SE
	ds_load_b128 v[5:8], v21
	v_lshrrev_b32_e32 v1, 16, v9
	v_cmp_gt_i16_e32 vcc_lo, 0, v9
	s_wait_alu 0xfffd
	v_cndmask_b32_e64 v2, 0x7fff, 0, vcc_lo
	s_delay_alu instid0(VALU_DEP_3) | instskip(SKIP_2) | instid1(VALU_DEP_1)
	v_cmp_gt_i16_e32 vcc_lo, 0, v1
	s_wait_alu 0xfffd
	v_cndmask_b32_e64 v1, 0x7fff, 0, vcc_lo
	v_perm_b32 v1, v1, v2, 0x5040100
	s_delay_alu instid0(VALU_DEP_1)
	v_xor_b32_e32 v9, v1, v9
.LBB259_118:
	v_mad_co_u64_u32 v[1:2], null, s8, v0, 0
	; wave barrier
	s_wait_loadcnt_dscnt 0x0
	global_inv scope:SCOPE_SE
	ds_store_b32 v18, v9
	; wave barrier
	s_wait_loadcnt_dscnt 0x0
	global_inv scope:SCOPE_SE
	v_mad_co_u64_u32 v[2:3], null, s9, v0, v[2:3]
	ds_load_u16 v3, v17 offset:32
	v_lshlrev_b64_e32 v[1:2], 1, v[1:2]
	s_delay_alu instid0(VALU_DEP_1) | instskip(SKIP_1) | instid1(VALU_DEP_2)
	v_add_co_u32 v1, vcc_lo, s12, v1
	s_wait_alu 0xfffd
	v_add_co_ci_u32_e64 v2, null, s13, v2, vcc_lo
	s_and_saveexec_b32 s0, s2
	s_cbranch_execz .LBB259_120
; %bb.119:
	ds_load_u16 v4, v17
	s_wait_dscnt 0x0
	global_store_b16 v[1:2], v4, off
.LBB259_120:
	s_wait_alu 0xfffe
	s_or_b32 exec_lo, exec_lo, s0
	s_and_saveexec_b32 s0, s3
	s_cbranch_execz .LBB259_122
; %bb.121:
	s_lshl_b64 s[4:5], s[8:9], 5
	s_wait_alu 0xfffe
	v_add_co_u32 v1, vcc_lo, v1, s4
	s_wait_alu 0xfffd
	v_add_co_ci_u32_e64 v2, null, s5, v2, vcc_lo
	s_wait_dscnt 0x0
	global_store_b16 v[1:2], v3, off
.LBB259_122:
	s_wait_alu 0xfffe
	s_or_b32 exec_lo, exec_lo, s0
	s_wait_dscnt 0x0
	v_mad_co_u64_u32 v[2:3], null, s10, v0, 0
	s_wait_loadcnt 0x0
	s_wait_storecnt 0x0
	; wave barrier
	global_inv scope:SCOPE_SE
	ds_store_2addr_b64 v20, v[5:6], v[7:8] offset1:1
	; wave barrier
	s_wait_loadcnt_dscnt 0x0
	global_inv scope:SCOPE_SE
	v_mov_b32_e32 v1, v3
	s_delay_alu instid0(VALU_DEP_1) | instskip(SKIP_2) | instid1(VALU_DEP_1)
	v_mad_co_u64_u32 v[3:4], null, s11, v0, v[1:2]
	ds_load_b64 v[0:1], v19 offset:128
	v_lshlrev_b64_e32 v[2:3], 3, v[2:3]
	v_add_co_u32 v2, vcc_lo, s14, v2
	s_wait_alu 0xfffd
	s_delay_alu instid0(VALU_DEP_2)
	v_add_co_ci_u32_e64 v3, null, s15, v3, vcc_lo
	s_and_saveexec_b32 s0, s2
	s_cbranch_execz .LBB259_124
; %bb.123:
	ds_load_b64 v[4:5], v19
	s_wait_dscnt 0x0
	global_store_b64 v[2:3], v[4:5], off
.LBB259_124:
	s_wait_alu 0xfffe
	s_or_b32 exec_lo, exec_lo, s0
	s_and_saveexec_b32 s0, s3
	s_cbranch_execz .LBB259_126
; %bb.125:
	s_lshl_b64 s[0:1], s[10:11], 7
	s_wait_alu 0xfffe
	v_add_co_u32 v2, vcc_lo, v2, s0
	s_wait_alu 0xfffd
	v_add_co_ci_u32_e64 v3, null, s1, v3, vcc_lo
	s_wait_dscnt 0x0
	global_store_b64 v[2:3], v[0:1], off
.LBB259_126:
	s_endpgm
	.section	.rodata,"a",@progbits
	.p2align	6, 0x0
	.amdhsa_kernel _ZN2at6native18radixSortKVInPlaceILin1ELin1ELi16ELi2EN3c108BFloat16ElmEEvNS_4cuda6detail10TensorInfoIT3_T5_EES8_S8_S8_NS6_IT4_S8_EES8_b
		.amdhsa_group_segment_fixed_size 528
		.amdhsa_private_segment_fixed_size 0
		.amdhsa_kernarg_size 1128
		.amdhsa_user_sgpr_count 2
		.amdhsa_user_sgpr_dispatch_ptr 0
		.amdhsa_user_sgpr_queue_ptr 0
		.amdhsa_user_sgpr_kernarg_segment_ptr 1
		.amdhsa_user_sgpr_dispatch_id 0
		.amdhsa_user_sgpr_private_segment_size 0
		.amdhsa_wavefront_size32 1
		.amdhsa_uses_dynamic_stack 0
		.amdhsa_enable_private_segment 0
		.amdhsa_system_sgpr_workgroup_id_x 1
		.amdhsa_system_sgpr_workgroup_id_y 1
		.amdhsa_system_sgpr_workgroup_id_z 1
		.amdhsa_system_sgpr_workgroup_info 0
		.amdhsa_system_vgpr_workitem_id 0
		.amdhsa_next_free_vgpr 37
		.amdhsa_next_free_sgpr 34
		.amdhsa_reserve_vcc 1
		.amdhsa_float_round_mode_32 0
		.amdhsa_float_round_mode_16_64 0
		.amdhsa_float_denorm_mode_32 3
		.amdhsa_float_denorm_mode_16_64 3
		.amdhsa_fp16_overflow 0
		.amdhsa_workgroup_processor_mode 1
		.amdhsa_memory_ordered 1
		.amdhsa_forward_progress 1
		.amdhsa_inst_pref_size 86
		.amdhsa_round_robin_scheduling 0
		.amdhsa_exception_fp_ieee_invalid_op 0
		.amdhsa_exception_fp_denorm_src 0
		.amdhsa_exception_fp_ieee_div_zero 0
		.amdhsa_exception_fp_ieee_overflow 0
		.amdhsa_exception_fp_ieee_underflow 0
		.amdhsa_exception_fp_ieee_inexact 0
		.amdhsa_exception_int_div_zero 0
	.end_amdhsa_kernel
	.section	.text._ZN2at6native18radixSortKVInPlaceILin1ELin1ELi16ELi2EN3c108BFloat16ElmEEvNS_4cuda6detail10TensorInfoIT3_T5_EES8_S8_S8_NS6_IT4_S8_EES8_b,"axG",@progbits,_ZN2at6native18radixSortKVInPlaceILin1ELin1ELi16ELi2EN3c108BFloat16ElmEEvNS_4cuda6detail10TensorInfoIT3_T5_EES8_S8_S8_NS6_IT4_S8_EES8_b,comdat
.Lfunc_end259:
	.size	_ZN2at6native18radixSortKVInPlaceILin1ELin1ELi16ELi2EN3c108BFloat16ElmEEvNS_4cuda6detail10TensorInfoIT3_T5_EES8_S8_S8_NS6_IT4_S8_EES8_b, .Lfunc_end259-_ZN2at6native18radixSortKVInPlaceILin1ELin1ELi16ELi2EN3c108BFloat16ElmEEvNS_4cuda6detail10TensorInfoIT3_T5_EES8_S8_S8_NS6_IT4_S8_EES8_b
                                        ; -- End function
	.set _ZN2at6native18radixSortKVInPlaceILin1ELin1ELi16ELi2EN3c108BFloat16ElmEEvNS_4cuda6detail10TensorInfoIT3_T5_EES8_S8_S8_NS6_IT4_S8_EES8_b.num_vgpr, 37
	.set _ZN2at6native18radixSortKVInPlaceILin1ELin1ELi16ELi2EN3c108BFloat16ElmEEvNS_4cuda6detail10TensorInfoIT3_T5_EES8_S8_S8_NS6_IT4_S8_EES8_b.num_agpr, 0
	.set _ZN2at6native18radixSortKVInPlaceILin1ELin1ELi16ELi2EN3c108BFloat16ElmEEvNS_4cuda6detail10TensorInfoIT3_T5_EES8_S8_S8_NS6_IT4_S8_EES8_b.numbered_sgpr, 34
	.set _ZN2at6native18radixSortKVInPlaceILin1ELin1ELi16ELi2EN3c108BFloat16ElmEEvNS_4cuda6detail10TensorInfoIT3_T5_EES8_S8_S8_NS6_IT4_S8_EES8_b.num_named_barrier, 0
	.set _ZN2at6native18radixSortKVInPlaceILin1ELin1ELi16ELi2EN3c108BFloat16ElmEEvNS_4cuda6detail10TensorInfoIT3_T5_EES8_S8_S8_NS6_IT4_S8_EES8_b.private_seg_size, 0
	.set _ZN2at6native18radixSortKVInPlaceILin1ELin1ELi16ELi2EN3c108BFloat16ElmEEvNS_4cuda6detail10TensorInfoIT3_T5_EES8_S8_S8_NS6_IT4_S8_EES8_b.uses_vcc, 1
	.set _ZN2at6native18radixSortKVInPlaceILin1ELin1ELi16ELi2EN3c108BFloat16ElmEEvNS_4cuda6detail10TensorInfoIT3_T5_EES8_S8_S8_NS6_IT4_S8_EES8_b.uses_flat_scratch, 0
	.set _ZN2at6native18radixSortKVInPlaceILin1ELin1ELi16ELi2EN3c108BFloat16ElmEEvNS_4cuda6detail10TensorInfoIT3_T5_EES8_S8_S8_NS6_IT4_S8_EES8_b.has_dyn_sized_stack, 0
	.set _ZN2at6native18radixSortKVInPlaceILin1ELin1ELi16ELi2EN3c108BFloat16ElmEEvNS_4cuda6detail10TensorInfoIT3_T5_EES8_S8_S8_NS6_IT4_S8_EES8_b.has_recursion, 0
	.set _ZN2at6native18radixSortKVInPlaceILin1ELin1ELi16ELi2EN3c108BFloat16ElmEEvNS_4cuda6detail10TensorInfoIT3_T5_EES8_S8_S8_NS6_IT4_S8_EES8_b.has_indirect_call, 0
	.section	.AMDGPU.csdata,"",@progbits
; Kernel info:
; codeLenInByte = 10904
; TotalNumSgprs: 36
; NumVgprs: 37
; ScratchSize: 0
; MemoryBound: 0
; FloatMode: 240
; IeeeMode: 1
; LDSByteSize: 528 bytes/workgroup (compile time only)
; SGPRBlocks: 0
; VGPRBlocks: 4
; NumSGPRsForWavesPerEU: 36
; NumVGPRsForWavesPerEU: 37
; Occupancy: 16
; WaveLimiterHint : 1
; COMPUTE_PGM_RSRC2:SCRATCH_EN: 0
; COMPUTE_PGM_RSRC2:USER_SGPR: 2
; COMPUTE_PGM_RSRC2:TRAP_HANDLER: 0
; COMPUTE_PGM_RSRC2:TGID_X_EN: 1
; COMPUTE_PGM_RSRC2:TGID_Y_EN: 1
; COMPUTE_PGM_RSRC2:TGID_Z_EN: 1
; COMPUTE_PGM_RSRC2:TIDIG_COMP_CNT: 0
	.section	.text._ZN2at6native18radixSortKVInPlaceILin2ELin1ELi512ELi8EbljEEvNS_4cuda6detail10TensorInfoIT3_T5_EES6_S6_S6_NS4_IT4_S6_EES6_b,"axG",@progbits,_ZN2at6native18radixSortKVInPlaceILin2ELin1ELi512ELi8EbljEEvNS_4cuda6detail10TensorInfoIT3_T5_EES6_S6_S6_NS4_IT4_S6_EES6_b,comdat
	.protected	_ZN2at6native18radixSortKVInPlaceILin2ELin1ELi512ELi8EbljEEvNS_4cuda6detail10TensorInfoIT3_T5_EES6_S6_S6_NS4_IT4_S6_EES6_b ; -- Begin function _ZN2at6native18radixSortKVInPlaceILin2ELin1ELi512ELi8EbljEEvNS_4cuda6detail10TensorInfoIT3_T5_EES6_S6_S6_NS4_IT4_S6_EES6_b
	.globl	_ZN2at6native18radixSortKVInPlaceILin2ELin1ELi512ELi8EbljEEvNS_4cuda6detail10TensorInfoIT3_T5_EES6_S6_S6_NS4_IT4_S6_EES6_b
	.p2align	8
	.type	_ZN2at6native18radixSortKVInPlaceILin2ELin1ELi512ELi8EbljEEvNS_4cuda6detail10TensorInfoIT3_T5_EES6_S6_S6_NS4_IT4_S6_EES6_b,@function
_ZN2at6native18radixSortKVInPlaceILin2ELin1ELi512ELi8EbljEEvNS_4cuda6detail10TensorInfoIT3_T5_EES6_S6_S6_NS4_IT4_S6_EES6_b: ; @_ZN2at6native18radixSortKVInPlaceILin2ELin1ELi512ELi8EbljEEvNS_4cuda6detail10TensorInfoIT3_T5_EES6_S6_S6_NS4_IT4_S6_EES6_b
; %bb.0:
	s_clause 0x1
	s_load_b64 s[2:3], s[0:1], 0x1c8
	s_load_b96 s[12:14], s[0:1], 0xd8
	s_lshr_b32 s4, ttmp7, 16
	s_wait_kmcnt 0x0
	s_mul_i32 s3, s3, s4
	s_and_b32 s4, ttmp7, 0xffff
	s_delay_alu instid0(SALU_CYCLE_1) | instskip(NEXT) | instid1(SALU_CYCLE_1)
	s_add_co_i32 s3, s3, s4
	s_mul_i32 s4, s3, s2
	s_delay_alu instid0(SALU_CYCLE_1) | instskip(NEXT) | instid1(SALU_CYCLE_1)
	s_add_co_i32 s4, s4, ttmp9
	s_cmp_ge_u32 s4, s12
	s_cbranch_scc1 .LBB260_102
; %bb.1:
	s_load_b32 s2, s[0:1], 0x1b8
	s_add_nc_u64 s[10:11], s[0:1], 0xe8
	s_mov_b32 s9, 0
	s_mov_b32 s12, s4
	s_wait_kmcnt 0x0
	s_cmp_lt_i32 s2, 2
	s_cbranch_scc1 .LBB260_4
; %bb.2:
	s_add_co_i32 s8, s2, -1
	s_add_co_i32 s5, s2, 1
	s_lshl_b64 s[6:7], s[8:9], 2
	s_mov_b32 s12, s4
	s_add_nc_u64 s[6:7], s[10:11], s[6:7]
	s_delay_alu instid0(SALU_CYCLE_1)
	s_add_nc_u64 s[2:3], s[6:7], 8
.LBB260_3:                              ; =>This Inner Loop Header: Depth=1
	s_clause 0x1
	s_load_b32 s6, s[2:3], 0x0
	s_load_b32 s7, s[2:3], 0x64
	s_mov_b32 s16, s12
	s_add_nc_u64 s[2:3], s[2:3], -4
	s_wait_kmcnt 0x0
	s_cvt_f32_u32 s8, s6
	s_sub_co_i32 s15, 0, s6
	s_wait_alu 0xfffe
	s_delay_alu instid0(SALU_CYCLE_1) | instskip(NEXT) | instid1(TRANS32_DEP_1)
	v_rcp_iflag_f32_e32 v1, s8
	v_readfirstlane_b32 s8, v1
	s_mul_f32 s8, s8, 0x4f7ffffe
	s_wait_alu 0xfffe
	s_delay_alu instid0(SALU_CYCLE_2) | instskip(SKIP_1) | instid1(SALU_CYCLE_2)
	s_cvt_u32_f32 s8, s8
	s_wait_alu 0xfffe
	s_mul_i32 s15, s15, s8
	s_delay_alu instid0(SALU_CYCLE_1) | instskip(NEXT) | instid1(SALU_CYCLE_1)
	s_mul_hi_u32 s15, s8, s15
	s_add_co_i32 s8, s8, s15
	s_wait_alu 0xfffe
	s_mul_hi_u32 s8, s12, s8
	s_wait_alu 0xfffe
	s_mul_i32 s12, s8, s6
	s_add_co_i32 s15, s8, 1
	s_sub_co_i32 s12, s16, s12
	s_delay_alu instid0(SALU_CYCLE_1)
	s_sub_co_i32 s17, s12, s6
	s_cmp_ge_u32 s12, s6
	s_cselect_b32 s8, s15, s8
	s_cselect_b32 s12, s17, s12
	s_wait_alu 0xfffe
	s_add_co_i32 s15, s8, 1
	s_cmp_ge_u32 s12, s6
	s_cselect_b32 s12, s15, s8
	s_add_co_i32 s5, s5, -1
	s_mul_i32 s6, s12, s6
	s_delay_alu instid0(SALU_CYCLE_1) | instskip(NEXT) | instid1(SALU_CYCLE_1)
	s_sub_co_i32 s6, s16, s6
	s_mul_i32 s6, s7, s6
	s_delay_alu instid0(SALU_CYCLE_1)
	s_add_co_i32 s9, s6, s9
	s_cmp_gt_u32 s5, 2
	s_cbranch_scc1 .LBB260_3
.LBB260_4:
	s_clause 0x2
	s_load_b64 s[16:17], s[0:1], 0x1c0
	s_load_b64 s[2:3], s[0:1], 0x0
	s_load_b32 s5, s[0:1], 0x6c
	s_add_nc_u64 s[20:21], s[0:1], 0x1c8
	v_and_b32_e32 v44, 0x3ff, v0
	s_delay_alu instid0(VALU_DEP_1)
	v_mul_lo_u32 v47, s14, v44
	s_wait_kmcnt 0x0
	s_bitcmp1_b32 s17, 0
	s_mul_i32 s4, s5, s4
	s_cselect_b32 s0, -1, 0
	s_mov_b32 s5, 0
	s_xor_b32 s8, s0, -1
	v_cmp_gt_u32_e64 s0, s13, v44
	s_wait_alu 0xfffe
	v_cndmask_b32_e64 v1, 0, 1, s8
	v_cndmask_b32_e64 v3, 0, 1, s8
	s_add_nc_u64 s[18:19], s[2:3], s[4:5]
	s_delay_alu instid0(VALU_DEP_2) | instskip(NEXT) | instid1(VALU_DEP_1)
	v_lshlrev_b32_e32 v2, 8, v1
	v_or_b32_e32 v1, v1, v2
	s_delay_alu instid0(VALU_DEP_1) | instskip(SKIP_1) | instid1(VALU_DEP_1)
	v_and_b32_e32 v2, 0x101, v1
	v_lshlrev_b32_e32 v1, 16, v1
	v_or_b32_e32 v1, v2, v1
	s_delay_alu instid0(VALU_DEP_1)
	v_mov_b32_e32 v2, v1
	s_and_saveexec_b32 s1, s0
	s_cbranch_execz .LBB260_6
; %bb.5:
	global_load_u8 v3, v47, s[18:19]
	v_mov_b32_e32 v5, v1
	s_wait_loadcnt 0x0
	v_perm_b32 v4, v3, v1, 0x3020104
	s_delay_alu instid0(VALU_DEP_1)
	v_dual_mov_b32 v1, v4 :: v_dual_mov_b32 v2, v5
.LBB260_6:
	s_or_b32 exec_lo, exec_lo, s1
	v_add_nc_u32_e32 v28, 0x200, v44
	s_delay_alu instid0(VALU_DEP_1)
	v_cmp_gt_u32_e64 s1, s13, v28
	s_and_saveexec_b32 s2, s1
	s_cbranch_execz .LBB260_8
; %bb.7:
	v_mul_lo_u32 v4, s14, v28
	global_load_u8 v4, v4, s[18:19]
	s_wait_loadcnt 0x0
	v_perm_b32 v1, v1, v4, 0x7060004
.LBB260_8:
	s_or_b32 exec_lo, exec_lo, s2
	v_or_b32_e32 v24, 0x400, v44
	s_delay_alu instid0(VALU_DEP_1)
	v_cmp_gt_u32_e64 s2, s13, v24
	s_and_saveexec_b32 s3, s2
	s_cbranch_execz .LBB260_10
; %bb.9:
	v_mul_lo_u32 v4, s14, v24
	global_load_u8 v4, v4, s[18:19]
	s_wait_loadcnt 0x0
	v_perm_b32 v4, v4, v1, 0xc0c0304
	s_delay_alu instid0(VALU_DEP_1) | instskip(NEXT) | instid1(VALU_DEP_1)
	v_lshlrev_b32_e32 v4, 16, v4
	v_and_or_b32 v1, 0xffff, v1, v4
.LBB260_10:
	s_or_b32 exec_lo, exec_lo, s3
	v_add_nc_u32_e32 v21, 0x600, v44
	s_delay_alu instid0(VALU_DEP_1)
	v_cmp_gt_u32_e64 s3, s13, v21
	s_and_saveexec_b32 s4, s3
	s_cbranch_execz .LBB260_12
; %bb.11:
	v_mul_lo_u32 v4, s14, v21
	global_load_u8 v4, v4, s[18:19]
	s_wait_loadcnt 0x0
	v_perm_b32 v4, v1, v4, 0xc0c0006
	s_delay_alu instid0(VALU_DEP_1) | instskip(NEXT) | instid1(VALU_DEP_1)
	v_lshlrev_b32_e32 v4, 16, v4
	v_and_or_b32 v1, 0xffff, v1, v4
.LBB260_12:
	s_or_b32 exec_lo, exec_lo, s4
	v_or_b32_e32 v19, 0x800, v44
	s_delay_alu instid0(VALU_DEP_1)
	v_cmp_gt_u32_e64 s4, s13, v19
	s_and_saveexec_b32 s5, s4
	s_cbranch_execz .LBB260_14
; %bb.13:
	v_mul_lo_u32 v4, s14, v19
	global_load_u8 v4, v4, s[18:19]
	s_wait_loadcnt 0x0
	v_perm_b32 v2, v4, v2, 0x3020104
.LBB260_14:
	s_or_b32 exec_lo, exec_lo, s5
	v_add_nc_u32_e32 v17, 0xa00, v44
	s_delay_alu instid0(VALU_DEP_1)
	v_cmp_gt_u32_e64 s5, s13, v17
	s_and_saveexec_b32 s6, s5
	s_cbranch_execz .LBB260_16
; %bb.15:
	v_mul_lo_u32 v4, s14, v17
	global_load_u8 v4, v4, s[18:19]
	s_wait_loadcnt 0x0
	v_perm_b32 v2, v2, v4, 0x7060004
.LBB260_16:
	s_or_b32 exec_lo, exec_lo, s6
	v_or_b32_e32 v16, 0xc00, v44
	s_delay_alu instid0(VALU_DEP_1)
	v_cmp_gt_u32_e64 s6, s13, v16
	s_and_saveexec_b32 s7, s6
	s_cbranch_execz .LBB260_18
; %bb.17:
	v_mul_lo_u32 v4, s14, v16
	global_load_u8 v4, v4, s[18:19]
	s_wait_loadcnt 0x0
	v_perm_b32 v2, v2, v4, 0x7000504
.LBB260_18:
	s_or_b32 exec_lo, exec_lo, s7
	s_clause 0x1
	s_load_b32 s15, s[10:11], 0x6c
	s_load_b64 s[10:11], s[10:11], 0x0
	v_add_nc_u32_e32 v15, 0xe00, v44
	s_delay_alu instid0(VALU_DEP_1)
	v_cmp_gt_u32_e64 s7, s13, v15
	s_and_saveexec_b32 s13, s7
	s_cbranch_execz .LBB260_20
; %bb.19:
	v_mul_lo_u32 v4, s14, v15
	global_load_u8 v4, v4, s[18:19]
	s_wait_loadcnt 0x0
	v_perm_b32 v2, v2, v4, 0x60504
.LBB260_20:
	s_wait_alu 0xfffe
	s_or_b32 exec_lo, exec_lo, s13
	v_lshrrev_b32_e32 v65, 5, v44
	v_lshrrev_b32_e32 v18, 5, v28
	;; [unrolled: 1-line block ×5, first 2 shown]
	s_delay_alu instid0(VALU_DEP_4) | instskip(SKIP_4) | instid1(VALU_DEP_4)
	v_dual_mov_b32 v42, 0 :: v_dual_and_b32 v5, 60, v18
	v_and_b32_e32 v4, 28, v65
	v_and_b32_e32 v7, 0x5c, v23
	v_lshrrev_b32_e32 v22, 5, v21
	v_lshrrev_b32_e32 v29, 2, v44
	v_dual_mov_b32 v43, v42 :: v_dual_add_nc_u32 v48, v4, v44
	v_dual_mov_b32 v11, v42 :: v_dual_and_b32 v4, 60, v20
	v_mov_b32_e32 v12, v42
	v_add_nc_u32_e32 v52, v7, v44
	v_and_b32_e32 v7, 0x7c, v26
	s_delay_alu instid0(VALU_DEP_4)
	v_add_nc_u32_e32 v50, v4, v44
	v_and_b32_e32 v4, 0x7c, v22
	v_lshrrev_b32_e32 v25, 5, v17
	v_lshrrev_b32_e32 v27, 5, v15
	v_dual_mov_b32 v13, 0 :: v_dual_add_nc_u32 v54, v7, v44
	v_lshlrev_b32_e32 v61, 3, v44
	v_and_b32_e32 v7, 0xfc, v29
	v_add_nc_u32_e32 v51, v4, v44
	v_and_b32_e32 v4, 0x7c, v25
	v_and_b32_e32 v9, 0xfc, v27
	v_lshrrev_b32_e32 v6, 8, v1
	v_add_nc_u32_e32 v56, v7, v61
	v_dual_mov_b32 v10, v42 :: v_dual_add_nc_u32 v49, v5, v44
	v_lshrrev_b32_e32 v5, 24, v1
	v_lshrrev_b32_e32 v8, 8, v2
	v_dual_mov_b32 v14, 0 :: v_dual_add_nc_u32 v53, v4, v44
	v_lshrrev_b32_e32 v4, 24, v2
	v_add_nc_u32_e32 v55, v9, v44
	v_mov_b32_e32 v9, v42
	v_mov_b32_e32 v7, v42
	ds_store_b8 v48, v3
	ds_store_b8 v49, v6 offset:512
	ds_store_b8_d16_hi v50, v1 offset:1024
	ds_store_b8 v51, v5 offset:1536
	ds_store_b8 v52, v2 offset:2048
	;; [unrolled: 1-line block ×3, first 2 shown]
	ds_store_b8_d16_hi v54, v2 offset:3072
	ds_store_b8 v55, v4 offset:3584
	s_wait_dscnt 0x0
	s_barrier_signal -1
	s_barrier_wait -1
	global_inv scope:SCOPE_SE
	ds_load_2addr_b32 v[45:46], v56 offset1:1
	s_wait_kmcnt 0x0
	s_mul_i32 s12, s15, s12
	v_mul_lo_u32 v41, s16, v44
	s_mov_b32 s13, 0
	s_wait_alu 0xfffe
	s_add_co_i32 s12, s12, s9
	v_dual_mov_b32 v1, v42 :: v_dual_mov_b32 v2, v42
	v_dual_mov_b32 v3, v42 :: v_dual_mov_b32 v4, v42
	;; [unrolled: 1-line block ×3, first 2 shown]
	v_mov_b32_e32 v8, v42
	s_wait_alu 0xfffe
	s_lshl_b64 s[12:13], s[12:13], 3
	s_wait_loadcnt_dscnt 0x0
	s_wait_alu 0xfffe
	s_add_nc_u64 s[12:13], s[10:11], s[12:13]
	s_barrier_signal -1
	s_barrier_wait -1
	global_inv scope:SCOPE_SE
	s_and_saveexec_b32 s9, s0
	s_cbranch_execnz .LBB260_53
; %bb.21:
	s_wait_alu 0xfffe
	s_or_b32 exec_lo, exec_lo, s9
	s_and_saveexec_b32 s9, s1
	s_cbranch_execnz .LBB260_54
.LBB260_22:
	s_wait_alu 0xfffe
	s_or_b32 exec_lo, exec_lo, s9
	s_and_saveexec_b32 s9, s2
	s_cbranch_execnz .LBB260_55
.LBB260_23:
	s_wait_alu 0xfffe
	s_or_b32 exec_lo, exec_lo, s9
	s_and_saveexec_b32 s9, s3
	s_cbranch_execnz .LBB260_56
.LBB260_24:
	s_wait_alu 0xfffe
	s_or_b32 exec_lo, exec_lo, s9
	s_and_saveexec_b32 s9, s4
	s_cbranch_execnz .LBB260_57
.LBB260_25:
	s_wait_alu 0xfffe
	s_or_b32 exec_lo, exec_lo, s9
	s_and_saveexec_b32 s9, s5
	s_cbranch_execnz .LBB260_58
.LBB260_26:
	s_wait_alu 0xfffe
	s_or_b32 exec_lo, exec_lo, s9
	s_and_saveexec_b32 s9, s6
	s_cbranch_execnz .LBB260_59
.LBB260_27:
	s_wait_alu 0xfffe
	s_or_b32 exec_lo, exec_lo, s9
	s_and_saveexec_b32 s9, s7
	s_cbranch_execz .LBB260_29
.LBB260_28:
	v_mul_lo_u32 v7, s16, v15
	v_mov_b32_e32 v8, 0
	s_delay_alu instid0(VALU_DEP_1) | instskip(NEXT) | instid1(VALU_DEP_1)
	v_lshlrev_b64_e32 v[7:8], 3, v[7:8]
	v_add_co_u32 v7, vcc_lo, s12, v7
	s_wait_alu 0xfffd
	s_delay_alu instid0(VALU_DEP_2)
	v_add_co_ci_u32_e64 v8, null, s13, v8, vcc_lo
	global_load_b64 v[7:8], v[7:8], off
.LBB260_29:
	s_wait_alu 0xfffe
	s_or_b32 exec_lo, exec_lo, s9
	v_lshl_add_u32 v57, v65, 3, v61
	v_lshl_add_u32 v58, v18, 3, v61
	;; [unrolled: 1-line block ×5, first 2 shown]
	s_wait_loadcnt 0x0
	ds_store_b64 v57, v[13:14]
	ds_store_b64 v58, v[42:43] offset:4096
	ds_store_b64 v59, v[9:10] offset:8192
	;; [unrolled: 1-line block ×3, first 2 shown]
	v_lshlrev_b32_e32 v9, 3, v61
	v_lshl_add_u32 v42, v23, 3, v61
	v_lshl_add_u32 v43, v25, 3, v61
	;; [unrolled: 1-line block ×3, first 2 shown]
	ds_store_b64 v42, v[1:2] offset:16384
	ds_store_b64 v43, v[3:4] offset:20480
	ds_store_b64 v62, v[5:6] offset:24576
	ds_store_b64 v63, v[7:8] offset:28672
	v_lshl_add_u32 v64, v29, 3, v9
	s_wait_dscnt 0x0
	s_barrier_signal -1
	s_barrier_wait -1
	global_inv scope:SCOPE_SE
	ds_load_2addr_b64 v[13:16], v64 offset1:1
	ds_load_2addr_b64 v[9:12], v64 offset0:2 offset1:3
	ds_load_2addr_b64 v[5:8], v64 offset0:4 offset1:5
	;; [unrolled: 1-line block ×3, first 2 shown]
	v_bfe_u32 v69, v0, 10, 10
	v_bfe_u32 v70, v0, 20, 10
	v_mbcnt_lo_u32_b32 v67, -1, 0
	v_and_b32_e32 v68, 0x3e0, v44
	v_lshlrev_b32_e32 v66, 2, v61
	s_and_b32 vcc_lo, exec_lo, s8
	s_wait_loadcnt_dscnt 0x0
	s_barrier_signal -1
	s_barrier_wait -1
	global_inv scope:SCOPE_SE
	s_wait_alu 0xfffe
	s_cbranch_vccz .LBB260_60
; %bb.30:
	s_getpc_b64 s[8:9]
	s_wait_alu 0xfffe
	s_sext_i32_i16 s9, s9
	s_add_co_u32 s8, s8, _ZN7rocprim17ROCPRIM_400000_NS16block_radix_sortIbLj512ELj8ElLj1ELj1ELj0ELNS0_26block_radix_rank_algorithmE1ELNS0_18block_padding_hintE2ELNS0_4arch9wavefront6targetE0EE19radix_bits_per_passE@rel32@lo+12
	s_wait_alu 0xfffe
	s_add_co_ci_u32 s9, s9, _ZN7rocprim17ROCPRIM_400000_NS16block_radix_sortIbLj512ELj8ElLj1ELj1ELj0ELNS0_26block_radix_rank_algorithmE1ELNS0_18block_padding_hintE2ELNS0_4arch9wavefront6targetE0EE19radix_bits_per_passE@rel32@hi+24
	v_or_b32_e32 v17, v67, v68
	s_load_b32 s8, s[8:9], 0x0
	s_mov_b32 s24, 0
	v_and_or_b32 v19, 0x1f00, v61, v67
	s_mov_b32 s25, s24
	s_mov_b32 s26, s24
	;; [unrolled: 1-line block ×3, first 2 shown]
	v_lshlrev_b32_e32 v18, 3, v17
	ds_store_b64 v18, v[45:46]
	; wave barrier
	ds_load_u8 v0, v19
	ds_load_u8 v71, v19 offset:32
	ds_load_u8 v72, v19 offset:64
	;; [unrolled: 1-line block ×7, first 2 shown]
	v_mad_u32_u24 v17, v17, 56, v18
	v_mad_u32_u24 v18, v19, 7, v19
	s_wait_loadcnt_dscnt 0x0
	s_barrier_signal -1
	s_barrier_wait -1
	global_inv scope:SCOPE_SE
	ds_store_b128 v17, v[13:16]
	ds_store_b128 v17, v[9:12] offset:16
	ds_store_b128 v17, v[5:8] offset:32
	;; [unrolled: 1-line block ×3, first 2 shown]
	; wave barrier
	ds_load_2addr_b64 v[29:32], v18 offset1:32
	ds_load_2addr_b64 v[25:28], v18 offset0:64 offset1:96
	ds_load_2addr_b64 v[21:24], v18 offset0:128 offset1:160
	;; [unrolled: 1-line block ×3, first 2 shown]
	s_wait_loadcnt_dscnt 0x0
	s_barrier_signal -1
	s_barrier_wait -1
	global_inv scope:SCOPE_SE
	s_load_b32 s10, s[20:21], 0xc
	s_wait_kmcnt 0x0
	s_min_u32 s8, s8, 8
	s_wait_alu 0xfffe
	s_lshl_b32 s8, -1, s8
	s_wait_alu 0xfffe
	s_not_b32 s9, s8
	s_wait_alu 0xfffe
	v_and_b32_e32 v33, s9, v0
	s_delay_alu instid0(VALU_DEP_1) | instskip(NEXT) | instid1(VALU_DEP_1)
	v_and_b32_e32 v39, 1, v33
	v_add_co_u32 v35, s11, v39, -1
	s_delay_alu instid0(VALU_DEP_1)
	v_cndmask_b32_e64 v33, 0, 1, s11
	s_lshr_b32 s8, s10, 16
	s_wait_alu 0xfffe
	v_mad_u32_u24 v34, v70, s8, v69
	s_and_b32 s8, s10, 0xffff
	v_cmp_ne_u32_e32 vcc_lo, 0, v33
	s_wait_alu 0xfffe
	s_delay_alu instid0(VALU_DEP_2) | instskip(SKIP_4) | instid1(VALU_DEP_3)
	v_mad_co_u64_u32 v[33:34], null, v34, s8, v[44:45]
	s_wait_alu 0xfffd
	v_xor_b32_e32 v34, vcc_lo, v35
	v_dual_mov_b32 v38, s27 :: v_dual_mov_b32 v35, s24
	v_dual_mov_b32 v37, s26 :: v_dual_mov_b32 v36, s25
	v_and_b32_e32 v34, exec_lo, v34
	v_lshrrev_b32_e32 v33, 3, v33
	ds_store_b128 v66, v[35:38] offset:64
	ds_store_b128 v66, v[35:38] offset:80
	v_mbcnt_lo_u32_b32 v78, v34, 0
	v_lshlrev_b32_e32 v35, 6, v39
	v_and_b32_e32 v33, 0x1ffffffc, v33
	v_cmp_ne_u32_e64 s8, 0, v34
	s_wait_loadcnt_dscnt 0x0
	v_cmp_eq_u32_e32 vcc_lo, 0, v78
	s_barrier_signal -1
	v_add_nc_u32_e32 v81, v33, v35
	s_barrier_wait -1
	global_inv scope:SCOPE_SE
	s_and_b32 s10, s8, vcc_lo
	; wave barrier
	s_wait_alu 0xfffe
	s_and_saveexec_b32 s8, s10
; %bb.31:
	v_bcnt_u32_b32 v34, v34, 0
	ds_store_b32 v81, v34 offset:64
; %bb.32:
	s_wait_alu 0xfffe
	s_or_b32 exec_lo, exec_lo, s8
	v_and_b32_e32 v34, s9, v71
	; wave barrier
	s_delay_alu instid0(VALU_DEP_1) | instskip(NEXT) | instid1(VALU_DEP_1)
	v_and_b32_e32 v34, 0xff, v34
	v_add_co_u32 v35, s8, v34, -1
	s_wait_alu 0xf1ff
	v_cndmask_b32_e64 v36, 0, 1, s8
	v_lshlrev_b32_e32 v34, 6, v34
	s_delay_alu instid0(VALU_DEP_2) | instskip(NEXT) | instid1(VALU_DEP_2)
	v_cmp_ne_u32_e32 vcc_lo, 0, v36
	v_add_nc_u32_e32 v84, v33, v34
	s_wait_alu 0xfffd
	v_xor_b32_e32 v34, vcc_lo, v35
	ds_load_b32 v79, v84 offset:64
	; wave barrier
	v_and_b32_e32 v34, exec_lo, v34
	s_delay_alu instid0(VALU_DEP_1) | instskip(SKIP_1) | instid1(VALU_DEP_2)
	v_mbcnt_lo_u32_b32 v80, v34, 0
	v_cmp_ne_u32_e64 s8, 0, v34
	v_cmp_eq_u32_e32 vcc_lo, 0, v80
	s_and_b32 s10, s8, vcc_lo
	s_wait_alu 0xfffe
	s_and_saveexec_b32 s8, s10
	s_cbranch_execz .LBB260_34
; %bb.33:
	s_wait_dscnt 0x0
	v_bcnt_u32_b32 v34, v34, v79
	ds_store_b32 v84, v34 offset:64
.LBB260_34:
	s_wait_alu 0xfffe
	s_or_b32 exec_lo, exec_lo, s8
	v_and_b32_e32 v34, s9, v72
	; wave barrier
	s_delay_alu instid0(VALU_DEP_1) | instskip(NEXT) | instid1(VALU_DEP_1)
	v_and_b32_e32 v34, 0xff, v34
	v_add_co_u32 v35, s8, v34, -1
	s_wait_alu 0xf1ff
	v_cndmask_b32_e64 v36, 0, 1, s8
	v_lshlrev_b32_e32 v34, 6, v34
	s_delay_alu instid0(VALU_DEP_2) | instskip(NEXT) | instid1(VALU_DEP_2)
	v_cmp_ne_u32_e32 vcc_lo, 0, v36
	v_add_nc_u32_e32 v87, v33, v34
	s_wait_alu 0xfffd
	v_xor_b32_e32 v34, vcc_lo, v35
	ds_load_b32 v82, v87 offset:64
	; wave barrier
	v_and_b32_e32 v34, exec_lo, v34
	s_delay_alu instid0(VALU_DEP_1) | instskip(SKIP_1) | instid1(VALU_DEP_2)
	v_mbcnt_lo_u32_b32 v83, v34, 0
	v_cmp_ne_u32_e64 s8, 0, v34
	v_cmp_eq_u32_e32 vcc_lo, 0, v83
	s_and_b32 s10, s8, vcc_lo
	s_wait_alu 0xfffe
	s_and_saveexec_b32 s8, s10
	s_cbranch_execz .LBB260_36
; %bb.35:
	s_wait_dscnt 0x0
	v_bcnt_u32_b32 v34, v34, v82
	ds_store_b32 v87, v34 offset:64
.LBB260_36:
	;; [unrolled: 31-line block ×7, first 2 shown]
	s_wait_alu 0xfffe
	s_or_b32 exec_lo, exec_lo, s8
	; wave barrier
	s_wait_loadcnt_dscnt 0x0
	s_barrier_signal -1
	s_barrier_wait -1
	global_inv scope:SCOPE_SE
	ds_load_b128 v[37:40], v66 offset:64
	ds_load_b128 v[33:36], v66 offset:80
	v_min_u32_e32 v103, 0x1e0, v68
	s_mov_b32 s15, exec_lo
	s_wait_dscnt 0x1
	v_add_nc_u32_e32 v101, v38, v37
	s_delay_alu instid0(VALU_DEP_1) | instskip(SKIP_1) | instid1(VALU_DEP_1)
	v_add3_u32 v101, v101, v39, v40
	s_wait_dscnt 0x0
	v_add3_u32 v101, v101, v33, v34
	s_delay_alu instid0(VALU_DEP_1) | instskip(SKIP_1) | instid1(VALU_DEP_2)
	v_add3_u32 v36, v101, v35, v36
	v_and_b32_e32 v101, 15, v67
	v_mov_b32_dpp v102, v36 row_shr:1 row_mask:0xf bank_mask:0xf
	s_delay_alu instid0(VALU_DEP_2)
	v_cmp_eq_u32_e32 vcc_lo, 0, v101
	v_cmp_lt_u32_e64 s8, 1, v101
	v_cmp_lt_u32_e64 s9, 3, v101
	;; [unrolled: 1-line block ×3, first 2 shown]
	s_wait_alu 0xfffd
	v_cndmask_b32_e64 v102, v102, 0, vcc_lo
	s_delay_alu instid0(VALU_DEP_1) | instskip(NEXT) | instid1(VALU_DEP_1)
	v_add_nc_u32_e32 v36, v102, v36
	v_mov_b32_dpp v102, v36 row_shr:2 row_mask:0xf bank_mask:0xf
	s_wait_alu 0xf1ff
	s_delay_alu instid0(VALU_DEP_1) | instskip(NEXT) | instid1(VALU_DEP_1)
	v_cndmask_b32_e64 v102, 0, v102, s8
	v_add_nc_u32_e32 v36, v36, v102
	s_delay_alu instid0(VALU_DEP_1) | instskip(NEXT) | instid1(VALU_DEP_1)
	v_mov_b32_dpp v102, v36 row_shr:4 row_mask:0xf bank_mask:0xf
	v_cndmask_b32_e64 v102, 0, v102, s9
	s_delay_alu instid0(VALU_DEP_1) | instskip(NEXT) | instid1(VALU_DEP_1)
	v_add_nc_u32_e32 v36, v36, v102
	v_mov_b32_dpp v102, v36 row_shr:8 row_mask:0xf bank_mask:0xf
	s_delay_alu instid0(VALU_DEP_1) | instskip(SKIP_1) | instid1(VALU_DEP_2)
	v_cndmask_b32_e64 v101, 0, v102, s10
	v_bfe_i32 v102, v67, 4, 1
	v_add_nc_u32_e32 v36, v36, v101
	ds_swizzle_b32 v101, v36 offset:swizzle(BROADCAST,32,15)
	s_wait_dscnt 0x0
	v_and_b32_e32 v101, v102, v101
	v_or_b32_e32 v102, 31, v103
	s_delay_alu instid0(VALU_DEP_2) | instskip(NEXT) | instid1(VALU_DEP_2)
	v_add_nc_u32_e32 v36, v36, v101
	v_cmpx_eq_u32_e64 v44, v102
; %bb.47:
	v_lshlrev_b32_e32 v101, 2, v65
	ds_store_b32 v101, v36
; %bb.48:
	s_wait_alu 0xfffe
	s_or_b32 exec_lo, exec_lo, s15
	s_delay_alu instid0(SALU_CYCLE_1)
	s_mov_b32 s15, exec_lo
	s_wait_loadcnt_dscnt 0x0
	s_barrier_signal -1
	s_barrier_wait -1
	global_inv scope:SCOPE_SE
	v_cmpx_gt_u32_e32 16, v44
	s_cbranch_execz .LBB260_50
; %bb.49:
	v_lshlrev_b32_e32 v101, 2, v44
	ds_load_b32 v102, v101
	s_wait_dscnt 0x0
	v_mov_b32_dpp v103, v102 row_shr:1 row_mask:0xf bank_mask:0xf
	s_delay_alu instid0(VALU_DEP_1) | instskip(NEXT) | instid1(VALU_DEP_1)
	v_cndmask_b32_e64 v103, v103, 0, vcc_lo
	v_add_nc_u32_e32 v102, v103, v102
	s_delay_alu instid0(VALU_DEP_1) | instskip(NEXT) | instid1(VALU_DEP_1)
	v_mov_b32_dpp v103, v102 row_shr:2 row_mask:0xf bank_mask:0xf
	v_cndmask_b32_e64 v103, 0, v103, s8
	s_delay_alu instid0(VALU_DEP_1) | instskip(NEXT) | instid1(VALU_DEP_1)
	v_add_nc_u32_e32 v102, v102, v103
	v_mov_b32_dpp v103, v102 row_shr:4 row_mask:0xf bank_mask:0xf
	s_delay_alu instid0(VALU_DEP_1) | instskip(NEXT) | instid1(VALU_DEP_1)
	v_cndmask_b32_e64 v103, 0, v103, s9
	v_add_nc_u32_e32 v102, v102, v103
	s_delay_alu instid0(VALU_DEP_1) | instskip(NEXT) | instid1(VALU_DEP_1)
	v_mov_b32_dpp v103, v102 row_shr:8 row_mask:0xf bank_mask:0xf
	v_cndmask_b32_e64 v103, 0, v103, s10
	s_delay_alu instid0(VALU_DEP_1)
	v_add_nc_u32_e32 v102, v102, v103
	ds_store_b32 v101, v102
.LBB260_50:
	s_wait_alu 0xfffe
	s_or_b32 exec_lo, exec_lo, s15
	v_mov_b32_e32 v101, 0
	s_mov_b32 s8, exec_lo
	s_wait_loadcnt_dscnt 0x0
	s_barrier_signal -1
	s_barrier_wait -1
	global_inv scope:SCOPE_SE
	v_cmpx_lt_u32_e32 31, v44
; %bb.51:
	v_lshl_add_u32 v101, v65, 2, -4
	ds_load_b32 v101, v101
; %bb.52:
	s_wait_alu 0xfffe
	s_or_b32 exec_lo, exec_lo, s8
	v_sub_co_u32 v102, vcc_lo, v67, 1
	s_wait_dscnt 0x0
	v_add_nc_u32_e32 v36, v101, v36
	s_delay_alu instid0(VALU_DEP_2) | instskip(SKIP_1) | instid1(VALU_DEP_1)
	v_cmp_gt_i32_e64 s8, 0, v102
	s_wait_alu 0xf1ff
	v_cndmask_b32_e64 v102, v102, v67, s8
	s_delay_alu instid0(VALU_DEP_1)
	v_lshlrev_b32_e32 v102, 2, v102
	ds_bpermute_b32 v36, v102, v36
	s_wait_dscnt 0x0
	s_wait_alu 0xfffd
	v_cndmask_b32_e32 v36, v36, v101, vcc_lo
	v_cmp_ne_u32_e32 vcc_lo, 0, v44
	s_wait_alu 0xfffd
	s_delay_alu instid0(VALU_DEP_2) | instskip(NEXT) | instid1(VALU_DEP_1)
	v_cndmask_b32_e32 v36, 0, v36, vcc_lo
	v_add_nc_u32_e32 v37, v36, v37
	s_delay_alu instid0(VALU_DEP_1) | instskip(NEXT) | instid1(VALU_DEP_1)
	v_add_nc_u32_e32 v38, v37, v38
	v_add_nc_u32_e32 v39, v38, v39
	s_delay_alu instid0(VALU_DEP_1) | instskip(NEXT) | instid1(VALU_DEP_1)
	v_add_nc_u32_e32 v101, v39, v40
	;; [unrolled: 3-line block ×3, first 2 shown]
	v_add_nc_u32_e32 v104, v103, v35
	ds_store_b128 v66, v[36:39] offset:64
	ds_store_b128 v66, v[101:104] offset:80
	s_wait_loadcnt_dscnt 0x0
	s_barrier_signal -1
	s_barrier_wait -1
	global_inv scope:SCOPE_SE
	ds_load_b32 v33, v81 offset:64
	ds_load_b32 v34, v84 offset:64
	;; [unrolled: 1-line block ×8, first 2 shown]
	v_mad_u32_u24 v81, v44, 56, v61
	s_wait_loadcnt_dscnt 0x0
	s_barrier_signal -1
	s_barrier_wait -1
	global_inv scope:SCOPE_SE
	v_add_nc_u32_e32 v78, v33, v78
	v_add3_u32 v79, v80, v79, v34
	v_add3_u32 v35, v83, v82, v35
	;; [unrolled: 1-line block ×7, first 2 shown]
	ds_store_b8 v78, v0
	ds_store_b8 v79, v71
	ds_store_b8 v35, v72
	ds_store_b8 v36, v73
	ds_store_b8 v37, v74
	ds_store_b8 v38, v75
	ds_store_b8 v39, v76
	ds_store_b8 v40, v77
	v_lshlrev_b32_e32 v0, 3, v78
	v_lshlrev_b32_e32 v71, 3, v79
	;; [unrolled: 1-line block ×5, first 2 shown]
	s_wait_loadcnt_dscnt 0x0
	s_barrier_signal -1
	s_barrier_wait -1
	global_inv scope:SCOPE_SE
	ds_load_b64 v[33:34], v61
	s_wait_loadcnt_dscnt 0x0
	s_barrier_signal -1
	s_barrier_wait -1
	global_inv scope:SCOPE_SE
	v_lshlrev_b32_e32 v38, 3, v38
	v_lshlrev_b32_e32 v39, 3, v39
	;; [unrolled: 1-line block ×3, first 2 shown]
	ds_store_b64 v0, v[29:30]
	ds_store_b64 v71, v[31:32]
	;; [unrolled: 1-line block ×8, first 2 shown]
	s_wait_loadcnt_dscnt 0x0
	s_barrier_signal -1
	s_barrier_wait -1
	global_inv scope:SCOPE_SE
	ds_load_b128 v[29:32], v81
	ds_load_b128 v[25:28], v81 offset:16
	ds_load_b128 v[21:24], v81 offset:32
	;; [unrolled: 1-line block ×3, first 2 shown]
	s_branch .LBB260_84
.LBB260_53:
	v_lshlrev_b64_e32 v[1:2], 3, v[41:42]
	v_dual_mov_b32 v43, v42 :: v_dual_mov_b32 v10, v42
	v_dual_mov_b32 v9, v42 :: v_dual_mov_b32 v12, v42
	v_mov_b32_e32 v11, v42
	s_wait_alu 0xfffe
	s_delay_alu instid0(VALU_DEP_4) | instskip(NEXT) | instid1(VALU_DEP_1)
	v_add_co_u32 v1, vcc_lo, s12, v1
	v_add_co_ci_u32_e64 v2, null, s13, v2, vcc_lo
	v_dual_mov_b32 v3, v42 :: v_dual_mov_b32 v6, v42
	v_dual_mov_b32 v5, v42 :: v_dual_mov_b32 v8, v42
	global_load_b64 v[13:14], v[1:2], off
	v_dual_mov_b32 v1, v42 :: v_dual_mov_b32 v4, v42
	v_dual_mov_b32 v2, v42 :: v_dual_mov_b32 v7, v42
	s_or_b32 exec_lo, exec_lo, s9
	s_and_saveexec_b32 s9, s1
	s_cbranch_execz .LBB260_22
.LBB260_54:
	v_mul_lo_u32 v30, s16, v28
	v_mov_b32_e32 v31, 0
	s_delay_alu instid0(VALU_DEP_1) | instskip(NEXT) | instid1(VALU_DEP_1)
	v_lshlrev_b64_e32 v[30:31], 3, v[30:31]
	v_add_co_u32 v30, vcc_lo, s12, v30
	s_wait_alu 0xfffd
	s_delay_alu instid0(VALU_DEP_2)
	v_add_co_ci_u32_e64 v31, null, s13, v31, vcc_lo
	global_load_b64 v[42:43], v[30:31], off
	s_wait_alu 0xfffe
	s_or_b32 exec_lo, exec_lo, s9
	s_and_saveexec_b32 s9, s2
	s_cbranch_execz .LBB260_23
.LBB260_55:
	v_mul_lo_u32 v9, s16, v24
	v_mov_b32_e32 v10, 0
	s_delay_alu instid0(VALU_DEP_1) | instskip(NEXT) | instid1(VALU_DEP_1)
	v_lshlrev_b64_e32 v[9:10], 3, v[9:10]
	v_add_co_u32 v9, vcc_lo, s12, v9
	s_wait_alu 0xfffd
	s_delay_alu instid0(VALU_DEP_2)
	v_add_co_ci_u32_e64 v10, null, s13, v10, vcc_lo
	global_load_b64 v[9:10], v[9:10], off
	s_wait_alu 0xfffe
	s_or_b32 exec_lo, exec_lo, s9
	s_and_saveexec_b32 s9, s3
	s_cbranch_execz .LBB260_24
.LBB260_56:
	v_mul_lo_u32 v11, s16, v21
	v_mov_b32_e32 v12, 0
	s_delay_alu instid0(VALU_DEP_1) | instskip(NEXT) | instid1(VALU_DEP_1)
	v_lshlrev_b64_e32 v[11:12], 3, v[11:12]
	v_add_co_u32 v11, vcc_lo, s12, v11
	s_wait_alu 0xfffd
	s_delay_alu instid0(VALU_DEP_2)
	v_add_co_ci_u32_e64 v12, null, s13, v12, vcc_lo
	global_load_b64 v[11:12], v[11:12], off
	s_wait_alu 0xfffe
	s_or_b32 exec_lo, exec_lo, s9
	s_and_saveexec_b32 s9, s4
	s_cbranch_execz .LBB260_25
.LBB260_57:
	v_mul_lo_u32 v1, s16, v19
	v_mov_b32_e32 v2, 0
	s_delay_alu instid0(VALU_DEP_1) | instskip(NEXT) | instid1(VALU_DEP_1)
	v_lshlrev_b64_e32 v[1:2], 3, v[1:2]
	v_add_co_u32 v1, vcc_lo, s12, v1
	s_wait_alu 0xfffd
	s_delay_alu instid0(VALU_DEP_2)
	v_add_co_ci_u32_e64 v2, null, s13, v2, vcc_lo
	global_load_b64 v[1:2], v[1:2], off
	s_wait_alu 0xfffe
	s_or_b32 exec_lo, exec_lo, s9
	s_and_saveexec_b32 s9, s5
	s_cbranch_execz .LBB260_26
.LBB260_58:
	v_mul_lo_u32 v3, s16, v17
	v_mov_b32_e32 v4, 0
	s_delay_alu instid0(VALU_DEP_1) | instskip(NEXT) | instid1(VALU_DEP_1)
	v_lshlrev_b64_e32 v[3:4], 3, v[3:4]
	v_add_co_u32 v3, vcc_lo, s12, v3
	s_wait_alu 0xfffd
	s_delay_alu instid0(VALU_DEP_2)
	v_add_co_ci_u32_e64 v4, null, s13, v4, vcc_lo
	global_load_b64 v[3:4], v[3:4], off
	s_wait_alu 0xfffe
	s_or_b32 exec_lo, exec_lo, s9
	s_and_saveexec_b32 s9, s6
	s_cbranch_execz .LBB260_27
.LBB260_59:
	v_mul_lo_u32 v5, s16, v16
	v_mov_b32_e32 v6, 0
	s_delay_alu instid0(VALU_DEP_1) | instskip(NEXT) | instid1(VALU_DEP_1)
	v_lshlrev_b64_e32 v[5:6], 3, v[5:6]
	v_add_co_u32 v5, vcc_lo, s12, v5
	s_wait_alu 0xfffd
	s_delay_alu instid0(VALU_DEP_2)
	v_add_co_ci_u32_e64 v6, null, s13, v6, vcc_lo
	global_load_b64 v[5:6], v[5:6], off
	s_wait_alu 0xfffe
	s_or_b32 exec_lo, exec_lo, s9
	s_and_saveexec_b32 s9, s7
	s_cbranch_execnz .LBB260_28
	s_branch .LBB260_29
.LBB260_60:
                                        ; implicit-def: $vgpr19_vgpr20
                                        ; implicit-def: $vgpr23_vgpr24
                                        ; implicit-def: $vgpr27_vgpr28
                                        ; implicit-def: $vgpr31_vgpr32
                                        ; implicit-def: $vgpr34
	s_cbranch_execz .LBB260_84
; %bb.61:
	v_lshrrev_b16 v0, 8, v45
	s_wait_dscnt 0x0
	v_lshrrev_b32_e32 v17, 24, v45
	v_lshrrev_b32_e32 v18, 16, v45
	v_lshrrev_b32_e32 v19, 24, v46
	v_lshrrev_b16 v21, 8, v46
	v_and_b32_e32 v0, 1, v0
	v_and_b32_e32 v17, 1, v17
	;; [unrolled: 1-line block ×3, first 2 shown]
	v_lshrrev_b32_e32 v20, 16, v46
	v_and_b32_e32 v19, 1, v19
	v_cmp_eq_u32_e32 vcc_lo, 1, v0
	v_cmp_ne_u32_e64 s8, 1, v17
	v_and_b32_e32 v0, 1, v18
	v_and_b32_e32 v18, 1, v21
	v_and_b32_e32 v20, 1, v20
	v_and_b32_e32 v23, 1, v46
	s_wait_alu 0xf1ff
	v_cndmask_b32_e64 v17, 0, 1, s8
	s_xor_b32 s8, vcc_lo, -1
	v_cmp_ne_u32_e32 vcc_lo, 1, v0
	s_wait_alu 0xfffe
	v_cndmask_b32_e64 v21, 0, 1, s8
	v_cmp_ne_u32_e64 s8, 1, v22
	v_lshlrev_b16 v17, 8, v17
	s_wait_alu 0xfffd
	v_cndmask_b32_e64 v0, 0, 1, vcc_lo
	v_cmp_eq_u32_e32 vcc_lo, 1, v18
	s_wait_alu 0xf1ff
	v_cndmask_b32_e64 v18, 0, 1, s8
	v_cmp_ne_u32_e64 s8, 1, v19
	v_lshlrev_b16 v21, 8, v21
	v_or_b32_e32 v0, v0, v17
	s_wait_alu 0xf1ff
	s_delay_alu instid0(VALU_DEP_3)
	v_cndmask_b32_e64 v19, 0, 1, s8
	s_xor_b32 s8, vcc_lo, -1
	v_cmp_ne_u32_e32 vcc_lo, 1, v20
	s_wait_alu 0xfffe
	v_cndmask_b32_e64 v22, 0, 1, s8
	v_or_b32_e32 v17, v18, v21
	v_lshlrev_b16 v19, 8, v19
	s_getpc_b64 s[8:9]
	s_wait_alu 0xfffe
	s_sext_i32_i16 s9, s9
	s_add_co_u32 s8, s8, _ZN7rocprim17ROCPRIM_400000_NS16block_radix_sortIbLj512ELj8ElLj1ELj1ELj0ELNS0_26block_radix_rank_algorithmE1ELNS0_18block_padding_hintE2ELNS0_4arch9wavefront6targetE0EE19radix_bits_per_passE@rel32@lo+12
	s_wait_alu 0xfffe
	s_add_co_ci_u32 s9, s9, _ZN7rocprim17ROCPRIM_400000_NS16block_radix_sortIbLj512ELj8ElLj1ELj1ELj0ELNS0_26block_radix_rank_algorithmE1ELNS0_18block_padding_hintE2ELNS0_4arch9wavefront6targetE0EE19radix_bits_per_passE@rel32@hi+24
	s_wait_alu 0xfffd
	v_cndmask_b32_e64 v20, 0, 1, vcc_lo
	v_cmp_ne_u32_e32 vcc_lo, 1, v23
	v_lshlrev_b16 v22, 8, v22
	s_load_b32 s8, s[8:9], 0x0
	v_lshlrev_b32_e32 v0, 16, v0
	v_or_b32_e32 v18, v20, v19
	v_cndmask_b32_e64 v23, 0, 1, vcc_lo
	v_or_b32_e32 v20, v67, v68
	v_and_b32_e32 v17, 0xffff, v17
	s_delay_alu instid0(VALU_DEP_4) | instskip(NEXT) | instid1(VALU_DEP_4)
	v_lshlrev_b32_e32 v18, 16, v18
	v_or_b32_e32 v19, v23, v22
	s_delay_alu instid0(VALU_DEP_4) | instskip(NEXT) | instid1(VALU_DEP_4)
	v_lshlrev_b32_e32 v21, 3, v20
	v_or_b32_e32 v17, v17, v0
	v_and_or_b32 v0, 0x1f00, v61, v67
	s_delay_alu instid0(VALU_DEP_4) | instskip(NEXT) | instid1(VALU_DEP_1)
	v_and_b32_e32 v19, 0xffff, v19
	v_or_b32_e32 v18, v19, v18
	s_wait_kmcnt 0x0
	s_min_u32 s8, s8, 8
	s_wait_alu 0xfffe
	s_lshl_b32 s8, -1, s8
	ds_store_b64 v21, v[17:18]
	; wave barrier
	ds_load_u8 v24, v0
	ds_load_u8 v25, v0 offset:32
	ds_load_u8 v26, v0 offset:64
	;; [unrolled: 1-line block ×7, first 2 shown]
	v_mad_u32_u24 v17, v20, 56, v21
	v_mad_u32_u24 v0, v0, 7, v0
	s_wait_loadcnt_dscnt 0x0
	s_barrier_signal -1
	s_barrier_wait -1
	global_inv scope:SCOPE_SE
	ds_store_b128 v17, v[13:16]
	ds_store_b128 v17, v[9:12] offset:16
	ds_store_b128 v17, v[5:8] offset:32
	;; [unrolled: 1-line block ×3, first 2 shown]
	; wave barrier
	ds_load_2addr_b64 v[12:15], v0 offset1:32
	ds_load_2addr_b64 v[8:11], v0 offset0:64 offset1:96
	ds_load_2addr_b64 v[4:7], v0 offset0:128 offset1:160
	;; [unrolled: 1-line block ×3, first 2 shown]
	s_wait_loadcnt_dscnt 0x0
	s_barrier_signal -1
	s_barrier_wait -1
	global_inv scope:SCOPE_SE
	s_load_b32 s10, s[20:21], 0xc
	s_not_b32 s9, s8
	s_mov_b32 s20, 0
	s_wait_alu 0xfffe
	v_and_b32_e32 v16, s9, v24
	s_mov_b32 s21, s20
	s_mov_b32 s22, s20
	;; [unrolled: 1-line block ×3, first 2 shown]
	s_delay_alu instid0(VALU_DEP_1) | instskip(NEXT) | instid1(VALU_DEP_1)
	v_and_b32_e32 v22, 1, v16
	v_add_co_u32 v18, s11, v22, -1
	s_delay_alu instid0(VALU_DEP_1) | instskip(SKIP_2) | instid1(VALU_DEP_1)
	v_cndmask_b32_e64 v16, 0, 1, s11
	s_wait_kmcnt 0x0
	s_lshr_b32 s8, s10, 16
	v_cmp_ne_u32_e32 vcc_lo, 0, v16
	s_wait_alu 0xfffe
	v_mad_u32_u24 v17, v70, s8, v69
	s_and_b32 s8, s10, 0xffff
	s_wait_alu 0xfffe
	s_delay_alu instid0(VALU_DEP_1) | instskip(SKIP_4) | instid1(VALU_DEP_3)
	v_mad_co_u64_u32 v[16:17], null, v17, s8, v[44:45]
	s_wait_alu 0xfffd
	v_xor_b32_e32 v17, vcc_lo, v18
	v_dual_mov_b32 v18, s20 :: v_dual_mov_b32 v19, s21
	v_dual_mov_b32 v20, s22 :: v_dual_mov_b32 v21, s23
	v_and_b32_e32 v17, exec_lo, v17
	v_lshrrev_b32_e32 v16, 3, v16
	ds_store_b128 v66, v[18:21] offset:64
	ds_store_b128 v66, v[18:21] offset:80
	v_mbcnt_lo_u32_b32 v32, v17, 0
	v_and_b32_e32 v16, 0x1ffffffc, v16
	v_lshlrev_b32_e32 v18, 6, v22
	v_cmp_ne_u32_e64 s8, 0, v17
	s_wait_loadcnt_dscnt 0x0
	v_cmp_eq_u32_e32 vcc_lo, 0, v32
	s_barrier_signal -1
	v_add_nc_u32_e32 v35, v16, v18
	s_barrier_wait -1
	global_inv scope:SCOPE_SE
	s_and_b32 s10, s8, vcc_lo
	; wave barrier
	s_wait_alu 0xfffe
	s_and_saveexec_b32 s8, s10
; %bb.62:
	v_bcnt_u32_b32 v17, v17, 0
	ds_store_b32 v35, v17 offset:64
; %bb.63:
	s_wait_alu 0xfffe
	s_or_b32 exec_lo, exec_lo, s8
	v_and_b32_e32 v17, s9, v25
	; wave barrier
	s_delay_alu instid0(VALU_DEP_1) | instskip(NEXT) | instid1(VALU_DEP_1)
	v_and_b32_e32 v17, 0xff, v17
	v_add_co_u32 v18, s8, v17, -1
	s_wait_alu 0xf1ff
	v_cndmask_b32_e64 v19, 0, 1, s8
	v_lshlrev_b32_e32 v17, 6, v17
	s_delay_alu instid0(VALU_DEP_2) | instskip(NEXT) | instid1(VALU_DEP_2)
	v_cmp_ne_u32_e32 vcc_lo, 0, v19
	v_add_nc_u32_e32 v37, v16, v17
	s_wait_alu 0xfffd
	v_xor_b32_e32 v17, vcc_lo, v18
	ds_load_b32 v33, v37 offset:64
	; wave barrier
	v_and_b32_e32 v17, exec_lo, v17
	s_delay_alu instid0(VALU_DEP_1) | instskip(SKIP_1) | instid1(VALU_DEP_2)
	v_mbcnt_lo_u32_b32 v34, v17, 0
	v_cmp_ne_u32_e64 s8, 0, v17
	v_cmp_eq_u32_e32 vcc_lo, 0, v34
	s_and_b32 s10, s8, vcc_lo
	s_wait_alu 0xfffe
	s_and_saveexec_b32 s8, s10
	s_cbranch_execz .LBB260_65
; %bb.64:
	s_wait_dscnt 0x0
	v_bcnt_u32_b32 v17, v17, v33
	ds_store_b32 v37, v17 offset:64
.LBB260_65:
	s_wait_alu 0xfffe
	s_or_b32 exec_lo, exec_lo, s8
	v_and_b32_e32 v17, s9, v26
	; wave barrier
	s_delay_alu instid0(VALU_DEP_1) | instskip(NEXT) | instid1(VALU_DEP_1)
	v_and_b32_e32 v17, 0xff, v17
	v_add_co_u32 v18, s8, v17, -1
	s_wait_alu 0xf1ff
	v_cndmask_b32_e64 v19, 0, 1, s8
	v_lshlrev_b32_e32 v17, 6, v17
	s_delay_alu instid0(VALU_DEP_2) | instskip(NEXT) | instid1(VALU_DEP_2)
	v_cmp_ne_u32_e32 vcc_lo, 0, v19
	v_add_nc_u32_e32 v39, v16, v17
	s_wait_alu 0xfffd
	v_xor_b32_e32 v17, vcc_lo, v18
	ds_load_b32 v36, v39 offset:64
	; wave barrier
	v_and_b32_e32 v17, exec_lo, v17
	s_delay_alu instid0(VALU_DEP_1) | instskip(SKIP_1) | instid1(VALU_DEP_2)
	v_mbcnt_lo_u32_b32 v38, v17, 0
	v_cmp_ne_u32_e64 s8, 0, v17
	v_cmp_eq_u32_e32 vcc_lo, 0, v38
	s_and_b32 s10, s8, vcc_lo
	s_wait_alu 0xfffe
	s_and_saveexec_b32 s8, s10
	s_cbranch_execz .LBB260_67
; %bb.66:
	s_wait_dscnt 0x0
	v_bcnt_u32_b32 v17, v17, v36
	ds_store_b32 v39, v17 offset:64
.LBB260_67:
	;; [unrolled: 31-line block ×7, first 2 shown]
	s_wait_alu 0xfffe
	s_or_b32 exec_lo, exec_lo, s8
	; wave barrier
	s_wait_loadcnt_dscnt 0x0
	s_barrier_signal -1
	s_barrier_wait -1
	global_inv scope:SCOPE_SE
	ds_load_b128 v[20:23], v66 offset:64
	ds_load_b128 v[16:19], v66 offset:80
	v_min_u32_e32 v68, 0x1e0, v68
	s_mov_b32 s15, exec_lo
	s_delay_alu instid0(VALU_DEP_1) | instskip(SKIP_2) | instid1(VALU_DEP_1)
	v_or_b32_e32 v68, 31, v68
	s_wait_dscnt 0x1
	v_add_nc_u32_e32 v81, v21, v20
	v_add3_u32 v81, v81, v22, v23
	s_wait_dscnt 0x0
	s_delay_alu instid0(VALU_DEP_1) | instskip(NEXT) | instid1(VALU_DEP_1)
	v_add3_u32 v81, v81, v16, v17
	v_add3_u32 v19, v81, v18, v19
	v_and_b32_e32 v81, 15, v67
	s_delay_alu instid0(VALU_DEP_2) | instskip(NEXT) | instid1(VALU_DEP_2)
	v_mov_b32_dpp v82, v19 row_shr:1 row_mask:0xf bank_mask:0xf
	v_cmp_eq_u32_e32 vcc_lo, 0, v81
	v_cmp_lt_u32_e64 s8, 1, v81
	v_cmp_lt_u32_e64 s9, 3, v81
	;; [unrolled: 1-line block ×3, first 2 shown]
	s_wait_alu 0xfffd
	v_cndmask_b32_e64 v82, v82, 0, vcc_lo
	s_delay_alu instid0(VALU_DEP_1) | instskip(NEXT) | instid1(VALU_DEP_1)
	v_add_nc_u32_e32 v19, v82, v19
	v_mov_b32_dpp v82, v19 row_shr:2 row_mask:0xf bank_mask:0xf
	s_wait_alu 0xf1ff
	s_delay_alu instid0(VALU_DEP_1) | instskip(NEXT) | instid1(VALU_DEP_1)
	v_cndmask_b32_e64 v82, 0, v82, s8
	v_add_nc_u32_e32 v19, v19, v82
	s_delay_alu instid0(VALU_DEP_1) | instskip(NEXT) | instid1(VALU_DEP_1)
	v_mov_b32_dpp v82, v19 row_shr:4 row_mask:0xf bank_mask:0xf
	v_cndmask_b32_e64 v82, 0, v82, s9
	s_delay_alu instid0(VALU_DEP_1) | instskip(NEXT) | instid1(VALU_DEP_1)
	v_add_nc_u32_e32 v19, v19, v82
	v_mov_b32_dpp v82, v19 row_shr:8 row_mask:0xf bank_mask:0xf
	s_delay_alu instid0(VALU_DEP_1) | instskip(SKIP_1) | instid1(VALU_DEP_2)
	v_cndmask_b32_e64 v81, 0, v82, s10
	v_bfe_i32 v82, v67, 4, 1
	v_add_nc_u32_e32 v19, v19, v81
	ds_swizzle_b32 v81, v19 offset:swizzle(BROADCAST,32,15)
	s_wait_dscnt 0x0
	v_and_b32_e32 v81, v82, v81
	s_delay_alu instid0(VALU_DEP_1)
	v_add_nc_u32_e32 v19, v19, v81
	v_cmpx_eq_u32_e64 v44, v68
; %bb.78:
	v_lshlrev_b32_e32 v68, 2, v65
	ds_store_b32 v68, v19
; %bb.79:
	s_wait_alu 0xfffe
	s_or_b32 exec_lo, exec_lo, s15
	s_delay_alu instid0(SALU_CYCLE_1)
	s_mov_b32 s15, exec_lo
	s_wait_loadcnt_dscnt 0x0
	s_barrier_signal -1
	s_barrier_wait -1
	global_inv scope:SCOPE_SE
	v_cmpx_gt_u32_e32 16, v44
	s_cbranch_execz .LBB260_81
; %bb.80:
	v_lshlrev_b32_e32 v68, 2, v44
	ds_load_b32 v81, v68
	s_wait_dscnt 0x0
	v_mov_b32_dpp v82, v81 row_shr:1 row_mask:0xf bank_mask:0xf
	s_delay_alu instid0(VALU_DEP_1) | instskip(NEXT) | instid1(VALU_DEP_1)
	v_cndmask_b32_e64 v82, v82, 0, vcc_lo
	v_add_nc_u32_e32 v81, v82, v81
	s_delay_alu instid0(VALU_DEP_1) | instskip(NEXT) | instid1(VALU_DEP_1)
	v_mov_b32_dpp v82, v81 row_shr:2 row_mask:0xf bank_mask:0xf
	v_cndmask_b32_e64 v82, 0, v82, s8
	s_delay_alu instid0(VALU_DEP_1) | instskip(NEXT) | instid1(VALU_DEP_1)
	v_add_nc_u32_e32 v81, v81, v82
	v_mov_b32_dpp v82, v81 row_shr:4 row_mask:0xf bank_mask:0xf
	s_delay_alu instid0(VALU_DEP_1) | instskip(NEXT) | instid1(VALU_DEP_1)
	v_cndmask_b32_e64 v82, 0, v82, s9
	v_add_nc_u32_e32 v81, v81, v82
	s_delay_alu instid0(VALU_DEP_1) | instskip(NEXT) | instid1(VALU_DEP_1)
	v_mov_b32_dpp v82, v81 row_shr:8 row_mask:0xf bank_mask:0xf
	v_cndmask_b32_e64 v82, 0, v82, s10
	s_delay_alu instid0(VALU_DEP_1)
	v_add_nc_u32_e32 v81, v81, v82
	ds_store_b32 v68, v81
.LBB260_81:
	s_wait_alu 0xfffe
	s_or_b32 exec_lo, exec_lo, s15
	v_mov_b32_e32 v68, 0
	s_mov_b32 s8, exec_lo
	s_wait_loadcnt_dscnt 0x0
	s_barrier_signal -1
	s_barrier_wait -1
	global_inv scope:SCOPE_SE
	v_cmpx_lt_u32_e32 31, v44
; %bb.82:
	v_lshl_add_u32 v65, v65, 2, -4
	ds_load_b32 v68, v65
; %bb.83:
	s_wait_alu 0xfffe
	s_or_b32 exec_lo, exec_lo, s8
	v_sub_co_u32 v65, vcc_lo, v67, 1
	s_wait_dscnt 0x0
	v_add_nc_u32_e32 v19, v68, v19
	s_delay_alu instid0(VALU_DEP_2) | instskip(SKIP_1) | instid1(VALU_DEP_1)
	v_cmp_gt_i32_e64 s8, 0, v65
	s_wait_alu 0xf1ff
	v_cndmask_b32_e64 v65, v65, v67, s8
	s_delay_alu instid0(VALU_DEP_1)
	v_lshlrev_b32_e32 v65, 2, v65
	ds_bpermute_b32 v19, v65, v19
	s_wait_dscnt 0x0
	s_wait_alu 0xfffd
	v_cndmask_b32_e32 v19, v19, v68, vcc_lo
	v_cmp_ne_u32_e32 vcc_lo, 0, v44
	s_wait_alu 0xfffd
	s_delay_alu instid0(VALU_DEP_2) | instskip(NEXT) | instid1(VALU_DEP_1)
	v_cndmask_b32_e32 v19, 0, v19, vcc_lo
	v_add_nc_u32_e32 v20, v19, v20
	s_delay_alu instid0(VALU_DEP_1) | instskip(NEXT) | instid1(VALU_DEP_1)
	v_add_nc_u32_e32 v21, v20, v21
	v_add_nc_u32_e32 v22, v21, v22
	s_delay_alu instid0(VALU_DEP_1) | instskip(NEXT) | instid1(VALU_DEP_1)
	v_add_nc_u32_e32 v81, v22, v23
	v_add_nc_u32_e32 v82, v81, v16
	s_delay_alu instid0(VALU_DEP_1) | instskip(NEXT) | instid1(VALU_DEP_1)
	v_add_nc_u32_e32 v83, v82, v17
	v_add_nc_u32_e32 v84, v83, v18
	ds_store_b128 v66, v[19:22] offset:64
	ds_store_b128 v66, v[81:84] offset:80
	s_wait_loadcnt_dscnt 0x0
	s_barrier_signal -1
	s_barrier_wait -1
	global_inv scope:SCOPE_SE
	ds_load_b32 v16, v35 offset:64
	ds_load_b32 v17, v37 offset:64
	;; [unrolled: 1-line block ×8, first 2 shown]
	s_wait_loadcnt_dscnt 0x0
	s_barrier_signal -1
	s_barrier_wait -1
	global_inv scope:SCOPE_SE
	v_mad_u32_u24 v35, v44, 56, v61
	v_add_nc_u32_e32 v16, v16, v32
	v_add3_u32 v17, v34, v33, v17
	v_add3_u32 v18, v38, v36, v18
	;; [unrolled: 1-line block ×7, first 2 shown]
	ds_store_b8 v16, v24
	ds_store_b8 v17, v25
	;; [unrolled: 1-line block ×8, first 2 shown]
	s_wait_loadcnt_dscnt 0x0
	s_barrier_signal -1
	s_barrier_wait -1
	global_inv scope:SCOPE_SE
	ds_load_b64 v[33:34], v61
	v_lshlrev_b32_e32 v16, 3, v16
	v_lshlrev_b32_e32 v17, 3, v17
	;; [unrolled: 1-line block ×8, first 2 shown]
	s_wait_loadcnt_dscnt 0x0
	s_barrier_signal -1
	s_barrier_wait -1
	global_inv scope:SCOPE_SE
	ds_store_b64 v16, v[12:13]
	ds_store_b64 v17, v[14:15]
	ds_store_b64 v18, v[8:9]
	ds_store_b64 v19, v[10:11]
	ds_store_b64 v20, v[4:5]
	ds_store_b64 v21, v[6:7]
	ds_store_b64 v22, v[0:1]
	ds_store_b64 v23, v[2:3]
	s_wait_loadcnt_dscnt 0x0
	s_barrier_signal -1
	s_barrier_wait -1
	global_inv scope:SCOPE_SE
	ds_load_b128 v[29:32], v35
	ds_load_b128 v[25:28], v35 offset:16
	ds_load_b128 v[21:24], v35 offset:32
	;; [unrolled: 1-line block ×3, first 2 shown]
	v_lshrrev_b32_e32 v0, 16, v33
	v_lshrrev_b32_e32 v3, 16, v34
	v_and_b32_e32 v1, 0xffffff00, v33
	v_xor_b32_e32 v2, 1, v33
	v_and_b32_e32 v4, 0xffffff00, v34
	v_xor_b32_e32 v5, 1, v34
	;; [unrolled: 2-line block ×4, first 2 shown]
	v_xor_b32_e32 v1, 0x100, v1
	v_and_b32_e32 v2, 0xff, v2
	v_xor_b32_e32 v4, 0x100, v4
	v_and_b32_e32 v5, 0xff, v5
	;; [unrolled: 2-line block ×4, first 2 shown]
	v_or_b32_e32 v1, v2, v1
	v_or_b32_e32 v2, v5, v4
	;; [unrolled: 1-line block ×3, first 2 shown]
	s_delay_alu instid0(VALU_DEP_4) | instskip(NEXT) | instid1(VALU_DEP_4)
	v_or_b32_e32 v3, v3, v7
	v_and_b32_e32 v1, 0xffff, v1
	s_delay_alu instid0(VALU_DEP_4) | instskip(NEXT) | instid1(VALU_DEP_4)
	v_and_b32_e32 v2, 0xffff, v2
	v_lshlrev_b32_e32 v0, 16, v0
	s_delay_alu instid0(VALU_DEP_4) | instskip(NEXT) | instid1(VALU_DEP_2)
	v_lshlrev_b32_e32 v3, 16, v3
	v_or_b32_e32 v33, v1, v0
	s_delay_alu instid0(VALU_DEP_2)
	v_or_b32_e32 v34, v2, v3
.LBB260_84:
	s_wait_loadcnt_dscnt 0x0
	s_barrier_signal -1
	s_barrier_wait -1
	global_inv scope:SCOPE_SE
	ds_store_2addr_b32 v56, v33, v34 offset1:1
	s_wait_loadcnt_dscnt 0x0
	s_barrier_signal -1
	s_barrier_wait -1
	global_inv scope:SCOPE_SE
	ds_load_u8 v8, v49 offset:512
	ds_load_u8 v7, v50 offset:1024
	ds_load_u8 v6, v51 offset:1536
	ds_load_u8 v5, v52 offset:2048
	ds_load_u8 v4, v53 offset:2560
	ds_load_u8 v3, v54 offset:3072
	ds_load_u8 v2, v55 offset:3584
	v_add_co_u32 v0, s8, s18, v47
	s_wait_alu 0xf1ff
	v_add_co_ci_u32_e64 v1, null, s19, 0, s8
	s_and_saveexec_b32 s8, s0
	s_cbranch_execnz .LBB260_103
; %bb.85:
	s_wait_alu 0xfffe
	s_or_b32 exec_lo, exec_lo, s8
	s_and_saveexec_b32 s8, s1
	s_cbranch_execnz .LBB260_104
.LBB260_86:
	s_wait_alu 0xfffe
	s_or_b32 exec_lo, exec_lo, s8
	s_and_saveexec_b32 s8, s2
	s_cbranch_execnz .LBB260_105
.LBB260_87:
	s_wait_alu 0xfffe
	s_or_b32 exec_lo, exec_lo, s8
	s_and_saveexec_b32 s8, s3
	s_cbranch_execnz .LBB260_106
.LBB260_88:
	s_wait_alu 0xfffe
	s_or_b32 exec_lo, exec_lo, s8
	s_and_saveexec_b32 s8, s4
	s_cbranch_execnz .LBB260_107
.LBB260_89:
	s_wait_alu 0xfffe
	s_or_b32 exec_lo, exec_lo, s8
	s_and_saveexec_b32 s8, s5
	s_cbranch_execnz .LBB260_108
.LBB260_90:
	s_wait_alu 0xfffe
	s_or_b32 exec_lo, exec_lo, s8
	s_and_saveexec_b32 s8, s6
	s_cbranch_execnz .LBB260_109
.LBB260_91:
	s_wait_alu 0xfffe
	s_or_b32 exec_lo, exec_lo, s8
	s_and_saveexec_b32 s8, s7
	s_cbranch_execz .LBB260_93
.LBB260_92:
	s_mul_i32 s9, s14, 0xe00
	s_wait_alu 0xfffe
	v_add_co_u32 v0, vcc_lo, v0, s9
	s_wait_alu 0xfffd
	v_add_co_ci_u32_e64 v1, null, 0, v1, vcc_lo
	s_wait_dscnt 0x0
	global_store_b8 v[0:1], v2, off
.LBB260_93:
	s_wait_alu 0xfffe
	s_or_b32 exec_lo, exec_lo, s8
	s_wait_storecnt 0x0
	s_wait_loadcnt_dscnt 0x0
	s_barrier_signal -1
	s_barrier_wait -1
	global_inv scope:SCOPE_SE
	ds_store_2addr_b64 v64, v[29:30], v[31:32] offset1:1
	ds_store_2addr_b64 v64, v[25:26], v[27:28] offset0:2 offset1:3
	ds_store_2addr_b64 v64, v[21:22], v[23:24] offset0:4 offset1:5
	;; [unrolled: 1-line block ×3, first 2 shown]
	s_wait_loadcnt_dscnt 0x0
	s_barrier_signal -1
	s_barrier_wait -1
	global_inv scope:SCOPE_SE
	ds_load_b64 v[14:15], v58 offset:4096
	ds_load_b64 v[12:13], v59 offset:8192
	;; [unrolled: 1-line block ×7, first 2 shown]
	v_mov_b32_e32 v42, 0
	s_delay_alu instid0(VALU_DEP_1) | instskip(NEXT) | instid1(VALU_DEP_1)
	v_lshlrev_b64_e32 v[2:3], 3, v[41:42]
	v_add_co_u32 v2, vcc_lo, s12, v2
	s_wait_alu 0xfffd
	s_delay_alu instid0(VALU_DEP_2)
	v_add_co_ci_u32_e64 v3, null, s13, v3, vcc_lo
	s_and_saveexec_b32 s8, s0
	s_cbranch_execnz .LBB260_110
; %bb.94:
	s_wait_alu 0xfffe
	s_or_b32 exec_lo, exec_lo, s8
	s_and_saveexec_b32 s0, s1
	s_cbranch_execnz .LBB260_111
.LBB260_95:
	s_or_b32 exec_lo, exec_lo, s0
	s_and_saveexec_b32 s0, s2
	s_cbranch_execnz .LBB260_112
.LBB260_96:
	s_or_b32 exec_lo, exec_lo, s0
	s_and_saveexec_b32 s0, s3
	s_cbranch_execnz .LBB260_113
.LBB260_97:
	s_or_b32 exec_lo, exec_lo, s0
	s_and_saveexec_b32 s0, s4
	s_cbranch_execnz .LBB260_114
.LBB260_98:
	s_or_b32 exec_lo, exec_lo, s0
	s_and_saveexec_b32 s0, s5
	s_cbranch_execnz .LBB260_115
.LBB260_99:
	s_or_b32 exec_lo, exec_lo, s0
	s_and_saveexec_b32 s0, s6
	s_cbranch_execnz .LBB260_116
.LBB260_100:
	s_or_b32 exec_lo, exec_lo, s0
	s_and_saveexec_b32 s0, s7
	s_cbranch_execz .LBB260_102
.LBB260_101:
	s_mul_i32 s0, s16, 0xe00
	s_mov_b32 s1, 0
	s_delay_alu instid0(SALU_CYCLE_1) | instskip(NEXT) | instid1(SALU_CYCLE_1)
	s_lshl_b64 s[0:1], s[0:1], 3
	v_add_co_u32 v2, vcc_lo, v2, s0
	s_wait_alu 0xfffd
	v_add_co_ci_u32_e64 v3, null, s1, v3, vcc_lo
	s_wait_dscnt 0x0
	global_store_b64 v[2:3], v[0:1], off
.LBB260_102:
	s_nop 0
	s_sendmsg sendmsg(MSG_DEALLOC_VGPRS)
	s_endpgm
.LBB260_103:
	ds_load_u8 v9, v48
	s_wait_dscnt 0x0
	global_store_b8 v[0:1], v9, off
	s_wait_alu 0xfffe
	s_or_b32 exec_lo, exec_lo, s8
	s_and_saveexec_b32 s8, s1
	s_cbranch_execz .LBB260_86
.LBB260_104:
	s_lshl_b32 s9, s14, 9
	s_wait_alu 0xfffe
	v_add_co_u32 v9, vcc_lo, v0, s9
	s_wait_alu 0xfffd
	v_add_co_ci_u32_e64 v10, null, 0, v1, vcc_lo
	s_wait_dscnt 0x6
	global_store_b8 v[9:10], v8, off
	s_or_b32 exec_lo, exec_lo, s8
	s_and_saveexec_b32 s8, s2
	s_cbranch_execz .LBB260_87
.LBB260_105:
	s_lshl_b32 s9, s14, 10
	s_wait_dscnt 0x6
	s_wait_alu 0xfffe
	v_add_co_u32 v8, vcc_lo, v0, s9
	s_wait_alu 0xfffd
	v_add_co_ci_u32_e64 v9, null, 0, v1, vcc_lo
	s_wait_dscnt 0x5
	global_store_b8 v[8:9], v7, off
	s_or_b32 exec_lo, exec_lo, s8
	s_and_saveexec_b32 s8, s3
	s_cbranch_execz .LBB260_88
.LBB260_106:
	s_mul_i32 s9, s14, 0x600
	s_wait_dscnt 0x5
	s_wait_alu 0xfffe
	v_add_co_u32 v7, vcc_lo, v0, s9
	s_wait_alu 0xfffd
	v_add_co_ci_u32_e64 v8, null, 0, v1, vcc_lo
	s_wait_dscnt 0x4
	global_store_b8 v[7:8], v6, off
	s_or_b32 exec_lo, exec_lo, s8
	s_and_saveexec_b32 s8, s4
	s_cbranch_execz .LBB260_89
.LBB260_107:
	s_lshl_b32 s9, s14, 11
	s_wait_dscnt 0x4
	s_wait_alu 0xfffe
	v_add_co_u32 v6, vcc_lo, v0, s9
	s_wait_alu 0xfffd
	v_add_co_ci_u32_e64 v7, null, 0, v1, vcc_lo
	s_wait_dscnt 0x3
	global_store_b8 v[6:7], v5, off
	s_or_b32 exec_lo, exec_lo, s8
	s_and_saveexec_b32 s8, s5
	s_cbranch_execz .LBB260_90
.LBB260_108:
	s_mul_i32 s9, s14, 0xa00
	s_wait_dscnt 0x3
	s_wait_alu 0xfffe
	v_add_co_u32 v5, vcc_lo, v0, s9
	s_wait_alu 0xfffd
	v_add_co_ci_u32_e64 v6, null, 0, v1, vcc_lo
	s_wait_dscnt 0x2
	global_store_b8 v[5:6], v4, off
	s_or_b32 exec_lo, exec_lo, s8
	s_and_saveexec_b32 s8, s6
	s_cbranch_execz .LBB260_91
.LBB260_109:
	s_mul_i32 s9, s14, 0xc00
	s_wait_dscnt 0x2
	s_wait_alu 0xfffe
	v_add_co_u32 v4, vcc_lo, v0, s9
	s_wait_alu 0xfffd
	v_add_co_ci_u32_e64 v5, null, 0, v1, vcc_lo
	s_wait_dscnt 0x1
	global_store_b8 v[4:5], v3, off
	s_or_b32 exec_lo, exec_lo, s8
	s_and_saveexec_b32 s8, s7
	s_cbranch_execnz .LBB260_92
	s_branch .LBB260_93
.LBB260_110:
	ds_load_b64 v[16:17], v57
	s_wait_dscnt 0x0
	global_store_b64 v[2:3], v[16:17], off
	s_wait_alu 0xfffe
	s_or_b32 exec_lo, exec_lo, s8
	s_and_saveexec_b32 s0, s1
	s_cbranch_execz .LBB260_95
.LBB260_111:
	s_lshl_b32 s8, s16, 9
	s_mov_b32 s9, 0
	s_wait_alu 0xfffe
	s_lshl_b64 s[8:9], s[8:9], 3
	s_wait_alu 0xfffe
	v_add_co_u32 v16, vcc_lo, v2, s8
	s_wait_alu 0xfffd
	v_add_co_ci_u32_e64 v17, null, s9, v3, vcc_lo
	s_wait_dscnt 0x6
	global_store_b64 v[16:17], v[14:15], off
	s_or_b32 exec_lo, exec_lo, s0
	s_and_saveexec_b32 s0, s2
	s_cbranch_execz .LBB260_96
.LBB260_112:
	s_lshl_b32 s8, s16, 10
	s_mov_b32 s9, 0
	s_wait_alu 0xfffe
	s_lshl_b64 s[8:9], s[8:9], 3
	s_wait_dscnt 0x6
	s_wait_alu 0xfffe
	v_add_co_u32 v14, vcc_lo, v2, s8
	s_wait_alu 0xfffd
	v_add_co_ci_u32_e64 v15, null, s9, v3, vcc_lo
	s_wait_dscnt 0x5
	global_store_b64 v[14:15], v[12:13], off
	s_or_b32 exec_lo, exec_lo, s0
	s_and_saveexec_b32 s0, s3
	s_cbranch_execz .LBB260_97
.LBB260_113:
	s_mul_i32 s2, s16, 0x600
	s_mov_b32 s3, 0
	s_delay_alu instid0(SALU_CYCLE_1)
	s_lshl_b64 s[2:3], s[2:3], 3
	s_wait_dscnt 0x5
	v_add_co_u32 v12, vcc_lo, v2, s2
	s_wait_alu 0xfffd
	v_add_co_ci_u32_e64 v13, null, s3, v3, vcc_lo
	s_wait_dscnt 0x4
	global_store_b64 v[12:13], v[10:11], off
	s_or_b32 exec_lo, exec_lo, s0
	s_and_saveexec_b32 s0, s4
	s_cbranch_execz .LBB260_98
.LBB260_114:
	s_lshl_b32 s2, s16, 11
	s_mov_b32 s3, 0
	s_wait_alu 0xfffe
	s_lshl_b64 s[2:3], s[2:3], 3
	s_wait_dscnt 0x4
	s_wait_alu 0xfffe
	v_add_co_u32 v10, vcc_lo, v2, s2
	s_wait_alu 0xfffd
	v_add_co_ci_u32_e64 v11, null, s3, v3, vcc_lo
	s_wait_dscnt 0x3
	global_store_b64 v[10:11], v[8:9], off
	s_or_b32 exec_lo, exec_lo, s0
	s_and_saveexec_b32 s0, s5
	s_cbranch_execz .LBB260_99
.LBB260_115:
	s_mul_i32 s2, s16, 0xa00
	s_mov_b32 s3, 0
	s_wait_alu 0xfffe
	s_lshl_b64 s[2:3], s[2:3], 3
	s_wait_dscnt 0x3
	s_wait_alu 0xfffe
	v_add_co_u32 v8, vcc_lo, v2, s2
	s_wait_alu 0xfffd
	v_add_co_ci_u32_e64 v9, null, s3, v3, vcc_lo
	s_wait_dscnt 0x2
	global_store_b64 v[8:9], v[6:7], off
	s_or_b32 exec_lo, exec_lo, s0
	s_and_saveexec_b32 s0, s6
	s_cbranch_execz .LBB260_100
.LBB260_116:
	s_mul_i32 s2, s16, 0xc00
	s_mov_b32 s3, 0
	s_wait_alu 0xfffe
	s_lshl_b64 s[2:3], s[2:3], 3
	s_wait_dscnt 0x2
	s_wait_alu 0xfffe
	v_add_co_u32 v6, vcc_lo, v2, s2
	s_wait_alu 0xfffd
	v_add_co_ci_u32_e64 v7, null, s3, v3, vcc_lo
	s_wait_dscnt 0x1
	global_store_b64 v[6:7], v[4:5], off
	s_or_b32 exec_lo, exec_lo, s0
	s_and_saveexec_b32 s0, s7
	s_cbranch_execnz .LBB260_101
	s_branch .LBB260_102
	.section	.rodata,"a",@progbits
	.p2align	6, 0x0
	.amdhsa_kernel _ZN2at6native18radixSortKVInPlaceILin2ELin1ELi512ELi8EbljEEvNS_4cuda6detail10TensorInfoIT3_T5_EES6_S6_S6_NS4_IT4_S6_EES6_b
		.amdhsa_group_segment_fixed_size 33792
		.amdhsa_private_segment_fixed_size 0
		.amdhsa_kernarg_size 712
		.amdhsa_user_sgpr_count 2
		.amdhsa_user_sgpr_dispatch_ptr 0
		.amdhsa_user_sgpr_queue_ptr 0
		.amdhsa_user_sgpr_kernarg_segment_ptr 1
		.amdhsa_user_sgpr_dispatch_id 0
		.amdhsa_user_sgpr_private_segment_size 0
		.amdhsa_wavefront_size32 1
		.amdhsa_uses_dynamic_stack 0
		.amdhsa_enable_private_segment 0
		.amdhsa_system_sgpr_workgroup_id_x 1
		.amdhsa_system_sgpr_workgroup_id_y 1
		.amdhsa_system_sgpr_workgroup_id_z 1
		.amdhsa_system_sgpr_workgroup_info 0
		.amdhsa_system_vgpr_workitem_id 2
		.amdhsa_next_free_vgpr 105
		.amdhsa_next_free_sgpr 28
		.amdhsa_reserve_vcc 1
		.amdhsa_float_round_mode_32 0
		.amdhsa_float_round_mode_16_64 0
		.amdhsa_float_denorm_mode_32 3
		.amdhsa_float_denorm_mode_16_64 3
		.amdhsa_fp16_overflow 0
		.amdhsa_workgroup_processor_mode 1
		.amdhsa_memory_ordered 1
		.amdhsa_forward_progress 1
		.amdhsa_inst_pref_size 77
		.amdhsa_round_robin_scheduling 0
		.amdhsa_exception_fp_ieee_invalid_op 0
		.amdhsa_exception_fp_denorm_src 0
		.amdhsa_exception_fp_ieee_div_zero 0
		.amdhsa_exception_fp_ieee_overflow 0
		.amdhsa_exception_fp_ieee_underflow 0
		.amdhsa_exception_fp_ieee_inexact 0
		.amdhsa_exception_int_div_zero 0
	.end_amdhsa_kernel
	.section	.text._ZN2at6native18radixSortKVInPlaceILin2ELin1ELi512ELi8EbljEEvNS_4cuda6detail10TensorInfoIT3_T5_EES6_S6_S6_NS4_IT4_S6_EES6_b,"axG",@progbits,_ZN2at6native18radixSortKVInPlaceILin2ELin1ELi512ELi8EbljEEvNS_4cuda6detail10TensorInfoIT3_T5_EES6_S6_S6_NS4_IT4_S6_EES6_b,comdat
.Lfunc_end260:
	.size	_ZN2at6native18radixSortKVInPlaceILin2ELin1ELi512ELi8EbljEEvNS_4cuda6detail10TensorInfoIT3_T5_EES6_S6_S6_NS4_IT4_S6_EES6_b, .Lfunc_end260-_ZN2at6native18radixSortKVInPlaceILin2ELin1ELi512ELi8EbljEEvNS_4cuda6detail10TensorInfoIT3_T5_EES6_S6_S6_NS4_IT4_S6_EES6_b
                                        ; -- End function
	.set _ZN2at6native18radixSortKVInPlaceILin2ELin1ELi512ELi8EbljEEvNS_4cuda6detail10TensorInfoIT3_T5_EES6_S6_S6_NS4_IT4_S6_EES6_b.num_vgpr, 105
	.set _ZN2at6native18radixSortKVInPlaceILin2ELin1ELi512ELi8EbljEEvNS_4cuda6detail10TensorInfoIT3_T5_EES6_S6_S6_NS4_IT4_S6_EES6_b.num_agpr, 0
	.set _ZN2at6native18radixSortKVInPlaceILin2ELin1ELi512ELi8EbljEEvNS_4cuda6detail10TensorInfoIT3_T5_EES6_S6_S6_NS4_IT4_S6_EES6_b.numbered_sgpr, 28
	.set _ZN2at6native18radixSortKVInPlaceILin2ELin1ELi512ELi8EbljEEvNS_4cuda6detail10TensorInfoIT3_T5_EES6_S6_S6_NS4_IT4_S6_EES6_b.num_named_barrier, 0
	.set _ZN2at6native18radixSortKVInPlaceILin2ELin1ELi512ELi8EbljEEvNS_4cuda6detail10TensorInfoIT3_T5_EES6_S6_S6_NS4_IT4_S6_EES6_b.private_seg_size, 0
	.set _ZN2at6native18radixSortKVInPlaceILin2ELin1ELi512ELi8EbljEEvNS_4cuda6detail10TensorInfoIT3_T5_EES6_S6_S6_NS4_IT4_S6_EES6_b.uses_vcc, 1
	.set _ZN2at6native18radixSortKVInPlaceILin2ELin1ELi512ELi8EbljEEvNS_4cuda6detail10TensorInfoIT3_T5_EES6_S6_S6_NS4_IT4_S6_EES6_b.uses_flat_scratch, 0
	.set _ZN2at6native18radixSortKVInPlaceILin2ELin1ELi512ELi8EbljEEvNS_4cuda6detail10TensorInfoIT3_T5_EES6_S6_S6_NS4_IT4_S6_EES6_b.has_dyn_sized_stack, 0
	.set _ZN2at6native18radixSortKVInPlaceILin2ELin1ELi512ELi8EbljEEvNS_4cuda6detail10TensorInfoIT3_T5_EES6_S6_S6_NS4_IT4_S6_EES6_b.has_recursion, 0
	.set _ZN2at6native18radixSortKVInPlaceILin2ELin1ELi512ELi8EbljEEvNS_4cuda6detail10TensorInfoIT3_T5_EES6_S6_S6_NS4_IT4_S6_EES6_b.has_indirect_call, 0
	.section	.AMDGPU.csdata,"",@progbits
; Kernel info:
; codeLenInByte = 9784
; TotalNumSgprs: 30
; NumVgprs: 105
; ScratchSize: 0
; MemoryBound: 0
; FloatMode: 240
; IeeeMode: 1
; LDSByteSize: 33792 bytes/workgroup (compile time only)
; SGPRBlocks: 0
; VGPRBlocks: 13
; NumSGPRsForWavesPerEU: 30
; NumVGPRsForWavesPerEU: 105
; Occupancy: 12
; WaveLimiterHint : 1
; COMPUTE_PGM_RSRC2:SCRATCH_EN: 0
; COMPUTE_PGM_RSRC2:USER_SGPR: 2
; COMPUTE_PGM_RSRC2:TRAP_HANDLER: 0
; COMPUTE_PGM_RSRC2:TGID_X_EN: 1
; COMPUTE_PGM_RSRC2:TGID_Y_EN: 1
; COMPUTE_PGM_RSRC2:TGID_Z_EN: 1
; COMPUTE_PGM_RSRC2:TIDIG_COMP_CNT: 2
	.section	.text._ZN2at6native18radixSortKVInPlaceILin2ELin1ELi256ELi8EbljEEvNS_4cuda6detail10TensorInfoIT3_T5_EES6_S6_S6_NS4_IT4_S6_EES6_b,"axG",@progbits,_ZN2at6native18radixSortKVInPlaceILin2ELin1ELi256ELi8EbljEEvNS_4cuda6detail10TensorInfoIT3_T5_EES6_S6_S6_NS4_IT4_S6_EES6_b,comdat
	.protected	_ZN2at6native18radixSortKVInPlaceILin2ELin1ELi256ELi8EbljEEvNS_4cuda6detail10TensorInfoIT3_T5_EES6_S6_S6_NS4_IT4_S6_EES6_b ; -- Begin function _ZN2at6native18radixSortKVInPlaceILin2ELin1ELi256ELi8EbljEEvNS_4cuda6detail10TensorInfoIT3_T5_EES6_S6_S6_NS4_IT4_S6_EES6_b
	.globl	_ZN2at6native18radixSortKVInPlaceILin2ELin1ELi256ELi8EbljEEvNS_4cuda6detail10TensorInfoIT3_T5_EES6_S6_S6_NS4_IT4_S6_EES6_b
	.p2align	8
	.type	_ZN2at6native18radixSortKVInPlaceILin2ELin1ELi256ELi8EbljEEvNS_4cuda6detail10TensorInfoIT3_T5_EES6_S6_S6_NS4_IT4_S6_EES6_b,@function
_ZN2at6native18radixSortKVInPlaceILin2ELin1ELi256ELi8EbljEEvNS_4cuda6detail10TensorInfoIT3_T5_EES6_S6_S6_NS4_IT4_S6_EES6_b: ; @_ZN2at6native18radixSortKVInPlaceILin2ELin1ELi256ELi8EbljEEvNS_4cuda6detail10TensorInfoIT3_T5_EES6_S6_S6_NS4_IT4_S6_EES6_b
; %bb.0:
	s_clause 0x1
	s_load_b64 s[2:3], s[0:1], 0x1c8
	s_load_b96 s[8:10], s[0:1], 0xd8
	s_lshr_b32 s4, ttmp7, 16
	s_wait_kmcnt 0x0
	s_mul_i32 s3, s3, s4
	s_and_b32 s4, ttmp7, 0xffff
	s_delay_alu instid0(SALU_CYCLE_1) | instskip(NEXT) | instid1(SALU_CYCLE_1)
	s_add_co_i32 s3, s3, s4
	s_mul_i32 s4, s3, s2
	s_delay_alu instid0(SALU_CYCLE_1) | instskip(NEXT) | instid1(SALU_CYCLE_1)
	s_add_co_i32 s4, s4, ttmp9
	s_cmp_ge_u32 s4, s8
	s_cbranch_scc1 .LBB261_102
; %bb.1:
	s_load_b32 s2, s[0:1], 0x1b8
	s_add_nc_u64 s[20:21], s[0:1], 0xe8
	s_mov_b32 s17, 0
	s_mov_b32 s11, s4
	s_wait_kmcnt 0x0
	s_cmp_lt_i32 s2, 2
	s_cbranch_scc1 .LBB261_4
; %bb.2:
	s_add_co_i32 s16, s2, -1
	s_add_co_i32 s5, s2, 1
	s_lshl_b64 s[6:7], s[16:17], 2
	s_mov_b32 s11, s4
	s_add_nc_u64 s[6:7], s[20:21], s[6:7]
	s_delay_alu instid0(SALU_CYCLE_1)
	s_add_nc_u64 s[2:3], s[6:7], 8
.LBB261_3:                              ; =>This Inner Loop Header: Depth=1
	s_clause 0x1
	s_load_b32 s6, s[2:3], 0x0
	s_load_b32 s7, s[2:3], 0x64
	s_mov_b32 s13, s11
	s_add_nc_u64 s[2:3], s[2:3], -4
	s_wait_kmcnt 0x0
	s_cvt_f32_u32 s8, s6
	s_sub_co_i32 s12, 0, s6
	s_wait_alu 0xfffe
	s_delay_alu instid0(SALU_CYCLE_1) | instskip(NEXT) | instid1(TRANS32_DEP_1)
	v_rcp_iflag_f32_e32 v1, s8
	v_readfirstlane_b32 s8, v1
	s_mul_f32 s8, s8, 0x4f7ffffe
	s_wait_alu 0xfffe
	s_delay_alu instid0(SALU_CYCLE_2) | instskip(SKIP_1) | instid1(SALU_CYCLE_2)
	s_cvt_u32_f32 s8, s8
	s_wait_alu 0xfffe
	s_mul_i32 s12, s12, s8
	s_delay_alu instid0(SALU_CYCLE_1) | instskip(NEXT) | instid1(SALU_CYCLE_1)
	s_mul_hi_u32 s12, s8, s12
	s_add_co_i32 s8, s8, s12
	s_wait_alu 0xfffe
	s_mul_hi_u32 s8, s11, s8
	s_wait_alu 0xfffe
	s_mul_i32 s11, s8, s6
	s_add_co_i32 s12, s8, 1
	s_sub_co_i32 s11, s13, s11
	s_delay_alu instid0(SALU_CYCLE_1)
	s_sub_co_i32 s14, s11, s6
	s_cmp_ge_u32 s11, s6
	s_cselect_b32 s8, s12, s8
	s_cselect_b32 s11, s14, s11
	s_wait_alu 0xfffe
	s_add_co_i32 s12, s8, 1
	s_cmp_ge_u32 s11, s6
	s_cselect_b32 s11, s12, s8
	s_add_co_i32 s5, s5, -1
	s_mul_i32 s6, s11, s6
	s_delay_alu instid0(SALU_CYCLE_1) | instskip(NEXT) | instid1(SALU_CYCLE_1)
	s_sub_co_i32 s6, s13, s6
	s_mul_i32 s6, s7, s6
	s_delay_alu instid0(SALU_CYCLE_1)
	s_add_co_i32 s17, s6, s17
	s_cmp_gt_u32 s5, 2
	s_cbranch_scc1 .LBB261_3
.LBB261_4:
	s_clause 0x2
	s_load_b64 s[12:13], s[0:1], 0x1c0
	s_load_b64 s[2:3], s[0:1], 0x0
	s_load_b32 s5, s[0:1], 0x6c
	s_add_nc_u64 s[18:19], s[0:1], 0x1c8
	v_and_b32_e32 v44, 0x3ff, v0
	s_delay_alu instid0(VALU_DEP_1)
	v_mul_lo_u32 v47, s10, v44
	s_wait_kmcnt 0x0
	s_bitcmp1_b32 s13, 0
	s_mul_i32 s4, s5, s4
	s_cselect_b32 s0, -1, 0
	s_mov_b32 s5, 0
	s_xor_b32 s8, s0, -1
	v_cmp_gt_u32_e64 s0, s9, v44
	s_wait_alu 0xfffe
	v_cndmask_b32_e64 v1, 0, 1, s8
	v_cndmask_b32_e64 v3, 0, 1, s8
	s_add_nc_u64 s[14:15], s[2:3], s[4:5]
	s_delay_alu instid0(VALU_DEP_2) | instskip(NEXT) | instid1(VALU_DEP_1)
	v_lshlrev_b32_e32 v2, 8, v1
	v_or_b32_e32 v1, v1, v2
	s_delay_alu instid0(VALU_DEP_1) | instskip(SKIP_1) | instid1(VALU_DEP_1)
	v_and_b32_e32 v2, 0x101, v1
	v_lshlrev_b32_e32 v1, 16, v1
	v_or_b32_e32 v1, v2, v1
	s_delay_alu instid0(VALU_DEP_1)
	v_mov_b32_e32 v2, v1
	s_and_saveexec_b32 s1, s0
	s_cbranch_execz .LBB261_6
; %bb.5:
	global_load_u8 v3, v47, s[14:15]
	v_mov_b32_e32 v5, v1
	s_wait_loadcnt 0x0
	v_perm_b32 v4, v3, v1, 0x3020104
	s_delay_alu instid0(VALU_DEP_1)
	v_dual_mov_b32 v1, v4 :: v_dual_mov_b32 v2, v5
.LBB261_6:
	s_or_b32 exec_lo, exec_lo, s1
	v_add_nc_u32_e32 v28, 0x100, v44
	s_delay_alu instid0(VALU_DEP_1)
	v_cmp_gt_u32_e64 s1, s9, v28
	s_and_saveexec_b32 s2, s1
	s_cbranch_execz .LBB261_8
; %bb.7:
	v_mul_lo_u32 v4, s10, v28
	global_load_u8 v4, v4, s[14:15]
	s_wait_loadcnt 0x0
	v_perm_b32 v1, v1, v4, 0x7060004
.LBB261_8:
	s_or_b32 exec_lo, exec_lo, s2
	v_add_nc_u32_e32 v24, 0x200, v44
	s_delay_alu instid0(VALU_DEP_1)
	v_cmp_gt_u32_e64 s2, s9, v24
	s_and_saveexec_b32 s3, s2
	s_cbranch_execz .LBB261_10
; %bb.9:
	v_mul_lo_u32 v4, s10, v24
	global_load_u8 v4, v4, s[14:15]
	s_wait_loadcnt 0x0
	v_perm_b32 v4, v4, v1, 0xc0c0304
	s_delay_alu instid0(VALU_DEP_1) | instskip(NEXT) | instid1(VALU_DEP_1)
	v_lshlrev_b32_e32 v4, 16, v4
	v_and_or_b32 v1, 0xffff, v1, v4
.LBB261_10:
	s_or_b32 exec_lo, exec_lo, s3
	v_add_nc_u32_e32 v21, 0x300, v44
	s_delay_alu instid0(VALU_DEP_1)
	v_cmp_gt_u32_e64 s3, s9, v21
	s_and_saveexec_b32 s4, s3
	s_cbranch_execz .LBB261_12
; %bb.11:
	v_mul_lo_u32 v4, s10, v21
	global_load_u8 v4, v4, s[14:15]
	s_wait_loadcnt 0x0
	v_perm_b32 v4, v1, v4, 0xc0c0006
	s_delay_alu instid0(VALU_DEP_1) | instskip(NEXT) | instid1(VALU_DEP_1)
	v_lshlrev_b32_e32 v4, 16, v4
	v_and_or_b32 v1, 0xffff, v1, v4
.LBB261_12:
	s_or_b32 exec_lo, exec_lo, s4
	v_or_b32_e32 v19, 0x400, v44
	s_delay_alu instid0(VALU_DEP_1)
	v_cmp_gt_u32_e64 s4, s9, v19
	s_and_saveexec_b32 s5, s4
	s_cbranch_execz .LBB261_14
; %bb.13:
	v_mul_lo_u32 v4, s10, v19
	global_load_u8 v4, v4, s[14:15]
	s_wait_loadcnt 0x0
	v_perm_b32 v2, v4, v2, 0x3020104
.LBB261_14:
	s_or_b32 exec_lo, exec_lo, s5
	v_add_nc_u32_e32 v17, 0x500, v44
	s_delay_alu instid0(VALU_DEP_1)
	v_cmp_gt_u32_e64 s5, s9, v17
	s_and_saveexec_b32 s6, s5
	s_cbranch_execz .LBB261_16
; %bb.15:
	v_mul_lo_u32 v4, s10, v17
	global_load_u8 v4, v4, s[14:15]
	s_wait_loadcnt 0x0
	v_perm_b32 v2, v2, v4, 0x7060004
.LBB261_16:
	s_or_b32 exec_lo, exec_lo, s6
	v_add_nc_u32_e32 v16, 0x600, v44
	s_delay_alu instid0(VALU_DEP_1)
	v_cmp_gt_u32_e64 s6, s9, v16
	s_and_saveexec_b32 s7, s6
	s_cbranch_execz .LBB261_18
; %bb.17:
	v_mul_lo_u32 v4, s10, v16
	global_load_u8 v4, v4, s[14:15]
	s_wait_loadcnt 0x0
	v_perm_b32 v2, v2, v4, 0x7000504
.LBB261_18:
	s_or_b32 exec_lo, exec_lo, s7
	s_clause 0x1
	s_load_b32 s13, s[20:21], 0x6c
	s_load_b64 s[20:21], s[20:21], 0x0
	v_add_nc_u32_e32 v15, 0x700, v44
	s_delay_alu instid0(VALU_DEP_1)
	v_cmp_gt_u32_e64 s7, s9, v15
	s_and_saveexec_b32 s9, s7
	s_cbranch_execz .LBB261_20
; %bb.19:
	v_mul_lo_u32 v4, s10, v15
	global_load_u8 v4, v4, s[14:15]
	s_wait_loadcnt 0x0
	v_perm_b32 v2, v2, v4, 0x60504
.LBB261_20:
	s_wait_alu 0xfffe
	s_or_b32 exec_lo, exec_lo, s9
	v_lshrrev_b32_e32 v65, 5, v44
	v_lshrrev_b32_e32 v18, 5, v28
	v_lshrrev_b32_e32 v23, 5, v19
	v_lshrrev_b32_e32 v20, 5, v24
	v_lshrrev_b32_e32 v26, 5, v16
	s_delay_alu instid0(VALU_DEP_4) | instskip(SKIP_4) | instid1(VALU_DEP_4)
	v_dual_mov_b32 v42, 0 :: v_dual_and_b32 v5, 60, v18
	v_and_b32_e32 v4, 28, v65
	v_and_b32_e32 v7, 60, v23
	v_lshrrev_b32_e32 v22, 5, v21
	v_lshrrev_b32_e32 v29, 2, v44
	v_dual_mov_b32 v43, v42 :: v_dual_add_nc_u32 v48, v4, v44
	v_dual_mov_b32 v11, v42 :: v_dual_and_b32 v4, 60, v20
	v_mov_b32_e32 v12, v42
	v_add_nc_u32_e32 v52, v7, v44
	v_and_b32_e32 v7, 0x7c, v26
	s_delay_alu instid0(VALU_DEP_4)
	v_add_nc_u32_e32 v50, v4, v44
	v_and_b32_e32 v4, 60, v22
	v_lshrrev_b32_e32 v25, 5, v17
	v_lshrrev_b32_e32 v27, 5, v15
	v_dual_mov_b32 v13, 0 :: v_dual_add_nc_u32 v54, v7, v44
	v_lshlrev_b32_e32 v61, 3, v44
	v_and_b32_e32 v7, 0xfc, v29
	v_add_nc_u32_e32 v51, v4, v44
	v_and_b32_e32 v4, 0x7c, v25
	v_and_b32_e32 v9, 0x7c, v27
	v_lshrrev_b32_e32 v6, 8, v1
	v_add_nc_u32_e32 v56, v7, v61
	v_dual_mov_b32 v10, v42 :: v_dual_add_nc_u32 v49, v5, v44
	v_lshrrev_b32_e32 v5, 24, v1
	v_lshrrev_b32_e32 v8, 8, v2
	v_dual_mov_b32 v14, 0 :: v_dual_add_nc_u32 v53, v4, v44
	v_lshrrev_b32_e32 v4, 24, v2
	v_add_nc_u32_e32 v55, v9, v44
	v_mov_b32_e32 v9, v42
	v_mov_b32_e32 v7, v42
	ds_store_b8 v48, v3
	ds_store_b8 v49, v6 offset:256
	ds_store_b8_d16_hi v50, v1 offset:512
	ds_store_b8 v51, v5 offset:768
	ds_store_b8 v52, v2 offset:1024
	;; [unrolled: 1-line block ×3, first 2 shown]
	ds_store_b8_d16_hi v54, v2 offset:1536
	ds_store_b8 v55, v4 offset:1792
	s_wait_dscnt 0x0
	s_barrier_signal -1
	s_barrier_wait -1
	global_inv scope:SCOPE_SE
	ds_load_2addr_b32 v[45:46], v56 offset1:1
	s_wait_kmcnt 0x0
	s_mul_i32 s9, s13, s11
	v_mul_lo_u32 v41, s12, v44
	s_mov_b32 s23, 0
	s_wait_alu 0xfffe
	s_add_co_i32 s22, s9, s17
	v_dual_mov_b32 v1, v42 :: v_dual_mov_b32 v2, v42
	v_dual_mov_b32 v3, v42 :: v_dual_mov_b32 v4, v42
	;; [unrolled: 1-line block ×3, first 2 shown]
	v_mov_b32_e32 v8, v42
	s_lshl_b64 s[16:17], s[22:23], 3
	s_wait_loadcnt_dscnt 0x0
	s_add_nc_u64 s[16:17], s[20:21], s[16:17]
	s_barrier_signal -1
	s_barrier_wait -1
	global_inv scope:SCOPE_SE
	s_and_saveexec_b32 s9, s0
	s_cbranch_execnz .LBB261_53
; %bb.21:
	s_wait_alu 0xfffe
	s_or_b32 exec_lo, exec_lo, s9
	s_and_saveexec_b32 s9, s1
	s_cbranch_execnz .LBB261_54
.LBB261_22:
	s_wait_alu 0xfffe
	s_or_b32 exec_lo, exec_lo, s9
	s_and_saveexec_b32 s9, s2
	s_cbranch_execnz .LBB261_55
.LBB261_23:
	s_wait_alu 0xfffe
	s_or_b32 exec_lo, exec_lo, s9
	s_and_saveexec_b32 s9, s3
	s_cbranch_execnz .LBB261_56
.LBB261_24:
	s_wait_alu 0xfffe
	s_or_b32 exec_lo, exec_lo, s9
	s_and_saveexec_b32 s9, s4
	s_cbranch_execnz .LBB261_57
.LBB261_25:
	s_wait_alu 0xfffe
	s_or_b32 exec_lo, exec_lo, s9
	s_and_saveexec_b32 s9, s5
	s_cbranch_execnz .LBB261_58
.LBB261_26:
	s_wait_alu 0xfffe
	s_or_b32 exec_lo, exec_lo, s9
	s_and_saveexec_b32 s9, s6
	s_cbranch_execnz .LBB261_59
.LBB261_27:
	s_wait_alu 0xfffe
	s_or_b32 exec_lo, exec_lo, s9
	s_and_saveexec_b32 s9, s7
	s_cbranch_execz .LBB261_29
.LBB261_28:
	v_mul_lo_u32 v7, s12, v15
	v_mov_b32_e32 v8, 0
	s_delay_alu instid0(VALU_DEP_1) | instskip(NEXT) | instid1(VALU_DEP_1)
	v_lshlrev_b64_e32 v[7:8], 3, v[7:8]
	v_add_co_u32 v7, vcc_lo, s16, v7
	s_wait_alu 0xfffd
	s_delay_alu instid0(VALU_DEP_2)
	v_add_co_ci_u32_e64 v8, null, s17, v8, vcc_lo
	global_load_b64 v[7:8], v[7:8], off
.LBB261_29:
	s_wait_alu 0xfffe
	s_or_b32 exec_lo, exec_lo, s9
	v_lshl_add_u32 v57, v65, 3, v61
	v_lshl_add_u32 v58, v18, 3, v61
	;; [unrolled: 1-line block ×5, first 2 shown]
	s_wait_loadcnt 0x0
	ds_store_b64 v57, v[13:14]
	ds_store_b64 v58, v[42:43] offset:2048
	ds_store_b64 v59, v[9:10] offset:4096
	;; [unrolled: 1-line block ×3, first 2 shown]
	v_lshlrev_b32_e32 v9, 3, v61
	v_lshl_add_u32 v42, v23, 3, v61
	v_lshl_add_u32 v43, v25, 3, v61
	;; [unrolled: 1-line block ×3, first 2 shown]
	ds_store_b64 v42, v[1:2] offset:8192
	ds_store_b64 v43, v[3:4] offset:10240
	;; [unrolled: 1-line block ×4, first 2 shown]
	v_lshl_add_u32 v64, v29, 3, v9
	s_wait_dscnt 0x0
	s_barrier_signal -1
	s_barrier_wait -1
	global_inv scope:SCOPE_SE
	ds_load_2addr_b64 v[13:16], v64 offset1:1
	ds_load_2addr_b64 v[9:12], v64 offset0:2 offset1:3
	ds_load_2addr_b64 v[5:8], v64 offset0:4 offset1:5
	;; [unrolled: 1-line block ×3, first 2 shown]
	v_bfe_u32 v69, v0, 10, 10
	v_bfe_u32 v70, v0, 20, 10
	v_mbcnt_lo_u32_b32 v67, -1, 0
	v_and_b32_e32 v68, 0x3e0, v44
	v_lshlrev_b32_e32 v66, 2, v61
	s_and_b32 vcc_lo, exec_lo, s8
	s_wait_loadcnt_dscnt 0x0
	s_barrier_signal -1
	s_barrier_wait -1
	global_inv scope:SCOPE_SE
	s_wait_alu 0xfffe
	s_cbranch_vccz .LBB261_60
; %bb.30:
	s_getpc_b64 s[8:9]
	s_wait_alu 0xfffe
	s_sext_i32_i16 s9, s9
	s_add_co_u32 s8, s8, _ZN7rocprim17ROCPRIM_400000_NS16block_radix_sortIbLj256ELj8ElLj1ELj1ELj0ELNS0_26block_radix_rank_algorithmE1ELNS0_18block_padding_hintE2ELNS0_4arch9wavefront6targetE0EE19radix_bits_per_passE@rel32@lo+12
	s_wait_alu 0xfffe
	s_add_co_ci_u32 s9, s9, _ZN7rocprim17ROCPRIM_400000_NS16block_radix_sortIbLj256ELj8ElLj1ELj1ELj0ELNS0_26block_radix_rank_algorithmE1ELNS0_18block_padding_hintE2ELNS0_4arch9wavefront6targetE0EE19radix_bits_per_passE@rel32@hi+24
	v_or_b32_e32 v17, v67, v68
	s_load_b32 s8, s[8:9], 0x0
	s_mov_b32 s20, 0
	v_and_or_b32 v19, 0x1f00, v61, v67
	s_mov_b32 s21, s20
	s_mov_b32 s22, s20
	;; [unrolled: 1-line block ×3, first 2 shown]
	v_lshlrev_b32_e32 v18, 3, v17
	ds_store_b64 v18, v[45:46]
	; wave barrier
	ds_load_u8 v0, v19
	ds_load_u8 v71, v19 offset:32
	ds_load_u8 v72, v19 offset:64
	;; [unrolled: 1-line block ×7, first 2 shown]
	v_mad_u32_u24 v17, v17, 56, v18
	v_mad_u32_u24 v18, v19, 7, v19
	s_wait_loadcnt_dscnt 0x0
	s_barrier_signal -1
	s_barrier_wait -1
	global_inv scope:SCOPE_SE
	ds_store_b128 v17, v[13:16]
	ds_store_b128 v17, v[9:12] offset:16
	ds_store_b128 v17, v[5:8] offset:32
	;; [unrolled: 1-line block ×3, first 2 shown]
	; wave barrier
	ds_load_2addr_b64 v[29:32], v18 offset1:32
	ds_load_2addr_b64 v[25:28], v18 offset0:64 offset1:96
	ds_load_2addr_b64 v[21:24], v18 offset0:128 offset1:160
	;; [unrolled: 1-line block ×3, first 2 shown]
	s_wait_loadcnt_dscnt 0x0
	s_barrier_signal -1
	s_barrier_wait -1
	global_inv scope:SCOPE_SE
	s_load_b32 s11, s[18:19], 0xc
	s_wait_kmcnt 0x0
	s_min_u32 s8, s8, 8
	s_wait_alu 0xfffe
	s_lshl_b32 s8, -1, s8
	s_wait_alu 0xfffe
	s_not_b32 s9, s8
	s_wait_alu 0xfffe
	v_and_b32_e32 v33, s9, v0
	s_delay_alu instid0(VALU_DEP_1) | instskip(NEXT) | instid1(VALU_DEP_1)
	v_and_b32_e32 v39, 1, v33
	v_add_co_u32 v35, s13, v39, -1
	s_wait_alu 0xf1ff
	v_cndmask_b32_e64 v33, 0, 1, s13
	s_lshr_b32 s8, s11, 16
	s_wait_alu 0xfffe
	v_mad_u32_u24 v34, v70, s8, v69
	s_and_b32 s8, s11, 0xffff
	v_cmp_ne_u32_e32 vcc_lo, 0, v33
	s_wait_alu 0xfffe
	s_delay_alu instid0(VALU_DEP_2) | instskip(SKIP_4) | instid1(VALU_DEP_3)
	v_mad_co_u64_u32 v[33:34], null, v34, s8, v[44:45]
	s_wait_alu 0xfffd
	v_xor_b32_e32 v34, vcc_lo, v35
	v_dual_mov_b32 v38, s23 :: v_dual_mov_b32 v35, s20
	v_dual_mov_b32 v37, s22 :: v_dual_mov_b32 v36, s21
	v_and_b32_e32 v34, exec_lo, v34
	v_lshrrev_b32_e32 v33, 3, v33
	ds_store_b128 v66, v[35:38] offset:32
	ds_store_b128 v66, v[35:38] offset:48
	v_mbcnt_lo_u32_b32 v78, v34, 0
	v_lshlrev_b32_e32 v35, 5, v39
	v_and_b32_e32 v33, 0x1ffffffc, v33
	v_cmp_ne_u32_e64 s8, 0, v34
	s_wait_loadcnt_dscnt 0x0
	v_cmp_eq_u32_e32 vcc_lo, 0, v78
	s_barrier_signal -1
	v_add_nc_u32_e32 v81, v33, v35
	s_barrier_wait -1
	global_inv scope:SCOPE_SE
	s_and_b32 s11, s8, vcc_lo
	; wave barrier
	s_wait_alu 0xfffe
	s_and_saveexec_b32 s8, s11
; %bb.31:
	v_bcnt_u32_b32 v34, v34, 0
	ds_store_b32 v81, v34 offset:32
; %bb.32:
	s_wait_alu 0xfffe
	s_or_b32 exec_lo, exec_lo, s8
	v_and_b32_e32 v34, s9, v71
	; wave barrier
	s_delay_alu instid0(VALU_DEP_1) | instskip(NEXT) | instid1(VALU_DEP_1)
	v_and_b32_e32 v34, 0xff, v34
	v_add_co_u32 v35, s8, v34, -1
	s_wait_alu 0xf1ff
	v_cndmask_b32_e64 v36, 0, 1, s8
	v_lshlrev_b32_e32 v34, 5, v34
	s_delay_alu instid0(VALU_DEP_2) | instskip(NEXT) | instid1(VALU_DEP_2)
	v_cmp_ne_u32_e32 vcc_lo, 0, v36
	v_add_nc_u32_e32 v84, v33, v34
	s_wait_alu 0xfffd
	v_xor_b32_e32 v34, vcc_lo, v35
	ds_load_b32 v79, v84 offset:32
	; wave barrier
	v_and_b32_e32 v34, exec_lo, v34
	s_delay_alu instid0(VALU_DEP_1) | instskip(SKIP_1) | instid1(VALU_DEP_2)
	v_mbcnt_lo_u32_b32 v80, v34, 0
	v_cmp_ne_u32_e64 s8, 0, v34
	v_cmp_eq_u32_e32 vcc_lo, 0, v80
	s_and_b32 s11, s8, vcc_lo
	s_wait_alu 0xfffe
	s_and_saveexec_b32 s8, s11
	s_cbranch_execz .LBB261_34
; %bb.33:
	s_wait_dscnt 0x0
	v_bcnt_u32_b32 v34, v34, v79
	ds_store_b32 v84, v34 offset:32
.LBB261_34:
	s_wait_alu 0xfffe
	s_or_b32 exec_lo, exec_lo, s8
	v_and_b32_e32 v34, s9, v72
	; wave barrier
	s_delay_alu instid0(VALU_DEP_1) | instskip(NEXT) | instid1(VALU_DEP_1)
	v_and_b32_e32 v34, 0xff, v34
	v_add_co_u32 v35, s8, v34, -1
	s_wait_alu 0xf1ff
	v_cndmask_b32_e64 v36, 0, 1, s8
	v_lshlrev_b32_e32 v34, 5, v34
	s_delay_alu instid0(VALU_DEP_2) | instskip(NEXT) | instid1(VALU_DEP_2)
	v_cmp_ne_u32_e32 vcc_lo, 0, v36
	v_add_nc_u32_e32 v87, v33, v34
	s_wait_alu 0xfffd
	v_xor_b32_e32 v34, vcc_lo, v35
	ds_load_b32 v82, v87 offset:32
	; wave barrier
	v_and_b32_e32 v34, exec_lo, v34
	s_delay_alu instid0(VALU_DEP_1) | instskip(SKIP_1) | instid1(VALU_DEP_2)
	v_mbcnt_lo_u32_b32 v83, v34, 0
	v_cmp_ne_u32_e64 s8, 0, v34
	v_cmp_eq_u32_e32 vcc_lo, 0, v83
	s_and_b32 s11, s8, vcc_lo
	s_wait_alu 0xfffe
	s_and_saveexec_b32 s8, s11
	s_cbranch_execz .LBB261_36
; %bb.35:
	s_wait_dscnt 0x0
	v_bcnt_u32_b32 v34, v34, v82
	ds_store_b32 v87, v34 offset:32
.LBB261_36:
	;; [unrolled: 31-line block ×7, first 2 shown]
	s_wait_alu 0xfffe
	s_or_b32 exec_lo, exec_lo, s8
	; wave barrier
	s_wait_loadcnt_dscnt 0x0
	s_barrier_signal -1
	s_barrier_wait -1
	global_inv scope:SCOPE_SE
	ds_load_b128 v[37:40], v66 offset:32
	ds_load_b128 v[33:36], v66 offset:48
	v_min_u32_e32 v103, 0xe0, v68
	s_mov_b32 s8, exec_lo
	s_wait_dscnt 0x1
	v_add_nc_u32_e32 v101, v38, v37
	s_delay_alu instid0(VALU_DEP_1) | instskip(SKIP_1) | instid1(VALU_DEP_1)
	v_add3_u32 v101, v101, v39, v40
	s_wait_dscnt 0x0
	v_add3_u32 v101, v101, v33, v34
	s_delay_alu instid0(VALU_DEP_1) | instskip(SKIP_1) | instid1(VALU_DEP_2)
	v_add3_u32 v36, v101, v35, v36
	v_and_b32_e32 v101, 15, v67
	v_mov_b32_dpp v102, v36 row_shr:1 row_mask:0xf bank_mask:0xf
	s_delay_alu instid0(VALU_DEP_2) | instskip(SKIP_1) | instid1(VALU_DEP_2)
	v_cmp_ne_u32_e32 vcc_lo, 0, v101
	s_wait_alu 0xfffd
	v_cndmask_b32_e32 v102, 0, v102, vcc_lo
	v_cmp_lt_u32_e32 vcc_lo, 1, v101
	s_delay_alu instid0(VALU_DEP_2) | instskip(NEXT) | instid1(VALU_DEP_1)
	v_add_nc_u32_e32 v36, v102, v36
	v_mov_b32_dpp v102, v36 row_shr:2 row_mask:0xf bank_mask:0xf
	s_wait_alu 0xfffd
	s_delay_alu instid0(VALU_DEP_1) | instskip(SKIP_1) | instid1(VALU_DEP_2)
	v_cndmask_b32_e32 v102, 0, v102, vcc_lo
	v_cmp_lt_u32_e32 vcc_lo, 3, v101
	v_add_nc_u32_e32 v36, v36, v102
	s_delay_alu instid0(VALU_DEP_1) | instskip(SKIP_1) | instid1(VALU_DEP_1)
	v_mov_b32_dpp v102, v36 row_shr:4 row_mask:0xf bank_mask:0xf
	s_wait_alu 0xfffd
	v_cndmask_b32_e32 v102, 0, v102, vcc_lo
	v_cmp_lt_u32_e32 vcc_lo, 7, v101
	s_delay_alu instid0(VALU_DEP_2) | instskip(NEXT) | instid1(VALU_DEP_1)
	v_add_nc_u32_e32 v36, v36, v102
	v_mov_b32_dpp v102, v36 row_shr:8 row_mask:0xf bank_mask:0xf
	s_wait_alu 0xfffd
	s_delay_alu instid0(VALU_DEP_1) | instskip(SKIP_1) | instid1(VALU_DEP_2)
	v_cndmask_b32_e32 v101, 0, v102, vcc_lo
	v_bfe_i32 v102, v67, 4, 1
	v_add_nc_u32_e32 v36, v36, v101
	ds_swizzle_b32 v101, v36 offset:swizzle(BROADCAST,32,15)
	s_wait_dscnt 0x0
	v_and_b32_e32 v101, v102, v101
	v_or_b32_e32 v102, 31, v103
	s_delay_alu instid0(VALU_DEP_2) | instskip(NEXT) | instid1(VALU_DEP_2)
	v_add_nc_u32_e32 v36, v36, v101
	v_cmpx_eq_u32_e64 v44, v102
; %bb.47:
	v_lshlrev_b32_e32 v101, 2, v65
	ds_store_b32 v101, v36
; %bb.48:
	s_wait_alu 0xfffe
	s_or_b32 exec_lo, exec_lo, s8
	s_delay_alu instid0(SALU_CYCLE_1)
	s_mov_b32 s8, exec_lo
	s_wait_loadcnt_dscnt 0x0
	s_barrier_signal -1
	s_barrier_wait -1
	global_inv scope:SCOPE_SE
	v_cmpx_gt_u32_e32 8, v44
	s_cbranch_execz .LBB261_50
; %bb.49:
	v_lshlrev_b32_e32 v101, 2, v44
	ds_load_b32 v102, v101
	s_wait_dscnt 0x0
	v_mov_b32_dpp v104, v102 row_shr:1 row_mask:0xf bank_mask:0xf
	v_and_b32_e32 v103, 7, v67
	s_delay_alu instid0(VALU_DEP_1) | instskip(SKIP_1) | instid1(VALU_DEP_3)
	v_cmp_ne_u32_e32 vcc_lo, 0, v103
	s_wait_alu 0xfffd
	v_cndmask_b32_e32 v104, 0, v104, vcc_lo
	v_cmp_lt_u32_e32 vcc_lo, 1, v103
	s_delay_alu instid0(VALU_DEP_2) | instskip(NEXT) | instid1(VALU_DEP_1)
	v_add_nc_u32_e32 v102, v104, v102
	v_mov_b32_dpp v104, v102 row_shr:2 row_mask:0xf bank_mask:0xf
	s_wait_alu 0xfffd
	s_delay_alu instid0(VALU_DEP_1) | instskip(SKIP_1) | instid1(VALU_DEP_2)
	v_cndmask_b32_e32 v104, 0, v104, vcc_lo
	v_cmp_lt_u32_e32 vcc_lo, 3, v103
	v_add_nc_u32_e32 v102, v102, v104
	s_delay_alu instid0(VALU_DEP_1) | instskip(SKIP_1) | instid1(VALU_DEP_1)
	v_mov_b32_dpp v104, v102 row_shr:4 row_mask:0xf bank_mask:0xf
	s_wait_alu 0xfffd
	v_cndmask_b32_e32 v103, 0, v104, vcc_lo
	s_delay_alu instid0(VALU_DEP_1)
	v_add_nc_u32_e32 v102, v102, v103
	ds_store_b32 v101, v102
.LBB261_50:
	s_wait_alu 0xfffe
	s_or_b32 exec_lo, exec_lo, s8
	v_mov_b32_e32 v101, 0
	s_mov_b32 s8, exec_lo
	s_wait_loadcnt_dscnt 0x0
	s_barrier_signal -1
	s_barrier_wait -1
	global_inv scope:SCOPE_SE
	v_cmpx_lt_u32_e32 31, v44
; %bb.51:
	v_lshl_add_u32 v101, v65, 2, -4
	ds_load_b32 v101, v101
; %bb.52:
	s_wait_alu 0xfffe
	s_or_b32 exec_lo, exec_lo, s8
	v_sub_co_u32 v102, vcc_lo, v67, 1
	s_wait_dscnt 0x0
	v_add_nc_u32_e32 v36, v101, v36
	s_delay_alu instid0(VALU_DEP_2) | instskip(SKIP_1) | instid1(VALU_DEP_1)
	v_cmp_gt_i32_e64 s8, 0, v102
	s_wait_alu 0xf1ff
	v_cndmask_b32_e64 v102, v102, v67, s8
	s_delay_alu instid0(VALU_DEP_1)
	v_lshlrev_b32_e32 v102, 2, v102
	ds_bpermute_b32 v36, v102, v36
	s_wait_dscnt 0x0
	s_wait_alu 0xfffd
	v_cndmask_b32_e32 v36, v36, v101, vcc_lo
	v_cmp_ne_u32_e32 vcc_lo, 0, v44
	s_wait_alu 0xfffd
	s_delay_alu instid0(VALU_DEP_2) | instskip(NEXT) | instid1(VALU_DEP_1)
	v_cndmask_b32_e32 v36, 0, v36, vcc_lo
	v_add_nc_u32_e32 v37, v36, v37
	s_delay_alu instid0(VALU_DEP_1) | instskip(NEXT) | instid1(VALU_DEP_1)
	v_add_nc_u32_e32 v38, v37, v38
	v_add_nc_u32_e32 v39, v38, v39
	s_delay_alu instid0(VALU_DEP_1) | instskip(NEXT) | instid1(VALU_DEP_1)
	v_add_nc_u32_e32 v101, v39, v40
	;; [unrolled: 3-line block ×3, first 2 shown]
	v_add_nc_u32_e32 v104, v103, v35
	ds_store_b128 v66, v[36:39] offset:32
	ds_store_b128 v66, v[101:104] offset:48
	s_wait_loadcnt_dscnt 0x0
	s_barrier_signal -1
	s_barrier_wait -1
	global_inv scope:SCOPE_SE
	ds_load_b32 v33, v81 offset:32
	ds_load_b32 v34, v84 offset:32
	;; [unrolled: 1-line block ×8, first 2 shown]
	v_mad_u32_u24 v81, v44, 56, v61
	s_wait_loadcnt_dscnt 0x0
	s_barrier_signal -1
	s_barrier_wait -1
	global_inv scope:SCOPE_SE
	v_add_nc_u32_e32 v78, v33, v78
	v_add3_u32 v79, v80, v79, v34
	v_add3_u32 v35, v83, v82, v35
	;; [unrolled: 1-line block ×7, first 2 shown]
	ds_store_b8 v78, v0
	ds_store_b8 v79, v71
	;; [unrolled: 1-line block ×8, first 2 shown]
	v_lshlrev_b32_e32 v0, 3, v78
	v_lshlrev_b32_e32 v71, 3, v79
	;; [unrolled: 1-line block ×5, first 2 shown]
	s_wait_loadcnt_dscnt 0x0
	s_barrier_signal -1
	s_barrier_wait -1
	global_inv scope:SCOPE_SE
	ds_load_b64 v[33:34], v61
	s_wait_loadcnt_dscnt 0x0
	s_barrier_signal -1
	s_barrier_wait -1
	global_inv scope:SCOPE_SE
	v_lshlrev_b32_e32 v38, 3, v38
	v_lshlrev_b32_e32 v39, 3, v39
	;; [unrolled: 1-line block ×3, first 2 shown]
	ds_store_b64 v0, v[29:30]
	ds_store_b64 v71, v[31:32]
	;; [unrolled: 1-line block ×8, first 2 shown]
	s_wait_loadcnt_dscnt 0x0
	s_barrier_signal -1
	s_barrier_wait -1
	global_inv scope:SCOPE_SE
	ds_load_b128 v[29:32], v81
	ds_load_b128 v[25:28], v81 offset:16
	ds_load_b128 v[21:24], v81 offset:32
	;; [unrolled: 1-line block ×3, first 2 shown]
	s_branch .LBB261_84
.LBB261_53:
	v_lshlrev_b64_e32 v[1:2], 3, v[41:42]
	v_dual_mov_b32 v43, v42 :: v_dual_mov_b32 v10, v42
	v_dual_mov_b32 v9, v42 :: v_dual_mov_b32 v12, v42
	v_mov_b32_e32 v11, v42
	s_delay_alu instid0(VALU_DEP_4) | instskip(NEXT) | instid1(VALU_DEP_1)
	v_add_co_u32 v1, vcc_lo, s16, v1
	v_add_co_ci_u32_e64 v2, null, s17, v2, vcc_lo
	v_dual_mov_b32 v3, v42 :: v_dual_mov_b32 v6, v42
	v_dual_mov_b32 v5, v42 :: v_dual_mov_b32 v8, v42
	global_load_b64 v[13:14], v[1:2], off
	v_dual_mov_b32 v1, v42 :: v_dual_mov_b32 v4, v42
	v_dual_mov_b32 v2, v42 :: v_dual_mov_b32 v7, v42
	s_wait_alu 0xfffe
	s_or_b32 exec_lo, exec_lo, s9
	s_and_saveexec_b32 s9, s1
	s_cbranch_execz .LBB261_22
.LBB261_54:
	v_mul_lo_u32 v30, s12, v28
	v_mov_b32_e32 v31, 0
	s_delay_alu instid0(VALU_DEP_1) | instskip(NEXT) | instid1(VALU_DEP_1)
	v_lshlrev_b64_e32 v[30:31], 3, v[30:31]
	v_add_co_u32 v30, vcc_lo, s16, v30
	s_wait_alu 0xfffd
	s_delay_alu instid0(VALU_DEP_2)
	v_add_co_ci_u32_e64 v31, null, s17, v31, vcc_lo
	global_load_b64 v[42:43], v[30:31], off
	s_wait_alu 0xfffe
	s_or_b32 exec_lo, exec_lo, s9
	s_and_saveexec_b32 s9, s2
	s_cbranch_execz .LBB261_23
.LBB261_55:
	v_mul_lo_u32 v9, s12, v24
	v_mov_b32_e32 v10, 0
	s_delay_alu instid0(VALU_DEP_1) | instskip(NEXT) | instid1(VALU_DEP_1)
	v_lshlrev_b64_e32 v[9:10], 3, v[9:10]
	v_add_co_u32 v9, vcc_lo, s16, v9
	s_wait_alu 0xfffd
	s_delay_alu instid0(VALU_DEP_2)
	v_add_co_ci_u32_e64 v10, null, s17, v10, vcc_lo
	global_load_b64 v[9:10], v[9:10], off
	s_wait_alu 0xfffe
	s_or_b32 exec_lo, exec_lo, s9
	s_and_saveexec_b32 s9, s3
	s_cbranch_execz .LBB261_24
.LBB261_56:
	v_mul_lo_u32 v11, s12, v21
	v_mov_b32_e32 v12, 0
	s_delay_alu instid0(VALU_DEP_1) | instskip(NEXT) | instid1(VALU_DEP_1)
	v_lshlrev_b64_e32 v[11:12], 3, v[11:12]
	v_add_co_u32 v11, vcc_lo, s16, v11
	s_wait_alu 0xfffd
	s_delay_alu instid0(VALU_DEP_2)
	v_add_co_ci_u32_e64 v12, null, s17, v12, vcc_lo
	global_load_b64 v[11:12], v[11:12], off
	s_wait_alu 0xfffe
	s_or_b32 exec_lo, exec_lo, s9
	s_and_saveexec_b32 s9, s4
	s_cbranch_execz .LBB261_25
.LBB261_57:
	v_mul_lo_u32 v1, s12, v19
	v_mov_b32_e32 v2, 0
	s_delay_alu instid0(VALU_DEP_1) | instskip(NEXT) | instid1(VALU_DEP_1)
	v_lshlrev_b64_e32 v[1:2], 3, v[1:2]
	v_add_co_u32 v1, vcc_lo, s16, v1
	s_wait_alu 0xfffd
	s_delay_alu instid0(VALU_DEP_2)
	v_add_co_ci_u32_e64 v2, null, s17, v2, vcc_lo
	global_load_b64 v[1:2], v[1:2], off
	s_wait_alu 0xfffe
	s_or_b32 exec_lo, exec_lo, s9
	s_and_saveexec_b32 s9, s5
	s_cbranch_execz .LBB261_26
.LBB261_58:
	v_mul_lo_u32 v3, s12, v17
	v_mov_b32_e32 v4, 0
	s_delay_alu instid0(VALU_DEP_1) | instskip(NEXT) | instid1(VALU_DEP_1)
	v_lshlrev_b64_e32 v[3:4], 3, v[3:4]
	v_add_co_u32 v3, vcc_lo, s16, v3
	s_wait_alu 0xfffd
	s_delay_alu instid0(VALU_DEP_2)
	v_add_co_ci_u32_e64 v4, null, s17, v4, vcc_lo
	global_load_b64 v[3:4], v[3:4], off
	s_wait_alu 0xfffe
	s_or_b32 exec_lo, exec_lo, s9
	s_and_saveexec_b32 s9, s6
	s_cbranch_execz .LBB261_27
.LBB261_59:
	v_mul_lo_u32 v5, s12, v16
	v_mov_b32_e32 v6, 0
	s_delay_alu instid0(VALU_DEP_1) | instskip(NEXT) | instid1(VALU_DEP_1)
	v_lshlrev_b64_e32 v[5:6], 3, v[5:6]
	v_add_co_u32 v5, vcc_lo, s16, v5
	s_wait_alu 0xfffd
	s_delay_alu instid0(VALU_DEP_2)
	v_add_co_ci_u32_e64 v6, null, s17, v6, vcc_lo
	global_load_b64 v[5:6], v[5:6], off
	s_wait_alu 0xfffe
	s_or_b32 exec_lo, exec_lo, s9
	s_and_saveexec_b32 s9, s7
	s_cbranch_execnz .LBB261_28
	s_branch .LBB261_29
.LBB261_60:
                                        ; implicit-def: $vgpr19_vgpr20
                                        ; implicit-def: $vgpr23_vgpr24
                                        ; implicit-def: $vgpr27_vgpr28
                                        ; implicit-def: $vgpr31_vgpr32
                                        ; implicit-def: $vgpr34
	s_cbranch_execz .LBB261_84
; %bb.61:
	v_lshrrev_b16 v0, 8, v45
	s_wait_dscnt 0x0
	v_lshrrev_b32_e32 v17, 24, v45
	s_mov_b32 s20, 0
	v_lshrrev_b32_e32 v18, 16, v45
	s_mov_b32 s21, s20
	s_mov_b32 s22, s20
	;; [unrolled: 1-line block ×3, first 2 shown]
	v_and_b32_e32 v0, 1, v0
	v_and_b32_e32 v17, 1, v17
	v_lshrrev_b32_e32 v19, 24, v46
	v_lshrrev_b16 v21, 8, v46
	v_and_b32_e32 v22, 1, v45
	v_cmp_eq_u32_e32 vcc_lo, 1, v0
	v_cmp_ne_u32_e64 s8, 1, v17
	v_and_b32_e32 v0, 1, v18
	v_lshrrev_b32_e32 v20, 16, v46
	v_and_b32_e32 v18, 1, v21
	v_and_b32_e32 v19, 1, v19
	s_wait_alu 0xf1ff
	v_cndmask_b32_e64 v17, 0, 1, s8
	s_xor_b32 s8, vcc_lo, -1
	v_cmp_ne_u32_e32 vcc_lo, 1, v0
	s_wait_alu 0xfffe
	v_cndmask_b32_e64 v21, 0, 1, s8
	v_cmp_ne_u32_e64 s8, 1, v22
	v_and_b32_e32 v20, 1, v20
	v_and_b32_e32 v23, 1, v46
	s_wait_alu 0xfffd
	v_cndmask_b32_e64 v0, 0, 1, vcc_lo
	v_cmp_eq_u32_e32 vcc_lo, 1, v18
	s_wait_alu 0xf1ff
	v_cndmask_b32_e64 v18, 0, 1, s8
	v_cmp_ne_u32_e64 s8, 1, v19
	v_lshlrev_b16 v17, 8, v17
	v_lshlrev_b16 v21, 8, v21
	s_wait_alu 0xf1ff
	s_delay_alu instid0(VALU_DEP_3)
	v_cndmask_b32_e64 v19, 0, 1, s8
	s_xor_b32 s8, vcc_lo, -1
	v_cmp_ne_u32_e32 vcc_lo, 1, v20
	s_wait_alu 0xfffe
	v_cndmask_b32_e64 v22, 0, 1, s8
	v_or_b32_e32 v0, v0, v17
	v_lshlrev_b16 v19, 8, v19
	v_or_b32_e32 v17, v18, v21
	s_wait_alu 0xfffd
	v_cndmask_b32_e64 v20, 0, 1, vcc_lo
	v_cmp_ne_u32_e32 vcc_lo, 1, v23
	v_lshlrev_b16 v22, 8, v22
	s_getpc_b64 s[8:9]
	s_wait_alu 0xfffe
	s_sext_i32_i16 s9, s9
	s_add_co_u32 s8, s8, _ZN7rocprim17ROCPRIM_400000_NS16block_radix_sortIbLj256ELj8ElLj1ELj1ELj0ELNS0_26block_radix_rank_algorithmE1ELNS0_18block_padding_hintE2ELNS0_4arch9wavefront6targetE0EE19radix_bits_per_passE@rel32@lo+12
	s_wait_alu 0xfffe
	s_add_co_ci_u32 s9, s9, _ZN7rocprim17ROCPRIM_400000_NS16block_radix_sortIbLj256ELj8ElLj1ELj1ELj0ELNS0_26block_radix_rank_algorithmE1ELNS0_18block_padding_hintE2ELNS0_4arch9wavefront6targetE0EE19radix_bits_per_passE@rel32@hi+24
	v_lshlrev_b32_e32 v0, 16, v0
	v_or_b32_e32 v18, v20, v19
	s_wait_alu 0xfffd
	v_cndmask_b32_e64 v23, 0, 1, vcc_lo
	s_load_b32 s8, s[8:9], 0x0
	v_or_b32_e32 v20, v67, v68
	v_and_b32_e32 v17, 0xffff, v17
	v_lshlrev_b32_e32 v18, 16, v18
	v_or_b32_e32 v19, v23, v22
	s_delay_alu instid0(VALU_DEP_4) | instskip(NEXT) | instid1(VALU_DEP_4)
	v_lshlrev_b32_e32 v21, 3, v20
	v_or_b32_e32 v17, v17, v0
	v_and_or_b32 v0, 0x1f00, v61, v67
	s_delay_alu instid0(VALU_DEP_4) | instskip(NEXT) | instid1(VALU_DEP_1)
	v_and_b32_e32 v19, 0xffff, v19
	v_or_b32_e32 v18, v19, v18
	ds_store_b64 v21, v[17:18]
	; wave barrier
	ds_load_u8 v24, v0
	ds_load_u8 v25, v0 offset:32
	ds_load_u8 v26, v0 offset:64
	;; [unrolled: 1-line block ×7, first 2 shown]
	v_mad_u32_u24 v17, v20, 56, v21
	v_mad_u32_u24 v0, v0, 7, v0
	s_wait_loadcnt_dscnt 0x0
	s_barrier_signal -1
	s_barrier_wait -1
	global_inv scope:SCOPE_SE
	ds_store_b128 v17, v[13:16]
	ds_store_b128 v17, v[9:12] offset:16
	ds_store_b128 v17, v[5:8] offset:32
	;; [unrolled: 1-line block ×3, first 2 shown]
	; wave barrier
	ds_load_2addr_b64 v[12:15], v0 offset1:32
	ds_load_2addr_b64 v[8:11], v0 offset0:64 offset1:96
	ds_load_2addr_b64 v[4:7], v0 offset0:128 offset1:160
	;; [unrolled: 1-line block ×3, first 2 shown]
	s_wait_loadcnt_dscnt 0x0
	s_barrier_signal -1
	s_barrier_wait -1
	global_inv scope:SCOPE_SE
	s_load_b32 s11, s[18:19], 0xc
	s_wait_kmcnt 0x0
	s_min_u32 s8, s8, 8
	s_wait_alu 0xfffe
	s_lshl_b32 s8, -1, s8
	s_wait_alu 0xfffe
	s_not_b32 s9, s8
	s_wait_alu 0xfffe
	v_and_b32_e32 v16, s9, v24
	s_delay_alu instid0(VALU_DEP_1) | instskip(NEXT) | instid1(VALU_DEP_1)
	v_and_b32_e32 v22, 1, v16
	v_add_co_u32 v18, s13, v22, -1
	s_wait_alu 0xf1ff
	v_cndmask_b32_e64 v16, 0, 1, s13
	s_lshr_b32 s8, s11, 16
	s_wait_alu 0xfffe
	v_mad_u32_u24 v17, v70, s8, v69
	s_and_b32 s8, s11, 0xffff
	v_cmp_ne_u32_e32 vcc_lo, 0, v16
	s_wait_alu 0xfffe
	s_delay_alu instid0(VALU_DEP_2) | instskip(SKIP_4) | instid1(VALU_DEP_3)
	v_mad_co_u64_u32 v[16:17], null, v17, s8, v[44:45]
	s_wait_alu 0xfffd
	v_xor_b32_e32 v17, vcc_lo, v18
	v_dual_mov_b32 v18, s20 :: v_dual_mov_b32 v19, s21
	v_dual_mov_b32 v20, s22 :: v_dual_mov_b32 v21, s23
	v_and_b32_e32 v17, exec_lo, v17
	v_lshrrev_b32_e32 v16, 3, v16
	ds_store_b128 v66, v[18:21] offset:32
	ds_store_b128 v66, v[18:21] offset:48
	v_mbcnt_lo_u32_b32 v32, v17, 0
	v_and_b32_e32 v16, 0x1ffffffc, v16
	v_lshlrev_b32_e32 v18, 5, v22
	v_cmp_ne_u32_e64 s8, 0, v17
	s_wait_loadcnt_dscnt 0x0
	v_cmp_eq_u32_e32 vcc_lo, 0, v32
	s_barrier_signal -1
	v_add_nc_u32_e32 v35, v16, v18
	s_barrier_wait -1
	global_inv scope:SCOPE_SE
	s_and_b32 s11, s8, vcc_lo
	; wave barrier
	s_wait_alu 0xfffe
	s_and_saveexec_b32 s8, s11
; %bb.62:
	v_bcnt_u32_b32 v17, v17, 0
	ds_store_b32 v35, v17 offset:32
; %bb.63:
	s_wait_alu 0xfffe
	s_or_b32 exec_lo, exec_lo, s8
	v_and_b32_e32 v17, s9, v25
	; wave barrier
	s_delay_alu instid0(VALU_DEP_1) | instskip(NEXT) | instid1(VALU_DEP_1)
	v_and_b32_e32 v17, 0xff, v17
	v_add_co_u32 v18, s8, v17, -1
	s_wait_alu 0xf1ff
	v_cndmask_b32_e64 v19, 0, 1, s8
	v_lshlrev_b32_e32 v17, 5, v17
	s_delay_alu instid0(VALU_DEP_2) | instskip(NEXT) | instid1(VALU_DEP_2)
	v_cmp_ne_u32_e32 vcc_lo, 0, v19
	v_add_nc_u32_e32 v37, v16, v17
	s_wait_alu 0xfffd
	v_xor_b32_e32 v17, vcc_lo, v18
	ds_load_b32 v33, v37 offset:32
	; wave barrier
	v_and_b32_e32 v17, exec_lo, v17
	s_delay_alu instid0(VALU_DEP_1) | instskip(SKIP_1) | instid1(VALU_DEP_2)
	v_mbcnt_lo_u32_b32 v34, v17, 0
	v_cmp_ne_u32_e64 s8, 0, v17
	v_cmp_eq_u32_e32 vcc_lo, 0, v34
	s_and_b32 s11, s8, vcc_lo
	s_wait_alu 0xfffe
	s_and_saveexec_b32 s8, s11
	s_cbranch_execz .LBB261_65
; %bb.64:
	s_wait_dscnt 0x0
	v_bcnt_u32_b32 v17, v17, v33
	ds_store_b32 v37, v17 offset:32
.LBB261_65:
	s_wait_alu 0xfffe
	s_or_b32 exec_lo, exec_lo, s8
	v_and_b32_e32 v17, s9, v26
	; wave barrier
	s_delay_alu instid0(VALU_DEP_1) | instskip(NEXT) | instid1(VALU_DEP_1)
	v_and_b32_e32 v17, 0xff, v17
	v_add_co_u32 v18, s8, v17, -1
	s_wait_alu 0xf1ff
	v_cndmask_b32_e64 v19, 0, 1, s8
	v_lshlrev_b32_e32 v17, 5, v17
	s_delay_alu instid0(VALU_DEP_2) | instskip(NEXT) | instid1(VALU_DEP_2)
	v_cmp_ne_u32_e32 vcc_lo, 0, v19
	v_add_nc_u32_e32 v39, v16, v17
	s_wait_alu 0xfffd
	v_xor_b32_e32 v17, vcc_lo, v18
	ds_load_b32 v36, v39 offset:32
	; wave barrier
	v_and_b32_e32 v17, exec_lo, v17
	s_delay_alu instid0(VALU_DEP_1) | instskip(SKIP_1) | instid1(VALU_DEP_2)
	v_mbcnt_lo_u32_b32 v38, v17, 0
	v_cmp_ne_u32_e64 s8, 0, v17
	v_cmp_eq_u32_e32 vcc_lo, 0, v38
	s_and_b32 s11, s8, vcc_lo
	s_wait_alu 0xfffe
	s_and_saveexec_b32 s8, s11
	s_cbranch_execz .LBB261_67
; %bb.66:
	s_wait_dscnt 0x0
	v_bcnt_u32_b32 v17, v17, v36
	ds_store_b32 v39, v17 offset:32
.LBB261_67:
	;; [unrolled: 31-line block ×7, first 2 shown]
	s_wait_alu 0xfffe
	s_or_b32 exec_lo, exec_lo, s8
	; wave barrier
	s_wait_loadcnt_dscnt 0x0
	s_barrier_signal -1
	s_barrier_wait -1
	global_inv scope:SCOPE_SE
	ds_load_b128 v[20:23], v66 offset:32
	ds_load_b128 v[16:19], v66 offset:48
	v_min_u32_e32 v68, 0xe0, v68
	s_mov_b32 s8, exec_lo
	s_delay_alu instid0(VALU_DEP_1) | instskip(SKIP_2) | instid1(VALU_DEP_1)
	v_or_b32_e32 v68, 31, v68
	s_wait_dscnt 0x1
	v_add_nc_u32_e32 v81, v21, v20
	v_add3_u32 v81, v81, v22, v23
	s_wait_dscnt 0x0
	s_delay_alu instid0(VALU_DEP_1) | instskip(NEXT) | instid1(VALU_DEP_1)
	v_add3_u32 v81, v81, v16, v17
	v_add3_u32 v19, v81, v18, v19
	v_and_b32_e32 v81, 15, v67
	s_delay_alu instid0(VALU_DEP_2) | instskip(NEXT) | instid1(VALU_DEP_2)
	v_mov_b32_dpp v82, v19 row_shr:1 row_mask:0xf bank_mask:0xf
	v_cmp_ne_u32_e32 vcc_lo, 0, v81
	s_wait_alu 0xfffd
	s_delay_alu instid0(VALU_DEP_2) | instskip(SKIP_1) | instid1(VALU_DEP_2)
	v_cndmask_b32_e32 v82, 0, v82, vcc_lo
	v_cmp_lt_u32_e32 vcc_lo, 1, v81
	v_add_nc_u32_e32 v19, v82, v19
	s_delay_alu instid0(VALU_DEP_1) | instskip(SKIP_1) | instid1(VALU_DEP_1)
	v_mov_b32_dpp v82, v19 row_shr:2 row_mask:0xf bank_mask:0xf
	s_wait_alu 0xfffd
	v_cndmask_b32_e32 v82, 0, v82, vcc_lo
	v_cmp_lt_u32_e32 vcc_lo, 3, v81
	s_delay_alu instid0(VALU_DEP_2) | instskip(NEXT) | instid1(VALU_DEP_1)
	v_add_nc_u32_e32 v19, v19, v82
	v_mov_b32_dpp v82, v19 row_shr:4 row_mask:0xf bank_mask:0xf
	s_wait_alu 0xfffd
	s_delay_alu instid0(VALU_DEP_1) | instskip(SKIP_1) | instid1(VALU_DEP_2)
	v_cndmask_b32_e32 v82, 0, v82, vcc_lo
	v_cmp_lt_u32_e32 vcc_lo, 7, v81
	v_add_nc_u32_e32 v19, v19, v82
	s_delay_alu instid0(VALU_DEP_1) | instskip(SKIP_1) | instid1(VALU_DEP_1)
	v_mov_b32_dpp v82, v19 row_shr:8 row_mask:0xf bank_mask:0xf
	s_wait_alu 0xfffd
	v_cndmask_b32_e32 v81, 0, v82, vcc_lo
	v_bfe_i32 v82, v67, 4, 1
	s_delay_alu instid0(VALU_DEP_2) | instskip(SKIP_3) | instid1(VALU_DEP_1)
	v_add_nc_u32_e32 v19, v19, v81
	ds_swizzle_b32 v81, v19 offset:swizzle(BROADCAST,32,15)
	s_wait_dscnt 0x0
	v_and_b32_e32 v81, v82, v81
	v_add_nc_u32_e32 v19, v19, v81
	v_cmpx_eq_u32_e64 v44, v68
; %bb.78:
	v_lshlrev_b32_e32 v68, 2, v65
	ds_store_b32 v68, v19
; %bb.79:
	s_wait_alu 0xfffe
	s_or_b32 exec_lo, exec_lo, s8
	s_delay_alu instid0(SALU_CYCLE_1)
	s_mov_b32 s8, exec_lo
	s_wait_loadcnt_dscnt 0x0
	s_barrier_signal -1
	s_barrier_wait -1
	global_inv scope:SCOPE_SE
	v_cmpx_gt_u32_e32 8, v44
	s_cbranch_execz .LBB261_81
; %bb.80:
	v_and_b32_e32 v82, 7, v67
	s_delay_alu instid0(VALU_DEP_1)
	v_cmp_ne_u32_e32 vcc_lo, 0, v82
	v_lshlrev_b32_e32 v68, 2, v44
	ds_load_b32 v81, v68
	s_wait_dscnt 0x0
	v_mov_b32_dpp v83, v81 row_shr:1 row_mask:0xf bank_mask:0xf
	s_wait_alu 0xfffd
	s_delay_alu instid0(VALU_DEP_1) | instskip(SKIP_1) | instid1(VALU_DEP_2)
	v_cndmask_b32_e32 v83, 0, v83, vcc_lo
	v_cmp_lt_u32_e32 vcc_lo, 1, v82
	v_add_nc_u32_e32 v81, v83, v81
	s_delay_alu instid0(VALU_DEP_1) | instskip(SKIP_1) | instid1(VALU_DEP_1)
	v_mov_b32_dpp v83, v81 row_shr:2 row_mask:0xf bank_mask:0xf
	s_wait_alu 0xfffd
	v_cndmask_b32_e32 v83, 0, v83, vcc_lo
	v_cmp_lt_u32_e32 vcc_lo, 3, v82
	s_delay_alu instid0(VALU_DEP_2) | instskip(NEXT) | instid1(VALU_DEP_1)
	v_add_nc_u32_e32 v81, v81, v83
	v_mov_b32_dpp v83, v81 row_shr:4 row_mask:0xf bank_mask:0xf
	s_wait_alu 0xfffd
	s_delay_alu instid0(VALU_DEP_1) | instskip(NEXT) | instid1(VALU_DEP_1)
	v_cndmask_b32_e32 v82, 0, v83, vcc_lo
	v_add_nc_u32_e32 v81, v81, v82
	ds_store_b32 v68, v81
.LBB261_81:
	s_wait_alu 0xfffe
	s_or_b32 exec_lo, exec_lo, s8
	v_mov_b32_e32 v68, 0
	s_mov_b32 s8, exec_lo
	s_wait_loadcnt_dscnt 0x0
	s_barrier_signal -1
	s_barrier_wait -1
	global_inv scope:SCOPE_SE
	v_cmpx_lt_u32_e32 31, v44
; %bb.82:
	v_lshl_add_u32 v65, v65, 2, -4
	ds_load_b32 v68, v65
; %bb.83:
	s_wait_alu 0xfffe
	s_or_b32 exec_lo, exec_lo, s8
	v_sub_co_u32 v65, vcc_lo, v67, 1
	s_wait_dscnt 0x0
	v_add_nc_u32_e32 v19, v68, v19
	s_delay_alu instid0(VALU_DEP_2) | instskip(SKIP_1) | instid1(VALU_DEP_1)
	v_cmp_gt_i32_e64 s8, 0, v65
	s_wait_alu 0xf1ff
	v_cndmask_b32_e64 v65, v65, v67, s8
	s_delay_alu instid0(VALU_DEP_1)
	v_lshlrev_b32_e32 v65, 2, v65
	ds_bpermute_b32 v19, v65, v19
	s_wait_dscnt 0x0
	s_wait_alu 0xfffd
	v_cndmask_b32_e32 v19, v19, v68, vcc_lo
	v_cmp_ne_u32_e32 vcc_lo, 0, v44
	s_wait_alu 0xfffd
	s_delay_alu instid0(VALU_DEP_2) | instskip(NEXT) | instid1(VALU_DEP_1)
	v_cndmask_b32_e32 v19, 0, v19, vcc_lo
	v_add_nc_u32_e32 v20, v19, v20
	s_delay_alu instid0(VALU_DEP_1) | instskip(NEXT) | instid1(VALU_DEP_1)
	v_add_nc_u32_e32 v21, v20, v21
	v_add_nc_u32_e32 v22, v21, v22
	s_delay_alu instid0(VALU_DEP_1) | instskip(NEXT) | instid1(VALU_DEP_1)
	v_add_nc_u32_e32 v81, v22, v23
	;; [unrolled: 3-line block ×3, first 2 shown]
	v_add_nc_u32_e32 v84, v83, v18
	ds_store_b128 v66, v[19:22] offset:32
	ds_store_b128 v66, v[81:84] offset:48
	s_wait_loadcnt_dscnt 0x0
	s_barrier_signal -1
	s_barrier_wait -1
	global_inv scope:SCOPE_SE
	ds_load_b32 v16, v35 offset:32
	ds_load_b32 v17, v37 offset:32
	ds_load_b32 v18, v39 offset:32
	ds_load_b32 v19, v46 offset:32
	ds_load_b32 v20, v71 offset:32
	ds_load_b32 v21, v74 offset:32
	ds_load_b32 v22, v77 offset:32
	ds_load_b32 v23, v80 offset:32
	s_wait_loadcnt_dscnt 0x0
	s_barrier_signal -1
	s_barrier_wait -1
	global_inv scope:SCOPE_SE
	v_mad_u32_u24 v35, v44, 56, v61
	v_add_nc_u32_e32 v16, v16, v32
	v_add3_u32 v17, v34, v33, v17
	v_add3_u32 v18, v38, v36, v18
	;; [unrolled: 1-line block ×7, first 2 shown]
	ds_store_b8 v16, v24
	ds_store_b8 v17, v25
	;; [unrolled: 1-line block ×8, first 2 shown]
	s_wait_loadcnt_dscnt 0x0
	s_barrier_signal -1
	s_barrier_wait -1
	global_inv scope:SCOPE_SE
	ds_load_b64 v[33:34], v61
	v_lshlrev_b32_e32 v16, 3, v16
	v_lshlrev_b32_e32 v17, 3, v17
	v_lshlrev_b32_e32 v18, 3, v18
	v_lshlrev_b32_e32 v19, 3, v19
	v_lshlrev_b32_e32 v20, 3, v20
	v_lshlrev_b32_e32 v21, 3, v21
	v_lshlrev_b32_e32 v22, 3, v22
	v_lshlrev_b32_e32 v23, 3, v23
	s_wait_loadcnt_dscnt 0x0
	s_barrier_signal -1
	s_barrier_wait -1
	global_inv scope:SCOPE_SE
	ds_store_b64 v16, v[12:13]
	ds_store_b64 v17, v[14:15]
	;; [unrolled: 1-line block ×8, first 2 shown]
	s_wait_loadcnt_dscnt 0x0
	s_barrier_signal -1
	s_barrier_wait -1
	global_inv scope:SCOPE_SE
	ds_load_b128 v[29:32], v35
	ds_load_b128 v[25:28], v35 offset:16
	ds_load_b128 v[21:24], v35 offset:32
	;; [unrolled: 1-line block ×3, first 2 shown]
	v_lshrrev_b32_e32 v0, 16, v33
	v_lshrrev_b32_e32 v3, 16, v34
	v_and_b32_e32 v1, 0xffffff00, v33
	v_xor_b32_e32 v2, 1, v33
	v_and_b32_e32 v4, 0xffffff00, v34
	v_xor_b32_e32 v5, 1, v34
	;; [unrolled: 2-line block ×4, first 2 shown]
	v_xor_b32_e32 v1, 0x100, v1
	v_and_b32_e32 v2, 0xff, v2
	v_xor_b32_e32 v4, 0x100, v4
	v_and_b32_e32 v5, 0xff, v5
	;; [unrolled: 2-line block ×4, first 2 shown]
	v_or_b32_e32 v1, v2, v1
	v_or_b32_e32 v2, v5, v4
	;; [unrolled: 1-line block ×3, first 2 shown]
	s_delay_alu instid0(VALU_DEP_4) | instskip(NEXT) | instid1(VALU_DEP_4)
	v_or_b32_e32 v3, v3, v7
	v_and_b32_e32 v1, 0xffff, v1
	s_delay_alu instid0(VALU_DEP_4) | instskip(NEXT) | instid1(VALU_DEP_4)
	v_and_b32_e32 v2, 0xffff, v2
	v_lshlrev_b32_e32 v0, 16, v0
	s_delay_alu instid0(VALU_DEP_4) | instskip(NEXT) | instid1(VALU_DEP_2)
	v_lshlrev_b32_e32 v3, 16, v3
	v_or_b32_e32 v33, v1, v0
	s_delay_alu instid0(VALU_DEP_2)
	v_or_b32_e32 v34, v2, v3
.LBB261_84:
	s_wait_loadcnt_dscnt 0x0
	s_barrier_signal -1
	s_barrier_wait -1
	global_inv scope:SCOPE_SE
	ds_store_2addr_b32 v56, v33, v34 offset1:1
	s_wait_loadcnt_dscnt 0x0
	s_barrier_signal -1
	s_barrier_wait -1
	global_inv scope:SCOPE_SE
	ds_load_u8 v8, v49 offset:256
	ds_load_u8 v7, v50 offset:512
	;; [unrolled: 1-line block ×7, first 2 shown]
	v_add_co_u32 v0, s8, s14, v47
	s_wait_alu 0xf1ff
	v_add_co_ci_u32_e64 v1, null, s15, 0, s8
	s_and_saveexec_b32 s8, s0
	s_cbranch_execnz .LBB261_103
; %bb.85:
	s_wait_alu 0xfffe
	s_or_b32 exec_lo, exec_lo, s8
	s_and_saveexec_b32 s8, s1
	s_cbranch_execnz .LBB261_104
.LBB261_86:
	s_wait_alu 0xfffe
	s_or_b32 exec_lo, exec_lo, s8
	s_and_saveexec_b32 s8, s2
	s_cbranch_execnz .LBB261_105
.LBB261_87:
	s_wait_alu 0xfffe
	s_or_b32 exec_lo, exec_lo, s8
	s_and_saveexec_b32 s8, s3
	s_cbranch_execnz .LBB261_106
.LBB261_88:
	s_wait_alu 0xfffe
	s_or_b32 exec_lo, exec_lo, s8
	s_and_saveexec_b32 s8, s4
	s_cbranch_execnz .LBB261_107
.LBB261_89:
	s_wait_alu 0xfffe
	s_or_b32 exec_lo, exec_lo, s8
	s_and_saveexec_b32 s8, s5
	s_cbranch_execnz .LBB261_108
.LBB261_90:
	s_wait_alu 0xfffe
	s_or_b32 exec_lo, exec_lo, s8
	s_and_saveexec_b32 s8, s6
	s_cbranch_execnz .LBB261_109
.LBB261_91:
	s_wait_alu 0xfffe
	s_or_b32 exec_lo, exec_lo, s8
	s_and_saveexec_b32 s8, s7
	s_cbranch_execz .LBB261_93
.LBB261_92:
	s_mul_i32 s9, s10, 0x700
	s_wait_alu 0xfffe
	v_add_co_u32 v0, vcc_lo, v0, s9
	s_wait_alu 0xfffd
	v_add_co_ci_u32_e64 v1, null, 0, v1, vcc_lo
	s_wait_dscnt 0x0
	global_store_b8 v[0:1], v2, off
.LBB261_93:
	s_wait_alu 0xfffe
	s_or_b32 exec_lo, exec_lo, s8
	s_wait_storecnt 0x0
	s_wait_loadcnt_dscnt 0x0
	s_barrier_signal -1
	s_barrier_wait -1
	global_inv scope:SCOPE_SE
	ds_store_2addr_b64 v64, v[29:30], v[31:32] offset1:1
	ds_store_2addr_b64 v64, v[25:26], v[27:28] offset0:2 offset1:3
	ds_store_2addr_b64 v64, v[21:22], v[23:24] offset0:4 offset1:5
	;; [unrolled: 1-line block ×3, first 2 shown]
	s_wait_loadcnt_dscnt 0x0
	s_barrier_signal -1
	s_barrier_wait -1
	global_inv scope:SCOPE_SE
	ds_load_b64 v[14:15], v58 offset:2048
	ds_load_b64 v[12:13], v59 offset:4096
	;; [unrolled: 1-line block ×7, first 2 shown]
	v_mov_b32_e32 v42, 0
	s_delay_alu instid0(VALU_DEP_1) | instskip(NEXT) | instid1(VALU_DEP_1)
	v_lshlrev_b64_e32 v[2:3], 3, v[41:42]
	v_add_co_u32 v2, vcc_lo, s16, v2
	s_wait_alu 0xfffd
	s_delay_alu instid0(VALU_DEP_2)
	v_add_co_ci_u32_e64 v3, null, s17, v3, vcc_lo
	s_and_saveexec_b32 s8, s0
	s_cbranch_execnz .LBB261_110
; %bb.94:
	s_wait_alu 0xfffe
	s_or_b32 exec_lo, exec_lo, s8
	s_and_saveexec_b32 s0, s1
	s_cbranch_execnz .LBB261_111
.LBB261_95:
	s_or_b32 exec_lo, exec_lo, s0
	s_and_saveexec_b32 s0, s2
	s_cbranch_execnz .LBB261_112
.LBB261_96:
	s_or_b32 exec_lo, exec_lo, s0
	s_and_saveexec_b32 s0, s3
	s_cbranch_execnz .LBB261_113
.LBB261_97:
	s_or_b32 exec_lo, exec_lo, s0
	s_and_saveexec_b32 s0, s4
	s_cbranch_execnz .LBB261_114
.LBB261_98:
	s_or_b32 exec_lo, exec_lo, s0
	s_and_saveexec_b32 s0, s5
	s_cbranch_execnz .LBB261_115
.LBB261_99:
	s_or_b32 exec_lo, exec_lo, s0
	s_and_saveexec_b32 s0, s6
	s_cbranch_execnz .LBB261_116
.LBB261_100:
	s_or_b32 exec_lo, exec_lo, s0
	s_and_saveexec_b32 s0, s7
	s_cbranch_execz .LBB261_102
.LBB261_101:
	s_mul_i32 s0, s12, 0x700
	s_mov_b32 s1, 0
	s_delay_alu instid0(SALU_CYCLE_1) | instskip(NEXT) | instid1(SALU_CYCLE_1)
	s_lshl_b64 s[0:1], s[0:1], 3
	v_add_co_u32 v2, vcc_lo, v2, s0
	s_wait_alu 0xfffd
	v_add_co_ci_u32_e64 v3, null, s1, v3, vcc_lo
	s_wait_dscnt 0x0
	global_store_b64 v[2:3], v[0:1], off
.LBB261_102:
	s_nop 0
	s_sendmsg sendmsg(MSG_DEALLOC_VGPRS)
	s_endpgm
.LBB261_103:
	ds_load_u8 v9, v48
	s_wait_dscnt 0x0
	global_store_b8 v[0:1], v9, off
	s_wait_alu 0xfffe
	s_or_b32 exec_lo, exec_lo, s8
	s_and_saveexec_b32 s8, s1
	s_cbranch_execz .LBB261_86
.LBB261_104:
	s_lshl_b32 s9, s10, 8
	s_wait_alu 0xfffe
	v_add_co_u32 v9, vcc_lo, v0, s9
	s_wait_alu 0xfffd
	v_add_co_ci_u32_e64 v10, null, 0, v1, vcc_lo
	s_wait_dscnt 0x6
	global_store_b8 v[9:10], v8, off
	s_or_b32 exec_lo, exec_lo, s8
	s_and_saveexec_b32 s8, s2
	s_cbranch_execz .LBB261_87
.LBB261_105:
	s_lshl_b32 s9, s10, 9
	s_wait_dscnt 0x6
	s_wait_alu 0xfffe
	v_add_co_u32 v8, vcc_lo, v0, s9
	s_wait_alu 0xfffd
	v_add_co_ci_u32_e64 v9, null, 0, v1, vcc_lo
	s_wait_dscnt 0x5
	global_store_b8 v[8:9], v7, off
	s_or_b32 exec_lo, exec_lo, s8
	s_and_saveexec_b32 s8, s3
	s_cbranch_execz .LBB261_88
.LBB261_106:
	s_mul_i32 s9, s10, 0x300
	s_wait_dscnt 0x5
	s_wait_alu 0xfffe
	v_add_co_u32 v7, vcc_lo, v0, s9
	s_wait_alu 0xfffd
	v_add_co_ci_u32_e64 v8, null, 0, v1, vcc_lo
	s_wait_dscnt 0x4
	global_store_b8 v[7:8], v6, off
	s_or_b32 exec_lo, exec_lo, s8
	s_and_saveexec_b32 s8, s4
	s_cbranch_execz .LBB261_89
.LBB261_107:
	s_lshl_b32 s9, s10, 10
	s_wait_dscnt 0x4
	s_wait_alu 0xfffe
	v_add_co_u32 v6, vcc_lo, v0, s9
	s_wait_alu 0xfffd
	v_add_co_ci_u32_e64 v7, null, 0, v1, vcc_lo
	s_wait_dscnt 0x3
	global_store_b8 v[6:7], v5, off
	s_or_b32 exec_lo, exec_lo, s8
	s_and_saveexec_b32 s8, s5
	s_cbranch_execz .LBB261_90
.LBB261_108:
	s_mul_i32 s9, s10, 0x500
	s_wait_dscnt 0x3
	s_wait_alu 0xfffe
	v_add_co_u32 v5, vcc_lo, v0, s9
	s_wait_alu 0xfffd
	v_add_co_ci_u32_e64 v6, null, 0, v1, vcc_lo
	s_wait_dscnt 0x2
	global_store_b8 v[5:6], v4, off
	s_or_b32 exec_lo, exec_lo, s8
	s_and_saveexec_b32 s8, s6
	s_cbranch_execz .LBB261_91
.LBB261_109:
	s_mul_i32 s9, s10, 0x600
	s_wait_dscnt 0x2
	s_wait_alu 0xfffe
	v_add_co_u32 v4, vcc_lo, v0, s9
	s_wait_alu 0xfffd
	v_add_co_ci_u32_e64 v5, null, 0, v1, vcc_lo
	s_wait_dscnt 0x1
	global_store_b8 v[4:5], v3, off
	s_or_b32 exec_lo, exec_lo, s8
	s_and_saveexec_b32 s8, s7
	s_cbranch_execnz .LBB261_92
	s_branch .LBB261_93
.LBB261_110:
	ds_load_b64 v[16:17], v57
	s_wait_dscnt 0x0
	global_store_b64 v[2:3], v[16:17], off
	s_wait_alu 0xfffe
	s_or_b32 exec_lo, exec_lo, s8
	s_and_saveexec_b32 s0, s1
	s_cbranch_execz .LBB261_95
.LBB261_111:
	s_lshl_b32 s8, s12, 8
	s_mov_b32 s9, 0
	s_wait_alu 0xfffe
	s_lshl_b64 s[8:9], s[8:9], 3
	s_wait_alu 0xfffe
	v_add_co_u32 v16, vcc_lo, v2, s8
	s_wait_alu 0xfffd
	v_add_co_ci_u32_e64 v17, null, s9, v3, vcc_lo
	s_wait_dscnt 0x6
	global_store_b64 v[16:17], v[14:15], off
	s_or_b32 exec_lo, exec_lo, s0
	s_and_saveexec_b32 s0, s2
	s_cbranch_execz .LBB261_96
.LBB261_112:
	s_lshl_b32 s8, s12, 9
	s_mov_b32 s9, 0
	s_wait_alu 0xfffe
	s_lshl_b64 s[8:9], s[8:9], 3
	s_wait_dscnt 0x6
	s_wait_alu 0xfffe
	v_add_co_u32 v14, vcc_lo, v2, s8
	s_wait_alu 0xfffd
	v_add_co_ci_u32_e64 v15, null, s9, v3, vcc_lo
	s_wait_dscnt 0x5
	global_store_b64 v[14:15], v[12:13], off
	s_or_b32 exec_lo, exec_lo, s0
	s_and_saveexec_b32 s0, s3
	s_cbranch_execz .LBB261_97
.LBB261_113:
	s_mul_i32 s2, s12, 0x300
	s_mov_b32 s3, 0
	s_delay_alu instid0(SALU_CYCLE_1)
	s_lshl_b64 s[2:3], s[2:3], 3
	s_wait_dscnt 0x5
	v_add_co_u32 v12, vcc_lo, v2, s2
	s_wait_alu 0xfffd
	v_add_co_ci_u32_e64 v13, null, s3, v3, vcc_lo
	s_wait_dscnt 0x4
	global_store_b64 v[12:13], v[10:11], off
	s_or_b32 exec_lo, exec_lo, s0
	s_and_saveexec_b32 s0, s4
	s_cbranch_execz .LBB261_98
.LBB261_114:
	s_lshl_b32 s2, s12, 10
	s_mov_b32 s3, 0
	s_wait_alu 0xfffe
	s_lshl_b64 s[2:3], s[2:3], 3
	s_wait_dscnt 0x4
	s_wait_alu 0xfffe
	v_add_co_u32 v10, vcc_lo, v2, s2
	s_wait_alu 0xfffd
	v_add_co_ci_u32_e64 v11, null, s3, v3, vcc_lo
	s_wait_dscnt 0x3
	global_store_b64 v[10:11], v[8:9], off
	s_or_b32 exec_lo, exec_lo, s0
	s_and_saveexec_b32 s0, s5
	s_cbranch_execz .LBB261_99
.LBB261_115:
	s_mul_i32 s2, s12, 0x500
	s_mov_b32 s3, 0
	s_wait_alu 0xfffe
	s_lshl_b64 s[2:3], s[2:3], 3
	s_wait_dscnt 0x3
	s_wait_alu 0xfffe
	v_add_co_u32 v8, vcc_lo, v2, s2
	s_wait_alu 0xfffd
	v_add_co_ci_u32_e64 v9, null, s3, v3, vcc_lo
	s_wait_dscnt 0x2
	global_store_b64 v[8:9], v[6:7], off
	s_or_b32 exec_lo, exec_lo, s0
	s_and_saveexec_b32 s0, s6
	s_cbranch_execz .LBB261_100
.LBB261_116:
	s_mul_i32 s2, s12, 0x600
	s_mov_b32 s3, 0
	s_wait_alu 0xfffe
	s_lshl_b64 s[2:3], s[2:3], 3
	s_wait_dscnt 0x2
	s_wait_alu 0xfffe
	v_add_co_u32 v6, vcc_lo, v2, s2
	s_wait_alu 0xfffd
	v_add_co_ci_u32_e64 v7, null, s3, v3, vcc_lo
	s_wait_dscnt 0x1
	global_store_b64 v[6:7], v[4:5], off
	s_or_b32 exec_lo, exec_lo, s0
	s_and_saveexec_b32 s0, s7
	s_cbranch_execnz .LBB261_101
	s_branch .LBB261_102
	.section	.rodata,"a",@progbits
	.p2align	6, 0x0
	.amdhsa_kernel _ZN2at6native18radixSortKVInPlaceILin2ELin1ELi256ELi8EbljEEvNS_4cuda6detail10TensorInfoIT3_T5_EES6_S6_S6_NS4_IT4_S6_EES6_b
		.amdhsa_group_segment_fixed_size 16896
		.amdhsa_private_segment_fixed_size 0
		.amdhsa_kernarg_size 712
		.amdhsa_user_sgpr_count 2
		.amdhsa_user_sgpr_dispatch_ptr 0
		.amdhsa_user_sgpr_queue_ptr 0
		.amdhsa_user_sgpr_kernarg_segment_ptr 1
		.amdhsa_user_sgpr_dispatch_id 0
		.amdhsa_user_sgpr_private_segment_size 0
		.amdhsa_wavefront_size32 1
		.amdhsa_uses_dynamic_stack 0
		.amdhsa_enable_private_segment 0
		.amdhsa_system_sgpr_workgroup_id_x 1
		.amdhsa_system_sgpr_workgroup_id_y 1
		.amdhsa_system_sgpr_workgroup_id_z 1
		.amdhsa_system_sgpr_workgroup_info 0
		.amdhsa_system_vgpr_workitem_id 2
		.amdhsa_next_free_vgpr 105
		.amdhsa_next_free_sgpr 24
		.amdhsa_reserve_vcc 1
		.amdhsa_float_round_mode_32 0
		.amdhsa_float_round_mode_16_64 0
		.amdhsa_float_denorm_mode_32 3
		.amdhsa_float_denorm_mode_16_64 3
		.amdhsa_fp16_overflow 0
		.amdhsa_workgroup_processor_mode 1
		.amdhsa_memory_ordered 1
		.amdhsa_forward_progress 1
		.amdhsa_inst_pref_size 76
		.amdhsa_round_robin_scheduling 0
		.amdhsa_exception_fp_ieee_invalid_op 0
		.amdhsa_exception_fp_denorm_src 0
		.amdhsa_exception_fp_ieee_div_zero 0
		.amdhsa_exception_fp_ieee_overflow 0
		.amdhsa_exception_fp_ieee_underflow 0
		.amdhsa_exception_fp_ieee_inexact 0
		.amdhsa_exception_int_div_zero 0
	.end_amdhsa_kernel
	.section	.text._ZN2at6native18radixSortKVInPlaceILin2ELin1ELi256ELi8EbljEEvNS_4cuda6detail10TensorInfoIT3_T5_EES6_S6_S6_NS4_IT4_S6_EES6_b,"axG",@progbits,_ZN2at6native18radixSortKVInPlaceILin2ELin1ELi256ELi8EbljEEvNS_4cuda6detail10TensorInfoIT3_T5_EES6_S6_S6_NS4_IT4_S6_EES6_b,comdat
.Lfunc_end261:
	.size	_ZN2at6native18radixSortKVInPlaceILin2ELin1ELi256ELi8EbljEEvNS_4cuda6detail10TensorInfoIT3_T5_EES6_S6_S6_NS4_IT4_S6_EES6_b, .Lfunc_end261-_ZN2at6native18radixSortKVInPlaceILin2ELin1ELi256ELi8EbljEEvNS_4cuda6detail10TensorInfoIT3_T5_EES6_S6_S6_NS4_IT4_S6_EES6_b
                                        ; -- End function
	.set _ZN2at6native18radixSortKVInPlaceILin2ELin1ELi256ELi8EbljEEvNS_4cuda6detail10TensorInfoIT3_T5_EES6_S6_S6_NS4_IT4_S6_EES6_b.num_vgpr, 105
	.set _ZN2at6native18radixSortKVInPlaceILin2ELin1ELi256ELi8EbljEEvNS_4cuda6detail10TensorInfoIT3_T5_EES6_S6_S6_NS4_IT4_S6_EES6_b.num_agpr, 0
	.set _ZN2at6native18radixSortKVInPlaceILin2ELin1ELi256ELi8EbljEEvNS_4cuda6detail10TensorInfoIT3_T5_EES6_S6_S6_NS4_IT4_S6_EES6_b.numbered_sgpr, 24
	.set _ZN2at6native18radixSortKVInPlaceILin2ELin1ELi256ELi8EbljEEvNS_4cuda6detail10TensorInfoIT3_T5_EES6_S6_S6_NS4_IT4_S6_EES6_b.num_named_barrier, 0
	.set _ZN2at6native18radixSortKVInPlaceILin2ELin1ELi256ELi8EbljEEvNS_4cuda6detail10TensorInfoIT3_T5_EES6_S6_S6_NS4_IT4_S6_EES6_b.private_seg_size, 0
	.set _ZN2at6native18radixSortKVInPlaceILin2ELin1ELi256ELi8EbljEEvNS_4cuda6detail10TensorInfoIT3_T5_EES6_S6_S6_NS4_IT4_S6_EES6_b.uses_vcc, 1
	.set _ZN2at6native18radixSortKVInPlaceILin2ELin1ELi256ELi8EbljEEvNS_4cuda6detail10TensorInfoIT3_T5_EES6_S6_S6_NS4_IT4_S6_EES6_b.uses_flat_scratch, 0
	.set _ZN2at6native18radixSortKVInPlaceILin2ELin1ELi256ELi8EbljEEvNS_4cuda6detail10TensorInfoIT3_T5_EES6_S6_S6_NS4_IT4_S6_EES6_b.has_dyn_sized_stack, 0
	.set _ZN2at6native18radixSortKVInPlaceILin2ELin1ELi256ELi8EbljEEvNS_4cuda6detail10TensorInfoIT3_T5_EES6_S6_S6_NS4_IT4_S6_EES6_b.has_recursion, 0
	.set _ZN2at6native18radixSortKVInPlaceILin2ELin1ELi256ELi8EbljEEvNS_4cuda6detail10TensorInfoIT3_T5_EES6_S6_S6_NS4_IT4_S6_EES6_b.has_indirect_call, 0
	.section	.AMDGPU.csdata,"",@progbits
; Kernel info:
; codeLenInByte = 9712
; TotalNumSgprs: 26
; NumVgprs: 105
; ScratchSize: 0
; MemoryBound: 0
; FloatMode: 240
; IeeeMode: 1
; LDSByteSize: 16896 bytes/workgroup (compile time only)
; SGPRBlocks: 0
; VGPRBlocks: 13
; NumSGPRsForWavesPerEU: 26
; NumVGPRsForWavesPerEU: 105
; Occupancy: 12
; WaveLimiterHint : 1
; COMPUTE_PGM_RSRC2:SCRATCH_EN: 0
; COMPUTE_PGM_RSRC2:USER_SGPR: 2
; COMPUTE_PGM_RSRC2:TRAP_HANDLER: 0
; COMPUTE_PGM_RSRC2:TGID_X_EN: 1
; COMPUTE_PGM_RSRC2:TGID_Y_EN: 1
; COMPUTE_PGM_RSRC2:TGID_Z_EN: 1
; COMPUTE_PGM_RSRC2:TIDIG_COMP_CNT: 2
	.section	.text._ZN2at6native18radixSortKVInPlaceILin2ELin1ELi128ELi8EbljEEvNS_4cuda6detail10TensorInfoIT3_T5_EES6_S6_S6_NS4_IT4_S6_EES6_b,"axG",@progbits,_ZN2at6native18radixSortKVInPlaceILin2ELin1ELi128ELi8EbljEEvNS_4cuda6detail10TensorInfoIT3_T5_EES6_S6_S6_NS4_IT4_S6_EES6_b,comdat
	.protected	_ZN2at6native18radixSortKVInPlaceILin2ELin1ELi128ELi8EbljEEvNS_4cuda6detail10TensorInfoIT3_T5_EES6_S6_S6_NS4_IT4_S6_EES6_b ; -- Begin function _ZN2at6native18radixSortKVInPlaceILin2ELin1ELi128ELi8EbljEEvNS_4cuda6detail10TensorInfoIT3_T5_EES6_S6_S6_NS4_IT4_S6_EES6_b
	.globl	_ZN2at6native18radixSortKVInPlaceILin2ELin1ELi128ELi8EbljEEvNS_4cuda6detail10TensorInfoIT3_T5_EES6_S6_S6_NS4_IT4_S6_EES6_b
	.p2align	8
	.type	_ZN2at6native18radixSortKVInPlaceILin2ELin1ELi128ELi8EbljEEvNS_4cuda6detail10TensorInfoIT3_T5_EES6_S6_S6_NS4_IT4_S6_EES6_b,@function
_ZN2at6native18radixSortKVInPlaceILin2ELin1ELi128ELi8EbljEEvNS_4cuda6detail10TensorInfoIT3_T5_EES6_S6_S6_NS4_IT4_S6_EES6_b: ; @_ZN2at6native18radixSortKVInPlaceILin2ELin1ELi128ELi8EbljEEvNS_4cuda6detail10TensorInfoIT3_T5_EES6_S6_S6_NS4_IT4_S6_EES6_b
; %bb.0:
	s_clause 0x1
	s_load_b64 s[2:3], s[0:1], 0x1c8
	s_load_b96 s[8:10], s[0:1], 0xd8
	s_lshr_b32 s4, ttmp7, 16
	s_wait_kmcnt 0x0
	s_mul_i32 s3, s3, s4
	s_and_b32 s4, ttmp7, 0xffff
	s_delay_alu instid0(SALU_CYCLE_1) | instskip(NEXT) | instid1(SALU_CYCLE_1)
	s_add_co_i32 s3, s3, s4
	s_mul_i32 s4, s3, s2
	s_delay_alu instid0(SALU_CYCLE_1) | instskip(NEXT) | instid1(SALU_CYCLE_1)
	s_add_co_i32 s4, s4, ttmp9
	s_cmp_ge_u32 s4, s8
	s_cbranch_scc1 .LBB262_102
; %bb.1:
	s_load_b32 s2, s[0:1], 0x1b8
	s_add_nc_u64 s[20:21], s[0:1], 0xe8
	s_mov_b32 s17, 0
	s_mov_b32 s11, s4
	s_wait_kmcnt 0x0
	s_cmp_lt_i32 s2, 2
	s_cbranch_scc1 .LBB262_4
; %bb.2:
	s_add_co_i32 s16, s2, -1
	s_add_co_i32 s5, s2, 1
	s_lshl_b64 s[6:7], s[16:17], 2
	s_mov_b32 s11, s4
	s_add_nc_u64 s[6:7], s[20:21], s[6:7]
	s_delay_alu instid0(SALU_CYCLE_1)
	s_add_nc_u64 s[2:3], s[6:7], 8
.LBB262_3:                              ; =>This Inner Loop Header: Depth=1
	s_clause 0x1
	s_load_b32 s6, s[2:3], 0x0
	s_load_b32 s7, s[2:3], 0x64
	s_mov_b32 s13, s11
	s_add_nc_u64 s[2:3], s[2:3], -4
	s_wait_kmcnt 0x0
	s_cvt_f32_u32 s8, s6
	s_sub_co_i32 s12, 0, s6
	s_wait_alu 0xfffe
	s_delay_alu instid0(SALU_CYCLE_1) | instskip(NEXT) | instid1(TRANS32_DEP_1)
	v_rcp_iflag_f32_e32 v1, s8
	v_readfirstlane_b32 s8, v1
	s_mul_f32 s8, s8, 0x4f7ffffe
	s_wait_alu 0xfffe
	s_delay_alu instid0(SALU_CYCLE_2) | instskip(SKIP_1) | instid1(SALU_CYCLE_2)
	s_cvt_u32_f32 s8, s8
	s_wait_alu 0xfffe
	s_mul_i32 s12, s12, s8
	s_delay_alu instid0(SALU_CYCLE_1) | instskip(NEXT) | instid1(SALU_CYCLE_1)
	s_mul_hi_u32 s12, s8, s12
	s_add_co_i32 s8, s8, s12
	s_wait_alu 0xfffe
	s_mul_hi_u32 s8, s11, s8
	s_wait_alu 0xfffe
	s_mul_i32 s11, s8, s6
	s_add_co_i32 s12, s8, 1
	s_sub_co_i32 s11, s13, s11
	s_delay_alu instid0(SALU_CYCLE_1)
	s_sub_co_i32 s14, s11, s6
	s_cmp_ge_u32 s11, s6
	s_cselect_b32 s8, s12, s8
	s_cselect_b32 s11, s14, s11
	s_wait_alu 0xfffe
	s_add_co_i32 s12, s8, 1
	s_cmp_ge_u32 s11, s6
	s_cselect_b32 s11, s12, s8
	s_add_co_i32 s5, s5, -1
	s_mul_i32 s6, s11, s6
	s_delay_alu instid0(SALU_CYCLE_1) | instskip(NEXT) | instid1(SALU_CYCLE_1)
	s_sub_co_i32 s6, s13, s6
	s_mul_i32 s6, s7, s6
	s_delay_alu instid0(SALU_CYCLE_1)
	s_add_co_i32 s17, s6, s17
	s_cmp_gt_u32 s5, 2
	s_cbranch_scc1 .LBB262_3
.LBB262_4:
	s_clause 0x2
	s_load_b64 s[12:13], s[0:1], 0x1c0
	s_load_b64 s[2:3], s[0:1], 0x0
	s_load_b32 s5, s[0:1], 0x6c
	s_add_nc_u64 s[18:19], s[0:1], 0x1c8
	v_and_b32_e32 v44, 0x3ff, v0
	s_delay_alu instid0(VALU_DEP_1)
	v_mul_lo_u32 v47, s10, v44
	s_wait_kmcnt 0x0
	s_bitcmp1_b32 s13, 0
	s_mul_i32 s4, s5, s4
	s_cselect_b32 s0, -1, 0
	s_mov_b32 s5, 0
	s_xor_b32 s8, s0, -1
	v_cmp_gt_u32_e64 s0, s9, v44
	s_wait_alu 0xfffe
	v_cndmask_b32_e64 v1, 0, 1, s8
	v_cndmask_b32_e64 v3, 0, 1, s8
	s_add_nc_u64 s[14:15], s[2:3], s[4:5]
	s_delay_alu instid0(VALU_DEP_2) | instskip(NEXT) | instid1(VALU_DEP_1)
	v_lshlrev_b32_e32 v2, 8, v1
	v_or_b32_e32 v1, v1, v2
	s_delay_alu instid0(VALU_DEP_1) | instskip(SKIP_1) | instid1(VALU_DEP_1)
	v_and_b32_e32 v2, 0x101, v1
	v_lshlrev_b32_e32 v1, 16, v1
	v_or_b32_e32 v1, v2, v1
	s_delay_alu instid0(VALU_DEP_1)
	v_mov_b32_e32 v2, v1
	s_and_saveexec_b32 s1, s0
	s_cbranch_execz .LBB262_6
; %bb.5:
	global_load_u8 v3, v47, s[14:15]
	v_mov_b32_e32 v5, v1
	s_wait_loadcnt 0x0
	v_perm_b32 v4, v3, v1, 0x3020104
	s_delay_alu instid0(VALU_DEP_1)
	v_dual_mov_b32 v1, v4 :: v_dual_mov_b32 v2, v5
.LBB262_6:
	s_or_b32 exec_lo, exec_lo, s1
	v_add_nc_u32_e32 v28, 0x80, v44
	s_delay_alu instid0(VALU_DEP_1)
	v_cmp_gt_u32_e64 s1, s9, v28
	s_and_saveexec_b32 s2, s1
	s_cbranch_execz .LBB262_8
; %bb.7:
	v_mul_lo_u32 v4, s10, v28
	global_load_u8 v4, v4, s[14:15]
	s_wait_loadcnt 0x0
	v_perm_b32 v1, v1, v4, 0x7060004
.LBB262_8:
	s_or_b32 exec_lo, exec_lo, s2
	v_add_nc_u32_e32 v24, 0x100, v44
	s_delay_alu instid0(VALU_DEP_1)
	v_cmp_gt_u32_e64 s2, s9, v24
	s_and_saveexec_b32 s3, s2
	s_cbranch_execz .LBB262_10
; %bb.9:
	v_mul_lo_u32 v4, s10, v24
	global_load_u8 v4, v4, s[14:15]
	s_wait_loadcnt 0x0
	v_perm_b32 v4, v4, v1, 0xc0c0304
	s_delay_alu instid0(VALU_DEP_1) | instskip(NEXT) | instid1(VALU_DEP_1)
	v_lshlrev_b32_e32 v4, 16, v4
	v_and_or_b32 v1, 0xffff, v1, v4
.LBB262_10:
	s_or_b32 exec_lo, exec_lo, s3
	v_add_nc_u32_e32 v21, 0x180, v44
	s_delay_alu instid0(VALU_DEP_1)
	v_cmp_gt_u32_e64 s3, s9, v21
	s_and_saveexec_b32 s4, s3
	s_cbranch_execz .LBB262_12
; %bb.11:
	v_mul_lo_u32 v4, s10, v21
	global_load_u8 v4, v4, s[14:15]
	s_wait_loadcnt 0x0
	v_perm_b32 v4, v1, v4, 0xc0c0006
	s_delay_alu instid0(VALU_DEP_1) | instskip(NEXT) | instid1(VALU_DEP_1)
	v_lshlrev_b32_e32 v4, 16, v4
	v_and_or_b32 v1, 0xffff, v1, v4
.LBB262_12:
	s_or_b32 exec_lo, exec_lo, s4
	v_add_nc_u32_e32 v19, 0x200, v44
	s_delay_alu instid0(VALU_DEP_1)
	v_cmp_gt_u32_e64 s4, s9, v19
	s_and_saveexec_b32 s5, s4
	s_cbranch_execz .LBB262_14
; %bb.13:
	v_mul_lo_u32 v4, s10, v19
	global_load_u8 v4, v4, s[14:15]
	s_wait_loadcnt 0x0
	v_perm_b32 v2, v4, v2, 0x3020104
.LBB262_14:
	s_or_b32 exec_lo, exec_lo, s5
	v_add_nc_u32_e32 v17, 0x280, v44
	s_delay_alu instid0(VALU_DEP_1)
	v_cmp_gt_u32_e64 s5, s9, v17
	s_and_saveexec_b32 s6, s5
	s_cbranch_execz .LBB262_16
; %bb.15:
	v_mul_lo_u32 v4, s10, v17
	global_load_u8 v4, v4, s[14:15]
	s_wait_loadcnt 0x0
	v_perm_b32 v2, v2, v4, 0x7060004
.LBB262_16:
	;; [unrolled: 12-line block ×3, first 2 shown]
	s_or_b32 exec_lo, exec_lo, s7
	s_clause 0x1
	s_load_b32 s13, s[20:21], 0x6c
	s_load_b64 s[20:21], s[20:21], 0x0
	v_add_nc_u32_e32 v15, 0x380, v44
	s_delay_alu instid0(VALU_DEP_1)
	v_cmp_gt_u32_e64 s7, s9, v15
	s_and_saveexec_b32 s9, s7
	s_cbranch_execz .LBB262_20
; %bb.19:
	v_mul_lo_u32 v4, s10, v15
	global_load_u8 v4, v4, s[14:15]
	s_wait_loadcnt 0x0
	v_perm_b32 v2, v2, v4, 0x60504
.LBB262_20:
	s_wait_alu 0xfffe
	s_or_b32 exec_lo, exec_lo, s9
	v_lshrrev_b32_e32 v65, 5, v44
	v_lshrrev_b32_e32 v18, 5, v28
	;; [unrolled: 1-line block ×5, first 2 shown]
	s_delay_alu instid0(VALU_DEP_4) | instskip(SKIP_4) | instid1(VALU_DEP_4)
	v_dual_mov_b32 v42, 0 :: v_dual_and_b32 v5, 60, v18
	v_and_b32_e32 v4, 28, v65
	v_and_b32_e32 v7, 60, v23
	v_lshrrev_b32_e32 v22, 5, v21
	v_lshrrev_b32_e32 v29, 2, v44
	v_dual_mov_b32 v43, v42 :: v_dual_add_nc_u32 v48, v4, v44
	v_dual_mov_b32 v11, v42 :: v_dual_and_b32 v4, 60, v20
	v_mov_b32_e32 v12, v42
	v_add_nc_u32_e32 v52, v7, v44
	v_and_b32_e32 v7, 60, v26
	s_delay_alu instid0(VALU_DEP_4)
	v_add_nc_u32_e32 v50, v4, v44
	v_and_b32_e32 v4, 60, v22
	v_lshrrev_b32_e32 v25, 5, v17
	v_lshrrev_b32_e32 v27, 5, v15
	v_dual_mov_b32 v13, 0 :: v_dual_add_nc_u32 v54, v7, v44
	v_lshlrev_b32_e32 v61, 3, v44
	v_and_b32_e32 v7, 0xfc, v29
	v_add_nc_u32_e32 v51, v4, v44
	v_and_b32_e32 v4, 60, v25
	v_and_b32_e32 v9, 60, v27
	v_lshrrev_b32_e32 v6, 8, v1
	v_add_nc_u32_e32 v56, v7, v61
	v_dual_mov_b32 v10, v42 :: v_dual_add_nc_u32 v49, v5, v44
	v_lshrrev_b32_e32 v5, 24, v1
	v_lshrrev_b32_e32 v8, 8, v2
	v_dual_mov_b32 v14, 0 :: v_dual_add_nc_u32 v53, v4, v44
	v_lshrrev_b32_e32 v4, 24, v2
	v_add_nc_u32_e32 v55, v9, v44
	v_mov_b32_e32 v9, v42
	v_mov_b32_e32 v7, v42
	ds_store_b8 v48, v3
	ds_store_b8 v49, v6 offset:128
	ds_store_b8_d16_hi v50, v1 offset:256
	ds_store_b8 v51, v5 offset:384
	ds_store_b8 v52, v2 offset:512
	;; [unrolled: 1-line block ×3, first 2 shown]
	ds_store_b8_d16_hi v54, v2 offset:768
	ds_store_b8 v55, v4 offset:896
	s_wait_dscnt 0x0
	s_barrier_signal -1
	s_barrier_wait -1
	global_inv scope:SCOPE_SE
	ds_load_2addr_b32 v[45:46], v56 offset1:1
	s_wait_kmcnt 0x0
	s_mul_i32 s9, s13, s11
	v_mul_lo_u32 v41, s12, v44
	s_mov_b32 s23, 0
	s_wait_alu 0xfffe
	s_add_co_i32 s22, s9, s17
	v_dual_mov_b32 v1, v42 :: v_dual_mov_b32 v2, v42
	v_dual_mov_b32 v3, v42 :: v_dual_mov_b32 v4, v42
	;; [unrolled: 1-line block ×3, first 2 shown]
	v_mov_b32_e32 v8, v42
	s_lshl_b64 s[16:17], s[22:23], 3
	s_wait_loadcnt_dscnt 0x0
	s_add_nc_u64 s[16:17], s[20:21], s[16:17]
	s_barrier_signal -1
	s_barrier_wait -1
	global_inv scope:SCOPE_SE
	s_and_saveexec_b32 s9, s0
	s_cbranch_execnz .LBB262_53
; %bb.21:
	s_wait_alu 0xfffe
	s_or_b32 exec_lo, exec_lo, s9
	s_and_saveexec_b32 s9, s1
	s_cbranch_execnz .LBB262_54
.LBB262_22:
	s_wait_alu 0xfffe
	s_or_b32 exec_lo, exec_lo, s9
	s_and_saveexec_b32 s9, s2
	s_cbranch_execnz .LBB262_55
.LBB262_23:
	s_wait_alu 0xfffe
	s_or_b32 exec_lo, exec_lo, s9
	s_and_saveexec_b32 s9, s3
	s_cbranch_execnz .LBB262_56
.LBB262_24:
	s_wait_alu 0xfffe
	s_or_b32 exec_lo, exec_lo, s9
	s_and_saveexec_b32 s9, s4
	s_cbranch_execnz .LBB262_57
.LBB262_25:
	s_wait_alu 0xfffe
	s_or_b32 exec_lo, exec_lo, s9
	s_and_saveexec_b32 s9, s5
	s_cbranch_execnz .LBB262_58
.LBB262_26:
	s_wait_alu 0xfffe
	s_or_b32 exec_lo, exec_lo, s9
	s_and_saveexec_b32 s9, s6
	s_cbranch_execnz .LBB262_59
.LBB262_27:
	s_wait_alu 0xfffe
	s_or_b32 exec_lo, exec_lo, s9
	s_and_saveexec_b32 s9, s7
	s_cbranch_execz .LBB262_29
.LBB262_28:
	v_mul_lo_u32 v7, s12, v15
	v_mov_b32_e32 v8, 0
	s_delay_alu instid0(VALU_DEP_1) | instskip(NEXT) | instid1(VALU_DEP_1)
	v_lshlrev_b64_e32 v[7:8], 3, v[7:8]
	v_add_co_u32 v7, vcc_lo, s16, v7
	s_wait_alu 0xfffd
	s_delay_alu instid0(VALU_DEP_2)
	v_add_co_ci_u32_e64 v8, null, s17, v8, vcc_lo
	global_load_b64 v[7:8], v[7:8], off
.LBB262_29:
	s_wait_alu 0xfffe
	s_or_b32 exec_lo, exec_lo, s9
	v_lshl_add_u32 v57, v65, 3, v61
	v_lshl_add_u32 v58, v18, 3, v61
	;; [unrolled: 1-line block ×5, first 2 shown]
	s_wait_loadcnt 0x0
	ds_store_b64 v57, v[13:14]
	ds_store_b64 v58, v[42:43] offset:1024
	ds_store_b64 v59, v[9:10] offset:2048
	;; [unrolled: 1-line block ×3, first 2 shown]
	v_lshlrev_b32_e32 v9, 3, v61
	v_lshl_add_u32 v42, v23, 3, v61
	v_lshl_add_u32 v43, v25, 3, v61
	;; [unrolled: 1-line block ×3, first 2 shown]
	ds_store_b64 v42, v[1:2] offset:4096
	ds_store_b64 v43, v[3:4] offset:5120
	;; [unrolled: 1-line block ×4, first 2 shown]
	v_lshl_add_u32 v64, v29, 3, v9
	s_wait_dscnt 0x0
	s_barrier_signal -1
	s_barrier_wait -1
	global_inv scope:SCOPE_SE
	ds_load_2addr_b64 v[13:16], v64 offset1:1
	ds_load_2addr_b64 v[9:12], v64 offset0:2 offset1:3
	ds_load_2addr_b64 v[5:8], v64 offset0:4 offset1:5
	;; [unrolled: 1-line block ×3, first 2 shown]
	v_bfe_u32 v69, v0, 10, 10
	v_bfe_u32 v70, v0, 20, 10
	v_mbcnt_lo_u32_b32 v67, -1, 0
	v_and_b32_e32 v68, 0x3e0, v44
	v_lshlrev_b32_e32 v66, 2, v61
	s_and_b32 vcc_lo, exec_lo, s8
	s_wait_loadcnt_dscnt 0x0
	s_barrier_signal -1
	s_barrier_wait -1
	global_inv scope:SCOPE_SE
	s_wait_alu 0xfffe
	s_cbranch_vccz .LBB262_60
; %bb.30:
	s_getpc_b64 s[8:9]
	s_wait_alu 0xfffe
	s_sext_i32_i16 s9, s9
	s_add_co_u32 s8, s8, _ZN7rocprim17ROCPRIM_400000_NS16block_radix_sortIbLj128ELj8ElLj1ELj1ELj0ELNS0_26block_radix_rank_algorithmE1ELNS0_18block_padding_hintE2ELNS0_4arch9wavefront6targetE0EE19radix_bits_per_passE@rel32@lo+12
	s_wait_alu 0xfffe
	s_add_co_ci_u32 s9, s9, _ZN7rocprim17ROCPRIM_400000_NS16block_radix_sortIbLj128ELj8ElLj1ELj1ELj0ELNS0_26block_radix_rank_algorithmE1ELNS0_18block_padding_hintE2ELNS0_4arch9wavefront6targetE0EE19radix_bits_per_passE@rel32@hi+24
	v_or_b32_e32 v17, v67, v68
	s_load_b32 s8, s[8:9], 0x0
	s_mov_b32 s20, 0
	v_and_or_b32 v19, 0x1f00, v61, v67
	s_mov_b32 s21, s20
	s_mov_b32 s22, s20
	;; [unrolled: 1-line block ×3, first 2 shown]
	v_lshlrev_b32_e32 v18, 3, v17
	ds_store_b64 v18, v[45:46]
	; wave barrier
	ds_load_u8 v0, v19
	ds_load_u8 v71, v19 offset:32
	ds_load_u8 v72, v19 offset:64
	;; [unrolled: 1-line block ×7, first 2 shown]
	v_mad_u32_u24 v17, v17, 56, v18
	v_mad_u32_u24 v18, v19, 7, v19
	s_wait_loadcnt_dscnt 0x0
	s_barrier_signal -1
	s_barrier_wait -1
	global_inv scope:SCOPE_SE
	ds_store_b128 v17, v[13:16]
	ds_store_b128 v17, v[9:12] offset:16
	ds_store_b128 v17, v[5:8] offset:32
	;; [unrolled: 1-line block ×3, first 2 shown]
	; wave barrier
	ds_load_2addr_b64 v[29:32], v18 offset1:32
	ds_load_2addr_b64 v[25:28], v18 offset0:64 offset1:96
	ds_load_2addr_b64 v[21:24], v18 offset0:128 offset1:160
	;; [unrolled: 1-line block ×3, first 2 shown]
	s_wait_loadcnt_dscnt 0x0
	s_barrier_signal -1
	s_barrier_wait -1
	global_inv scope:SCOPE_SE
	s_load_b32 s11, s[18:19], 0xc
	s_wait_kmcnt 0x0
	s_min_u32 s8, s8, 8
	s_wait_alu 0xfffe
	s_lshl_b32 s8, -1, s8
	s_wait_alu 0xfffe
	s_not_b32 s9, s8
	s_wait_alu 0xfffe
	v_and_b32_e32 v33, s9, v0
	s_delay_alu instid0(VALU_DEP_1) | instskip(NEXT) | instid1(VALU_DEP_1)
	v_and_b32_e32 v39, 1, v33
	v_add_co_u32 v35, s13, v39, -1
	s_wait_alu 0xf1ff
	v_cndmask_b32_e64 v33, 0, 1, s13
	s_lshr_b32 s8, s11, 16
	s_wait_alu 0xfffe
	v_mad_u32_u24 v34, v70, s8, v69
	s_and_b32 s8, s11, 0xffff
	v_cmp_ne_u32_e32 vcc_lo, 0, v33
	s_wait_alu 0xfffe
	s_delay_alu instid0(VALU_DEP_2) | instskip(SKIP_4) | instid1(VALU_DEP_3)
	v_mad_co_u64_u32 v[33:34], null, v34, s8, v[44:45]
	s_wait_alu 0xfffd
	v_xor_b32_e32 v34, vcc_lo, v35
	v_dual_mov_b32 v38, s23 :: v_dual_mov_b32 v35, s20
	v_dual_mov_b32 v37, s22 :: v_dual_mov_b32 v36, s21
	v_and_b32_e32 v34, exec_lo, v34
	v_lshrrev_b32_e32 v33, 3, v33
	ds_store_b128 v66, v[35:38] offset:16
	ds_store_b128 v66, v[35:38] offset:32
	v_mbcnt_lo_u32_b32 v78, v34, 0
	v_lshlrev_b32_e32 v35, 4, v39
	v_and_b32_e32 v33, 0x1ffffffc, v33
	v_cmp_ne_u32_e64 s8, 0, v34
	s_wait_loadcnt_dscnt 0x0
	v_cmp_eq_u32_e32 vcc_lo, 0, v78
	s_barrier_signal -1
	v_add_nc_u32_e32 v81, v33, v35
	s_barrier_wait -1
	global_inv scope:SCOPE_SE
	s_and_b32 s11, s8, vcc_lo
	; wave barrier
	s_wait_alu 0xfffe
	s_and_saveexec_b32 s8, s11
; %bb.31:
	v_bcnt_u32_b32 v34, v34, 0
	ds_store_b32 v81, v34 offset:16
; %bb.32:
	s_wait_alu 0xfffe
	s_or_b32 exec_lo, exec_lo, s8
	v_and_b32_e32 v34, s9, v71
	; wave barrier
	s_delay_alu instid0(VALU_DEP_1) | instskip(NEXT) | instid1(VALU_DEP_1)
	v_and_b32_e32 v34, 0xff, v34
	v_add_co_u32 v35, s8, v34, -1
	s_wait_alu 0xf1ff
	v_cndmask_b32_e64 v36, 0, 1, s8
	v_lshlrev_b32_e32 v34, 4, v34
	s_delay_alu instid0(VALU_DEP_2) | instskip(NEXT) | instid1(VALU_DEP_2)
	v_cmp_ne_u32_e32 vcc_lo, 0, v36
	v_add_nc_u32_e32 v84, v33, v34
	s_wait_alu 0xfffd
	v_xor_b32_e32 v34, vcc_lo, v35
	ds_load_b32 v79, v84 offset:16
	; wave barrier
	v_and_b32_e32 v34, exec_lo, v34
	s_delay_alu instid0(VALU_DEP_1) | instskip(SKIP_1) | instid1(VALU_DEP_2)
	v_mbcnt_lo_u32_b32 v80, v34, 0
	v_cmp_ne_u32_e64 s8, 0, v34
	v_cmp_eq_u32_e32 vcc_lo, 0, v80
	s_and_b32 s11, s8, vcc_lo
	s_wait_alu 0xfffe
	s_and_saveexec_b32 s8, s11
	s_cbranch_execz .LBB262_34
; %bb.33:
	s_wait_dscnt 0x0
	v_bcnt_u32_b32 v34, v34, v79
	ds_store_b32 v84, v34 offset:16
.LBB262_34:
	s_wait_alu 0xfffe
	s_or_b32 exec_lo, exec_lo, s8
	v_and_b32_e32 v34, s9, v72
	; wave barrier
	s_delay_alu instid0(VALU_DEP_1) | instskip(NEXT) | instid1(VALU_DEP_1)
	v_and_b32_e32 v34, 0xff, v34
	v_add_co_u32 v35, s8, v34, -1
	s_wait_alu 0xf1ff
	v_cndmask_b32_e64 v36, 0, 1, s8
	v_lshlrev_b32_e32 v34, 4, v34
	s_delay_alu instid0(VALU_DEP_2) | instskip(NEXT) | instid1(VALU_DEP_2)
	v_cmp_ne_u32_e32 vcc_lo, 0, v36
	v_add_nc_u32_e32 v87, v33, v34
	s_wait_alu 0xfffd
	v_xor_b32_e32 v34, vcc_lo, v35
	ds_load_b32 v82, v87 offset:16
	; wave barrier
	v_and_b32_e32 v34, exec_lo, v34
	s_delay_alu instid0(VALU_DEP_1) | instskip(SKIP_1) | instid1(VALU_DEP_2)
	v_mbcnt_lo_u32_b32 v83, v34, 0
	v_cmp_ne_u32_e64 s8, 0, v34
	v_cmp_eq_u32_e32 vcc_lo, 0, v83
	s_and_b32 s11, s8, vcc_lo
	s_wait_alu 0xfffe
	s_and_saveexec_b32 s8, s11
	s_cbranch_execz .LBB262_36
; %bb.35:
	s_wait_dscnt 0x0
	v_bcnt_u32_b32 v34, v34, v82
	ds_store_b32 v87, v34 offset:16
.LBB262_36:
	;; [unrolled: 31-line block ×7, first 2 shown]
	s_wait_alu 0xfffe
	s_or_b32 exec_lo, exec_lo, s8
	; wave barrier
	s_wait_loadcnt_dscnt 0x0
	s_barrier_signal -1
	s_barrier_wait -1
	global_inv scope:SCOPE_SE
	ds_load_b128 v[37:40], v66 offset:16
	ds_load_b128 v[33:36], v66 offset:32
	v_min_u32_e32 v103, 0x60, v68
	s_mov_b32 s8, exec_lo
	s_wait_dscnt 0x1
	v_add_nc_u32_e32 v101, v38, v37
	s_delay_alu instid0(VALU_DEP_1) | instskip(SKIP_1) | instid1(VALU_DEP_1)
	v_add3_u32 v101, v101, v39, v40
	s_wait_dscnt 0x0
	v_add3_u32 v101, v101, v33, v34
	s_delay_alu instid0(VALU_DEP_1) | instskip(SKIP_1) | instid1(VALU_DEP_2)
	v_add3_u32 v36, v101, v35, v36
	v_and_b32_e32 v101, 15, v67
	v_mov_b32_dpp v102, v36 row_shr:1 row_mask:0xf bank_mask:0xf
	s_delay_alu instid0(VALU_DEP_2) | instskip(SKIP_1) | instid1(VALU_DEP_2)
	v_cmp_ne_u32_e32 vcc_lo, 0, v101
	s_wait_alu 0xfffd
	v_cndmask_b32_e32 v102, 0, v102, vcc_lo
	v_cmp_lt_u32_e32 vcc_lo, 1, v101
	s_delay_alu instid0(VALU_DEP_2) | instskip(NEXT) | instid1(VALU_DEP_1)
	v_add_nc_u32_e32 v36, v102, v36
	v_mov_b32_dpp v102, v36 row_shr:2 row_mask:0xf bank_mask:0xf
	s_wait_alu 0xfffd
	s_delay_alu instid0(VALU_DEP_1) | instskip(SKIP_1) | instid1(VALU_DEP_2)
	v_cndmask_b32_e32 v102, 0, v102, vcc_lo
	v_cmp_lt_u32_e32 vcc_lo, 3, v101
	v_add_nc_u32_e32 v36, v36, v102
	s_delay_alu instid0(VALU_DEP_1) | instskip(SKIP_1) | instid1(VALU_DEP_1)
	v_mov_b32_dpp v102, v36 row_shr:4 row_mask:0xf bank_mask:0xf
	s_wait_alu 0xfffd
	v_cndmask_b32_e32 v102, 0, v102, vcc_lo
	v_cmp_lt_u32_e32 vcc_lo, 7, v101
	s_delay_alu instid0(VALU_DEP_2) | instskip(NEXT) | instid1(VALU_DEP_1)
	v_add_nc_u32_e32 v36, v36, v102
	v_mov_b32_dpp v102, v36 row_shr:8 row_mask:0xf bank_mask:0xf
	s_wait_alu 0xfffd
	s_delay_alu instid0(VALU_DEP_1) | instskip(SKIP_1) | instid1(VALU_DEP_2)
	v_cndmask_b32_e32 v101, 0, v102, vcc_lo
	v_bfe_i32 v102, v67, 4, 1
	v_add_nc_u32_e32 v36, v36, v101
	ds_swizzle_b32 v101, v36 offset:swizzle(BROADCAST,32,15)
	s_wait_dscnt 0x0
	v_and_b32_e32 v101, v102, v101
	v_or_b32_e32 v102, 31, v103
	s_delay_alu instid0(VALU_DEP_2) | instskip(NEXT) | instid1(VALU_DEP_2)
	v_add_nc_u32_e32 v36, v36, v101
	v_cmpx_eq_u32_e64 v44, v102
; %bb.47:
	v_lshlrev_b32_e32 v101, 2, v65
	ds_store_b32 v101, v36
; %bb.48:
	s_wait_alu 0xfffe
	s_or_b32 exec_lo, exec_lo, s8
	s_delay_alu instid0(SALU_CYCLE_1)
	s_mov_b32 s8, exec_lo
	s_wait_loadcnt_dscnt 0x0
	s_barrier_signal -1
	s_barrier_wait -1
	global_inv scope:SCOPE_SE
	v_cmpx_gt_u32_e32 4, v44
	s_cbranch_execz .LBB262_50
; %bb.49:
	v_lshlrev_b32_e32 v101, 2, v44
	ds_load_b32 v102, v101
	s_wait_dscnt 0x0
	v_mov_b32_dpp v104, v102 row_shr:1 row_mask:0xf bank_mask:0xf
	v_and_b32_e32 v103, 3, v67
	s_delay_alu instid0(VALU_DEP_1) | instskip(SKIP_1) | instid1(VALU_DEP_3)
	v_cmp_ne_u32_e32 vcc_lo, 0, v103
	s_wait_alu 0xfffd
	v_cndmask_b32_e32 v104, 0, v104, vcc_lo
	v_cmp_lt_u32_e32 vcc_lo, 1, v103
	s_delay_alu instid0(VALU_DEP_2) | instskip(NEXT) | instid1(VALU_DEP_1)
	v_add_nc_u32_e32 v102, v104, v102
	v_mov_b32_dpp v104, v102 row_shr:2 row_mask:0xf bank_mask:0xf
	s_wait_alu 0xfffd
	s_delay_alu instid0(VALU_DEP_1) | instskip(NEXT) | instid1(VALU_DEP_1)
	v_cndmask_b32_e32 v103, 0, v104, vcc_lo
	v_add_nc_u32_e32 v102, v102, v103
	ds_store_b32 v101, v102
.LBB262_50:
	s_wait_alu 0xfffe
	s_or_b32 exec_lo, exec_lo, s8
	v_mov_b32_e32 v101, 0
	s_mov_b32 s8, exec_lo
	s_wait_loadcnt_dscnt 0x0
	s_barrier_signal -1
	s_barrier_wait -1
	global_inv scope:SCOPE_SE
	v_cmpx_lt_u32_e32 31, v44
; %bb.51:
	v_lshl_add_u32 v101, v65, 2, -4
	ds_load_b32 v101, v101
; %bb.52:
	s_wait_alu 0xfffe
	s_or_b32 exec_lo, exec_lo, s8
	v_sub_co_u32 v102, vcc_lo, v67, 1
	s_wait_dscnt 0x0
	v_add_nc_u32_e32 v36, v101, v36
	s_delay_alu instid0(VALU_DEP_2) | instskip(SKIP_1) | instid1(VALU_DEP_1)
	v_cmp_gt_i32_e64 s8, 0, v102
	s_wait_alu 0xf1ff
	v_cndmask_b32_e64 v102, v102, v67, s8
	s_delay_alu instid0(VALU_DEP_1)
	v_lshlrev_b32_e32 v102, 2, v102
	ds_bpermute_b32 v36, v102, v36
	s_wait_dscnt 0x0
	s_wait_alu 0xfffd
	v_cndmask_b32_e32 v36, v36, v101, vcc_lo
	v_cmp_ne_u32_e32 vcc_lo, 0, v44
	s_wait_alu 0xfffd
	s_delay_alu instid0(VALU_DEP_2) | instskip(NEXT) | instid1(VALU_DEP_1)
	v_cndmask_b32_e32 v36, 0, v36, vcc_lo
	v_add_nc_u32_e32 v37, v36, v37
	s_delay_alu instid0(VALU_DEP_1) | instskip(NEXT) | instid1(VALU_DEP_1)
	v_add_nc_u32_e32 v38, v37, v38
	v_add_nc_u32_e32 v39, v38, v39
	s_delay_alu instid0(VALU_DEP_1) | instskip(NEXT) | instid1(VALU_DEP_1)
	v_add_nc_u32_e32 v101, v39, v40
	;; [unrolled: 3-line block ×3, first 2 shown]
	v_add_nc_u32_e32 v104, v103, v35
	ds_store_b128 v66, v[36:39] offset:16
	ds_store_b128 v66, v[101:104] offset:32
	s_wait_loadcnt_dscnt 0x0
	s_barrier_signal -1
	s_barrier_wait -1
	global_inv scope:SCOPE_SE
	ds_load_b32 v33, v81 offset:16
	ds_load_b32 v34, v84 offset:16
	;; [unrolled: 1-line block ×8, first 2 shown]
	v_mad_u32_u24 v81, v44, 56, v61
	s_wait_loadcnt_dscnt 0x0
	s_barrier_signal -1
	s_barrier_wait -1
	global_inv scope:SCOPE_SE
	v_add_nc_u32_e32 v78, v33, v78
	v_add3_u32 v79, v80, v79, v34
	v_add3_u32 v35, v83, v82, v35
	;; [unrolled: 1-line block ×7, first 2 shown]
	ds_store_b8 v78, v0
	ds_store_b8 v79, v71
	;; [unrolled: 1-line block ×8, first 2 shown]
	v_lshlrev_b32_e32 v0, 3, v78
	v_lshlrev_b32_e32 v71, 3, v79
	;; [unrolled: 1-line block ×5, first 2 shown]
	s_wait_loadcnt_dscnt 0x0
	s_barrier_signal -1
	s_barrier_wait -1
	global_inv scope:SCOPE_SE
	ds_load_b64 v[33:34], v61
	s_wait_loadcnt_dscnt 0x0
	s_barrier_signal -1
	s_barrier_wait -1
	global_inv scope:SCOPE_SE
	v_lshlrev_b32_e32 v38, 3, v38
	v_lshlrev_b32_e32 v39, 3, v39
	;; [unrolled: 1-line block ×3, first 2 shown]
	ds_store_b64 v0, v[29:30]
	ds_store_b64 v71, v[31:32]
	;; [unrolled: 1-line block ×8, first 2 shown]
	s_wait_loadcnt_dscnt 0x0
	s_barrier_signal -1
	s_barrier_wait -1
	global_inv scope:SCOPE_SE
	ds_load_b128 v[29:32], v81
	ds_load_b128 v[25:28], v81 offset:16
	ds_load_b128 v[21:24], v81 offset:32
	;; [unrolled: 1-line block ×3, first 2 shown]
	s_branch .LBB262_84
.LBB262_53:
	v_lshlrev_b64_e32 v[1:2], 3, v[41:42]
	v_dual_mov_b32 v43, v42 :: v_dual_mov_b32 v10, v42
	v_dual_mov_b32 v9, v42 :: v_dual_mov_b32 v12, v42
	v_mov_b32_e32 v11, v42
	s_delay_alu instid0(VALU_DEP_4) | instskip(NEXT) | instid1(VALU_DEP_1)
	v_add_co_u32 v1, vcc_lo, s16, v1
	v_add_co_ci_u32_e64 v2, null, s17, v2, vcc_lo
	v_dual_mov_b32 v3, v42 :: v_dual_mov_b32 v6, v42
	v_dual_mov_b32 v5, v42 :: v_dual_mov_b32 v8, v42
	global_load_b64 v[13:14], v[1:2], off
	v_dual_mov_b32 v1, v42 :: v_dual_mov_b32 v4, v42
	v_dual_mov_b32 v2, v42 :: v_dual_mov_b32 v7, v42
	s_wait_alu 0xfffe
	s_or_b32 exec_lo, exec_lo, s9
	s_and_saveexec_b32 s9, s1
	s_cbranch_execz .LBB262_22
.LBB262_54:
	v_mul_lo_u32 v30, s12, v28
	v_mov_b32_e32 v31, 0
	s_delay_alu instid0(VALU_DEP_1) | instskip(NEXT) | instid1(VALU_DEP_1)
	v_lshlrev_b64_e32 v[30:31], 3, v[30:31]
	v_add_co_u32 v30, vcc_lo, s16, v30
	s_wait_alu 0xfffd
	s_delay_alu instid0(VALU_DEP_2)
	v_add_co_ci_u32_e64 v31, null, s17, v31, vcc_lo
	global_load_b64 v[42:43], v[30:31], off
	s_wait_alu 0xfffe
	s_or_b32 exec_lo, exec_lo, s9
	s_and_saveexec_b32 s9, s2
	s_cbranch_execz .LBB262_23
.LBB262_55:
	v_mul_lo_u32 v9, s12, v24
	v_mov_b32_e32 v10, 0
	s_delay_alu instid0(VALU_DEP_1) | instskip(NEXT) | instid1(VALU_DEP_1)
	v_lshlrev_b64_e32 v[9:10], 3, v[9:10]
	v_add_co_u32 v9, vcc_lo, s16, v9
	s_wait_alu 0xfffd
	s_delay_alu instid0(VALU_DEP_2)
	v_add_co_ci_u32_e64 v10, null, s17, v10, vcc_lo
	global_load_b64 v[9:10], v[9:10], off
	s_wait_alu 0xfffe
	s_or_b32 exec_lo, exec_lo, s9
	s_and_saveexec_b32 s9, s3
	s_cbranch_execz .LBB262_24
.LBB262_56:
	v_mul_lo_u32 v11, s12, v21
	v_mov_b32_e32 v12, 0
	s_delay_alu instid0(VALU_DEP_1) | instskip(NEXT) | instid1(VALU_DEP_1)
	v_lshlrev_b64_e32 v[11:12], 3, v[11:12]
	v_add_co_u32 v11, vcc_lo, s16, v11
	s_wait_alu 0xfffd
	s_delay_alu instid0(VALU_DEP_2)
	v_add_co_ci_u32_e64 v12, null, s17, v12, vcc_lo
	global_load_b64 v[11:12], v[11:12], off
	s_wait_alu 0xfffe
	s_or_b32 exec_lo, exec_lo, s9
	s_and_saveexec_b32 s9, s4
	s_cbranch_execz .LBB262_25
.LBB262_57:
	v_mul_lo_u32 v1, s12, v19
	v_mov_b32_e32 v2, 0
	s_delay_alu instid0(VALU_DEP_1) | instskip(NEXT) | instid1(VALU_DEP_1)
	v_lshlrev_b64_e32 v[1:2], 3, v[1:2]
	v_add_co_u32 v1, vcc_lo, s16, v1
	s_wait_alu 0xfffd
	s_delay_alu instid0(VALU_DEP_2)
	v_add_co_ci_u32_e64 v2, null, s17, v2, vcc_lo
	global_load_b64 v[1:2], v[1:2], off
	s_wait_alu 0xfffe
	s_or_b32 exec_lo, exec_lo, s9
	s_and_saveexec_b32 s9, s5
	s_cbranch_execz .LBB262_26
.LBB262_58:
	v_mul_lo_u32 v3, s12, v17
	v_mov_b32_e32 v4, 0
	s_delay_alu instid0(VALU_DEP_1) | instskip(NEXT) | instid1(VALU_DEP_1)
	v_lshlrev_b64_e32 v[3:4], 3, v[3:4]
	v_add_co_u32 v3, vcc_lo, s16, v3
	s_wait_alu 0xfffd
	s_delay_alu instid0(VALU_DEP_2)
	v_add_co_ci_u32_e64 v4, null, s17, v4, vcc_lo
	global_load_b64 v[3:4], v[3:4], off
	s_wait_alu 0xfffe
	s_or_b32 exec_lo, exec_lo, s9
	s_and_saveexec_b32 s9, s6
	s_cbranch_execz .LBB262_27
.LBB262_59:
	v_mul_lo_u32 v5, s12, v16
	v_mov_b32_e32 v6, 0
	s_delay_alu instid0(VALU_DEP_1) | instskip(NEXT) | instid1(VALU_DEP_1)
	v_lshlrev_b64_e32 v[5:6], 3, v[5:6]
	v_add_co_u32 v5, vcc_lo, s16, v5
	s_wait_alu 0xfffd
	s_delay_alu instid0(VALU_DEP_2)
	v_add_co_ci_u32_e64 v6, null, s17, v6, vcc_lo
	global_load_b64 v[5:6], v[5:6], off
	s_wait_alu 0xfffe
	s_or_b32 exec_lo, exec_lo, s9
	s_and_saveexec_b32 s9, s7
	s_cbranch_execnz .LBB262_28
	s_branch .LBB262_29
.LBB262_60:
                                        ; implicit-def: $vgpr19_vgpr20
                                        ; implicit-def: $vgpr23_vgpr24
                                        ; implicit-def: $vgpr27_vgpr28
                                        ; implicit-def: $vgpr31_vgpr32
                                        ; implicit-def: $vgpr34
	s_cbranch_execz .LBB262_84
; %bb.61:
	v_lshrrev_b16 v0, 8, v45
	s_wait_dscnt 0x0
	v_lshrrev_b32_e32 v17, 24, v45
	s_mov_b32 s20, 0
	v_lshrrev_b32_e32 v18, 16, v45
	s_mov_b32 s21, s20
	s_mov_b32 s22, s20
	s_mov_b32 s23, s20
	v_and_b32_e32 v0, 1, v0
	v_and_b32_e32 v17, 1, v17
	v_lshrrev_b32_e32 v19, 24, v46
	v_lshrrev_b16 v21, 8, v46
	v_and_b32_e32 v22, 1, v45
	v_cmp_eq_u32_e32 vcc_lo, 1, v0
	v_cmp_ne_u32_e64 s8, 1, v17
	v_and_b32_e32 v0, 1, v18
	v_lshrrev_b32_e32 v20, 16, v46
	v_and_b32_e32 v18, 1, v21
	v_and_b32_e32 v19, 1, v19
	s_wait_alu 0xf1ff
	v_cndmask_b32_e64 v17, 0, 1, s8
	s_xor_b32 s8, vcc_lo, -1
	v_cmp_ne_u32_e32 vcc_lo, 1, v0
	s_wait_alu 0xfffe
	v_cndmask_b32_e64 v21, 0, 1, s8
	v_cmp_ne_u32_e64 s8, 1, v22
	v_and_b32_e32 v20, 1, v20
	v_and_b32_e32 v23, 1, v46
	s_wait_alu 0xfffd
	v_cndmask_b32_e64 v0, 0, 1, vcc_lo
	v_cmp_eq_u32_e32 vcc_lo, 1, v18
	s_wait_alu 0xf1ff
	v_cndmask_b32_e64 v18, 0, 1, s8
	v_cmp_ne_u32_e64 s8, 1, v19
	v_lshlrev_b16 v17, 8, v17
	v_lshlrev_b16 v21, 8, v21
	s_wait_alu 0xf1ff
	s_delay_alu instid0(VALU_DEP_3)
	v_cndmask_b32_e64 v19, 0, 1, s8
	s_xor_b32 s8, vcc_lo, -1
	v_cmp_ne_u32_e32 vcc_lo, 1, v20
	s_wait_alu 0xfffe
	v_cndmask_b32_e64 v22, 0, 1, s8
	v_or_b32_e32 v0, v0, v17
	v_lshlrev_b16 v19, 8, v19
	v_or_b32_e32 v17, v18, v21
	s_wait_alu 0xfffd
	v_cndmask_b32_e64 v20, 0, 1, vcc_lo
	v_cmp_ne_u32_e32 vcc_lo, 1, v23
	v_lshlrev_b16 v22, 8, v22
	s_getpc_b64 s[8:9]
	s_wait_alu 0xfffe
	s_sext_i32_i16 s9, s9
	s_add_co_u32 s8, s8, _ZN7rocprim17ROCPRIM_400000_NS16block_radix_sortIbLj128ELj8ElLj1ELj1ELj0ELNS0_26block_radix_rank_algorithmE1ELNS0_18block_padding_hintE2ELNS0_4arch9wavefront6targetE0EE19radix_bits_per_passE@rel32@lo+12
	s_wait_alu 0xfffe
	s_add_co_ci_u32 s9, s9, _ZN7rocprim17ROCPRIM_400000_NS16block_radix_sortIbLj128ELj8ElLj1ELj1ELj0ELNS0_26block_radix_rank_algorithmE1ELNS0_18block_padding_hintE2ELNS0_4arch9wavefront6targetE0EE19radix_bits_per_passE@rel32@hi+24
	v_lshlrev_b32_e32 v0, 16, v0
	v_or_b32_e32 v18, v20, v19
	s_wait_alu 0xfffd
	v_cndmask_b32_e64 v23, 0, 1, vcc_lo
	s_load_b32 s8, s[8:9], 0x0
	v_or_b32_e32 v20, v67, v68
	v_and_b32_e32 v17, 0xffff, v17
	v_lshlrev_b32_e32 v18, 16, v18
	v_or_b32_e32 v19, v23, v22
	s_delay_alu instid0(VALU_DEP_4) | instskip(NEXT) | instid1(VALU_DEP_4)
	v_lshlrev_b32_e32 v21, 3, v20
	v_or_b32_e32 v17, v17, v0
	v_and_or_b32 v0, 0x1f00, v61, v67
	s_delay_alu instid0(VALU_DEP_4) | instskip(NEXT) | instid1(VALU_DEP_1)
	v_and_b32_e32 v19, 0xffff, v19
	v_or_b32_e32 v18, v19, v18
	ds_store_b64 v21, v[17:18]
	; wave barrier
	ds_load_u8 v24, v0
	ds_load_u8 v25, v0 offset:32
	ds_load_u8 v26, v0 offset:64
	ds_load_u8 v27, v0 offset:96
	ds_load_u8 v28, v0 offset:128
	ds_load_u8 v29, v0 offset:160
	ds_load_u8 v30, v0 offset:192
	ds_load_u8 v31, v0 offset:224
	v_mad_u32_u24 v17, v20, 56, v21
	v_mad_u32_u24 v0, v0, 7, v0
	s_wait_loadcnt_dscnt 0x0
	s_barrier_signal -1
	s_barrier_wait -1
	global_inv scope:SCOPE_SE
	ds_store_b128 v17, v[13:16]
	ds_store_b128 v17, v[9:12] offset:16
	ds_store_b128 v17, v[5:8] offset:32
	;; [unrolled: 1-line block ×3, first 2 shown]
	; wave barrier
	ds_load_2addr_b64 v[12:15], v0 offset1:32
	ds_load_2addr_b64 v[8:11], v0 offset0:64 offset1:96
	ds_load_2addr_b64 v[4:7], v0 offset0:128 offset1:160
	;; [unrolled: 1-line block ×3, first 2 shown]
	s_wait_loadcnt_dscnt 0x0
	s_barrier_signal -1
	s_barrier_wait -1
	global_inv scope:SCOPE_SE
	s_load_b32 s11, s[18:19], 0xc
	s_wait_kmcnt 0x0
	s_min_u32 s8, s8, 8
	s_wait_alu 0xfffe
	s_lshl_b32 s8, -1, s8
	s_wait_alu 0xfffe
	s_not_b32 s9, s8
	s_wait_alu 0xfffe
	v_and_b32_e32 v16, s9, v24
	s_delay_alu instid0(VALU_DEP_1) | instskip(NEXT) | instid1(VALU_DEP_1)
	v_and_b32_e32 v22, 1, v16
	v_add_co_u32 v18, s13, v22, -1
	s_wait_alu 0xf1ff
	v_cndmask_b32_e64 v16, 0, 1, s13
	s_lshr_b32 s8, s11, 16
	s_wait_alu 0xfffe
	v_mad_u32_u24 v17, v70, s8, v69
	s_and_b32 s8, s11, 0xffff
	v_cmp_ne_u32_e32 vcc_lo, 0, v16
	s_wait_alu 0xfffe
	s_delay_alu instid0(VALU_DEP_2) | instskip(SKIP_4) | instid1(VALU_DEP_3)
	v_mad_co_u64_u32 v[16:17], null, v17, s8, v[44:45]
	s_wait_alu 0xfffd
	v_xor_b32_e32 v17, vcc_lo, v18
	v_dual_mov_b32 v18, s20 :: v_dual_mov_b32 v19, s21
	v_dual_mov_b32 v20, s22 :: v_dual_mov_b32 v21, s23
	v_and_b32_e32 v17, exec_lo, v17
	v_lshrrev_b32_e32 v16, 3, v16
	ds_store_b128 v66, v[18:21] offset:16
	ds_store_b128 v66, v[18:21] offset:32
	v_mbcnt_lo_u32_b32 v32, v17, 0
	v_and_b32_e32 v16, 0x1ffffffc, v16
	v_lshlrev_b32_e32 v18, 4, v22
	v_cmp_ne_u32_e64 s8, 0, v17
	s_wait_loadcnt_dscnt 0x0
	v_cmp_eq_u32_e32 vcc_lo, 0, v32
	s_barrier_signal -1
	v_add_nc_u32_e32 v35, v16, v18
	s_barrier_wait -1
	global_inv scope:SCOPE_SE
	s_and_b32 s11, s8, vcc_lo
	; wave barrier
	s_wait_alu 0xfffe
	s_and_saveexec_b32 s8, s11
; %bb.62:
	v_bcnt_u32_b32 v17, v17, 0
	ds_store_b32 v35, v17 offset:16
; %bb.63:
	s_wait_alu 0xfffe
	s_or_b32 exec_lo, exec_lo, s8
	v_and_b32_e32 v17, s9, v25
	; wave barrier
	s_delay_alu instid0(VALU_DEP_1) | instskip(NEXT) | instid1(VALU_DEP_1)
	v_and_b32_e32 v17, 0xff, v17
	v_add_co_u32 v18, s8, v17, -1
	s_wait_alu 0xf1ff
	v_cndmask_b32_e64 v19, 0, 1, s8
	v_lshlrev_b32_e32 v17, 4, v17
	s_delay_alu instid0(VALU_DEP_2) | instskip(NEXT) | instid1(VALU_DEP_2)
	v_cmp_ne_u32_e32 vcc_lo, 0, v19
	v_add_nc_u32_e32 v37, v16, v17
	s_wait_alu 0xfffd
	v_xor_b32_e32 v17, vcc_lo, v18
	ds_load_b32 v33, v37 offset:16
	; wave barrier
	v_and_b32_e32 v17, exec_lo, v17
	s_delay_alu instid0(VALU_DEP_1) | instskip(SKIP_1) | instid1(VALU_DEP_2)
	v_mbcnt_lo_u32_b32 v34, v17, 0
	v_cmp_ne_u32_e64 s8, 0, v17
	v_cmp_eq_u32_e32 vcc_lo, 0, v34
	s_and_b32 s11, s8, vcc_lo
	s_wait_alu 0xfffe
	s_and_saveexec_b32 s8, s11
	s_cbranch_execz .LBB262_65
; %bb.64:
	s_wait_dscnt 0x0
	v_bcnt_u32_b32 v17, v17, v33
	ds_store_b32 v37, v17 offset:16
.LBB262_65:
	s_wait_alu 0xfffe
	s_or_b32 exec_lo, exec_lo, s8
	v_and_b32_e32 v17, s9, v26
	; wave barrier
	s_delay_alu instid0(VALU_DEP_1) | instskip(NEXT) | instid1(VALU_DEP_1)
	v_and_b32_e32 v17, 0xff, v17
	v_add_co_u32 v18, s8, v17, -1
	s_wait_alu 0xf1ff
	v_cndmask_b32_e64 v19, 0, 1, s8
	v_lshlrev_b32_e32 v17, 4, v17
	s_delay_alu instid0(VALU_DEP_2) | instskip(NEXT) | instid1(VALU_DEP_2)
	v_cmp_ne_u32_e32 vcc_lo, 0, v19
	v_add_nc_u32_e32 v39, v16, v17
	s_wait_alu 0xfffd
	v_xor_b32_e32 v17, vcc_lo, v18
	ds_load_b32 v36, v39 offset:16
	; wave barrier
	v_and_b32_e32 v17, exec_lo, v17
	s_delay_alu instid0(VALU_DEP_1) | instskip(SKIP_1) | instid1(VALU_DEP_2)
	v_mbcnt_lo_u32_b32 v38, v17, 0
	v_cmp_ne_u32_e64 s8, 0, v17
	v_cmp_eq_u32_e32 vcc_lo, 0, v38
	s_and_b32 s11, s8, vcc_lo
	s_wait_alu 0xfffe
	s_and_saveexec_b32 s8, s11
	s_cbranch_execz .LBB262_67
; %bb.66:
	s_wait_dscnt 0x0
	v_bcnt_u32_b32 v17, v17, v36
	ds_store_b32 v39, v17 offset:16
.LBB262_67:
	;; [unrolled: 31-line block ×7, first 2 shown]
	s_wait_alu 0xfffe
	s_or_b32 exec_lo, exec_lo, s8
	; wave barrier
	s_wait_loadcnt_dscnt 0x0
	s_barrier_signal -1
	s_barrier_wait -1
	global_inv scope:SCOPE_SE
	ds_load_b128 v[20:23], v66 offset:16
	ds_load_b128 v[16:19], v66 offset:32
	v_min_u32_e32 v68, 0x60, v68
	s_mov_b32 s8, exec_lo
	s_delay_alu instid0(VALU_DEP_1) | instskip(SKIP_2) | instid1(VALU_DEP_1)
	v_or_b32_e32 v68, 31, v68
	s_wait_dscnt 0x1
	v_add_nc_u32_e32 v81, v21, v20
	v_add3_u32 v81, v81, v22, v23
	s_wait_dscnt 0x0
	s_delay_alu instid0(VALU_DEP_1) | instskip(NEXT) | instid1(VALU_DEP_1)
	v_add3_u32 v81, v81, v16, v17
	v_add3_u32 v19, v81, v18, v19
	v_and_b32_e32 v81, 15, v67
	s_delay_alu instid0(VALU_DEP_2) | instskip(NEXT) | instid1(VALU_DEP_2)
	v_mov_b32_dpp v82, v19 row_shr:1 row_mask:0xf bank_mask:0xf
	v_cmp_ne_u32_e32 vcc_lo, 0, v81
	s_wait_alu 0xfffd
	s_delay_alu instid0(VALU_DEP_2) | instskip(SKIP_1) | instid1(VALU_DEP_2)
	v_cndmask_b32_e32 v82, 0, v82, vcc_lo
	v_cmp_lt_u32_e32 vcc_lo, 1, v81
	v_add_nc_u32_e32 v19, v82, v19
	s_delay_alu instid0(VALU_DEP_1) | instskip(SKIP_1) | instid1(VALU_DEP_1)
	v_mov_b32_dpp v82, v19 row_shr:2 row_mask:0xf bank_mask:0xf
	s_wait_alu 0xfffd
	v_cndmask_b32_e32 v82, 0, v82, vcc_lo
	v_cmp_lt_u32_e32 vcc_lo, 3, v81
	s_delay_alu instid0(VALU_DEP_2) | instskip(NEXT) | instid1(VALU_DEP_1)
	v_add_nc_u32_e32 v19, v19, v82
	v_mov_b32_dpp v82, v19 row_shr:4 row_mask:0xf bank_mask:0xf
	s_wait_alu 0xfffd
	s_delay_alu instid0(VALU_DEP_1) | instskip(SKIP_1) | instid1(VALU_DEP_2)
	v_cndmask_b32_e32 v82, 0, v82, vcc_lo
	v_cmp_lt_u32_e32 vcc_lo, 7, v81
	v_add_nc_u32_e32 v19, v19, v82
	s_delay_alu instid0(VALU_DEP_1) | instskip(SKIP_1) | instid1(VALU_DEP_1)
	v_mov_b32_dpp v82, v19 row_shr:8 row_mask:0xf bank_mask:0xf
	s_wait_alu 0xfffd
	v_cndmask_b32_e32 v81, 0, v82, vcc_lo
	v_bfe_i32 v82, v67, 4, 1
	s_delay_alu instid0(VALU_DEP_2) | instskip(SKIP_3) | instid1(VALU_DEP_1)
	v_add_nc_u32_e32 v19, v19, v81
	ds_swizzle_b32 v81, v19 offset:swizzle(BROADCAST,32,15)
	s_wait_dscnt 0x0
	v_and_b32_e32 v81, v82, v81
	v_add_nc_u32_e32 v19, v19, v81
	v_cmpx_eq_u32_e64 v44, v68
; %bb.78:
	v_lshlrev_b32_e32 v68, 2, v65
	ds_store_b32 v68, v19
; %bb.79:
	s_wait_alu 0xfffe
	s_or_b32 exec_lo, exec_lo, s8
	s_delay_alu instid0(SALU_CYCLE_1)
	s_mov_b32 s8, exec_lo
	s_wait_loadcnt_dscnt 0x0
	s_barrier_signal -1
	s_barrier_wait -1
	global_inv scope:SCOPE_SE
	v_cmpx_gt_u32_e32 4, v44
	s_cbranch_execz .LBB262_81
; %bb.80:
	v_and_b32_e32 v82, 3, v67
	s_delay_alu instid0(VALU_DEP_1)
	v_cmp_ne_u32_e32 vcc_lo, 0, v82
	v_lshlrev_b32_e32 v68, 2, v44
	ds_load_b32 v81, v68
	s_wait_dscnt 0x0
	v_mov_b32_dpp v83, v81 row_shr:1 row_mask:0xf bank_mask:0xf
	s_wait_alu 0xfffd
	s_delay_alu instid0(VALU_DEP_1) | instskip(SKIP_1) | instid1(VALU_DEP_2)
	v_cndmask_b32_e32 v83, 0, v83, vcc_lo
	v_cmp_lt_u32_e32 vcc_lo, 1, v82
	v_add_nc_u32_e32 v81, v83, v81
	s_delay_alu instid0(VALU_DEP_1) | instskip(SKIP_1) | instid1(VALU_DEP_1)
	v_mov_b32_dpp v83, v81 row_shr:2 row_mask:0xf bank_mask:0xf
	s_wait_alu 0xfffd
	v_cndmask_b32_e32 v82, 0, v83, vcc_lo
	s_delay_alu instid0(VALU_DEP_1)
	v_add_nc_u32_e32 v81, v81, v82
	ds_store_b32 v68, v81
.LBB262_81:
	s_wait_alu 0xfffe
	s_or_b32 exec_lo, exec_lo, s8
	v_mov_b32_e32 v68, 0
	s_mov_b32 s8, exec_lo
	s_wait_loadcnt_dscnt 0x0
	s_barrier_signal -1
	s_barrier_wait -1
	global_inv scope:SCOPE_SE
	v_cmpx_lt_u32_e32 31, v44
; %bb.82:
	v_lshl_add_u32 v65, v65, 2, -4
	ds_load_b32 v68, v65
; %bb.83:
	s_wait_alu 0xfffe
	s_or_b32 exec_lo, exec_lo, s8
	v_sub_co_u32 v65, vcc_lo, v67, 1
	s_wait_dscnt 0x0
	v_add_nc_u32_e32 v19, v68, v19
	s_delay_alu instid0(VALU_DEP_2) | instskip(SKIP_1) | instid1(VALU_DEP_1)
	v_cmp_gt_i32_e64 s8, 0, v65
	s_wait_alu 0xf1ff
	v_cndmask_b32_e64 v65, v65, v67, s8
	s_delay_alu instid0(VALU_DEP_1)
	v_lshlrev_b32_e32 v65, 2, v65
	ds_bpermute_b32 v19, v65, v19
	s_wait_dscnt 0x0
	s_wait_alu 0xfffd
	v_cndmask_b32_e32 v19, v19, v68, vcc_lo
	v_cmp_ne_u32_e32 vcc_lo, 0, v44
	s_wait_alu 0xfffd
	s_delay_alu instid0(VALU_DEP_2) | instskip(NEXT) | instid1(VALU_DEP_1)
	v_cndmask_b32_e32 v19, 0, v19, vcc_lo
	v_add_nc_u32_e32 v20, v19, v20
	s_delay_alu instid0(VALU_DEP_1) | instskip(NEXT) | instid1(VALU_DEP_1)
	v_add_nc_u32_e32 v21, v20, v21
	v_add_nc_u32_e32 v22, v21, v22
	s_delay_alu instid0(VALU_DEP_1) | instskip(NEXT) | instid1(VALU_DEP_1)
	v_add_nc_u32_e32 v81, v22, v23
	;; [unrolled: 3-line block ×3, first 2 shown]
	v_add_nc_u32_e32 v84, v83, v18
	ds_store_b128 v66, v[19:22] offset:16
	ds_store_b128 v66, v[81:84] offset:32
	s_wait_loadcnt_dscnt 0x0
	s_barrier_signal -1
	s_barrier_wait -1
	global_inv scope:SCOPE_SE
	ds_load_b32 v16, v35 offset:16
	ds_load_b32 v17, v37 offset:16
	;; [unrolled: 1-line block ×8, first 2 shown]
	s_wait_loadcnt_dscnt 0x0
	s_barrier_signal -1
	s_barrier_wait -1
	global_inv scope:SCOPE_SE
	v_mad_u32_u24 v35, v44, 56, v61
	v_add_nc_u32_e32 v16, v16, v32
	v_add3_u32 v17, v34, v33, v17
	v_add3_u32 v18, v38, v36, v18
	;; [unrolled: 1-line block ×7, first 2 shown]
	ds_store_b8 v16, v24
	ds_store_b8 v17, v25
	;; [unrolled: 1-line block ×8, first 2 shown]
	s_wait_loadcnt_dscnt 0x0
	s_barrier_signal -1
	s_barrier_wait -1
	global_inv scope:SCOPE_SE
	ds_load_b64 v[33:34], v61
	v_lshlrev_b32_e32 v16, 3, v16
	v_lshlrev_b32_e32 v17, 3, v17
	;; [unrolled: 1-line block ×8, first 2 shown]
	s_wait_loadcnt_dscnt 0x0
	s_barrier_signal -1
	s_barrier_wait -1
	global_inv scope:SCOPE_SE
	ds_store_b64 v16, v[12:13]
	ds_store_b64 v17, v[14:15]
	;; [unrolled: 1-line block ×8, first 2 shown]
	s_wait_loadcnt_dscnt 0x0
	s_barrier_signal -1
	s_barrier_wait -1
	global_inv scope:SCOPE_SE
	ds_load_b128 v[29:32], v35
	ds_load_b128 v[25:28], v35 offset:16
	ds_load_b128 v[21:24], v35 offset:32
	;; [unrolled: 1-line block ×3, first 2 shown]
	v_lshrrev_b32_e32 v0, 16, v33
	v_lshrrev_b32_e32 v3, 16, v34
	v_and_b32_e32 v1, 0xffffff00, v33
	v_xor_b32_e32 v2, 1, v33
	v_and_b32_e32 v4, 0xffffff00, v34
	v_xor_b32_e32 v5, 1, v34
	;; [unrolled: 2-line block ×4, first 2 shown]
	v_xor_b32_e32 v1, 0x100, v1
	v_and_b32_e32 v2, 0xff, v2
	v_xor_b32_e32 v4, 0x100, v4
	v_and_b32_e32 v5, 0xff, v5
	;; [unrolled: 2-line block ×4, first 2 shown]
	v_or_b32_e32 v1, v2, v1
	v_or_b32_e32 v2, v5, v4
	;; [unrolled: 1-line block ×3, first 2 shown]
	s_delay_alu instid0(VALU_DEP_4) | instskip(NEXT) | instid1(VALU_DEP_4)
	v_or_b32_e32 v3, v3, v7
	v_and_b32_e32 v1, 0xffff, v1
	s_delay_alu instid0(VALU_DEP_4) | instskip(NEXT) | instid1(VALU_DEP_4)
	v_and_b32_e32 v2, 0xffff, v2
	v_lshlrev_b32_e32 v0, 16, v0
	s_delay_alu instid0(VALU_DEP_4) | instskip(NEXT) | instid1(VALU_DEP_2)
	v_lshlrev_b32_e32 v3, 16, v3
	v_or_b32_e32 v33, v1, v0
	s_delay_alu instid0(VALU_DEP_2)
	v_or_b32_e32 v34, v2, v3
.LBB262_84:
	s_wait_loadcnt_dscnt 0x0
	s_barrier_signal -1
	s_barrier_wait -1
	global_inv scope:SCOPE_SE
	ds_store_2addr_b32 v56, v33, v34 offset1:1
	s_wait_loadcnt_dscnt 0x0
	s_barrier_signal -1
	s_barrier_wait -1
	global_inv scope:SCOPE_SE
	ds_load_u8 v8, v49 offset:128
	ds_load_u8 v7, v50 offset:256
	;; [unrolled: 1-line block ×7, first 2 shown]
	v_add_co_u32 v0, s8, s14, v47
	s_wait_alu 0xf1ff
	v_add_co_ci_u32_e64 v1, null, s15, 0, s8
	s_and_saveexec_b32 s8, s0
	s_cbranch_execnz .LBB262_103
; %bb.85:
	s_wait_alu 0xfffe
	s_or_b32 exec_lo, exec_lo, s8
	s_and_saveexec_b32 s8, s1
	s_cbranch_execnz .LBB262_104
.LBB262_86:
	s_wait_alu 0xfffe
	s_or_b32 exec_lo, exec_lo, s8
	s_and_saveexec_b32 s8, s2
	s_cbranch_execnz .LBB262_105
.LBB262_87:
	s_wait_alu 0xfffe
	s_or_b32 exec_lo, exec_lo, s8
	s_and_saveexec_b32 s8, s3
	s_cbranch_execnz .LBB262_106
.LBB262_88:
	s_wait_alu 0xfffe
	s_or_b32 exec_lo, exec_lo, s8
	s_and_saveexec_b32 s8, s4
	s_cbranch_execnz .LBB262_107
.LBB262_89:
	s_wait_alu 0xfffe
	s_or_b32 exec_lo, exec_lo, s8
	s_and_saveexec_b32 s8, s5
	s_cbranch_execnz .LBB262_108
.LBB262_90:
	s_wait_alu 0xfffe
	s_or_b32 exec_lo, exec_lo, s8
	s_and_saveexec_b32 s8, s6
	s_cbranch_execnz .LBB262_109
.LBB262_91:
	s_wait_alu 0xfffe
	s_or_b32 exec_lo, exec_lo, s8
	s_and_saveexec_b32 s8, s7
	s_cbranch_execz .LBB262_93
.LBB262_92:
	s_mul_i32 s9, s10, 0x380
	s_wait_alu 0xfffe
	v_add_co_u32 v0, vcc_lo, v0, s9
	s_wait_alu 0xfffd
	v_add_co_ci_u32_e64 v1, null, 0, v1, vcc_lo
	s_wait_dscnt 0x0
	global_store_b8 v[0:1], v2, off
.LBB262_93:
	s_wait_alu 0xfffe
	s_or_b32 exec_lo, exec_lo, s8
	s_wait_storecnt 0x0
	s_wait_loadcnt_dscnt 0x0
	s_barrier_signal -1
	s_barrier_wait -1
	global_inv scope:SCOPE_SE
	ds_store_2addr_b64 v64, v[29:30], v[31:32] offset1:1
	ds_store_2addr_b64 v64, v[25:26], v[27:28] offset0:2 offset1:3
	ds_store_2addr_b64 v64, v[21:22], v[23:24] offset0:4 offset1:5
	ds_store_2addr_b64 v64, v[17:18], v[19:20] offset0:6 offset1:7
	s_wait_loadcnt_dscnt 0x0
	s_barrier_signal -1
	s_barrier_wait -1
	global_inv scope:SCOPE_SE
	ds_load_b64 v[14:15], v58 offset:1024
	ds_load_b64 v[12:13], v59 offset:2048
	;; [unrolled: 1-line block ×7, first 2 shown]
	v_mov_b32_e32 v42, 0
	s_delay_alu instid0(VALU_DEP_1) | instskip(NEXT) | instid1(VALU_DEP_1)
	v_lshlrev_b64_e32 v[2:3], 3, v[41:42]
	v_add_co_u32 v2, vcc_lo, s16, v2
	s_wait_alu 0xfffd
	s_delay_alu instid0(VALU_DEP_2)
	v_add_co_ci_u32_e64 v3, null, s17, v3, vcc_lo
	s_and_saveexec_b32 s8, s0
	s_cbranch_execnz .LBB262_110
; %bb.94:
	s_wait_alu 0xfffe
	s_or_b32 exec_lo, exec_lo, s8
	s_and_saveexec_b32 s0, s1
	s_cbranch_execnz .LBB262_111
.LBB262_95:
	s_or_b32 exec_lo, exec_lo, s0
	s_and_saveexec_b32 s0, s2
	s_cbranch_execnz .LBB262_112
.LBB262_96:
	s_or_b32 exec_lo, exec_lo, s0
	s_and_saveexec_b32 s0, s3
	s_cbranch_execnz .LBB262_113
.LBB262_97:
	s_or_b32 exec_lo, exec_lo, s0
	s_and_saveexec_b32 s0, s4
	s_cbranch_execnz .LBB262_114
.LBB262_98:
	s_or_b32 exec_lo, exec_lo, s0
	s_and_saveexec_b32 s0, s5
	s_cbranch_execnz .LBB262_115
.LBB262_99:
	s_or_b32 exec_lo, exec_lo, s0
	s_and_saveexec_b32 s0, s6
	s_cbranch_execnz .LBB262_116
.LBB262_100:
	s_or_b32 exec_lo, exec_lo, s0
	s_and_saveexec_b32 s0, s7
	s_cbranch_execz .LBB262_102
.LBB262_101:
	s_mul_i32 s0, s12, 0x380
	s_mov_b32 s1, 0
	s_delay_alu instid0(SALU_CYCLE_1) | instskip(NEXT) | instid1(SALU_CYCLE_1)
	s_lshl_b64 s[0:1], s[0:1], 3
	v_add_co_u32 v2, vcc_lo, v2, s0
	s_wait_alu 0xfffd
	v_add_co_ci_u32_e64 v3, null, s1, v3, vcc_lo
	s_wait_dscnt 0x0
	global_store_b64 v[2:3], v[0:1], off
.LBB262_102:
	s_nop 0
	s_sendmsg sendmsg(MSG_DEALLOC_VGPRS)
	s_endpgm
.LBB262_103:
	ds_load_u8 v9, v48
	s_wait_dscnt 0x0
	global_store_b8 v[0:1], v9, off
	s_wait_alu 0xfffe
	s_or_b32 exec_lo, exec_lo, s8
	s_and_saveexec_b32 s8, s1
	s_cbranch_execz .LBB262_86
.LBB262_104:
	s_lshl_b32 s9, s10, 7
	s_wait_alu 0xfffe
	v_add_co_u32 v9, vcc_lo, v0, s9
	s_wait_alu 0xfffd
	v_add_co_ci_u32_e64 v10, null, 0, v1, vcc_lo
	s_wait_dscnt 0x6
	global_store_b8 v[9:10], v8, off
	s_or_b32 exec_lo, exec_lo, s8
	s_and_saveexec_b32 s8, s2
	s_cbranch_execz .LBB262_87
.LBB262_105:
	s_lshl_b32 s9, s10, 8
	s_wait_dscnt 0x6
	s_wait_alu 0xfffe
	v_add_co_u32 v8, vcc_lo, v0, s9
	s_wait_alu 0xfffd
	v_add_co_ci_u32_e64 v9, null, 0, v1, vcc_lo
	s_wait_dscnt 0x5
	global_store_b8 v[8:9], v7, off
	s_or_b32 exec_lo, exec_lo, s8
	s_and_saveexec_b32 s8, s3
	s_cbranch_execz .LBB262_88
.LBB262_106:
	s_mul_i32 s9, s10, 0x180
	s_wait_dscnt 0x5
	s_wait_alu 0xfffe
	v_add_co_u32 v7, vcc_lo, v0, s9
	s_wait_alu 0xfffd
	v_add_co_ci_u32_e64 v8, null, 0, v1, vcc_lo
	s_wait_dscnt 0x4
	global_store_b8 v[7:8], v6, off
	s_or_b32 exec_lo, exec_lo, s8
	s_and_saveexec_b32 s8, s4
	s_cbranch_execz .LBB262_89
.LBB262_107:
	s_lshl_b32 s9, s10, 9
	s_wait_dscnt 0x4
	s_wait_alu 0xfffe
	v_add_co_u32 v6, vcc_lo, v0, s9
	s_wait_alu 0xfffd
	v_add_co_ci_u32_e64 v7, null, 0, v1, vcc_lo
	s_wait_dscnt 0x3
	global_store_b8 v[6:7], v5, off
	s_or_b32 exec_lo, exec_lo, s8
	s_and_saveexec_b32 s8, s5
	s_cbranch_execz .LBB262_90
.LBB262_108:
	s_mul_i32 s9, s10, 0x280
	s_wait_dscnt 0x3
	s_wait_alu 0xfffe
	v_add_co_u32 v5, vcc_lo, v0, s9
	s_wait_alu 0xfffd
	v_add_co_ci_u32_e64 v6, null, 0, v1, vcc_lo
	s_wait_dscnt 0x2
	global_store_b8 v[5:6], v4, off
	s_or_b32 exec_lo, exec_lo, s8
	s_and_saveexec_b32 s8, s6
	s_cbranch_execz .LBB262_91
.LBB262_109:
	s_mul_i32 s9, s10, 0x300
	s_wait_dscnt 0x2
	s_wait_alu 0xfffe
	v_add_co_u32 v4, vcc_lo, v0, s9
	s_wait_alu 0xfffd
	v_add_co_ci_u32_e64 v5, null, 0, v1, vcc_lo
	s_wait_dscnt 0x1
	global_store_b8 v[4:5], v3, off
	s_or_b32 exec_lo, exec_lo, s8
	s_and_saveexec_b32 s8, s7
	s_cbranch_execnz .LBB262_92
	s_branch .LBB262_93
.LBB262_110:
	ds_load_b64 v[16:17], v57
	s_wait_dscnt 0x0
	global_store_b64 v[2:3], v[16:17], off
	s_wait_alu 0xfffe
	s_or_b32 exec_lo, exec_lo, s8
	s_and_saveexec_b32 s0, s1
	s_cbranch_execz .LBB262_95
.LBB262_111:
	s_lshl_b32 s8, s12, 7
	s_mov_b32 s9, 0
	s_wait_alu 0xfffe
	s_lshl_b64 s[8:9], s[8:9], 3
	s_wait_alu 0xfffe
	v_add_co_u32 v16, vcc_lo, v2, s8
	s_wait_alu 0xfffd
	v_add_co_ci_u32_e64 v17, null, s9, v3, vcc_lo
	s_wait_dscnt 0x6
	global_store_b64 v[16:17], v[14:15], off
	s_or_b32 exec_lo, exec_lo, s0
	s_and_saveexec_b32 s0, s2
	s_cbranch_execz .LBB262_96
.LBB262_112:
	s_lshl_b32 s8, s12, 8
	s_mov_b32 s9, 0
	s_wait_alu 0xfffe
	s_lshl_b64 s[8:9], s[8:9], 3
	s_wait_dscnt 0x6
	s_wait_alu 0xfffe
	v_add_co_u32 v14, vcc_lo, v2, s8
	s_wait_alu 0xfffd
	v_add_co_ci_u32_e64 v15, null, s9, v3, vcc_lo
	s_wait_dscnt 0x5
	global_store_b64 v[14:15], v[12:13], off
	s_or_b32 exec_lo, exec_lo, s0
	s_and_saveexec_b32 s0, s3
	s_cbranch_execz .LBB262_97
.LBB262_113:
	s_mul_i32 s2, s12, 0x180
	s_mov_b32 s3, 0
	s_delay_alu instid0(SALU_CYCLE_1)
	s_lshl_b64 s[2:3], s[2:3], 3
	s_wait_dscnt 0x5
	v_add_co_u32 v12, vcc_lo, v2, s2
	s_wait_alu 0xfffd
	v_add_co_ci_u32_e64 v13, null, s3, v3, vcc_lo
	s_wait_dscnt 0x4
	global_store_b64 v[12:13], v[10:11], off
	s_or_b32 exec_lo, exec_lo, s0
	s_and_saveexec_b32 s0, s4
	s_cbranch_execz .LBB262_98
.LBB262_114:
	s_lshl_b32 s2, s12, 9
	s_mov_b32 s3, 0
	s_wait_alu 0xfffe
	s_lshl_b64 s[2:3], s[2:3], 3
	s_wait_dscnt 0x4
	s_wait_alu 0xfffe
	v_add_co_u32 v10, vcc_lo, v2, s2
	s_wait_alu 0xfffd
	v_add_co_ci_u32_e64 v11, null, s3, v3, vcc_lo
	s_wait_dscnt 0x3
	global_store_b64 v[10:11], v[8:9], off
	s_or_b32 exec_lo, exec_lo, s0
	s_and_saveexec_b32 s0, s5
	s_cbranch_execz .LBB262_99
.LBB262_115:
	s_mul_i32 s2, s12, 0x280
	s_mov_b32 s3, 0
	s_wait_alu 0xfffe
	s_lshl_b64 s[2:3], s[2:3], 3
	s_wait_dscnt 0x3
	s_wait_alu 0xfffe
	v_add_co_u32 v8, vcc_lo, v2, s2
	s_wait_alu 0xfffd
	v_add_co_ci_u32_e64 v9, null, s3, v3, vcc_lo
	s_wait_dscnt 0x2
	global_store_b64 v[8:9], v[6:7], off
	s_or_b32 exec_lo, exec_lo, s0
	s_and_saveexec_b32 s0, s6
	s_cbranch_execz .LBB262_100
.LBB262_116:
	s_mul_i32 s2, s12, 0x300
	s_mov_b32 s3, 0
	s_wait_alu 0xfffe
	s_lshl_b64 s[2:3], s[2:3], 3
	s_wait_dscnt 0x2
	s_wait_alu 0xfffe
	v_add_co_u32 v6, vcc_lo, v2, s2
	s_wait_alu 0xfffd
	v_add_co_ci_u32_e64 v7, null, s3, v3, vcc_lo
	s_wait_dscnt 0x1
	global_store_b64 v[6:7], v[4:5], off
	s_or_b32 exec_lo, exec_lo, s0
	s_and_saveexec_b32 s0, s7
	s_cbranch_execnz .LBB262_101
	s_branch .LBB262_102
	.section	.rodata,"a",@progbits
	.p2align	6, 0x0
	.amdhsa_kernel _ZN2at6native18radixSortKVInPlaceILin2ELin1ELi128ELi8EbljEEvNS_4cuda6detail10TensorInfoIT3_T5_EES6_S6_S6_NS4_IT4_S6_EES6_b
		.amdhsa_group_segment_fixed_size 8448
		.amdhsa_private_segment_fixed_size 0
		.amdhsa_kernarg_size 712
		.amdhsa_user_sgpr_count 2
		.amdhsa_user_sgpr_dispatch_ptr 0
		.amdhsa_user_sgpr_queue_ptr 0
		.amdhsa_user_sgpr_kernarg_segment_ptr 1
		.amdhsa_user_sgpr_dispatch_id 0
		.amdhsa_user_sgpr_private_segment_size 0
		.amdhsa_wavefront_size32 1
		.amdhsa_uses_dynamic_stack 0
		.amdhsa_enable_private_segment 0
		.amdhsa_system_sgpr_workgroup_id_x 1
		.amdhsa_system_sgpr_workgroup_id_y 1
		.amdhsa_system_sgpr_workgroup_id_z 1
		.amdhsa_system_sgpr_workgroup_info 0
		.amdhsa_system_vgpr_workitem_id 2
		.amdhsa_next_free_vgpr 105
		.amdhsa_next_free_sgpr 24
		.amdhsa_reserve_vcc 1
		.amdhsa_float_round_mode_32 0
		.amdhsa_float_round_mode_16_64 0
		.amdhsa_float_denorm_mode_32 3
		.amdhsa_float_denorm_mode_16_64 3
		.amdhsa_fp16_overflow 0
		.amdhsa_workgroup_processor_mode 1
		.amdhsa_memory_ordered 1
		.amdhsa_forward_progress 1
		.amdhsa_inst_pref_size 76
		.amdhsa_round_robin_scheduling 0
		.amdhsa_exception_fp_ieee_invalid_op 0
		.amdhsa_exception_fp_denorm_src 0
		.amdhsa_exception_fp_ieee_div_zero 0
		.amdhsa_exception_fp_ieee_overflow 0
		.amdhsa_exception_fp_ieee_underflow 0
		.amdhsa_exception_fp_ieee_inexact 0
		.amdhsa_exception_int_div_zero 0
	.end_amdhsa_kernel
	.section	.text._ZN2at6native18radixSortKVInPlaceILin2ELin1ELi128ELi8EbljEEvNS_4cuda6detail10TensorInfoIT3_T5_EES6_S6_S6_NS4_IT4_S6_EES6_b,"axG",@progbits,_ZN2at6native18radixSortKVInPlaceILin2ELin1ELi128ELi8EbljEEvNS_4cuda6detail10TensorInfoIT3_T5_EES6_S6_S6_NS4_IT4_S6_EES6_b,comdat
.Lfunc_end262:
	.size	_ZN2at6native18radixSortKVInPlaceILin2ELin1ELi128ELi8EbljEEvNS_4cuda6detail10TensorInfoIT3_T5_EES6_S6_S6_NS4_IT4_S6_EES6_b, .Lfunc_end262-_ZN2at6native18radixSortKVInPlaceILin2ELin1ELi128ELi8EbljEEvNS_4cuda6detail10TensorInfoIT3_T5_EES6_S6_S6_NS4_IT4_S6_EES6_b
                                        ; -- End function
	.set _ZN2at6native18radixSortKVInPlaceILin2ELin1ELi128ELi8EbljEEvNS_4cuda6detail10TensorInfoIT3_T5_EES6_S6_S6_NS4_IT4_S6_EES6_b.num_vgpr, 105
	.set _ZN2at6native18radixSortKVInPlaceILin2ELin1ELi128ELi8EbljEEvNS_4cuda6detail10TensorInfoIT3_T5_EES6_S6_S6_NS4_IT4_S6_EES6_b.num_agpr, 0
	.set _ZN2at6native18radixSortKVInPlaceILin2ELin1ELi128ELi8EbljEEvNS_4cuda6detail10TensorInfoIT3_T5_EES6_S6_S6_NS4_IT4_S6_EES6_b.numbered_sgpr, 24
	.set _ZN2at6native18radixSortKVInPlaceILin2ELin1ELi128ELi8EbljEEvNS_4cuda6detail10TensorInfoIT3_T5_EES6_S6_S6_NS4_IT4_S6_EES6_b.num_named_barrier, 0
	.set _ZN2at6native18radixSortKVInPlaceILin2ELin1ELi128ELi8EbljEEvNS_4cuda6detail10TensorInfoIT3_T5_EES6_S6_S6_NS4_IT4_S6_EES6_b.private_seg_size, 0
	.set _ZN2at6native18radixSortKVInPlaceILin2ELin1ELi128ELi8EbljEEvNS_4cuda6detail10TensorInfoIT3_T5_EES6_S6_S6_NS4_IT4_S6_EES6_b.uses_vcc, 1
	.set _ZN2at6native18radixSortKVInPlaceILin2ELin1ELi128ELi8EbljEEvNS_4cuda6detail10TensorInfoIT3_T5_EES6_S6_S6_NS4_IT4_S6_EES6_b.uses_flat_scratch, 0
	.set _ZN2at6native18radixSortKVInPlaceILin2ELin1ELi128ELi8EbljEEvNS_4cuda6detail10TensorInfoIT3_T5_EES6_S6_S6_NS4_IT4_S6_EES6_b.has_dyn_sized_stack, 0
	.set _ZN2at6native18radixSortKVInPlaceILin2ELin1ELi128ELi8EbljEEvNS_4cuda6detail10TensorInfoIT3_T5_EES6_S6_S6_NS4_IT4_S6_EES6_b.has_recursion, 0
	.set _ZN2at6native18radixSortKVInPlaceILin2ELin1ELi128ELi8EbljEEvNS_4cuda6detail10TensorInfoIT3_T5_EES6_S6_S6_NS4_IT4_S6_EES6_b.has_indirect_call, 0
	.section	.AMDGPU.csdata,"",@progbits
; Kernel info:
; codeLenInByte = 9640
; TotalNumSgprs: 26
; NumVgprs: 105
; ScratchSize: 0
; MemoryBound: 0
; FloatMode: 240
; IeeeMode: 1
; LDSByteSize: 8448 bytes/workgroup (compile time only)
; SGPRBlocks: 0
; VGPRBlocks: 13
; NumSGPRsForWavesPerEU: 26
; NumVGPRsForWavesPerEU: 105
; Occupancy: 12
; WaveLimiterHint : 1
; COMPUTE_PGM_RSRC2:SCRATCH_EN: 0
; COMPUTE_PGM_RSRC2:USER_SGPR: 2
; COMPUTE_PGM_RSRC2:TRAP_HANDLER: 0
; COMPUTE_PGM_RSRC2:TGID_X_EN: 1
; COMPUTE_PGM_RSRC2:TGID_Y_EN: 1
; COMPUTE_PGM_RSRC2:TGID_Z_EN: 1
; COMPUTE_PGM_RSRC2:TIDIG_COMP_CNT: 2
	.section	.text._ZN2at6native18radixSortKVInPlaceILin2ELin1ELi32ELi4EbljEEvNS_4cuda6detail10TensorInfoIT3_T5_EES6_S6_S6_NS4_IT4_S6_EES6_b,"axG",@progbits,_ZN2at6native18radixSortKVInPlaceILin2ELin1ELi32ELi4EbljEEvNS_4cuda6detail10TensorInfoIT3_T5_EES6_S6_S6_NS4_IT4_S6_EES6_b,comdat
	.protected	_ZN2at6native18radixSortKVInPlaceILin2ELin1ELi32ELi4EbljEEvNS_4cuda6detail10TensorInfoIT3_T5_EES6_S6_S6_NS4_IT4_S6_EES6_b ; -- Begin function _ZN2at6native18radixSortKVInPlaceILin2ELin1ELi32ELi4EbljEEvNS_4cuda6detail10TensorInfoIT3_T5_EES6_S6_S6_NS4_IT4_S6_EES6_b
	.globl	_ZN2at6native18radixSortKVInPlaceILin2ELin1ELi32ELi4EbljEEvNS_4cuda6detail10TensorInfoIT3_T5_EES6_S6_S6_NS4_IT4_S6_EES6_b
	.p2align	8
	.type	_ZN2at6native18radixSortKVInPlaceILin2ELin1ELi32ELi4EbljEEvNS_4cuda6detail10TensorInfoIT3_T5_EES6_S6_S6_NS4_IT4_S6_EES6_b,@function
_ZN2at6native18radixSortKVInPlaceILin2ELin1ELi32ELi4EbljEEvNS_4cuda6detail10TensorInfoIT3_T5_EES6_S6_S6_NS4_IT4_S6_EES6_b: ; @_ZN2at6native18radixSortKVInPlaceILin2ELin1ELi32ELi4EbljEEvNS_4cuda6detail10TensorInfoIT3_T5_EES6_S6_S6_NS4_IT4_S6_EES6_b
; %bb.0:
	s_clause 0x1
	s_load_b64 s[2:3], s[0:1], 0x1c8
	s_load_b96 s[8:10], s[0:1], 0xd8
	s_lshr_b32 s4, ttmp7, 16
	s_wait_kmcnt 0x0
	s_mul_i32 s3, s3, s4
	s_and_b32 s4, ttmp7, 0xffff
	s_delay_alu instid0(SALU_CYCLE_1) | instskip(NEXT) | instid1(SALU_CYCLE_1)
	s_add_co_i32 s3, s3, s4
	s_mul_i32 s11, s3, s2
	s_delay_alu instid0(SALU_CYCLE_1) | instskip(NEXT) | instid1(SALU_CYCLE_1)
	s_add_co_i32 s11, s11, ttmp9
	s_cmp_ge_u32 s11, s8
	s_cbranch_scc1 .LBB263_54
; %bb.1:
	s_load_b32 s2, s[0:1], 0x1b8
	s_add_nc_u64 s[6:7], s[0:1], 0xe8
	s_mov_b32 s5, 0
	s_mov_b32 s8, s11
	s_wait_kmcnt 0x0
	s_cmp_lt_i32 s2, 2
	s_cbranch_scc1 .LBB263_4
; %bb.2:
	s_add_co_i32 s4, s2, -1
	s_mov_b32 s8, s11
	s_lshl_b64 s[12:13], s[4:5], 2
	s_add_co_i32 s4, s2, 1
	s_add_nc_u64 s[12:13], s[6:7], s[12:13]
	s_delay_alu instid0(SALU_CYCLE_1)
	s_add_nc_u64 s[2:3], s[12:13], 8
.LBB263_3:                              ; =>This Inner Loop Header: Depth=1
	s_clause 0x1
	s_load_b32 s12, s[2:3], 0x0
	s_load_b32 s13, s[2:3], 0x64
	s_mov_b32 s16, s8
	s_add_nc_u64 s[2:3], s[2:3], -4
	s_wait_kmcnt 0x0
	s_cvt_f32_u32 s14, s12
	s_sub_co_i32 s15, 0, s12
	s_wait_alu 0xfffe
	s_delay_alu instid0(SALU_CYCLE_1) | instskip(NEXT) | instid1(TRANS32_DEP_1)
	v_rcp_iflag_f32_e32 v1, s14
	v_readfirstlane_b32 s14, v1
	s_mul_f32 s14, s14, 0x4f7ffffe
	s_wait_alu 0xfffe
	s_delay_alu instid0(SALU_CYCLE_2) | instskip(SKIP_1) | instid1(SALU_CYCLE_2)
	s_cvt_u32_f32 s14, s14
	s_wait_alu 0xfffe
	s_mul_i32 s15, s15, s14
	s_wait_alu 0xfffe
	s_mul_hi_u32 s15, s14, s15
	s_wait_alu 0xfffe
	s_add_co_i32 s14, s14, s15
	s_wait_alu 0xfffe
	s_mul_hi_u32 s8, s8, s14
	s_delay_alu instid0(SALU_CYCLE_1)
	s_mul_i32 s14, s8, s12
	s_add_co_i32 s15, s8, 1
	s_wait_alu 0xfffe
	s_sub_co_i32 s14, s16, s14
	s_wait_alu 0xfffe
	s_sub_co_i32 s17, s14, s12
	s_cmp_ge_u32 s14, s12
	s_cselect_b32 s8, s15, s8
	s_cselect_b32 s14, s17, s14
	s_add_co_i32 s15, s8, 1
	s_wait_alu 0xfffe
	s_cmp_ge_u32 s14, s12
	s_cselect_b32 s8, s15, s8
	s_add_co_i32 s4, s4, -1
	s_mul_i32 s12, s8, s12
	s_delay_alu instid0(SALU_CYCLE_1) | instskip(NEXT) | instid1(SALU_CYCLE_1)
	s_sub_co_i32 s12, s16, s12
	s_mul_i32 s12, s13, s12
	s_delay_alu instid0(SALU_CYCLE_1)
	s_add_co_i32 s5, s12, s5
	s_cmp_gt_u32 s4, 2
	s_cbranch_scc1 .LBB263_3
.LBB263_4:
	s_clause 0x2
	s_load_b64 s[12:13], s[0:1], 0x1c0
	s_load_b64 s[2:3], s[0:1], 0x0
	s_load_b32 s14, s[0:1], 0x6c
	s_add_nc_u64 s[18:19], s[0:1], 0x1c8
	v_and_b32_e32 v11, 0x3ff, v0
	s_mov_b32 s15, 0
	s_delay_alu instid0(VALU_DEP_1)
	v_mul_lo_u32 v20, s10, v11
	s_wait_kmcnt 0x0
	s_bitcmp1_b32 s13, 0
	s_mul_i32 s14, s14, s11
	s_cselect_b32 s0, -1, 0
	s_wait_alu 0xfffe
	s_add_nc_u64 s[14:15], s[2:3], s[14:15]
	s_xor_b32 s4, s0, -1
	v_cmp_gt_u32_e64 s0, s9, v11
	v_cndmask_b32_e64 v2, 0, 1, s4
	v_cndmask_b32_e64 v1, 0, 1, s4
	s_delay_alu instid0(VALU_DEP_2) | instskip(NEXT) | instid1(VALU_DEP_1)
	v_lshlrev_b32_e32 v3, 8, v2
	v_or_b32_e32 v2, v2, v3
	s_delay_alu instid0(VALU_DEP_1) | instskip(SKIP_1) | instid1(VALU_DEP_1)
	v_and_b32_e32 v3, 0x101, v2
	v_lshlrev_b32_e32 v2, 16, v2
	v_or_b32_e32 v2, v3, v2
	s_and_saveexec_b32 s1, s0
	s_cbranch_execz .LBB263_6
; %bb.5:
	global_load_u8 v1, v20, s[14:15]
	s_wait_loadcnt 0x0
	v_perm_b32 v2, v1, v2, 0x3020104
.LBB263_6:
	s_or_b32 exec_lo, exec_lo, s1
	v_add_nc_u32_e32 v5, 32, v11
	s_delay_alu instid0(VALU_DEP_1)
	v_cmp_gt_u32_e64 s3, s9, v5
	s_and_saveexec_b32 s1, s3
	s_cbranch_execz .LBB263_8
; %bb.7:
	v_mul_lo_u32 v3, s10, v5
	global_load_u8 v3, v3, s[14:15]
	s_wait_loadcnt 0x0
	v_perm_b32 v2, v2, v3, 0x7060004
.LBB263_8:
	s_or_b32 exec_lo, exec_lo, s1
	v_add_nc_u32_e32 v16, 64, v11
	s_delay_alu instid0(VALU_DEP_1)
	v_cmp_gt_u32_e64 s1, s9, v16
	s_and_saveexec_b32 s2, s1
	s_cbranch_execz .LBB263_10
; %bb.9:
	v_mul_lo_u32 v3, s10, v16
	global_load_u8 v3, v3, s[14:15]
	s_wait_loadcnt 0x0
	v_perm_b32 v2, v2, v3, 0x7000504
.LBB263_10:
	s_or_b32 exec_lo, exec_lo, s2
	s_clause 0x1
	s_load_b32 s11, s[6:7], 0x6c
	s_load_b64 s[6:7], s[6:7], 0x0
	v_add_nc_u32_e32 v14, 0x60, v11
	s_delay_alu instid0(VALU_DEP_1)
	v_cmp_gt_u32_e64 s2, s9, v14
	s_and_saveexec_b32 s9, s2
	s_cbranch_execz .LBB263_12
; %bb.11:
	v_mul_lo_u32 v3, s10, v14
	global_load_u8 v3, v3, s[14:15]
	s_wait_loadcnt 0x0
	v_perm_b32 v2, v2, v3, 0x60504
.LBB263_12:
	s_wait_alu 0xfffe
	s_or_b32 exec_lo, exec_lo, s9
	v_lshrrev_b32_e32 v13, 5, v5
	v_lshrrev_b32_e32 v12, 5, v11
	;; [unrolled: 1-line block ×5, first 2 shown]
	v_and_b32_e32 v6, 60, v13
	v_and_b32_e32 v4, 28, v12
	;; [unrolled: 1-line block ×3, first 2 shown]
	v_lshlrev_b32_e32 v31, 2, v11
	v_lshrrev_b32_e32 v3, 8, v2
	v_add_nc_u32_e32 v22, v6, v11
	v_and_b32_e32 v6, 0x7c, v18
	v_add_nc_u32_e32 v21, v4, v11
	v_and_b32_e32 v4, 60, v17
	v_add_nc_u32_e32 v23, v7, v11
	v_lshrrev_b32_e32 v7, 24, v2
	v_add_nc_u32_e32 v25, v6, v31
	ds_store_b8 v21, v1
	ds_store_b8 v22, v3 offset:32
	v_add_nc_u32_e32 v24, v4, v11
	ds_store_b8_d16_hi v23, v2 offset:64
	ds_store_b8 v24, v7 offset:96
	s_wait_dscnt 0x0
	; wave barrier
	global_inv scope:SCOPE_SE
	ds_load_b32 v35, v25
	s_wait_kmcnt 0x0
	s_mul_i32 s8, s11, s8
	v_mul_lo_u32 v9, s12, v11
	s_wait_alu 0xfffe
	s_add_co_i32 s8, s8, s5
	s_mov_b32 s9, 0
	v_mov_b32_e32 v1, 0
	v_dual_mov_b32 v3, 0 :: v_dual_mov_b32 v2, 0
	v_mov_b32_e32 v4, 0
	s_wait_alu 0xfffe
	s_lshl_b64 s[8:9], s[8:9], 3
	s_wait_loadcnt_dscnt 0x0
	s_wait_alu 0xfffe
	s_add_nc_u64 s[16:17], s[6:7], s[8:9]
	; wave barrier
	global_inv scope:SCOPE_SE
	s_and_saveexec_b32 s5, s0
	s_cbranch_execz .LBB263_14
; %bb.13:
	v_mov_b32_e32 v10, 0
	s_delay_alu instid0(VALU_DEP_1) | instskip(NEXT) | instid1(VALU_DEP_1)
	v_lshlrev_b64_e32 v[3:4], 3, v[9:10]
	v_add_co_u32 v3, vcc_lo, s16, v3
	s_delay_alu instid0(VALU_DEP_1)
	v_add_co_ci_u32_e64 v4, null, s17, v4, vcc_lo
	global_load_b64 v[3:4], v[3:4], off
.LBB263_14:
	s_wait_alu 0xfffe
	s_or_b32 exec_lo, exec_lo, s5
	s_and_saveexec_b32 s5, s3
	s_cbranch_execz .LBB263_16
; %bb.15:
	v_mul_lo_u32 v1, s12, v5
	v_mov_b32_e32 v2, 0
	s_delay_alu instid0(VALU_DEP_1) | instskip(NEXT) | instid1(VALU_DEP_1)
	v_lshlrev_b64_e32 v[1:2], 3, v[1:2]
	v_add_co_u32 v1, vcc_lo, s16, v1
	s_wait_alu 0xfffd
	s_delay_alu instid0(VALU_DEP_2)
	v_add_co_ci_u32_e64 v2, null, s17, v2, vcc_lo
	global_load_b64 v[1:2], v[1:2], off
.LBB263_16:
	s_wait_alu 0xfffe
	s_or_b32 exec_lo, exec_lo, s5
	v_mov_b32_e32 v5, 0
	v_dual_mov_b32 v6, 0 :: v_dual_mov_b32 v7, 0
	v_mov_b32_e32 v8, 0
	s_and_saveexec_b32 s5, s1
	s_cbranch_execz .LBB263_18
; %bb.17:
	v_mul_lo_u32 v7, s12, v16
	v_mov_b32_e32 v8, 0
	s_delay_alu instid0(VALU_DEP_1) | instskip(NEXT) | instid1(VALU_DEP_1)
	v_lshlrev_b64_e32 v[7:8], 3, v[7:8]
	v_add_co_u32 v7, vcc_lo, s16, v7
	s_wait_alu 0xfffd
	s_delay_alu instid0(VALU_DEP_2)
	v_add_co_ci_u32_e64 v8, null, s17, v8, vcc_lo
	global_load_b64 v[7:8], v[7:8], off
.LBB263_18:
	s_wait_alu 0xfffe
	s_or_b32 exec_lo, exec_lo, s5
	s_and_saveexec_b32 s5, s2
	s_cbranch_execz .LBB263_20
; %bb.19:
	v_mul_lo_u32 v5, s12, v14
	v_mov_b32_e32 v6, 0
	s_delay_alu instid0(VALU_DEP_1) | instskip(NEXT) | instid1(VALU_DEP_1)
	v_lshlrev_b64_e32 v[5:6], 3, v[5:6]
	v_add_co_u32 v5, vcc_lo, s16, v5
	s_wait_alu 0xfffd
	s_delay_alu instid0(VALU_DEP_2)
	v_add_co_ci_u32_e64 v6, null, s17, v6, vcc_lo
	global_load_b64 v[5:6], v[5:6], off
.LBB263_20:
	s_wait_alu 0xfffe
	s_or_b32 exec_lo, exec_lo, s5
	v_lshlrev_b32_e32 v14, 3, v11
	v_lshlrev_b32_e32 v10, 3, v31
	v_lshrrev_b32_e32 v37, 16, v35
	v_lshrrev_b32_e32 v38, 8, v35
	;; [unrolled: 1-line block ×3, first 2 shown]
	v_lshl_add_u32 v26, v12, 3, v14
	v_lshl_add_u32 v30, v18, 3, v10
	;; [unrolled: 1-line block ×5, first 2 shown]
	s_wait_loadcnt 0x0
	ds_store_b64 v26, v[3:4]
	ds_store_b64 v27, v[1:2] offset:256
	ds_store_b64 v28, v[7:8] offset:512
	;; [unrolled: 1-line block ×3, first 2 shown]
	s_wait_dscnt 0x0
	; wave barrier
	global_inv scope:SCOPE_SE
	ds_load_2addr_b64 v[5:8], v30 offset1:1
	ds_load_2addr_b64 v[1:4], v30 offset0:2 offset1:3
	v_bfe_u32 v34, v0, 10, 10
	v_bfe_u32 v0, v0, 20, 10
	v_mbcnt_lo_u32_b32 v33, -1, 0
	v_lshlrev_b32_e32 v32, 5, v11
	s_and_b32 vcc_lo, exec_lo, s4
	; wave barrier
	s_wait_loadcnt_dscnt 0x0
	global_inv scope:SCOPE_SE
	s_wait_alu 0xfffe
	s_cbranch_vccz .LBB263_32
; %bb.21:
	v_and_b32_e32 v14, 28, v33
	v_and_b32_e32 v15, 0xff, v37
	;; [unrolled: 1-line block ×5, first 2 shown]
	s_getpc_b64 s[8:9]
	s_wait_alu 0xfffe
	s_sext_i32_i16 s9, s9
	s_add_co_u32 s8, s8, _ZN7rocprim17ROCPRIM_400000_NS16block_radix_sortIbLj32ELj4ElLj1ELj1ELj0ELNS0_26block_radix_rank_algorithmE1ELNS0_18block_padding_hintE2ELNS0_4arch9wavefront6targetE0EE19radix_bits_per_passE@rel32@lo+12
	s_wait_alu 0xfffe
	s_add_co_ci_u32 s9, s9, _ZN7rocprim17ROCPRIM_400000_NS16block_radix_sortIbLj32ELj4ElLj1ELj1ELj0ELNS0_26block_radix_rank_algorithmE1ELNS0_18block_padding_hintE2ELNS0_4arch9wavefront6targetE0EE19radix_bits_per_passE@rel32@hi+24
	ds_bpermute_b32 v19, v14, v15
	v_cmp_eq_u32_e32 vcc_lo, 2, v39
	ds_bpermute_b32 v16, v14, v12
	ds_bpermute_b32 v40, v14, v18
	v_cmp_eq_u32_e64 s6, 0, v39
	ds_bpermute_b32 v41, v14, v12 offset:32
	v_cmp_eq_u32_e64 s5, 1, v39
	v_cmp_eq_u32_e64 s4, 3, v39
	s_load_b32 s8, s[8:9], 0x0
	v_cndmask_b32_e64 v42, 0, 1, s6
	; wave barrier
	s_wait_loadcnt_dscnt 0x0
	global_inv scope:SCOPE_SE
	s_load_b32 s7, s[18:19], 0xc
	ds_bpermute_b32 v54, v14, v5
	ds_bpermute_b32 v58, v14, v6
	ds_bpermute_b32 v52, v14, v7
	ds_bpermute_b32 v53, v14, v8
	ds_bpermute_b32 v43, v14, v1
	ds_bpermute_b32 v44, v14, v2
	ds_bpermute_b32 v63, v14, v5 offset:32
	v_and_b32_e32 v19, 1, v19
	v_and_b32_e32 v13, 0xff, v38
	;; [unrolled: 1-line block ×3, first 2 shown]
	ds_bpermute_b32 v64, v14, v6 offset:32
	ds_bpermute_b32 v49, v14, v7 offset:32
	;; [unrolled: 1-line block ×3, first 2 shown]
	ds_bpermute_b32 v17, v14, v13
	ds_bpermute_b32 v46, v14, v1 offset:32
	s_wait_kmcnt 0x0
	s_min_u32 s8, s8, 8
	ds_bpermute_b32 v47, v14, v2 offset:32
	s_wait_alu 0xfffe
	s_lshl_b32 s8, -1, s8
	ds_bpermute_b32 v45, v14, v4 offset:32
	s_wait_alu 0xfffe
	s_not_b32 s9, s8
	s_lshr_b32 s8, s7, 16
	ds_bpermute_b32 v69, v14, v5 offset:64
	ds_bpermute_b32 v70, v14, v6 offset:64
	ds_bpermute_b32 v62, v14, v7 offset:64
	ds_bpermute_b32 v65, v14, v8 offset:64
	ds_bpermute_b32 v59, v14, v1 offset:64
	ds_bpermute_b32 v60, v14, v2 offset:64
	ds_bpermute_b32 v48, v14, v3 offset:64
	ds_bpermute_b32 v50, v14, v4 offset:64
	ds_bpermute_b32 v72, v14, v5 offset:96
	ds_bpermute_b32 v73, v14, v6 offset:96
	ds_bpermute_b32 v66, v14, v7 offset:96
	ds_bpermute_b32 v68, v14, v8 offset:96
	s_wait_dscnt 0xf
	v_and_b32_e32 v17, 1, v17
	ds_bpermute_b32 v56, v14, v1 offset:96
	ds_bpermute_b32 v61, v14, v2 offset:96
	;; [unrolled: 1-line block ×4, first 2 shown]
	v_cndmask_b32_e64 v16, v16, v17, s5
	v_and_b32_e32 v17, 1, v40
	v_and_b32_e32 v40, 1, v41
	ds_bpermute_b32 v41, v14, v4
	v_cndmask_b32_e32 v16, v16, v19, vcc_lo
	ds_bpermute_b32 v19, v14, v13 offset:32
	v_cndmask_b32_e64 v16, v16, v17, s4
	v_lshlrev_b16 v17, 8, v40
	ds_bpermute_b32 v40, v14, v3
	v_and_b32_e32 v39, 1, v16
	s_delay_alu instid0(VALU_DEP_1) | instskip(NEXT) | instid1(VALU_DEP_1)
	v_or_b32_e32 v17, v39, v17
	v_and_b32_e32 v17, 0xffff, v17
	s_wait_dscnt 0x1
	v_and_b32_e32 v19, 1, v19
	s_delay_alu instid0(VALU_DEP_2) | instskip(SKIP_3) | instid1(VALU_DEP_1)
	v_cndmask_b32_e64 v16, v16, v17, s6
	ds_bpermute_b32 v17, v14, v15 offset:32
	v_lshlrev_b16 v19, 8, v19
	v_and_b32_e32 v39, 0xff, v16
	v_or_b32_e32 v19, v39, v19
	s_delay_alu instid0(VALU_DEP_1) | instskip(NEXT) | instid1(VALU_DEP_1)
	v_and_b32_e32 v19, 0xffff, v19
	v_and_or_b32 v19, 0xffff0000, v16, v19
	s_wait_dscnt 0x0
	v_and_b32_e32 v17, 1, v17
	s_delay_alu instid0(VALU_DEP_2) | instskip(SKIP_3) | instid1(VALU_DEP_1)
	v_cndmask_b32_e64 v16, v16, v19, s5
	ds_bpermute_b32 v19, v14, v18 offset:32
	v_lshlrev_b16 v17, 8, v17
	v_and_b32_e32 v39, 0xff, v16
	v_or_b32_e32 v17, v39, v17
	ds_bpermute_b32 v39, v14, v3 offset:32
	v_and_b32_e32 v17, 0xffff, v17
	s_delay_alu instid0(VALU_DEP_1) | instskip(SKIP_1) | instid1(VALU_DEP_1)
	v_and_or_b32 v17, 0xffff0000, v16, v17
	s_wait_dscnt 0x1
	v_dual_cndmask_b32 v16, v16, v17 :: v_dual_and_b32 v19, 1, v19
	s_delay_alu instid0(VALU_DEP_1) | instskip(NEXT) | instid1(VALU_DEP_2)
	v_lshlrev_b16 v17, 8, v19
	v_and_b32_e32 v19, 0xff, v16
	s_delay_alu instid0(VALU_DEP_1) | instskip(SKIP_3) | instid1(VALU_DEP_1)
	v_or_b32_e32 v17, v19, v17
	ds_bpermute_b32 v19, v14, v12 offset:64
	ds_bpermute_b32 v12, v14, v12 offset:96
	v_and_b32_e32 v17, 0xffff, v17
	v_and_or_b32 v17, 0xffff0000, v16, v17
	s_delay_alu instid0(VALU_DEP_1) | instskip(NEXT) | instid1(VALU_DEP_1)
	v_cndmask_b32_e64 v16, v16, v17, s4
	v_lshrrev_b32_e32 v17, 16, v16
	s_wait_dscnt 0x1
	v_and_b32_e32 v19, 1, v19
	s_wait_dscnt 0x0
	v_and_b32_e32 v12, 1, v12
	v_and_b32_e32 v17, 0xffffff00, v17
	s_delay_alu instid0(VALU_DEP_2) | instskip(NEXT) | instid1(VALU_DEP_2)
	v_lshlrev_b16 v12, 8, v12
	v_or_b32_e32 v17, v19, v17
	ds_bpermute_b32 v19, v14, v13 offset:64
	ds_bpermute_b32 v13, v14, v13 offset:96
	v_lshlrev_b32_e32 v17, 16, v17
	s_delay_alu instid0(VALU_DEP_1) | instskip(NEXT) | instid1(VALU_DEP_1)
	v_and_or_b32 v17, 0xffff, v16, v17
	v_cndmask_b32_e64 v16, v16, v17, s6
	s_delay_alu instid0(VALU_DEP_1)
	v_lshrrev_b32_e32 v17, 16, v16
	s_wait_dscnt 0x1
	v_and_b32_e32 v19, 1, v19
	s_wait_dscnt 0x0
	v_and_b32_e32 v13, 1, v13
	v_and_b32_e32 v17, 0xffffff00, v17
	s_delay_alu instid0(VALU_DEP_2) | instskip(NEXT) | instid1(VALU_DEP_2)
	v_lshlrev_b16 v13, 8, v13
	v_or_b32_e32 v17, v19, v17
	ds_bpermute_b32 v19, v14, v15 offset:64
	ds_bpermute_b32 v15, v14, v15 offset:96
	v_lshlrev_b32_e32 v17, 16, v17
	s_delay_alu instid0(VALU_DEP_1) | instskip(NEXT) | instid1(VALU_DEP_1)
	v_and_or_b32 v17, 0xffff, v16, v17
	v_cndmask_b32_e64 v16, v16, v17, s5
	s_delay_alu instid0(VALU_DEP_1) | instskip(SKIP_2) | instid1(VALU_DEP_2)
	v_lshrrev_b32_e32 v17, 16, v16
	s_wait_dscnt 0x1
	v_and_b32_e32 v19, 1, v19
	v_and_b32_e32 v17, 0xffffff00, v17
	s_delay_alu instid0(VALU_DEP_1) | instskip(SKIP_2) | instid1(VALU_DEP_1)
	v_or_b32_e32 v17, v19, v17
	ds_bpermute_b32 v19, v14, v18 offset:64
	v_lshlrev_b32_e32 v17, 16, v17
	v_and_or_b32 v17, 0xffff, v16, v17
	s_delay_alu instid0(VALU_DEP_1) | instskip(NEXT) | instid1(VALU_DEP_1)
	v_cndmask_b32_e32 v16, v16, v17, vcc_lo
	v_lshrrev_b32_e32 v17, 16, v16
	s_wait_dscnt 0x0
	v_and_b32_e32 v19, 1, v19
	s_delay_alu instid0(VALU_DEP_2) | instskip(NEXT) | instid1(VALU_DEP_1)
	v_and_b32_e32 v17, 0xffffff00, v17
	v_or_b32_e32 v17, v19, v17
	s_delay_alu instid0(VALU_DEP_1) | instskip(NEXT) | instid1(VALU_DEP_1)
	v_lshlrev_b32_e32 v17, 16, v17
	v_and_or_b32 v17, 0xffff, v16, v17
	s_delay_alu instid0(VALU_DEP_1) | instskip(NEXT) | instid1(VALU_DEP_1)
	v_cndmask_b32_e64 v16, v16, v17, s4
	v_lshrrev_b32_e32 v17, 16, v16
	s_delay_alu instid0(VALU_DEP_1) | instskip(NEXT) | instid1(VALU_DEP_1)
	v_and_b32_e32 v17, 0xff, v17
	v_or_b32_e32 v12, v17, v12
	s_delay_alu instid0(VALU_DEP_1) | instskip(NEXT) | instid1(VALU_DEP_1)
	v_lshlrev_b32_e32 v12, 16, v12
	v_and_or_b32 v12, 0xffff, v16, v12
	s_delay_alu instid0(VALU_DEP_1) | instskip(NEXT) | instid1(VALU_DEP_1)
	v_cndmask_b32_e64 v12, v16, v12, s6
	v_lshrrev_b32_e32 v16, 16, v12
	s_delay_alu instid0(VALU_DEP_1) | instskip(NEXT) | instid1(VALU_DEP_1)
	v_and_b32_e32 v16, 0xff, v16
	v_or_b32_e32 v13, v16, v13
	ds_bpermute_b32 v16, v14, v18 offset:96
	v_mov_b32_e32 v14, 0
	ds_store_2addr_b32 v32, v14, v14 offset0:1 offset1:2
	ds_store_2addr_b32 v32, v14, v14 offset0:3 offset1:4
	;; [unrolled: 1-line block ×4, first 2 shown]
	v_lshlrev_b32_e32 v13, 16, v13
	; wave barrier
	s_wait_loadcnt_dscnt 0x0
	global_inv scope:SCOPE_SE
	; wave barrier
	v_and_or_b32 v13, 0xffff, v12, v13
	s_delay_alu instid0(VALU_DEP_1) | instskip(SKIP_1) | instid1(VALU_DEP_2)
	v_cndmask_b32_e64 v12, v12, v13, s5
	v_and_b32_e32 v13, 1, v15
	v_lshrrev_b32_e32 v15, 16, v12
	s_delay_alu instid0(VALU_DEP_2) | instskip(NEXT) | instid1(VALU_DEP_2)
	v_lshlrev_b16 v13, 8, v13
	v_and_b32_e32 v15, 0xff, v15
	s_delay_alu instid0(VALU_DEP_1) | instskip(NEXT) | instid1(VALU_DEP_1)
	v_or_b32_e32 v13, v15, v13
	v_lshlrev_b32_e32 v13, 16, v13
	s_delay_alu instid0(VALU_DEP_1) | instskip(NEXT) | instid1(VALU_DEP_1)
	v_and_or_b32 v13, 0xffff, v12, v13
	v_dual_cndmask_b32 v12, v12, v13 :: v_dual_and_b32 v13, 1, v16
	s_delay_alu instid0(VALU_DEP_1) | instskip(NEXT) | instid1(VALU_DEP_2)
	v_lshrrev_b32_e32 v15, 16, v12
	v_lshlrev_b16 v13, 8, v13
	s_delay_alu instid0(VALU_DEP_2) | instskip(NEXT) | instid1(VALU_DEP_1)
	v_and_b32_e32 v15, 0xff, v15
	v_or_b32_e32 v13, v15, v13
	s_delay_alu instid0(VALU_DEP_1) | instskip(NEXT) | instid1(VALU_DEP_1)
	v_lshlrev_b32_e32 v13, 16, v13
	v_and_or_b32 v13, 0xffff, v12, v13
	s_delay_alu instid0(VALU_DEP_1) | instskip(SKIP_3) | instid1(VALU_DEP_2)
	v_cndmask_b32_e64 v42, v12, v13, s4
	s_wait_alu 0xfffe
	v_mad_u32_u24 v13, v0, s8, v34
	s_and_b32 s8, s7, 0xffff
	v_and_b32_e32 v12, s9, v42
	s_delay_alu instid0(VALU_DEP_1) | instskip(NEXT) | instid1(VALU_DEP_1)
	v_and_b32_e32 v15, 0xff, v12
	v_add_co_u32 v16, s11, v15, -1
	s_wait_alu 0xf1ff
	v_cndmask_b32_e64 v12, 0, 1, s11
	s_delay_alu instid0(VALU_DEP_1) | instskip(SKIP_3) | instid1(VALU_DEP_2)
	v_cmp_ne_u32_e64 s7, 0, v12
	s_wait_alu 0xfffe
	v_mad_co_u64_u32 v[12:13], null, v13, s8, v[11:12]
	s_wait_alu 0xf1ff
	v_xor_b32_e32 v13, s7, v16
	s_delay_alu instid0(VALU_DEP_2) | instskip(NEXT) | instid1(VALU_DEP_2)
	v_lshrrev_b32_e32 v12, 3, v12
	v_and_b32_e32 v13, exec_lo, v13
	s_delay_alu instid0(VALU_DEP_2) | instskip(NEXT) | instid1(VALU_DEP_2)
	v_and_b32_e32 v12, 0x1ffffffc, v12
	v_mbcnt_lo_u32_b32 v67, v13, 0
	v_cmp_ne_u32_e64 s8, 0, v13
	s_delay_alu instid0(VALU_DEP_3) | instskip(NEXT) | instid1(VALU_DEP_3)
	v_lshl_add_u32 v74, v15, 2, v12
	v_cmp_eq_u32_e64 s7, 0, v67
	s_and_b32 s8, s8, s7
	s_wait_alu 0xfffe
	s_and_saveexec_b32 s7, s8
; %bb.22:
	v_bcnt_u32_b32 v13, v13, 0
	ds_store_b32 v74, v13 offset:4
; %bb.23:
	s_wait_alu 0xfffe
	s_or_b32 exec_lo, exec_lo, s7
	v_lshrrev_b32_e32 v71, 8, v42
	; wave barrier
	s_delay_alu instid0(VALU_DEP_1) | instskip(NEXT) | instid1(VALU_DEP_1)
	v_and_b32_e32 v13, s9, v71
	v_and_b32_e32 v13, 0xff, v13
	s_delay_alu instid0(VALU_DEP_1) | instskip(SKIP_3) | instid1(VALU_DEP_2)
	v_add_co_u32 v14, s7, v13, -1
	s_wait_alu 0xf1ff
	v_cndmask_b32_e64 v15, 0, 1, s7
	v_lshl_add_u32 v78, v13, 2, v12
	v_cmp_ne_u32_e64 s7, 0, v15
	ds_load_b32 v75, v78 offset:4
	; wave barrier
	s_wait_alu 0xf1ff
	v_xor_b32_e32 v13, s7, v14
	s_delay_alu instid0(VALU_DEP_1) | instskip(NEXT) | instid1(VALU_DEP_1)
	v_and_b32_e32 v13, exec_lo, v13
	v_mbcnt_lo_u32_b32 v76, v13, 0
	v_cmp_ne_u32_e64 s8, 0, v13
	s_delay_alu instid0(VALU_DEP_2)
	v_cmp_eq_u32_e64 s7, 0, v76
	s_and_b32 s8, s8, s7
	s_wait_alu 0xfffe
	s_and_saveexec_b32 s7, s8
	s_cbranch_execz .LBB263_25
; %bb.24:
	s_wait_dscnt 0x0
	v_bcnt_u32_b32 v13, v13, v75
	ds_store_b32 v78, v13 offset:4
.LBB263_25:
	s_wait_alu 0xfffe
	s_or_b32 exec_lo, exec_lo, s7
	v_lshrrev_b32_e32 v77, 16, v42
	; wave barrier
	s_delay_alu instid0(VALU_DEP_1) | instskip(NEXT) | instid1(VALU_DEP_1)
	v_and_b32_e32 v13, s9, v77
	v_and_b32_e32 v13, 0xff, v13
	s_delay_alu instid0(VALU_DEP_1) | instskip(SKIP_3) | instid1(VALU_DEP_2)
	v_add_co_u32 v14, s7, v13, -1
	s_wait_alu 0xf1ff
	v_cndmask_b32_e64 v15, 0, 1, s7
	v_lshl_add_u32 v82, v13, 2, v12
	v_cmp_ne_u32_e64 s7, 0, v15
	ds_load_b32 v79, v82 offset:4
	; wave barrier
	s_wait_alu 0xf1ff
	v_xor_b32_e32 v13, s7, v14
	s_delay_alu instid0(VALU_DEP_1) | instskip(NEXT) | instid1(VALU_DEP_1)
	v_and_b32_e32 v13, exec_lo, v13
	v_mbcnt_lo_u32_b32 v80, v13, 0
	v_cmp_ne_u32_e64 s8, 0, v13
	s_delay_alu instid0(VALU_DEP_2)
	v_cmp_eq_u32_e64 s7, 0, v80
	s_and_b32 s8, s8, s7
	s_wait_alu 0xfffe
	s_and_saveexec_b32 s7, s8
	s_cbranch_execz .LBB263_27
; %bb.26:
	s_wait_dscnt 0x0
	v_bcnt_u32_b32 v13, v13, v79
	ds_store_b32 v82, v13 offset:4
.LBB263_27:
	s_wait_alu 0xfffe
	s_or_b32 exec_lo, exec_lo, s7
	v_lshrrev_b32_e32 v81, 24, v42
	; wave barrier
	s_delay_alu instid0(VALU_DEP_1) | instskip(NEXT) | instid1(VALU_DEP_1)
	v_and_b32_e32 v13, s9, v81
	v_add_co_u32 v14, s7, v13, -1
	s_wait_alu 0xf1ff
	v_cndmask_b32_e64 v15, 0, 1, s7
	v_lshl_add_u32 v85, v13, 2, v12
	s_delay_alu instid0(VALU_DEP_2) | instskip(SKIP_3) | instid1(VALU_DEP_1)
	v_cmp_ne_u32_e64 s7, 0, v15
	ds_load_b32 v83, v85 offset:4
	; wave barrier
	s_wait_alu 0xf1ff
	v_xor_b32_e32 v12, s7, v14
	v_and_b32_e32 v12, exec_lo, v12
	s_delay_alu instid0(VALU_DEP_1) | instskip(SKIP_1) | instid1(VALU_DEP_2)
	v_mbcnt_lo_u32_b32 v84, v12, 0
	v_cmp_ne_u32_e64 s8, 0, v12
	v_cmp_eq_u32_e64 s7, 0, v84
	s_and_b32 s8, s8, s7
	s_wait_alu 0xfffe
	s_and_saveexec_b32 s7, s8
	s_cbranch_execz .LBB263_29
; %bb.28:
	s_wait_dscnt 0x0
	v_bcnt_u32_b32 v12, v12, v83
	ds_store_b32 v85, v12 offset:4
.LBB263_29:
	s_wait_alu 0xfffe
	s_or_b32 exec_lo, exec_lo, s7
	; wave barrier
	; wave barrier
	s_wait_loadcnt_dscnt 0x0
	global_inv scope:SCOPE_SE
	ds_load_2addr_b32 v[18:19], v32 offset0:1 offset1:2
	ds_load_2addr_b32 v[16:17], v32 offset0:3 offset1:4
	ds_load_2addr_b32 v[14:15], v32 offset0:5 offset1:6
	ds_load_2addr_b32 v[12:13], v32 offset0:7 offset1:8
	s_mov_b32 s8, 0
	s_mov_b32 s9, exec_lo
	s_wait_dscnt 0x3
	v_add_nc_u32_e32 v86, v19, v18
	s_wait_dscnt 0x2
	s_delay_alu instid0(VALU_DEP_1) | instskip(SKIP_1) | instid1(VALU_DEP_1)
	v_add3_u32 v86, v86, v16, v17
	s_wait_dscnt 0x1
	v_add3_u32 v86, v86, v14, v15
	s_wait_dscnt 0x0
	s_delay_alu instid0(VALU_DEP_1) | instskip(SKIP_1) | instid1(VALU_DEP_2)
	v_add3_u32 v13, v86, v12, v13
	v_and_b32_e32 v86, 15, v33
	v_mov_b32_dpp v87, v13 row_shr:1 row_mask:0xf bank_mask:0xf
	s_delay_alu instid0(VALU_DEP_2) | instskip(SKIP_1) | instid1(VALU_DEP_1)
	v_cmp_ne_u32_e64 s7, 0, v86
	s_wait_alu 0xf1ff
	v_cndmask_b32_e64 v87, 0, v87, s7
	v_cmp_lt_u32_e64 s7, 1, v86
	s_delay_alu instid0(VALU_DEP_2) | instskip(NEXT) | instid1(VALU_DEP_1)
	v_add_nc_u32_e32 v13, v87, v13
	v_mov_b32_dpp v87, v13 row_shr:2 row_mask:0xf bank_mask:0xf
	s_wait_alu 0xf1ff
	s_delay_alu instid0(VALU_DEP_1) | instskip(SKIP_1) | instid1(VALU_DEP_2)
	v_cndmask_b32_e64 v87, 0, v87, s7
	v_cmp_lt_u32_e64 s7, 3, v86
	v_add_nc_u32_e32 v13, v13, v87
	s_delay_alu instid0(VALU_DEP_1) | instskip(SKIP_1) | instid1(VALU_DEP_1)
	v_mov_b32_dpp v87, v13 row_shr:4 row_mask:0xf bank_mask:0xf
	s_wait_alu 0xf1ff
	v_cndmask_b32_e64 v87, 0, v87, s7
	v_cmp_lt_u32_e64 s7, 7, v86
	s_delay_alu instid0(VALU_DEP_2) | instskip(NEXT) | instid1(VALU_DEP_1)
	v_add_nc_u32_e32 v13, v13, v87
	v_mov_b32_dpp v87, v13 row_shr:8 row_mask:0xf bank_mask:0xf
	s_wait_alu 0xf1ff
	s_delay_alu instid0(VALU_DEP_1) | instskip(SKIP_1) | instid1(VALU_DEP_2)
	v_cndmask_b32_e64 v86, 0, v87, s7
	v_bfe_i32 v87, v33, 4, 1
	v_add_nc_u32_e32 v13, v13, v86
	ds_swizzle_b32 v86, v13 offset:swizzle(BROADCAST,32,15)
	s_wait_dscnt 0x0
	v_and_b32_e32 v86, v87, v86
	s_delay_alu instid0(VALU_DEP_1)
	v_add_nc_u32_e32 v13, v13, v86
	v_cmpx_eq_u32_e32 31, v11
; %bb.30:
	v_mov_b32_e32 v86, 0
	ds_store_b32 v86, v13
; %bb.31:
	s_wait_alu 0xfffe
	s_or_b32 exec_lo, exec_lo, s9
	v_sub_co_u32 v86, s9, v33, 1
	v_cndmask_b32_e64 v54, 0, v54, s6
	v_cndmask_b32_e64 v58, 0, v58, s6
	s_wait_loadcnt_dscnt 0x0
	s_delay_alu instid0(VALU_DEP_3)
	v_cmp_gt_i32_e64 s7, 0, v86
	; wave barrier
	global_inv scope:SCOPE_SE
	v_cndmask_b32_e64 v52, v54, v52, s5
	v_cndmask_b32_e64 v53, v58, v53, s5
	;; [unrolled: 1-line block ×3, first 2 shown]
	s_wait_alu 0xf1ff
	v_cndmask_b32_e64 v86, v86, v33, s7
	v_cmp_eq_u32_e64 s7, 0, v11
	v_cndmask_b32_e64 v63, 0, v63, s6
	v_cndmask_b32_e64 v70, 0, v70, s6
	;; [unrolled: 1-line block ×3, first 2 shown]
	v_dual_cndmask_b32 v43, v52, v43 :: v_dual_lshlrev_b32 v86, 2, v86
	s_or_b32 s7, s7, s9
	v_cndmask_b32_e64 v69, 0, v69, s6
	v_cndmask_b32_e64 v72, 0, v72, s6
	ds_bpermute_b32 v13, v86, v13
	v_cndmask_b32_e32 v44, v53, v44, vcc_lo
	s_wait_dscnt 0x0
	s_wait_alu 0xfffe
	v_cndmask_b32_e64 v13, v13, 0, s7
	s_delay_alu instid0(VALU_DEP_1) | instskip(NEXT) | instid1(VALU_DEP_1)
	v_add_nc_u32_e32 v18, v13, v18
	v_add_nc_u32_e32 v19, v18, v19
	s_delay_alu instid0(VALU_DEP_1) | instskip(NEXT) | instid1(VALU_DEP_1)
	v_add_nc_u32_e32 v16, v19, v16
	v_add_nc_u32_e32 v17, v16, v17
	s_delay_alu instid0(VALU_DEP_1) | instskip(NEXT) | instid1(VALU_DEP_1)
	v_add_nc_u32_e32 v14, v17, v14
	v_add_nc_u32_e32 v15, v14, v15
	s_delay_alu instid0(VALU_DEP_1)
	v_add_nc_u32_e32 v12, v15, v12
	ds_store_2addr_b32 v32, v13, v18 offset0:1 offset1:2
	ds_store_2addr_b32 v32, v19, v16 offset0:3 offset1:4
	;; [unrolled: 1-line block ×4, first 2 shown]
	; wave barrier
	s_wait_loadcnt_dscnt 0x0
	global_inv scope:SCOPE_SE
	ds_load_b32 v12, v74 offset:4
	ds_load_b32 v15, v78 offset:4
	;; [unrolled: 1-line block ×4, first 2 shown]
	v_cndmask_b32_e64 v13, v64, v51, s5
	v_cndmask_b32_e64 v14, v63, v49, s5
	;; [unrolled: 1-line block ×4, first 2 shown]
	s_wait_loadcnt_dscnt 0x0
	s_delay_alu instid0(VALU_DEP_3) | instskip(SKIP_3) | instid1(VALU_DEP_4)
	v_dual_cndmask_b32 v47, v13, v47 :: v_dual_cndmask_b32 v46, v14, v46
	v_cndmask_b32_e64 v14, v44, v41, s4
	v_cndmask_b32_e64 v13, v43, v40, s4
	v_cndmask_b32_e32 v52, v16, v60, vcc_lo
	v_cndmask_b32_e64 v16, v47, v45, s4
	; wave barrier
	global_inv scope:SCOPE_SE
	v_cndmask_b32_e64 v19, v69, v62, s5
	v_cndmask_b32_e32 v40, v49, v61, vcc_lo
	v_cndmask_b32_e64 v51, v72, v66, s5
	v_add_nc_u32_e32 v41, v12, v67
	v_add3_u32 v43, v76, v75, v15
	v_add3_u32 v44, v80, v79, v17
	;; [unrolled: 1-line block ×3, first 2 shown]
	ds_store_b8 v41, v42
	ds_store_b8 v43, v71
	;; [unrolled: 1-line block ×4, first 2 shown]
	; wave barrier
	s_wait_loadcnt_dscnt 0x0
	global_inv scope:SCOPE_SE
	ds_load_b32 v12, v31
	v_cndmask_b32_e32 v19, v19, v59, vcc_lo
	v_cndmask_b32_e32 v42, v51, v56, vcc_lo
	v_cndmask_b32_e64 v15, v46, v39, s4
	v_cndmask_b32_e64 v18, v52, v50, s4
	;; [unrolled: 1-line block ×4, first 2 shown]
	v_lshlrev_b32_e32 v19, 3, v41
	v_lshlrev_b32_e32 v41, 3, v43
	v_cndmask_b32_e64 v39, v42, v55, s4
	v_lshlrev_b32_e32 v42, 3, v44
	v_lshlrev_b32_e32 v43, 3, v45
	; wave barrier
	s_wait_loadcnt_dscnt 0x0
	global_inv scope:SCOPE_SE
	ds_store_b64 v19, v[13:14]
	ds_store_b64 v41, v[15:16]
	ds_store_b64 v42, v[17:18]
	ds_store_b64 v43, v[39:40]
	; wave barrier
	s_wait_loadcnt_dscnt 0x0
	global_inv scope:SCOPE_SE
	s_and_b32 vcc_lo, exec_lo, s8
	s_wait_alu 0xfffe
	s_cbranch_vccnz .LBB263_33
	s_branch .LBB263_44
.LBB263_32:
                                        ; implicit-def: $vgpr12
	s_cbranch_execz .LBB263_44
.LBB263_33:
	v_xor_b32_e32 v12, 1, v35
	v_xor_b32_e32 v13, 1, v38
	v_and_b32_e32 v19, 3, v33
	v_xor_b32_e32 v14, 1, v37
	v_xor_b32_e32 v15, 1, v36
	v_and_b32_e32 v12, 0xff, v12
	v_and_b32_e32 v13, 0xff, v13
	v_cmp_eq_u32_e32 vcc_lo, 3, v19
	v_and_b32_e32 v58, 28, v33
	v_and_b32_e32 v14, 0xff, v14
	v_cmp_eq_u32_e64 s6, 0, v19
	v_cmp_eq_u32_e64 s5, 1, v19
	;; [unrolled: 1-line block ×3, first 2 shown]
	ds_bpermute_b32 v16, v58, v12
	ds_bpermute_b32 v17, v58, v13
	;; [unrolled: 1-line block ×3, first 2 shown]
	s_wait_alu 0xf1ff
	v_cndmask_b32_e64 v37, 0, 1, s6
	ds_bpermute_b32 v36, v58, v12 offset:32
	s_getpc_b64 s[8:9]
	s_wait_alu 0xfffe
	s_sext_i32_i16 s9, s9
	s_add_co_u32 s8, s8, _ZN7rocprim17ROCPRIM_400000_NS16block_radix_sortIbLj32ELj4ElLj1ELj1ELj0ELNS0_26block_radix_rank_algorithmE1ELNS0_18block_padding_hintE2ELNS0_4arch9wavefront6targetE0EE19radix_bits_per_passE@rel32@lo+12
	s_wait_alu 0xfffe
	s_add_co_ci_u32 s9, s9, _ZN7rocprim17ROCPRIM_400000_NS16block_radix_sortIbLj32ELj4ElLj1ELj1ELj0ELNS0_26block_radix_rank_algorithmE1ELNS0_18block_padding_hintE2ELNS0_4arch9wavefront6targetE0EE19radix_bits_per_passE@rel32@hi+24
	s_wait_loadcnt_dscnt 0x0
	s_load_b32 s8, s[8:9], 0x0
	; wave barrier
	global_inv scope:SCOPE_SE
	s_load_b32 s7, s[18:19], 0xc
	v_and_b32_e32 v16, v37, v16
	v_and_b32_e32 v17, 1, v17
	;; [unrolled: 1-line block ×3, first 2 shown]
	s_delay_alu instid0(VALU_DEP_2)
	v_cndmask_b32_e64 v16, v16, v17, s5
	s_wait_kmcnt 0x0
	s_min_u32 s8, s8, 8
	s_wait_alu 0xfffe
	s_lshl_b32 s8, -1, s8
	v_cndmask_b32_e64 v16, v16, v18, s4
	v_and_b32_e32 v15, 0xffff, v15
	ds_bpermute_b32 v18, v58, v13 offset:32
	s_wait_alu 0xfffe
	s_not_b32 s9, s8
	s_lshr_b32 s8, s7, 16
	ds_bpermute_b32 v35, v58, v15
	s_wait_alu 0xfffe
	v_mad_u32_u24 v0, v0, s8, v34
	s_and_b32 s8, s7, 0xffff
	s_wait_dscnt 0x1
	v_and_b32_e32 v18, 1, v18
	s_wait_dscnt 0x0
	v_and_b32_e32 v17, 1, v35
	v_and_b32_e32 v35, 1, v36
	s_delay_alu instid0(VALU_DEP_3) | instskip(NEXT) | instid1(VALU_DEP_3)
	v_lshlrev_b16 v18, 8, v18
	v_cndmask_b32_e32 v16, v16, v17, vcc_lo
	s_delay_alu instid0(VALU_DEP_3) | instskip(NEXT) | instid1(VALU_DEP_2)
	v_lshlrev_b16 v17, 8, v35
	v_and_b32_e32 v19, 1, v16
	s_delay_alu instid0(VALU_DEP_1) | instskip(NEXT) | instid1(VALU_DEP_1)
	v_or_b32_e32 v17, v19, v17
	v_and_b32_e32 v17, 0xffff, v17
	s_delay_alu instid0(VALU_DEP_1) | instskip(SKIP_2) | instid1(VALU_DEP_1)
	v_cndmask_b32_e64 v16, v16, v17, s6
	ds_bpermute_b32 v17, v58, v14 offset:32
	v_and_b32_e32 v19, 0xff, v16
	v_or_b32_e32 v18, v19, v18
	s_delay_alu instid0(VALU_DEP_1) | instskip(NEXT) | instid1(VALU_DEP_1)
	v_and_b32_e32 v18, 0xffff, v18
	v_and_or_b32 v18, 0xffff0000, v16, v18
	s_wait_dscnt 0x0
	v_and_b32_e32 v17, 1, v17
	s_delay_alu instid0(VALU_DEP_2) | instskip(SKIP_3) | instid1(VALU_DEP_1)
	v_cndmask_b32_e64 v16, v16, v18, s5
	ds_bpermute_b32 v18, v58, v15 offset:32
	v_lshlrev_b16 v17, 8, v17
	v_and_b32_e32 v19, 0xff, v16
	v_or_b32_e32 v17, v19, v17
	s_delay_alu instid0(VALU_DEP_1) | instskip(NEXT) | instid1(VALU_DEP_1)
	v_and_b32_e32 v17, 0xffff, v17
	v_and_or_b32 v17, 0xffff0000, v16, v17
	s_wait_dscnt 0x0
	v_and_b32_e32 v18, 1, v18
	s_delay_alu instid0(VALU_DEP_2) | instskip(NEXT) | instid1(VALU_DEP_2)
	v_cndmask_b32_e64 v16, v16, v17, s4
	v_lshlrev_b16 v17, 8, v18
	s_delay_alu instid0(VALU_DEP_2) | instskip(NEXT) | instid1(VALU_DEP_1)
	v_and_b32_e32 v18, 0xff, v16
	v_or_b32_e32 v17, v18, v17
	ds_bpermute_b32 v18, v58, v12 offset:64
	ds_bpermute_b32 v12, v58, v12 offset:96
	v_and_b32_e32 v17, 0xffff, v17
	s_delay_alu instid0(VALU_DEP_1) | instskip(NEXT) | instid1(VALU_DEP_1)
	v_and_or_b32 v17, 0xffff0000, v16, v17
	v_cndmask_b32_e32 v16, v16, v17, vcc_lo
	s_delay_alu instid0(VALU_DEP_1)
	v_lshrrev_b32_e32 v17, 16, v16
	s_wait_dscnt 0x1
	v_and_b32_e32 v18, 1, v18
	s_wait_dscnt 0x0
	v_and_b32_e32 v12, 1, v12
	v_and_b32_e32 v17, 0xffffff00, v17
	s_delay_alu instid0(VALU_DEP_2) | instskip(NEXT) | instid1(VALU_DEP_2)
	v_lshlrev_b16 v12, 8, v12
	v_or_b32_e32 v17, v18, v17
	ds_bpermute_b32 v18, v58, v13 offset:64
	ds_bpermute_b32 v13, v58, v13 offset:96
	v_lshlrev_b32_e32 v17, 16, v17
	s_delay_alu instid0(VALU_DEP_1) | instskip(NEXT) | instid1(VALU_DEP_1)
	v_and_or_b32 v17, 0xffff, v16, v17
	v_cndmask_b32_e64 v16, v16, v17, s6
	s_delay_alu instid0(VALU_DEP_1)
	v_lshrrev_b32_e32 v17, 16, v16
	s_wait_dscnt 0x1
	v_and_b32_e32 v18, 1, v18
	s_wait_dscnt 0x0
	v_and_b32_e32 v13, 1, v13
	v_and_b32_e32 v17, 0xffffff00, v17
	s_delay_alu instid0(VALU_DEP_2) | instskip(NEXT) | instid1(VALU_DEP_2)
	v_lshlrev_b16 v13, 8, v13
	v_or_b32_e32 v17, v18, v17
	ds_bpermute_b32 v18, v58, v14 offset:64
	ds_bpermute_b32 v14, v58, v14 offset:96
	v_lshlrev_b32_e32 v17, 16, v17
	s_delay_alu instid0(VALU_DEP_1) | instskip(NEXT) | instid1(VALU_DEP_1)
	v_and_or_b32 v17, 0xffff, v16, v17
	v_cndmask_b32_e64 v16, v16, v17, s5
	s_delay_alu instid0(VALU_DEP_1) | instskip(SKIP_2) | instid1(VALU_DEP_2)
	v_lshrrev_b32_e32 v17, 16, v16
	s_wait_dscnt 0x1
	v_and_b32_e32 v18, 1, v18
	v_and_b32_e32 v17, 0xffffff00, v17
	s_delay_alu instid0(VALU_DEP_1) | instskip(SKIP_3) | instid1(VALU_DEP_1)
	v_or_b32_e32 v17, v18, v17
	ds_bpermute_b32 v18, v58, v15 offset:64
	ds_bpermute_b32 v15, v58, v15 offset:96
	v_lshlrev_b32_e32 v17, 16, v17
	v_and_or_b32 v17, 0xffff, v16, v17
	s_delay_alu instid0(VALU_DEP_1) | instskip(NEXT) | instid1(VALU_DEP_1)
	v_cndmask_b32_e64 v16, v16, v17, s4
	v_lshrrev_b32_e32 v17, 16, v16
	s_wait_dscnt 0x1
	v_and_b32_e32 v18, 1, v18
	s_delay_alu instid0(VALU_DEP_2) | instskip(NEXT) | instid1(VALU_DEP_1)
	v_and_b32_e32 v17, 0xffffff00, v17
	v_or_b32_e32 v17, v18, v17
	s_delay_alu instid0(VALU_DEP_1) | instskip(NEXT) | instid1(VALU_DEP_1)
	v_lshlrev_b32_e32 v17, 16, v17
	v_and_or_b32 v17, 0xffff, v16, v17
	s_delay_alu instid0(VALU_DEP_1) | instskip(NEXT) | instid1(VALU_DEP_1)
	v_cndmask_b32_e32 v16, v16, v17, vcc_lo
	v_lshrrev_b32_e32 v17, 16, v16
	s_delay_alu instid0(VALU_DEP_1) | instskip(NEXT) | instid1(VALU_DEP_1)
	v_and_b32_e32 v17, 0xff, v17
	v_or_b32_e32 v12, v17, v12
	s_delay_alu instid0(VALU_DEP_1) | instskip(NEXT) | instid1(VALU_DEP_1)
	v_lshlrev_b32_e32 v12, 16, v12
	v_and_or_b32 v12, 0xffff, v16, v12
	s_delay_alu instid0(VALU_DEP_1) | instskip(NEXT) | instid1(VALU_DEP_1)
	v_cndmask_b32_e64 v12, v16, v12, s6
	v_lshrrev_b32_e32 v16, 16, v12
	s_delay_alu instid0(VALU_DEP_1) | instskip(NEXT) | instid1(VALU_DEP_1)
	v_and_b32_e32 v16, 0xff, v16
	v_or_b32_e32 v13, v16, v13
	s_delay_alu instid0(VALU_DEP_1) | instskip(NEXT) | instid1(VALU_DEP_1)
	v_lshlrev_b32_e32 v13, 16, v13
	v_and_or_b32 v13, 0xffff, v12, v13
	s_delay_alu instid0(VALU_DEP_1) | instskip(SKIP_1) | instid1(VALU_DEP_2)
	v_cndmask_b32_e64 v12, v12, v13, s5
	v_and_b32_e32 v13, 1, v14
	v_lshrrev_b32_e32 v14, 16, v12
	s_delay_alu instid0(VALU_DEP_2) | instskip(NEXT) | instid1(VALU_DEP_2)
	v_lshlrev_b16 v13, 8, v13
	v_and_b32_e32 v14, 0xff, v14
	s_delay_alu instid0(VALU_DEP_1) | instskip(NEXT) | instid1(VALU_DEP_1)
	v_or_b32_e32 v13, v14, v13
	v_lshlrev_b32_e32 v13, 16, v13
	s_delay_alu instid0(VALU_DEP_1) | instskip(NEXT) | instid1(VALU_DEP_1)
	v_and_or_b32 v13, 0xffff, v12, v13
	v_cndmask_b32_e64 v35, v12, v13, s4
	s_wait_dscnt 0x0
	v_and_b32_e32 v12, 1, v15
	s_delay_alu instid0(VALU_DEP_2) | instskip(NEXT) | instid1(VALU_DEP_2)
	v_lshrrev_b32_e32 v13, 16, v35
	v_lshlrev_b16 v12, 8, v12
	s_delay_alu instid0(VALU_DEP_2) | instskip(NEXT) | instid1(VALU_DEP_1)
	v_and_b32_e32 v13, 0xff, v13
	v_or_b32_e32 v16, v13, v12
	s_delay_alu instid0(VALU_DEP_1) | instskip(NEXT) | instid1(VALU_DEP_1)
	v_lshlrev_b32_e32 v16, 16, v16
	v_and_or_b32 v40, 0xffff, v35, v16
	s_delay_alu instid0(VALU_DEP_1)
	v_cndmask_b32_e32 v45, v35, v40, vcc_lo
	ds_bpermute_b32 v12, v58, v3
	ds_bpermute_b32 v41, v58, v5
	;; [unrolled: 1-line block ×3, first 2 shown]
	ds_bpermute_b32 v47, v58, v5 offset:32
	v_and_b32_e32 v35, s9, v45
	ds_bpermute_b32 v48, v58, v6 offset:32
	ds_bpermute_b32 v54, v58, v5 offset:64
	;; [unrolled: 1-line block ×4, first 2 shown]
	v_and_b32_e32 v59, 0xff, v35
	ds_bpermute_b32 v57, v58, v6 offset:96
	ds_bpermute_b32 v18, v58, v7
	ds_bpermute_b32 v19, v58, v8
	;; [unrolled: 1-line block ×3, first 2 shown]
	v_add_co_u32 v51, s11, v59, -1
	s_wait_alu 0xf1ff
	v_cndmask_b32_e64 v50, 0, 1, s11
	ds_bpermute_b32 v15, v58, v2
	ds_bpermute_b32 v13, v58, v4
	ds_bpermute_b32 v38, v58, v7 offset:32
	s_wait_dscnt 0xe
	s_wait_alu 0xfffe
	v_mad_co_u64_u32 v[5:6], null, v0, s8, v[11:12]
	v_cmp_ne_u32_e64 s7, 0, v50
	ds_bpermute_b32 v39, v58, v8 offset:32
	ds_bpermute_b32 v36, v58, v1 offset:32
	;; [unrolled: 1-line block ×4, first 2 shown]
	s_wait_alu 0xf1ff
	v_xor_b32_e32 v0, s7, v51
	ds_bpermute_b32 v17, v58, v4 offset:32
	ds_bpermute_b32 v46, v58, v7 offset:64
	;; [unrolled: 1-line block ×13, first 2 shown]
	v_and_b32_e32 v1, exec_lo, v0
	v_lshrrev_b32_e32 v2, 3, v5
	v_mov_b32_e32 v3, 0
	ds_store_2addr_b32 v32, v3, v3 offset0:1 offset1:2
	ds_store_2addr_b32 v32, v3, v3 offset0:3 offset1:4
	;; [unrolled: 1-line block ×4, first 2 shown]
	v_mbcnt_lo_u32_b32 v58, v1, 0
	v_and_b32_e32 v0, 0x1ffffffc, v2
	v_cmp_ne_u32_e64 s8, 0, v1
	; wave barrier
	s_wait_loadcnt_dscnt 0x0
	global_inv scope:SCOPE_SE
	v_cmp_eq_u32_e64 s7, 0, v58
	v_lshl_add_u32 v60, v59, 2, v0
	; wave barrier
	s_and_b32 s8, s8, s7
	s_wait_alu 0xfffe
	s_and_saveexec_b32 s7, s8
; %bb.34:
	v_bcnt_u32_b32 v1, v1, 0
	ds_store_b32 v60, v1 offset:4
; %bb.35:
	s_wait_alu 0xfffe
	s_or_b32 exec_lo, exec_lo, s7
	v_lshrrev_b32_e32 v59, 8, v45
	; wave barrier
	s_delay_alu instid0(VALU_DEP_1) | instskip(NEXT) | instid1(VALU_DEP_1)
	v_and_b32_e32 v1, s9, v59
	v_and_b32_e32 v1, 0xff, v1
	s_delay_alu instid0(VALU_DEP_1) | instskip(SKIP_3) | instid1(VALU_DEP_2)
	v_add_co_u32 v2, s7, v1, -1
	s_wait_alu 0xf1ff
	v_cndmask_b32_e64 v3, 0, 1, s7
	v_lshl_add_u32 v63, v1, 2, v0
	v_cmp_ne_u32_e64 s7, 0, v3
	ds_load_b32 v61, v63 offset:4
	; wave barrier
	s_wait_alu 0xf1ff
	v_xor_b32_e32 v1, s7, v2
	s_delay_alu instid0(VALU_DEP_1) | instskip(NEXT) | instid1(VALU_DEP_1)
	v_and_b32_e32 v1, exec_lo, v1
	v_mbcnt_lo_u32_b32 v62, v1, 0
	v_cmp_ne_u32_e64 s8, 0, v1
	s_delay_alu instid0(VALU_DEP_2)
	v_cmp_eq_u32_e64 s7, 0, v62
	s_and_b32 s8, s8, s7
	s_wait_alu 0xfffe
	s_and_saveexec_b32 s7, s8
	s_cbranch_execz .LBB263_37
; %bb.36:
	s_wait_dscnt 0x0
	v_bcnt_u32_b32 v1, v1, v61
	ds_store_b32 v63, v1 offset:4
.LBB263_37:
	s_wait_alu 0xfffe
	s_or_b32 exec_lo, exec_lo, s7
	v_lshrrev_b32_e32 v64, 16, v45
	; wave barrier
	s_delay_alu instid0(VALU_DEP_1) | instskip(NEXT) | instid1(VALU_DEP_1)
	v_and_b32_e32 v1, s9, v64
	v_and_b32_e32 v1, 0xff, v1
	s_delay_alu instid0(VALU_DEP_1) | instskip(SKIP_3) | instid1(VALU_DEP_2)
	v_add_co_u32 v2, s7, v1, -1
	s_wait_alu 0xf1ff
	v_cndmask_b32_e64 v3, 0, 1, s7
	v_lshl_add_u32 v67, v1, 2, v0
	v_cmp_ne_u32_e64 s7, 0, v3
	ds_load_b32 v65, v67 offset:4
	; wave barrier
	s_wait_alu 0xf1ff
	v_xor_b32_e32 v1, s7, v2
	s_delay_alu instid0(VALU_DEP_1) | instskip(NEXT) | instid1(VALU_DEP_1)
	v_and_b32_e32 v1, exec_lo, v1
	v_mbcnt_lo_u32_b32 v66, v1, 0
	v_cmp_ne_u32_e64 s8, 0, v1
	s_delay_alu instid0(VALU_DEP_2)
	v_cmp_eq_u32_e64 s7, 0, v66
	s_and_b32 s8, s8, s7
	s_wait_alu 0xfffe
	s_and_saveexec_b32 s7, s8
	s_cbranch_execz .LBB263_39
; %bb.38:
	s_wait_dscnt 0x0
	v_bcnt_u32_b32 v1, v1, v65
	ds_store_b32 v67, v1 offset:4
.LBB263_39:
	s_wait_alu 0xfffe
	s_or_b32 exec_lo, exec_lo, s7
	v_lshrrev_b32_e32 v68, 24, v45
	; wave barrier
	s_delay_alu instid0(VALU_DEP_1) | instskip(NEXT) | instid1(VALU_DEP_1)
	v_and_b32_e32 v1, s9, v68
	v_add_co_u32 v2, s7, v1, -1
	s_wait_alu 0xf1ff
	v_cndmask_b32_e64 v3, 0, 1, s7
	v_lshl_add_u32 v71, v1, 2, v0
	s_delay_alu instid0(VALU_DEP_2) | instskip(SKIP_3) | instid1(VALU_DEP_1)
	v_cmp_ne_u32_e64 s7, 0, v3
	ds_load_b32 v69, v71 offset:4
	; wave barrier
	s_wait_alu 0xf1ff
	v_xor_b32_e32 v0, s7, v2
	v_and_b32_e32 v0, exec_lo, v0
	s_delay_alu instid0(VALU_DEP_1) | instskip(SKIP_1) | instid1(VALU_DEP_2)
	v_mbcnt_lo_u32_b32 v70, v0, 0
	v_cmp_ne_u32_e64 s8, 0, v0
	v_cmp_eq_u32_e64 s7, 0, v70
	s_and_b32 s8, s8, s7
	s_wait_alu 0xfffe
	s_and_saveexec_b32 s7, s8
	s_cbranch_execz .LBB263_41
; %bb.40:
	s_wait_dscnt 0x0
	v_bcnt_u32_b32 v0, v0, v69
	ds_store_b32 v71, v0 offset:4
.LBB263_41:
	s_wait_alu 0xfffe
	s_or_b32 exec_lo, exec_lo, s7
	; wave barrier
	; wave barrier
	s_wait_loadcnt_dscnt 0x0
	global_inv scope:SCOPE_SE
	ds_load_2addr_b32 v[6:7], v32 offset0:1 offset1:2
	ds_load_2addr_b32 v[4:5], v32 offset0:3 offset1:4
	;; [unrolled: 1-line block ×4, first 2 shown]
	s_mov_b32 s8, exec_lo
	s_wait_dscnt 0x3
	v_add_nc_u32_e32 v72, v7, v6
	s_wait_dscnt 0x2
	s_delay_alu instid0(VALU_DEP_1) | instskip(SKIP_1) | instid1(VALU_DEP_1)
	v_add3_u32 v72, v72, v4, v5
	s_wait_dscnt 0x1
	v_add3_u32 v72, v72, v2, v3
	s_wait_dscnt 0x0
	s_delay_alu instid0(VALU_DEP_1) | instskip(SKIP_1) | instid1(VALU_DEP_2)
	v_add3_u32 v1, v72, v0, v1
	v_and_b32_e32 v72, 15, v33
	v_mov_b32_dpp v73, v1 row_shr:1 row_mask:0xf bank_mask:0xf
	s_delay_alu instid0(VALU_DEP_2) | instskip(SKIP_1) | instid1(VALU_DEP_1)
	v_cmp_ne_u32_e64 s7, 0, v72
	s_wait_alu 0xf1ff
	v_cndmask_b32_e64 v73, 0, v73, s7
	v_cmp_lt_u32_e64 s7, 1, v72
	s_delay_alu instid0(VALU_DEP_2) | instskip(NEXT) | instid1(VALU_DEP_1)
	v_add_nc_u32_e32 v1, v73, v1
	v_mov_b32_dpp v73, v1 row_shr:2 row_mask:0xf bank_mask:0xf
	s_wait_alu 0xf1ff
	s_delay_alu instid0(VALU_DEP_1) | instskip(SKIP_1) | instid1(VALU_DEP_2)
	v_cndmask_b32_e64 v73, 0, v73, s7
	v_cmp_lt_u32_e64 s7, 3, v72
	v_add_nc_u32_e32 v1, v1, v73
	s_delay_alu instid0(VALU_DEP_1) | instskip(SKIP_1) | instid1(VALU_DEP_1)
	v_mov_b32_dpp v73, v1 row_shr:4 row_mask:0xf bank_mask:0xf
	s_wait_alu 0xf1ff
	v_cndmask_b32_e64 v73, 0, v73, s7
	v_cmp_lt_u32_e64 s7, 7, v72
	s_delay_alu instid0(VALU_DEP_2) | instskip(NEXT) | instid1(VALU_DEP_1)
	v_add_nc_u32_e32 v1, v1, v73
	v_mov_b32_dpp v73, v1 row_shr:8 row_mask:0xf bank_mask:0xf
	s_wait_alu 0xf1ff
	s_delay_alu instid0(VALU_DEP_1) | instskip(SKIP_1) | instid1(VALU_DEP_2)
	v_cndmask_b32_e64 v72, 0, v73, s7
	v_bfe_i32 v73, v33, 4, 1
	v_add_nc_u32_e32 v1, v1, v72
	ds_swizzle_b32 v72, v1 offset:swizzle(BROADCAST,32,15)
	s_wait_dscnt 0x0
	v_and_b32_e32 v72, v73, v72
	s_delay_alu instid0(VALU_DEP_1)
	v_add_nc_u32_e32 v1, v1, v72
	v_cmpx_eq_u32_e32 31, v11
; %bb.42:
	v_mov_b32_e32 v72, 0
	ds_store_b32 v72, v1
; %bb.43:
	s_wait_alu 0xfffe
	s_or_b32 exec_lo, exec_lo, s8
	v_sub_co_u32 v72, s8, v33, 1
	; wave barrier
	s_wait_loadcnt_dscnt 0x0
	global_inv scope:SCOPE_SE
	v_cmp_gt_i32_e64 s7, 0, v72
	s_wait_alu 0xf1ff
	s_delay_alu instid0(VALU_DEP_1) | instskip(SKIP_2) | instid1(VALU_DEP_3)
	v_cndmask_b32_e64 v33, v72, v33, s7
	v_cmp_eq_u32_e64 s7, 0, v11
	v_cndmask_b32_e64 v11, 0, v54, s6
	v_lshlrev_b32_e32 v33, 2, v33
	s_or_b32 s7, s7, s8
	ds_bpermute_b32 v1, v33, v1
	v_cndmask_b32_e64 v33, 0, v56, s6
	s_wait_dscnt 0x0
	s_wait_alu 0xfffe
	v_cndmask_b32_e64 v1, v1, 0, s7
	s_delay_alu instid0(VALU_DEP_1) | instskip(NEXT) | instid1(VALU_DEP_1)
	v_add_nc_u32_e32 v6, v1, v6
	v_add_nc_u32_e32 v7, v6, v7
	s_delay_alu instid0(VALU_DEP_1) | instskip(NEXT) | instid1(VALU_DEP_1)
	v_add_nc_u32_e32 v4, v7, v4
	v_add_nc_u32_e32 v5, v4, v5
	;; [unrolled: 3-line block ×3, first 2 shown]
	s_delay_alu instid0(VALU_DEP_1)
	v_add_nc_u32_e32 v0, v3, v0
	ds_store_2addr_b32 v32, v1, v6 offset0:1 offset1:2
	ds_store_2addr_b32 v32, v7, v4 offset0:3 offset1:4
	;; [unrolled: 1-line block ×4, first 2 shown]
	; wave barrier
	s_wait_loadcnt_dscnt 0x0
	global_inv scope:SCOPE_SE
	ds_load_b32 v0, v60 offset:4
	ds_load_b32 v1, v63 offset:4
	;; [unrolled: 1-line block ×4, first 2 shown]
	v_cndmask_b32_e64 v5, 0, v42, s6
	v_cndmask_b32_e64 v6, 0, v47, s6
	;; [unrolled: 1-line block ×3, first 2 shown]
	; wave barrier
	s_wait_loadcnt_dscnt 0x0
	global_inv scope:SCOPE_SE
	v_cndmask_b32_e64 v4, 0, v41, s6
	v_cndmask_b32_e64 v41, 0, v57, s6
	;; [unrolled: 1-line block ×3, first 2 shown]
	v_add_nc_u32_e32 v42, v0, v58
	v_add3_u32 v47, v62, v61, v1
	v_add3_u32 v48, v66, v65, v2
	;; [unrolled: 1-line block ×3, first 2 shown]
	ds_store_b8 v42, v45
	ds_store_b8 v47, v59
	;; [unrolled: 1-line block ×4, first 2 shown]
	; wave barrier
	s_wait_loadcnt_dscnt 0x0
	global_inv scope:SCOPE_SE
	ds_load_b32 v31, v31
	v_cndmask_b32_e64 v0, v5, v19, s5
	v_cndmask_b32_e64 v1, v4, v18, s5
	;; [unrolled: 1-line block ×13, first 2 shown]
	v_dual_cndmask_b32 v1, v0, v13 :: v_dual_cndmask_b32 v0, v11, v12
	v_cndmask_b32_e64 v4, v32, v49, s5
	s_delay_alu instid0(VALU_DEP_4)
	v_cndmask_b32_e32 v3, v2, v17, vcc_lo
	v_cndmask_b32_e32 v2, v14, v16, vcc_lo
	v_cndmask_b32_e64 v15, v5, v43, s4
	s_wait_dscnt 0x0
	v_lshrrev_b32_e32 v7, 16, v31
	v_and_b32_e32 v11, 0xffffff00, v31
	v_xor_b32_e32 v12, 1, v31
	v_cndmask_b32_e64 v4, v4, v44, s4
	s_wait_loadcnt 0x0
	v_and_b32_e32 v13, 0xffffff00, v7
	v_xor_b32_e32 v7, 1, v7
	v_and_b32_e32 v12, 0xff, v12
	v_dual_cndmask_b32 v5, v4, v40 :: v_dual_cndmask_b32 v4, v15, v35
	v_lshlrev_b32_e32 v15, 3, v54
	v_xor_b32_e32 v13, 0x100, v13
	v_dual_cndmask_b32 v7, v6, v34 :: v_dual_and_b32 v14, 0xff, v7
	v_cndmask_b32_e32 v6, v18, v8, vcc_lo
	v_xor_b32_e32 v11, 0x100, v11
	v_lshlrev_b32_e32 v8, 3, v42
	; wave barrier
	global_inv scope:SCOPE_SE
	v_or_b32_e32 v11, v12, v11
	v_or_b32_e32 v12, v14, v13
	v_lshlrev_b32_e32 v14, 3, v48
	v_lshlrev_b32_e32 v13, 3, v47
	ds_store_b64 v8, v[0:1]
	ds_store_b64 v13, v[2:3]
	v_and_b32_e32 v11, 0xffff, v11
	v_lshlrev_b32_e32 v12, 16, v12
	ds_store_b64 v14, v[4:5]
	ds_store_b64 v15, v[6:7]
	; wave barrier
	s_wait_loadcnt_dscnt 0x0
	global_inv scope:SCOPE_SE
	v_or_b32_e32 v12, v11, v12
.LBB263_44:
	ds_load_b128 v[0:3], v10
	ds_load_b128 v[4:7], v10 offset:16
	; wave barrier
	s_wait_loadcnt_dscnt 0x0
	global_inv scope:SCOPE_SE
	ds_store_b32 v25, v12
	; wave barrier
	s_wait_loadcnt_dscnt 0x0
	global_inv scope:SCOPE_SE
	ds_load_u8 v13, v22 offset:32
	ds_load_u8 v12, v23 offset:64
	;; [unrolled: 1-line block ×3, first 2 shown]
	v_add_co_u32 v10, s4, s14, v20
	s_wait_alu 0xf1ff
	v_add_co_ci_u32_e64 v11, null, s15, 0, s4
	s_and_saveexec_b32 s4, s0
	s_cbranch_execnz .LBB263_55
; %bb.45:
	s_wait_alu 0xfffe
	s_or_b32 exec_lo, exec_lo, s4
	s_and_saveexec_b32 s4, s3
	s_cbranch_execnz .LBB263_56
.LBB263_46:
	s_wait_alu 0xfffe
	s_or_b32 exec_lo, exec_lo, s4
	s_and_saveexec_b32 s4, s1
	s_cbranch_execnz .LBB263_57
.LBB263_47:
	s_wait_alu 0xfffe
	s_or_b32 exec_lo, exec_lo, s4
	s_and_saveexec_b32 s4, s2
	s_cbranch_execz .LBB263_49
.LBB263_48:
	s_mul_i32 s5, s10, 0x60
	s_wait_alu 0xfffe
	v_add_co_u32 v10, vcc_lo, v10, s5
	s_wait_alu 0xfffd
	v_add_co_ci_u32_e64 v11, null, 0, v11, vcc_lo
	s_wait_dscnt 0x0
	global_store_b8 v[10:11], v8, off
.LBB263_49:
	s_wait_alu 0xfffe
	s_or_b32 exec_lo, exec_lo, s4
	s_wait_storecnt 0x0
	; wave barrier
	s_wait_loadcnt_dscnt 0x0
	global_inv scope:SCOPE_SE
	ds_store_2addr_b64 v30, v[0:1], v[2:3] offset1:1
	ds_store_2addr_b64 v30, v[4:5], v[6:7] offset0:2 offset1:3
	; wave barrier
	s_wait_loadcnt_dscnt 0x0
	global_inv scope:SCOPE_SE
	ds_load_b64 v[6:7], v27 offset:256
	ds_load_b64 v[4:5], v28 offset:512
	;; [unrolled: 1-line block ×3, first 2 shown]
	v_mov_b32_e32 v10, 0
	s_delay_alu instid0(VALU_DEP_1) | instskip(NEXT) | instid1(VALU_DEP_1)
	v_lshlrev_b64_e32 v[2:3], 3, v[9:10]
	v_add_co_u32 v2, vcc_lo, s16, v2
	s_wait_alu 0xfffd
	s_delay_alu instid0(VALU_DEP_2)
	v_add_co_ci_u32_e64 v3, null, s17, v3, vcc_lo
	s_and_saveexec_b32 s4, s0
	s_cbranch_execnz .LBB263_58
; %bb.50:
	s_wait_alu 0xfffe
	s_or_b32 exec_lo, exec_lo, s4
	s_and_saveexec_b32 s0, s3
	s_cbranch_execnz .LBB263_59
.LBB263_51:
	s_or_b32 exec_lo, exec_lo, s0
	s_and_saveexec_b32 s0, s1
	s_cbranch_execnz .LBB263_60
.LBB263_52:
	s_or_b32 exec_lo, exec_lo, s0
	s_and_saveexec_b32 s0, s2
	s_cbranch_execz .LBB263_54
.LBB263_53:
	s_mul_i32 s0, s12, 0x60
	s_mov_b32 s1, 0
	s_delay_alu instid0(SALU_CYCLE_1) | instskip(NEXT) | instid1(SALU_CYCLE_1)
	s_lshl_b64 s[0:1], s[0:1], 3
	v_add_co_u32 v2, vcc_lo, v2, s0
	s_wait_alu 0xfffd
	v_add_co_ci_u32_e64 v3, null, s1, v3, vcc_lo
	s_wait_dscnt 0x0
	global_store_b64 v[2:3], v[0:1], off
.LBB263_54:
	s_endpgm
.LBB263_55:
	ds_load_u8 v14, v21
	s_wait_dscnt 0x0
	global_store_b8 v[10:11], v14, off
	s_wait_alu 0xfffe
	s_or_b32 exec_lo, exec_lo, s4
	s_and_saveexec_b32 s4, s3
	s_cbranch_execz .LBB263_46
.LBB263_56:
	s_lshl_b32 s5, s10, 5
	s_wait_alu 0xfffe
	v_add_co_u32 v14, vcc_lo, v10, s5
	s_wait_alu 0xfffd
	v_add_co_ci_u32_e64 v15, null, 0, v11, vcc_lo
	s_wait_dscnt 0x2
	global_store_b8 v[14:15], v13, off
	s_or_b32 exec_lo, exec_lo, s4
	s_and_saveexec_b32 s4, s1
	s_cbranch_execz .LBB263_47
.LBB263_57:
	s_lshl_b32 s5, s10, 6
	s_wait_dscnt 0x2
	s_wait_alu 0xfffe
	v_add_co_u32 v13, vcc_lo, v10, s5
	s_wait_alu 0xfffd
	v_add_co_ci_u32_e64 v14, null, 0, v11, vcc_lo
	s_wait_dscnt 0x1
	global_store_b8 v[13:14], v12, off
	s_or_b32 exec_lo, exec_lo, s4
	s_and_saveexec_b32 s4, s2
	s_cbranch_execnz .LBB263_48
	s_branch .LBB263_49
.LBB263_58:
	ds_load_b64 v[8:9], v26
	s_wait_dscnt 0x0
	global_store_b64 v[2:3], v[8:9], off
	s_wait_alu 0xfffe
	s_or_b32 exec_lo, exec_lo, s4
	s_and_saveexec_b32 s0, s3
	s_cbranch_execz .LBB263_51
.LBB263_59:
	s_lshl_b32 s4, s12, 5
	s_mov_b32 s5, 0
	s_wait_alu 0xfffe
	s_lshl_b64 s[4:5], s[4:5], 3
	s_wait_alu 0xfffe
	v_add_co_u32 v8, vcc_lo, v2, s4
	s_wait_alu 0xfffd
	v_add_co_ci_u32_e64 v9, null, s5, v3, vcc_lo
	s_wait_dscnt 0x2
	global_store_b64 v[8:9], v[6:7], off
	s_or_b32 exec_lo, exec_lo, s0
	s_and_saveexec_b32 s0, s1
	s_cbranch_execz .LBB263_52
.LBB263_60:
	s_lshl_b32 s4, s12, 6
	s_mov_b32 s5, 0
	s_wait_alu 0xfffe
	s_lshl_b64 s[4:5], s[4:5], 3
	s_wait_dscnt 0x2
	s_wait_alu 0xfffe
	v_add_co_u32 v6, vcc_lo, v2, s4
	s_wait_alu 0xfffd
	v_add_co_ci_u32_e64 v7, null, s5, v3, vcc_lo
	s_wait_dscnt 0x1
	global_store_b64 v[6:7], v[4:5], off
	s_or_b32 exec_lo, exec_lo, s0
	s_and_saveexec_b32 s0, s2
	s_cbranch_execnz .LBB263_53
	s_branch .LBB263_54
	.section	.rodata,"a",@progbits
	.p2align	6, 0x0
	.amdhsa_kernel _ZN2at6native18radixSortKVInPlaceILin2ELin1ELi32ELi4EbljEEvNS_4cuda6detail10TensorInfoIT3_T5_EES6_S6_S6_NS4_IT4_S6_EES6_b
		.amdhsa_group_segment_fixed_size 1056
		.amdhsa_private_segment_fixed_size 0
		.amdhsa_kernarg_size 712
		.amdhsa_user_sgpr_count 2
		.amdhsa_user_sgpr_dispatch_ptr 0
		.amdhsa_user_sgpr_queue_ptr 0
		.amdhsa_user_sgpr_kernarg_segment_ptr 1
		.amdhsa_user_sgpr_dispatch_id 0
		.amdhsa_user_sgpr_private_segment_size 0
		.amdhsa_wavefront_size32 1
		.amdhsa_uses_dynamic_stack 0
		.amdhsa_enable_private_segment 0
		.amdhsa_system_sgpr_workgroup_id_x 1
		.amdhsa_system_sgpr_workgroup_id_y 1
		.amdhsa_system_sgpr_workgroup_id_z 1
		.amdhsa_system_sgpr_workgroup_info 0
		.amdhsa_system_vgpr_workitem_id 2
		.amdhsa_next_free_vgpr 88
		.amdhsa_next_free_sgpr 20
		.amdhsa_reserve_vcc 1
		.amdhsa_float_round_mode_32 0
		.amdhsa_float_round_mode_16_64 0
		.amdhsa_float_denorm_mode_32 3
		.amdhsa_float_denorm_mode_16_64 3
		.amdhsa_fp16_overflow 0
		.amdhsa_workgroup_processor_mode 1
		.amdhsa_memory_ordered 1
		.amdhsa_forward_progress 1
		.amdhsa_inst_pref_size 65
		.amdhsa_round_robin_scheduling 0
		.amdhsa_exception_fp_ieee_invalid_op 0
		.amdhsa_exception_fp_denorm_src 0
		.amdhsa_exception_fp_ieee_div_zero 0
		.amdhsa_exception_fp_ieee_overflow 0
		.amdhsa_exception_fp_ieee_underflow 0
		.amdhsa_exception_fp_ieee_inexact 0
		.amdhsa_exception_int_div_zero 0
	.end_amdhsa_kernel
	.section	.text._ZN2at6native18radixSortKVInPlaceILin2ELin1ELi32ELi4EbljEEvNS_4cuda6detail10TensorInfoIT3_T5_EES6_S6_S6_NS4_IT4_S6_EES6_b,"axG",@progbits,_ZN2at6native18radixSortKVInPlaceILin2ELin1ELi32ELi4EbljEEvNS_4cuda6detail10TensorInfoIT3_T5_EES6_S6_S6_NS4_IT4_S6_EES6_b,comdat
.Lfunc_end263:
	.size	_ZN2at6native18radixSortKVInPlaceILin2ELin1ELi32ELi4EbljEEvNS_4cuda6detail10TensorInfoIT3_T5_EES6_S6_S6_NS4_IT4_S6_EES6_b, .Lfunc_end263-_ZN2at6native18radixSortKVInPlaceILin2ELin1ELi32ELi4EbljEEvNS_4cuda6detail10TensorInfoIT3_T5_EES6_S6_S6_NS4_IT4_S6_EES6_b
                                        ; -- End function
	.set _ZN2at6native18radixSortKVInPlaceILin2ELin1ELi32ELi4EbljEEvNS_4cuda6detail10TensorInfoIT3_T5_EES6_S6_S6_NS4_IT4_S6_EES6_b.num_vgpr, 88
	.set _ZN2at6native18radixSortKVInPlaceILin2ELin1ELi32ELi4EbljEEvNS_4cuda6detail10TensorInfoIT3_T5_EES6_S6_S6_NS4_IT4_S6_EES6_b.num_agpr, 0
	.set _ZN2at6native18radixSortKVInPlaceILin2ELin1ELi32ELi4EbljEEvNS_4cuda6detail10TensorInfoIT3_T5_EES6_S6_S6_NS4_IT4_S6_EES6_b.numbered_sgpr, 20
	.set _ZN2at6native18radixSortKVInPlaceILin2ELin1ELi32ELi4EbljEEvNS_4cuda6detail10TensorInfoIT3_T5_EES6_S6_S6_NS4_IT4_S6_EES6_b.num_named_barrier, 0
	.set _ZN2at6native18radixSortKVInPlaceILin2ELin1ELi32ELi4EbljEEvNS_4cuda6detail10TensorInfoIT3_T5_EES6_S6_S6_NS4_IT4_S6_EES6_b.private_seg_size, 0
	.set _ZN2at6native18radixSortKVInPlaceILin2ELin1ELi32ELi4EbljEEvNS_4cuda6detail10TensorInfoIT3_T5_EES6_S6_S6_NS4_IT4_S6_EES6_b.uses_vcc, 1
	.set _ZN2at6native18radixSortKVInPlaceILin2ELin1ELi32ELi4EbljEEvNS_4cuda6detail10TensorInfoIT3_T5_EES6_S6_S6_NS4_IT4_S6_EES6_b.uses_flat_scratch, 0
	.set _ZN2at6native18radixSortKVInPlaceILin2ELin1ELi32ELi4EbljEEvNS_4cuda6detail10TensorInfoIT3_T5_EES6_S6_S6_NS4_IT4_S6_EES6_b.has_dyn_sized_stack, 0
	.set _ZN2at6native18radixSortKVInPlaceILin2ELin1ELi32ELi4EbljEEvNS_4cuda6detail10TensorInfoIT3_T5_EES6_S6_S6_NS4_IT4_S6_EES6_b.has_recursion, 0
	.set _ZN2at6native18radixSortKVInPlaceILin2ELin1ELi32ELi4EbljEEvNS_4cuda6detail10TensorInfoIT3_T5_EES6_S6_S6_NS4_IT4_S6_EES6_b.has_indirect_call, 0
	.section	.AMDGPU.csdata,"",@progbits
; Kernel info:
; codeLenInByte = 8224
; TotalNumSgprs: 22
; NumVgprs: 88
; ScratchSize: 0
; MemoryBound: 0
; FloatMode: 240
; IeeeMode: 1
; LDSByteSize: 1056 bytes/workgroup (compile time only)
; SGPRBlocks: 0
; VGPRBlocks: 10
; NumSGPRsForWavesPerEU: 22
; NumVGPRsForWavesPerEU: 88
; Occupancy: 16
; WaveLimiterHint : 1
; COMPUTE_PGM_RSRC2:SCRATCH_EN: 0
; COMPUTE_PGM_RSRC2:USER_SGPR: 2
; COMPUTE_PGM_RSRC2:TRAP_HANDLER: 0
; COMPUTE_PGM_RSRC2:TGID_X_EN: 1
; COMPUTE_PGM_RSRC2:TGID_Y_EN: 1
; COMPUTE_PGM_RSRC2:TGID_Z_EN: 1
; COMPUTE_PGM_RSRC2:TIDIG_COMP_CNT: 2
	.section	.text._ZN2at6native18radixSortKVInPlaceILin2ELin1ELi16ELi2EbljEEvNS_4cuda6detail10TensorInfoIT3_T5_EES6_S6_S6_NS4_IT4_S6_EES6_b,"axG",@progbits,_ZN2at6native18radixSortKVInPlaceILin2ELin1ELi16ELi2EbljEEvNS_4cuda6detail10TensorInfoIT3_T5_EES6_S6_S6_NS4_IT4_S6_EES6_b,comdat
	.protected	_ZN2at6native18radixSortKVInPlaceILin2ELin1ELi16ELi2EbljEEvNS_4cuda6detail10TensorInfoIT3_T5_EES6_S6_S6_NS4_IT4_S6_EES6_b ; -- Begin function _ZN2at6native18radixSortKVInPlaceILin2ELin1ELi16ELi2EbljEEvNS_4cuda6detail10TensorInfoIT3_T5_EES6_S6_S6_NS4_IT4_S6_EES6_b
	.globl	_ZN2at6native18radixSortKVInPlaceILin2ELin1ELi16ELi2EbljEEvNS_4cuda6detail10TensorInfoIT3_T5_EES6_S6_S6_NS4_IT4_S6_EES6_b
	.p2align	8
	.type	_ZN2at6native18radixSortKVInPlaceILin2ELin1ELi16ELi2EbljEEvNS_4cuda6detail10TensorInfoIT3_T5_EES6_S6_S6_NS4_IT4_S6_EES6_b,@function
_ZN2at6native18radixSortKVInPlaceILin2ELin1ELi16ELi2EbljEEvNS_4cuda6detail10TensorInfoIT3_T5_EES6_S6_S6_NS4_IT4_S6_EES6_b: ; @_ZN2at6native18radixSortKVInPlaceILin2ELin1ELi16ELi2EbljEEvNS_4cuda6detail10TensorInfoIT3_T5_EES6_S6_S6_NS4_IT4_S6_EES6_b
; %bb.0:
	s_clause 0x1
	s_load_b64 s[2:3], s[0:1], 0x1c8
	s_load_b96 s[8:10], s[0:1], 0xd8
	s_lshr_b32 s4, ttmp7, 16
	s_wait_kmcnt 0x0
	s_mul_i32 s3, s3, s4
	s_and_b32 s4, ttmp7, 0xffff
	s_delay_alu instid0(SALU_CYCLE_1) | instskip(NEXT) | instid1(SALU_CYCLE_1)
	s_add_co_i32 s3, s3, s4
	s_mul_i32 s11, s3, s2
	s_delay_alu instid0(SALU_CYCLE_1) | instskip(NEXT) | instid1(SALU_CYCLE_1)
	s_add_co_i32 s11, s11, ttmp9
	s_cmp_ge_u32 s11, s8
	s_cbranch_scc1 .LBB264_74
; %bb.1:
	s_load_b32 s6, s[0:1], 0x1b8
	s_add_nc_u64 s[4:5], s[0:1], 0xe8
	s_mov_b32 s3, 0
	s_mov_b32 s8, s11
	s_wait_kmcnt 0x0
	s_cmp_lt_i32 s6, 2
	s_cbranch_scc1 .LBB264_4
; %bb.2:
	s_add_co_i32 s2, s6, -1
	s_mov_b32 s8, s11
	s_lshl_b64 s[12:13], s[2:3], 2
	s_add_co_i32 s2, s6, 1
	s_add_nc_u64 s[12:13], s[4:5], s[12:13]
	s_delay_alu instid0(SALU_CYCLE_1)
	s_add_nc_u64 s[6:7], s[12:13], 8
.LBB264_3:                              ; =>This Inner Loop Header: Depth=1
	s_clause 0x1
	s_load_b32 s12, s[6:7], 0x0
	s_load_b32 s13, s[6:7], 0x64
	s_mov_b32 s16, s8
	s_add_nc_u64 s[6:7], s[6:7], -4
	s_wait_kmcnt 0x0
	s_cvt_f32_u32 s14, s12
	s_sub_co_i32 s15, 0, s12
	s_wait_alu 0xfffe
	s_delay_alu instid0(SALU_CYCLE_1) | instskip(NEXT) | instid1(TRANS32_DEP_1)
	v_rcp_iflag_f32_e32 v1, s14
	v_readfirstlane_b32 s14, v1
	s_mul_f32 s14, s14, 0x4f7ffffe
	s_wait_alu 0xfffe
	s_delay_alu instid0(SALU_CYCLE_2) | instskip(SKIP_1) | instid1(SALU_CYCLE_2)
	s_cvt_u32_f32 s14, s14
	s_wait_alu 0xfffe
	s_mul_i32 s15, s15, s14
	s_wait_alu 0xfffe
	s_mul_hi_u32 s15, s14, s15
	s_wait_alu 0xfffe
	s_add_co_i32 s14, s14, s15
	s_wait_alu 0xfffe
	s_mul_hi_u32 s8, s8, s14
	s_delay_alu instid0(SALU_CYCLE_1)
	s_mul_i32 s14, s8, s12
	s_add_co_i32 s15, s8, 1
	s_wait_alu 0xfffe
	s_sub_co_i32 s14, s16, s14
	s_wait_alu 0xfffe
	s_sub_co_i32 s17, s14, s12
	s_cmp_ge_u32 s14, s12
	s_cselect_b32 s8, s15, s8
	s_cselect_b32 s14, s17, s14
	s_add_co_i32 s15, s8, 1
	s_wait_alu 0xfffe
	s_cmp_ge_u32 s14, s12
	s_cselect_b32 s8, s15, s8
	s_add_co_i32 s2, s2, -1
	s_mul_i32 s12, s8, s12
	s_delay_alu instid0(SALU_CYCLE_1) | instskip(NEXT) | instid1(SALU_CYCLE_1)
	s_sub_co_i32 s12, s16, s12
	s_mul_i32 s12, s13, s12
	s_delay_alu instid0(SALU_CYCLE_1)
	s_add_co_i32 s3, s12, s3
	s_cmp_gt_u32 s2, 2
	s_cbranch_scc1 .LBB264_3
.LBB264_4:
	s_clause 0x2
	s_load_b64 s[6:7], s[0:1], 0x0
	s_load_b32 s14, s[0:1], 0x6c
	s_load_b64 s[12:13], s[0:1], 0x1c0
	v_mul_lo_u32 v20, s10, v0
	s_mov_b32 s15, 0
	s_wait_kmcnt 0x0
	s_mul_i32 s14, s14, s11
	s_bitcmp1_b32 s13, 0
	s_wait_alu 0xfffe
	s_add_nc_u64 s[14:15], s[6:7], s[14:15]
	s_cselect_b32 s0, -1, 0
	s_delay_alu instid0(SALU_CYCLE_1) | instskip(SKIP_3) | instid1(VALU_DEP_2)
	s_xor_b32 s2, s0, -1
	v_cmp_gt_u32_e64 s0, s9, v0
	v_cndmask_b32_e64 v2, 0, 1, s2
	v_cndmask_b32_e64 v1, 0, 1, s2
	v_lshlrev_b32_e32 v3, 8, v2
	s_delay_alu instid0(VALU_DEP_1) | instskip(NEXT) | instid1(VALU_DEP_1)
	v_or_b32_e32 v2, v2, v3
	v_and_b32_e32 v2, 0x101, v2
	s_and_saveexec_b32 s1, s0
	s_cbranch_execz .LBB264_6
; %bb.5:
	global_load_u8 v1, v20, s[14:15]
	v_and_b32_e32 v2, 0x100, v2
	s_wait_loadcnt 0x0
	s_delay_alu instid0(VALU_DEP_1) | instskip(NEXT) | instid1(VALU_DEP_1)
	v_or_b32_e32 v2, v1, v2
	v_and_b32_e32 v2, 0xffff, v2
.LBB264_6:
	s_or_b32 exec_lo, exec_lo, s1
	s_clause 0x1
	s_load_b32 s6, s[4:5], 0x6c
	s_load_b64 s[4:5], s[4:5], 0x0
	v_or_b32_e32 v3, 16, v0
	s_delay_alu instid0(VALU_DEP_1)
	v_cmp_gt_u32_e64 s1, s9, v3
	s_and_saveexec_b32 s7, s1
	s_cbranch_execz .LBB264_8
; %bb.7:
	v_mul_lo_u32 v4, s10, v3
	global_load_u8 v4, v4, s[14:15]
	s_wait_loadcnt 0x0
	v_perm_b32 v2, v2, v4, 0xc0c0004
.LBB264_8:
	s_or_b32 exec_lo, exec_lo, s7
	v_dual_mov_b32 v18, 0 :: v_dual_lshlrev_b32 v21, 1, v0
	s_delay_alu instid0(VALU_DEP_2)
	v_lshrrev_b16 v2, 8, v2
	s_wait_kmcnt 0x0
	s_mul_i32 s6, s6, s8
	ds_store_b8 v0, v1
	ds_store_b8 v0, v2 offset:16
	s_wait_dscnt 0x0
	; wave barrier
	global_inv scope:SCOPE_SE
	ds_load_u16 v24, v21
	v_mul_lo_u32 v17, s12, v0
	s_add_co_i32 s6, s6, s3
	s_mov_b32 s7, 0
	v_mov_b32_e32 v1, 0
	v_dual_mov_b32 v2, 0 :: v_dual_mov_b32 v19, v18
	s_lshl_b64 s[6:7], s[6:7], 3
	s_wait_loadcnt_dscnt 0x0
	s_add_nc_u64 s[16:17], s[4:5], s[6:7]
	; wave barrier
	global_inv scope:SCOPE_SE
	s_and_saveexec_b32 s3, s0
	s_cbranch_execz .LBB264_10
; %bb.9:
	v_lshlrev_b64_e32 v[1:2], 3, v[17:18]
	v_mov_b32_e32 v19, v18
	s_delay_alu instid0(VALU_DEP_2) | instskip(NEXT) | instid1(VALU_DEP_1)
	v_add_co_u32 v1, vcc_lo, s16, v1
	v_add_co_ci_u32_e64 v2, null, s17, v2, vcc_lo
	global_load_b64 v[1:2], v[1:2], off
.LBB264_10:
	s_wait_alu 0xfffe
	s_or_b32 exec_lo, exec_lo, s3
	s_and_saveexec_b32 s3, s1
	s_cbranch_execz .LBB264_12
; %bb.11:
	v_mul_lo_u32 v3, s12, v3
	v_mov_b32_e32 v4, 0
	s_delay_alu instid0(VALU_DEP_1) | instskip(NEXT) | instid1(VALU_DEP_1)
	v_lshlrev_b64_e32 v[3:4], 3, v[3:4]
	v_add_co_u32 v3, vcc_lo, s16, v3
	s_wait_alu 0xfffd
	s_delay_alu instid0(VALU_DEP_2)
	v_add_co_ci_u32_e64 v4, null, s17, v4, vcc_lo
	global_load_b64 v[18:19], v[3:4], off
.LBB264_12:
	s_wait_alu 0xfffe
	s_or_b32 exec_lo, exec_lo, s3
	v_lshlrev_b32_e32 v22, 3, v0
	v_lshlrev_b32_e32 v23, 3, v21
	s_and_b32 vcc_lo, exec_lo, s2
	v_cmp_lt_u32_e64 s2, 0x7f, v0
	v_cmp_gt_u32_e64 s3, 0x80, v0
	s_wait_loadcnt 0x0
	ds_store_2addr_b64 v22, v[1:2], v[18:19] offset1:16
	s_wait_dscnt 0x0
	; wave barrier
	global_inv scope:SCOPE_SE
	ds_load_2addr_b64 v[1:4], v23 offset1:1
	v_lshrrev_b16 v19, 8, v24
	v_lshlrev_b32_e32 v18, 5, v0
	; wave barrier
	s_wait_loadcnt_dscnt 0x0
	global_inv scope:SCOPE_SE
	s_wait_alu 0xfffe
	s_cbranch_vccz .LBB264_39
; %bb.13:
	s_getpc_b64 s[4:5]
	s_sext_i32_i16 s5, s5
	s_add_co_u32 s4, s4, _ZN7rocprim17ROCPRIM_400000_NS16block_radix_sortIbLj16ELj2ElLj1ELj1ELj0ELNS0_26block_radix_rank_algorithmE1ELNS0_18block_padding_hintE2ELNS0_4arch9wavefront6targetE0EE19radix_bits_per_passE@rel32@lo+8
	s_add_co_ci_u32 s5, s5, _ZN7rocprim17ROCPRIM_400000_NS16block_radix_sortIbLj16ELj2ElLj1ELj1ELj0ELNS0_26block_radix_rank_algorithmE1ELNS0_18block_padding_hintE2ELNS0_4arch9wavefront6targetE0EE19radix_bits_per_passE@rel32@hi+16
	v_mad_i32_i24 v26, 0xffffffe2, v0, v18
	s_load_b32 s4, s[4:5], 0x0
	s_delay_alu instid0(VALU_DEP_1)
	v_mad_u32_u24 v25, v0, 14, v26
	s_and_saveexec_b32 s5, s3
	s_cbranch_execz .LBB264_22
; %bb.14:
	s_delay_alu instid0(VALU_DEP_1)
	v_mad_i32_i24 v5, v0, -12, v25
	v_mov_b32_e32 v6, 0
	v_cmp_gt_u32_e32 vcc_lo, 0x70, v0
	ds_store_b32 v5, v6
	s_and_b32 exec_lo, exec_lo, vcc_lo
	s_cbranch_execz .LBB264_22
; %bb.15:
	v_mul_i32_i24_e32 v5, -12, v0
	v_cmp_gt_u32_e32 vcc_lo, 0x60, v0
	s_delay_alu instid0(VALU_DEP_2)
	v_add_nc_u32_e32 v5, v25, v5
	ds_store_b32 v5, v6 offset:64
	s_and_b32 exec_lo, exec_lo, vcc_lo
	s_cbranch_execz .LBB264_22
; %bb.16:
	v_mov_b32_e32 v6, 0
	v_cmp_gt_u32_e32 vcc_lo, 0x50, v0
	ds_store_b32 v5, v6 offset:128
	s_and_b32 exec_lo, exec_lo, vcc_lo
	s_cbranch_execz .LBB264_22
; %bb.17:
	v_cmp_gt_u32_e32 vcc_lo, 64, v0
	ds_store_b32 v5, v6 offset:192
	s_and_b32 exec_lo, exec_lo, vcc_lo
	s_cbranch_execz .LBB264_22
; %bb.18:
	v_mov_b32_e32 v6, 0
	v_cmp_gt_u32_e32 vcc_lo, 48, v0
	ds_store_b32 v5, v6 offset:256
	s_and_b32 exec_lo, exec_lo, vcc_lo
	s_cbranch_execz .LBB264_22
; %bb.19:
	v_cmp_gt_u32_e32 vcc_lo, 32, v0
	ds_store_b32 v5, v6 offset:320
	s_and_b32 exec_lo, exec_lo, vcc_lo
	s_cbranch_execz .LBB264_22
; %bb.20:
	v_mov_b32_e32 v6, 0
	v_cmp_gt_u32_e32 vcc_lo, 16, v0
	ds_store_b32 v5, v6 offset:384
	s_and_b32 exec_lo, exec_lo, vcc_lo
; %bb.21:
	ds_store_b32 v5, v6 offset:448
.LBB264_22:
	s_or_b32 exec_lo, exec_lo, s5
	s_wait_kmcnt 0x0
	s_min_u32 s3, s4, 8
	v_lshlrev_b32_e32 v27, 1, v21
	s_wait_alu 0xfffe
	s_lshl_b32 s3, -1, s3
	v_cmp_eq_u32_e64 s4, 15, v0
	s_wait_alu 0xfffe
	s_not_b32 s3, s3
	s_wait_alu 0xfffe
	v_and_b32_e32 v5, s3, v24
	s_delay_alu instid0(VALU_DEP_1) | instskip(NEXT) | instid1(VALU_DEP_1)
	v_and_b32_e32 v5, 0xff, v5
	v_lshl_or_b32 v14, v5, 6, v27
	v_and_b32_e32 v5, 0xffff, v19
	ds_load_u16 v13, v14
	v_and_b32_e32 v5, s3, v5
	s_delay_alu instid0(VALU_DEP_1)
	v_lshl_or_b32 v15, v5, 6, v27
	s_wait_dscnt 0x0
	v_add_nc_u16 v6, v13, 1
	ds_store_b16 v14, v6
	ds_load_u16 v16, v15
	s_wait_dscnt 0x0
	v_add_nc_u16 v5, v16, 1
	ds_store_b16 v15, v5
	; wave barrier
	s_wait_loadcnt_dscnt 0x0
	global_inv scope:SCOPE_SE
	ds_load_b128 v[9:12], v18
	ds_load_b128 v[5:8], v18 offset:16
	s_wait_dscnt 0x1
	v_add_nc_u32_e32 v28, v10, v9
	s_delay_alu instid0(VALU_DEP_1) | instskip(SKIP_1) | instid1(VALU_DEP_1)
	v_add3_u32 v28, v28, v11, v12
	s_wait_dscnt 0x0
	v_add3_u32 v29, v28, v5, v6
	v_mbcnt_lo_u32_b32 v28, -1, 0
	s_delay_alu instid0(VALU_DEP_2) | instskip(NEXT) | instid1(VALU_DEP_2)
	v_add3_u32 v8, v29, v7, v8
	v_and_b32_e32 v29, 15, v28
	s_delay_alu instid0(VALU_DEP_2) | instskip(NEXT) | instid1(VALU_DEP_2)
	v_mov_b32_dpp v30, v8 row_shr:1 row_mask:0xf bank_mask:0xf
	v_cmp_eq_u32_e32 vcc_lo, 0, v29
	v_cmp_lt_u32_e64 s3, 1, v29
	v_cmp_lt_u32_e64 s5, 3, v29
	;; [unrolled: 1-line block ×3, first 2 shown]
	s_wait_alu 0xfffd
	v_cndmask_b32_e64 v30, v30, 0, vcc_lo
	s_delay_alu instid0(VALU_DEP_1) | instskip(NEXT) | instid1(VALU_DEP_1)
	v_add_nc_u32_e32 v8, v30, v8
	v_mov_b32_dpp v30, v8 row_shr:2 row_mask:0xf bank_mask:0xf
	s_wait_alu 0xf1ff
	s_delay_alu instid0(VALU_DEP_1) | instskip(NEXT) | instid1(VALU_DEP_1)
	v_cndmask_b32_e64 v30, 0, v30, s3
	v_add_nc_u32_e32 v8, v8, v30
	s_delay_alu instid0(VALU_DEP_1) | instskip(NEXT) | instid1(VALU_DEP_1)
	v_mov_b32_dpp v30, v8 row_shr:4 row_mask:0xf bank_mask:0xf
	v_cndmask_b32_e64 v30, 0, v30, s5
	s_delay_alu instid0(VALU_DEP_1) | instskip(NEXT) | instid1(VALU_DEP_1)
	v_add_nc_u32_e32 v8, v8, v30
	v_mov_b32_dpp v30, v8 row_shr:8 row_mask:0xf bank_mask:0xf
	s_delay_alu instid0(VALU_DEP_1) | instskip(NEXT) | instid1(VALU_DEP_1)
	v_cndmask_b32_e64 v29, 0, v30, s6
	v_add_nc_u32_e32 v8, v8, v29
	s_and_saveexec_b32 s7, s4
; %bb.23:
	v_mov_b32_e32 v29, 0
	ds_store_b32 v29, v8 offset:512
; %bb.24:
	s_wait_alu 0xfffe
	s_or_b32 exec_lo, exec_lo, s7
	v_sub_co_u32 v29, s8, v28, 1
	v_and_b32_e32 v30, 16, v28
	; wave barrier
	s_wait_loadcnt_dscnt 0x0
	global_inv scope:SCOPE_SE
	v_cmp_lt_i32_e64 s7, v29, v30
	s_wait_alu 0xf1ff
	s_delay_alu instid0(VALU_DEP_1) | instskip(NEXT) | instid1(VALU_DEP_1)
	v_cndmask_b32_e64 v28, v29, v28, s7
	v_dual_mov_b32 v29, 0 :: v_dual_lshlrev_b32 v28, 2, v28
	ds_load_b32 v29, v29 offset:512
	ds_bpermute_b32 v8, v28, v8
	s_wait_dscnt 0x0
	v_cndmask_b32_e64 v8, v8, 0, s8
	s_delay_alu instid0(VALU_DEP_1) | instskip(NEXT) | instid1(VALU_DEP_1)
	v_lshl_add_u32 v8, v29, 16, v8
	v_add_nc_u32_e32 v9, v8, v9
	s_delay_alu instid0(VALU_DEP_1) | instskip(NEXT) | instid1(VALU_DEP_1)
	v_add_nc_u32_e32 v10, v9, v10
	v_add_nc_u32_e32 v11, v10, v11
	s_delay_alu instid0(VALU_DEP_1) | instskip(NEXT) | instid1(VALU_DEP_1)
	v_add_nc_u32_e32 v29, v11, v12
	;; [unrolled: 3-line block ×3, first 2 shown]
	v_add_nc_u32_e32 v32, v31, v7
	v_and_b32_e32 v7, 0xffff, v13
	ds_store_b128 v18, v[8:11]
	ds_store_b128 v18, v[29:32] offset:16
	; wave barrier
	s_wait_loadcnt_dscnt 0x0
	global_inv scope:SCOPE_SE
	ds_load_u16 v5, v14
	ds_load_u16 v6, v15
	v_and_b32_e32 v8, 0xffff, v16
	; wave barrier
	s_wait_loadcnt_dscnt 0x0
	global_inv scope:SCOPE_SE
                                        ; implicit-def: $vgpr30
	v_add_nc_u32_e32 v5, v5, v7
	v_add_nc_u32_e32 v6, v6, v8
	ds_store_b8 v5, v24
	ds_store_b8 v6, v19
	v_lshlrev_b32_e32 v5, 3, v5
	v_lshlrev_b32_e32 v6, 3, v6
	; wave barrier
	s_wait_loadcnt_dscnt 0x0
	global_inv scope:SCOPE_SE
	ds_load_u16 v29, v26
	; wave barrier
	s_wait_loadcnt_dscnt 0x0
	global_inv scope:SCOPE_SE
	ds_store_b64 v5, v[1:2]
	ds_store_b64 v6, v[3:4]
	; wave barrier
	s_wait_loadcnt_dscnt 0x0
	global_inv scope:SCOPE_SE
	ds_load_b128 v[5:8], v25
	; wave barrier
	s_wait_loadcnt_dscnt 0x0
	global_inv scope:SCOPE_SE
	s_and_saveexec_b32 s7, s2
	s_wait_alu 0xfffe
	s_xor_b32 s2, exec_lo, s7
; %bb.25:
	ds_load_u16 v30, v27
; %bb.26:
	s_wait_alu 0xfffe
	s_and_not1_saveexec_b32 s7, s2
	s_cbranch_execz .LBB264_36
; %bb.27:
	s_wait_dscnt 0x0
	v_dual_mov_b32 v30, 0 :: v_dual_lshlrev_b32 v9, 2, v0
	s_mov_b32 s9, exec_lo
	ds_store_b32 v9, v30
	v_cmpx_gt_u32_e32 0x70, v0
	s_cbranch_execz .LBB264_35
; %bb.28:
	v_mov_b32_e32 v10, 0
	v_cmp_gt_u32_e64 s2, 0x60, v0
	ds_store_b32 v9, v10 offset:64
	s_and_b32 exec_lo, exec_lo, s2
	s_cbranch_execz .LBB264_35
; %bb.29:
	v_cmp_gt_u32_e64 s2, 0x50, v0
	ds_store_b32 v9, v10 offset:128
	s_and_b32 exec_lo, exec_lo, s2
	s_cbranch_execz .LBB264_35
; %bb.30:
	v_mov_b32_e32 v10, 0
	v_cmp_gt_u32_e64 s2, 64, v0
	ds_store_b32 v9, v10 offset:192
	s_and_b32 exec_lo, exec_lo, s2
	s_cbranch_execz .LBB264_35
; %bb.31:
	v_cmp_gt_u32_e64 s2, 48, v0
	ds_store_b32 v9, v10 offset:256
	s_and_b32 exec_lo, exec_lo, s2
	;; [unrolled: 11-line block ×3, first 2 shown]
; %bb.34:
	v_mov_b32_e32 v10, 0
	ds_store_b32 v9, v10 offset:448
.LBB264_35:
	s_wait_alu 0xfffe
	s_or_b32 exec_lo, exec_lo, s9
.LBB264_36:
	s_wait_alu 0xfffe
	s_or_b32 exec_lo, exec_lo, s7
	s_wait_dscnt 0x0
	v_add_nc_u16 v9, v30, 2
	s_mov_b32 s2, 0
	ds_store_b16 v27, v9
	; wave barrier
	s_wait_loadcnt_dscnt 0x0
	global_inv scope:SCOPE_SE
	ds_load_b128 v[13:16], v18
	ds_load_b128 v[9:12], v18 offset:16
	s_wait_dscnt 0x1
	v_add_nc_u32_e32 v31, v14, v13
	s_delay_alu instid0(VALU_DEP_1) | instskip(SKIP_1) | instid1(VALU_DEP_1)
	v_add3_u32 v31, v31, v15, v16
	s_wait_dscnt 0x0
	v_add3_u32 v31, v31, v9, v10
	s_delay_alu instid0(VALU_DEP_1) | instskip(NEXT) | instid1(VALU_DEP_1)
	v_add3_u32 v12, v31, v11, v12
	v_mov_b32_dpp v31, v12 row_shr:1 row_mask:0xf bank_mask:0xf
	s_delay_alu instid0(VALU_DEP_1) | instskip(NEXT) | instid1(VALU_DEP_1)
	v_cndmask_b32_e64 v31, v31, 0, vcc_lo
	v_add_nc_u32_e32 v12, v31, v12
	s_delay_alu instid0(VALU_DEP_1) | instskip(NEXT) | instid1(VALU_DEP_1)
	v_mov_b32_dpp v31, v12 row_shr:2 row_mask:0xf bank_mask:0xf
	v_cndmask_b32_e64 v31, 0, v31, s3
	s_delay_alu instid0(VALU_DEP_1) | instskip(NEXT) | instid1(VALU_DEP_1)
	v_add_nc_u32_e32 v12, v12, v31
	v_mov_b32_dpp v31, v12 row_shr:4 row_mask:0xf bank_mask:0xf
	s_delay_alu instid0(VALU_DEP_1) | instskip(NEXT) | instid1(VALU_DEP_1)
	v_cndmask_b32_e64 v31, 0, v31, s5
	v_add_nc_u32_e32 v12, v12, v31
	s_delay_alu instid0(VALU_DEP_1) | instskip(NEXT) | instid1(VALU_DEP_1)
	v_mov_b32_dpp v31, v12 row_shr:8 row_mask:0xf bank_mask:0xf
	v_cndmask_b32_e64 v31, 0, v31, s6
	s_delay_alu instid0(VALU_DEP_1)
	v_add_nc_u32_e32 v12, v12, v31
	s_and_saveexec_b32 s3, s4
; %bb.37:
	v_mov_b32_e32 v31, 0
	ds_store_b32 v31, v12 offset:512
; %bb.38:
	s_wait_alu 0xfffe
	s_or_b32 exec_lo, exec_lo, s3
	ds_bpermute_b32 v12, v28, v12
	v_mov_b32_e32 v28, 0
	; wave barrier
	s_wait_loadcnt_dscnt 0x0
	global_inv scope:SCOPE_SE
	ds_load_b32 v28, v28 offset:512
	v_cndmask_b32_e64 v12, v12, 0, s8
	s_wait_dscnt 0x0
	s_delay_alu instid0(VALU_DEP_1) | instskip(NEXT) | instid1(VALU_DEP_1)
	v_lshl_add_u32 v12, v28, 16, v12
	v_add_nc_u32_e32 v13, v12, v13
	s_delay_alu instid0(VALU_DEP_1) | instskip(NEXT) | instid1(VALU_DEP_1)
	v_add_nc_u32_e32 v14, v13, v14
	v_add_nc_u32_e32 v15, v14, v15
	s_delay_alu instid0(VALU_DEP_1) | instskip(NEXT) | instid1(VALU_DEP_1)
	v_add_nc_u32_e32 v31, v15, v16
	v_add_nc_u32_e32 v32, v31, v9
	s_delay_alu instid0(VALU_DEP_1) | instskip(SKIP_1) | instid1(VALU_DEP_2)
	v_add_nc_u32_e32 v33, v32, v10
	v_add_nc_u16 v10, v30, 1
	v_add_nc_u32_e32 v34, v33, v11
	v_and_b32_e32 v11, 0xffff, v30
	s_delay_alu instid0(VALU_DEP_3)
	v_and_b32_e32 v10, 0xffff, v10
	ds_store_b128 v18, v[12:15]
	ds_store_b128 v18, v[31:34] offset:16
	; wave barrier
	s_wait_loadcnt_dscnt 0x0
	global_inv scope:SCOPE_SE
	ds_load_u16 v9, v27
	v_lshrrev_b16 v12, 8, v29
	; wave barrier
	s_wait_loadcnt_dscnt 0x0
	global_inv scope:SCOPE_SE
	v_add_nc_u32_e32 v11, v9, v11
	v_add_nc_u32_e32 v9, v9, v10
	ds_store_b8 v11, v29
	ds_store_b8 v9, v12
	v_lshlrev_b32_e32 v10, 3, v11
	v_lshlrev_b32_e32 v11, 3, v9
	; wave barrier
	s_wait_loadcnt_dscnt 0x0
	global_inv scope:SCOPE_SE
	ds_load_u16 v9, v26
	; wave barrier
	s_wait_loadcnt_dscnt 0x0
	global_inv scope:SCOPE_SE
	ds_store_b64 v10, v[5:6]
	ds_store_b64 v11, v[7:8]
	; wave barrier
	s_wait_loadcnt_dscnt 0x0
	global_inv scope:SCOPE_SE
	ds_load_b128 v[5:8], v25
	s_and_b32 vcc_lo, exec_lo, s2
	s_wait_alu 0xfffe
	s_cbranch_vccnz .LBB264_40
	s_branch .LBB264_66
.LBB264_39:
                                        ; implicit-def: $vgpr7_vgpr8
                                        ; implicit-def: $vgpr9
	s_cbranch_execz .LBB264_66
.LBB264_40:
	s_getpc_b64 s[2:3]
	s_wait_alu 0xfffe
	s_sext_i32_i16 s3, s3
	s_add_co_u32 s2, s2, _ZN7rocprim17ROCPRIM_400000_NS16block_radix_sortIbLj16ELj2ElLj1ELj1ELj0ELNS0_26block_radix_rank_algorithmE1ELNS0_18block_padding_hintE2ELNS0_4arch9wavefront6targetE0EE19radix_bits_per_passE@rel32@lo+12
	s_wait_alu 0xfffe
	s_add_co_ci_u32 s3, s3, _ZN7rocprim17ROCPRIM_400000_NS16block_radix_sortIbLj16ELj2ElLj1ELj1ELj0ELNS0_26block_radix_rank_algorithmE1ELNS0_18block_padding_hintE2ELNS0_4arch9wavefront6targetE0EE19radix_bits_per_passE@rel32@hi+24
	v_mad_i32_i24 v14, 0xffffffe2, v0, v18
	s_load_b32 s3, s[2:3], 0x0
	s_mov_b32 s4, exec_lo
	v_cmp_lt_u32_e32 vcc_lo, 0x7f, v0
	s_delay_alu instid0(VALU_DEP_2)
	v_mad_u32_u24 v13, v0, 14, v14
	v_cmpx_gt_u32_e32 0x80, v0
	s_cbranch_execz .LBB264_49
; %bb.41:
	s_wait_dscnt 0x0
	s_delay_alu instid0(VALU_DEP_2)
	v_mad_i32_i24 v5, v0, -12, v13
	v_mov_b32_e32 v6, 0
	v_cmp_gt_u32_e64 s2, 0x70, v0
	ds_store_b32 v5, v6
	s_and_b32 exec_lo, exec_lo, s2
	s_cbranch_execz .LBB264_49
; %bb.42:
	v_mul_i32_i24_e32 v5, -12, v0
	v_cmp_gt_u32_e64 s2, 0x60, v0
	s_delay_alu instid0(VALU_DEP_2)
	v_add_nc_u32_e32 v5, v13, v5
	ds_store_b32 v5, v6 offset:64
	s_and_b32 exec_lo, exec_lo, s2
	s_cbranch_execz .LBB264_49
; %bb.43:
	v_mov_b32_e32 v6, 0
	v_cmp_gt_u32_e64 s2, 0x50, v0
	ds_store_b32 v5, v6 offset:128
	s_and_b32 exec_lo, exec_lo, s2
	s_cbranch_execz .LBB264_49
; %bb.44:
	v_cmp_gt_u32_e64 s2, 64, v0
	ds_store_b32 v5, v6 offset:192
	s_and_b32 exec_lo, exec_lo, s2
	s_cbranch_execz .LBB264_49
; %bb.45:
	v_mov_b32_e32 v6, 0
	v_cmp_gt_u32_e64 s2, 48, v0
	ds_store_b32 v5, v6 offset:256
	s_and_b32 exec_lo, exec_lo, s2
	s_cbranch_execz .LBB264_49
; %bb.46:
	v_cmp_gt_u32_e64 s2, 32, v0
	ds_store_b32 v5, v6 offset:320
	s_and_b32 exec_lo, exec_lo, s2
	s_cbranch_execz .LBB264_49
; %bb.47:
	v_mov_b32_e32 v6, 0
	v_cmp_gt_u32_e64 s2, 16, v0
	ds_store_b32 v5, v6 offset:384
	s_and_b32 exec_lo, exec_lo, s2
; %bb.48:
	ds_store_b32 v5, v6 offset:448
.LBB264_49:
	s_wait_alu 0xfffe
	s_or_b32 exec_lo, exec_lo, s4
	s_wait_kmcnt 0x0
	s_min_u32 s2, s3, 8
	s_wait_dscnt 0x0
	v_and_b32_e32 v5, 1, v24
	s_wait_alu 0xfffe
	s_lshl_b32 s2, -1, s2
	v_lshlrev_b32_e32 v15, 1, v21
	s_wait_alu 0xfffe
	s_not_b32 s2, s2
	v_cmp_eq_u32_e64 s5, 15, v0
	v_cmp_eq_u32_e64 s7, 1, v5
	s_wait_alu 0xfffe
	s_lshl_b32 s2, s2, 5
	s_wait_alu 0xfffe
	s_and_b32 s2, s2, 32
	s_wait_alu 0xfffe
	v_cndmask_b32_e64 v5, s2, 0, s7
	s_delay_alu instid0(VALU_DEP_1) | instskip(SKIP_4) | instid1(VALU_DEP_1)
	v_lshl_or_b32 v25, v5, 1, v15
	v_and_b32_e32 v5, 1, v19
	ds_load_u16 v24, v25
	v_cmp_eq_u32_e64 s8, 1, v5
	s_wait_alu 0xf1ff
	v_cndmask_b32_e64 v5, s2, 0, s8
	s_delay_alu instid0(VALU_DEP_1)
	v_lshl_or_b32 v19, v5, 1, v15
	s_wait_dscnt 0x0
	v_add_nc_u16 v6, v24, 1
	ds_store_b16 v25, v6
	ds_load_u16 v26, v19
	s_wait_dscnt 0x0
	v_add_nc_u16 v5, v26, 1
	ds_store_b16 v19, v5
	; wave barrier
	s_wait_loadcnt_dscnt 0x0
	global_inv scope:SCOPE_SE
	ds_load_b128 v[9:12], v18
	ds_load_b128 v[5:8], v18 offset:16
	s_wait_dscnt 0x1
	v_add_nc_u32_e32 v16, v10, v9
	s_delay_alu instid0(VALU_DEP_1) | instskip(SKIP_1) | instid1(VALU_DEP_1)
	v_add3_u32 v16, v16, v11, v12
	s_wait_dscnt 0x0
	v_add3_u32 v27, v16, v5, v6
	v_mbcnt_lo_u32_b32 v16, -1, 0
	s_delay_alu instid0(VALU_DEP_2) | instskip(NEXT) | instid1(VALU_DEP_2)
	v_add3_u32 v8, v27, v7, v8
	v_and_b32_e32 v27, 15, v16
	s_delay_alu instid0(VALU_DEP_2) | instskip(NEXT) | instid1(VALU_DEP_2)
	v_mov_b32_dpp v28, v8 row_shr:1 row_mask:0xf bank_mask:0xf
	v_cmp_eq_u32_e64 s2, 0, v27
	v_cmp_lt_u32_e64 s3, 1, v27
	v_cmp_lt_u32_e64 s4, 3, v27
	;; [unrolled: 1-line block ×3, first 2 shown]
	s_wait_alu 0xf1ff
	v_cndmask_b32_e64 v28, v28, 0, s2
	s_delay_alu instid0(VALU_DEP_1) | instskip(NEXT) | instid1(VALU_DEP_1)
	v_add_nc_u32_e32 v8, v28, v8
	v_mov_b32_dpp v28, v8 row_shr:2 row_mask:0xf bank_mask:0xf
	s_delay_alu instid0(VALU_DEP_1) | instskip(NEXT) | instid1(VALU_DEP_1)
	v_cndmask_b32_e64 v28, 0, v28, s3
	v_add_nc_u32_e32 v8, v8, v28
	s_delay_alu instid0(VALU_DEP_1) | instskip(NEXT) | instid1(VALU_DEP_1)
	v_mov_b32_dpp v28, v8 row_shr:4 row_mask:0xf bank_mask:0xf
	v_cndmask_b32_e64 v28, 0, v28, s4
	s_delay_alu instid0(VALU_DEP_1) | instskip(NEXT) | instid1(VALU_DEP_1)
	v_add_nc_u32_e32 v8, v8, v28
	v_mov_b32_dpp v28, v8 row_shr:8 row_mask:0xf bank_mask:0xf
	s_delay_alu instid0(VALU_DEP_1) | instskip(NEXT) | instid1(VALU_DEP_1)
	v_cndmask_b32_e64 v27, 0, v28, s6
	v_add_nc_u32_e32 v8, v8, v27
	s_and_saveexec_b32 s9, s5
; %bb.50:
	v_mov_b32_e32 v27, 0
	ds_store_b32 v27, v8 offset:512
; %bb.51:
	s_wait_alu 0xfffe
	s_or_b32 exec_lo, exec_lo, s9
	v_sub_co_u32 v27, s11, v16, 1
	v_and_b32_e32 v28, 16, v16
	; wave barrier
	s_wait_loadcnt_dscnt 0x0
	global_inv scope:SCOPE_SE
	s_xor_b32 s7, s7, -1
	v_cmp_lt_i32_e64 s9, v27, v28
	s_wait_alu 0xf1ff
	s_delay_alu instid0(VALU_DEP_1) | instskip(NEXT) | instid1(VALU_DEP_1)
	v_cndmask_b32_e64 v16, v27, v16, s9
	v_dual_mov_b32 v27, 0 :: v_dual_lshlrev_b32 v16, 2, v16
	ds_load_b32 v27, v27 offset:512
	ds_bpermute_b32 v8, v16, v8
	s_wait_dscnt 0x0
	v_cndmask_b32_e64 v8, v8, 0, s11
	s_delay_alu instid0(VALU_DEP_1) | instskip(NEXT) | instid1(VALU_DEP_1)
	v_lshl_add_u32 v8, v27, 16, v8
	v_add_nc_u32_e32 v9, v8, v9
	s_delay_alu instid0(VALU_DEP_1) | instskip(NEXT) | instid1(VALU_DEP_1)
	v_add_nc_u32_e32 v10, v9, v10
	v_add_nc_u32_e32 v11, v10, v11
	s_delay_alu instid0(VALU_DEP_1) | instskip(NEXT) | instid1(VALU_DEP_1)
	v_add_nc_u32_e32 v27, v11, v12
	;; [unrolled: 3-line block ×3, first 2 shown]
	v_add_nc_u32_e32 v30, v29, v7
	v_and_b32_e32 v7, 0xffff, v24
	ds_store_b128 v18, v[8:11]
	ds_store_b128 v18, v[27:30] offset:16
	; wave barrier
	s_wait_loadcnt_dscnt 0x0
	global_inv scope:SCOPE_SE
	ds_load_u16 v5, v25
	ds_load_u16 v6, v19
	v_and_b32_e32 v8, 0xffff, v26
	s_wait_alu 0xfffe
	v_cndmask_b32_e64 v9, 0, 1, s7
	s_xor_b32 s7, s8, -1
	s_wait_loadcnt_dscnt 0x0
	s_wait_alu 0xfffe
	v_cndmask_b32_e64 v10, 0, 1, s7
	; wave barrier
	global_inv scope:SCOPE_SE
                                        ; implicit-def: $vgpr24
	v_add_nc_u32_e32 v5, v5, v7
	v_add_nc_u32_e32 v6, v6, v8
	ds_store_b8 v5, v9
	ds_store_b8 v6, v10
	v_lshlrev_b32_e32 v5, 3, v5
	v_lshlrev_b32_e32 v6, 3, v6
	; wave barrier
	s_wait_loadcnt_dscnt 0x0
	global_inv scope:SCOPE_SE
	ds_load_u16 v19, v14
	; wave barrier
	s_wait_loadcnt_dscnt 0x0
	global_inv scope:SCOPE_SE
	ds_store_b64 v5, v[1:2]
	ds_store_b64 v6, v[3:4]
	; wave barrier
	s_wait_loadcnt_dscnt 0x0
	global_inv scope:SCOPE_SE
	ds_load_b128 v[1:4], v13
	; wave barrier
	s_wait_loadcnt_dscnt 0x0
	global_inv scope:SCOPE_SE
	s_and_saveexec_b32 s7, vcc_lo
	s_wait_alu 0xfffe
	s_xor_b32 s7, exec_lo, s7
; %bb.52:
	ds_load_u16 v24, v15
; %bb.53:
	s_wait_alu 0xfffe
	s_and_not1_saveexec_b32 s7, s7
	s_cbranch_execz .LBB264_63
; %bb.54:
	s_wait_dscnt 0x0
	v_dual_mov_b32 v24, 0 :: v_dual_lshlrev_b32 v5, 2, v0
	s_mov_b32 s8, exec_lo
	ds_store_b32 v5, v24
	v_cmpx_gt_u32_e32 0x70, v0
	s_cbranch_execz .LBB264_62
; %bb.55:
	v_mov_b32_e32 v6, 0
	v_cmp_gt_u32_e32 vcc_lo, 0x60, v0
	ds_store_b32 v5, v6 offset:64
	s_and_b32 exec_lo, exec_lo, vcc_lo
	s_cbranch_execz .LBB264_62
; %bb.56:
	v_cmp_gt_u32_e32 vcc_lo, 0x50, v0
	ds_store_b32 v5, v6 offset:128
	s_and_b32 exec_lo, exec_lo, vcc_lo
	s_cbranch_execz .LBB264_62
; %bb.57:
	v_mov_b32_e32 v6, 0
	v_cmp_gt_u32_e32 vcc_lo, 64, v0
	ds_store_b32 v5, v6 offset:192
	s_and_b32 exec_lo, exec_lo, vcc_lo
	s_cbranch_execz .LBB264_62
; %bb.58:
	v_cmp_gt_u32_e32 vcc_lo, 48, v0
	ds_store_b32 v5, v6 offset:256
	s_and_b32 exec_lo, exec_lo, vcc_lo
	;; [unrolled: 11-line block ×3, first 2 shown]
; %bb.61:
	v_mov_b32_e32 v6, 0
	ds_store_b32 v5, v6 offset:448
.LBB264_62:
	s_wait_alu 0xfffe
	s_or_b32 exec_lo, exec_lo, s8
.LBB264_63:
	s_wait_alu 0xfffe
	s_or_b32 exec_lo, exec_lo, s7
	s_wait_dscnt 0x0
	v_add_nc_u16 v5, v24, 2
	ds_store_b16 v15, v5
	; wave barrier
	s_wait_loadcnt_dscnt 0x0
	global_inv scope:SCOPE_SE
	ds_load_b128 v[9:12], v18
	ds_load_b128 v[5:8], v18 offset:16
	s_wait_dscnt 0x1
	v_add_nc_u32_e32 v25, v10, v9
	s_delay_alu instid0(VALU_DEP_1) | instskip(SKIP_1) | instid1(VALU_DEP_1)
	v_add3_u32 v25, v25, v11, v12
	s_wait_dscnt 0x0
	v_add3_u32 v25, v25, v5, v6
	s_delay_alu instid0(VALU_DEP_1) | instskip(NEXT) | instid1(VALU_DEP_1)
	v_add3_u32 v8, v25, v7, v8
	v_mov_b32_dpp v25, v8 row_shr:1 row_mask:0xf bank_mask:0xf
	s_delay_alu instid0(VALU_DEP_1) | instskip(NEXT) | instid1(VALU_DEP_1)
	v_cndmask_b32_e64 v25, v25, 0, s2
	v_add_nc_u32_e32 v8, v25, v8
	s_delay_alu instid0(VALU_DEP_1) | instskip(NEXT) | instid1(VALU_DEP_1)
	v_mov_b32_dpp v25, v8 row_shr:2 row_mask:0xf bank_mask:0xf
	v_cndmask_b32_e64 v25, 0, v25, s3
	s_delay_alu instid0(VALU_DEP_1) | instskip(NEXT) | instid1(VALU_DEP_1)
	v_add_nc_u32_e32 v8, v8, v25
	v_mov_b32_dpp v25, v8 row_shr:4 row_mask:0xf bank_mask:0xf
	s_delay_alu instid0(VALU_DEP_1) | instskip(NEXT) | instid1(VALU_DEP_1)
	v_cndmask_b32_e64 v25, 0, v25, s4
	v_add_nc_u32_e32 v8, v8, v25
	s_delay_alu instid0(VALU_DEP_1) | instskip(NEXT) | instid1(VALU_DEP_1)
	v_mov_b32_dpp v25, v8 row_shr:8 row_mask:0xf bank_mask:0xf
	v_cndmask_b32_e64 v25, 0, v25, s6
	s_delay_alu instid0(VALU_DEP_1)
	v_add_nc_u32_e32 v8, v8, v25
	s_and_saveexec_b32 s2, s5
; %bb.64:
	v_mov_b32_e32 v25, 0
	ds_store_b32 v25, v8 offset:512
; %bb.65:
	s_wait_alu 0xfffe
	s_or_b32 exec_lo, exec_lo, s2
	ds_bpermute_b32 v8, v16, v8
	v_mov_b32_e32 v16, 0
	; wave barrier
	s_wait_loadcnt_dscnt 0x0
	global_inv scope:SCOPE_SE
	ds_load_b32 v16, v16 offset:512
	v_cndmask_b32_e64 v8, v8, 0, s11
	s_wait_dscnt 0x0
	s_delay_alu instid0(VALU_DEP_1) | instskip(NEXT) | instid1(VALU_DEP_1)
	v_lshl_add_u32 v8, v16, 16, v8
	v_add_nc_u32_e32 v9, v8, v9
	s_delay_alu instid0(VALU_DEP_1) | instskip(NEXT) | instid1(VALU_DEP_1)
	v_add_nc_u32_e32 v10, v9, v10
	v_add_nc_u32_e32 v11, v10, v11
	s_delay_alu instid0(VALU_DEP_1) | instskip(NEXT) | instid1(VALU_DEP_1)
	v_add_nc_u32_e32 v25, v11, v12
	v_add_nc_u32_e32 v26, v25, v5
	s_delay_alu instid0(VALU_DEP_1) | instskip(SKIP_1) | instid1(VALU_DEP_2)
	v_add_nc_u32_e32 v27, v26, v6
	v_add_nc_u16 v6, v24, 1
	v_add_nc_u32_e32 v28, v27, v7
	v_and_b32_e32 v7, 0xffff, v24
	s_delay_alu instid0(VALU_DEP_3)
	v_and_b32_e32 v6, 0xffff, v6
	ds_store_b128 v18, v[8:11]
	ds_store_b128 v18, v[25:28] offset:16
	; wave barrier
	s_wait_loadcnt_dscnt 0x0
	global_inv scope:SCOPE_SE
	ds_load_u16 v5, v15
	v_lshrrev_b16 v8, 8, v19
	; wave barrier
	s_wait_loadcnt_dscnt 0x0
	global_inv scope:SCOPE_SE
	v_add_nc_u32_e32 v7, v5, v7
	v_add_nc_u32_e32 v5, v5, v6
	ds_store_b8 v7, v19
	ds_store_b8 v5, v8
	; wave barrier
	s_wait_loadcnt_dscnt 0x0
	global_inv scope:SCOPE_SE
	ds_load_u16 v9, v14
	v_lshlrev_b32_e32 v6, 3, v7
	v_lshlrev_b32_e32 v5, 3, v5
	; wave barrier
	s_wait_loadcnt_dscnt 0x0
	global_inv scope:SCOPE_SE
	ds_store_b64 v6, v[1:2]
	ds_store_b64 v5, v[3:4]
	; wave barrier
	s_wait_loadcnt_dscnt 0x0
	global_inv scope:SCOPE_SE
	ds_load_b128 v[5:8], v13
	v_and_b32_e32 v1, 0xffffff00, v9
	v_xor_b32_e32 v2, 1, v9
	s_delay_alu instid0(VALU_DEP_2) | instskip(NEXT) | instid1(VALU_DEP_2)
	v_xor_b32_e32 v1, 0x100, v1
	v_and_b32_e32 v2, 0xff, v2
	s_delay_alu instid0(VALU_DEP_1) | instskip(NEXT) | instid1(VALU_DEP_1)
	v_or_b32_e32 v1, v2, v1
	v_and_b32_e32 v9, 0xffff, v1
.LBB264_66:
	; wave barrier
	s_wait_loadcnt_dscnt 0x0
	global_inv scope:SCOPE_SE
	ds_store_b16 v21, v9
	; wave barrier
	s_wait_loadcnt_dscnt 0x0
	global_inv scope:SCOPE_SE
	ds_load_u8 v3, v0 offset:16
	v_add_co_u32 v1, s2, s14, v20
	s_wait_alu 0xf1ff
	v_add_co_ci_u32_e64 v2, null, s15, 0, s2
	s_and_saveexec_b32 s2, s0
	s_cbranch_execz .LBB264_68
; %bb.67:
	ds_load_u8 v0, v0
	s_wait_dscnt 0x0
	global_store_b8 v[1:2], v0, off
.LBB264_68:
	s_wait_alu 0xfffe
	s_or_b32 exec_lo, exec_lo, s2
	s_and_saveexec_b32 s2, s1
	s_cbranch_execz .LBB264_70
; %bb.69:
	s_lshl_b32 s3, s10, 4
	s_wait_alu 0xfffe
	v_add_co_u32 v0, vcc_lo, v1, s3
	s_wait_alu 0xfffd
	v_add_co_ci_u32_e64 v1, null, 0, v2, vcc_lo
	s_wait_dscnt 0x0
	global_store_b8 v[0:1], v3, off
.LBB264_70:
	s_wait_alu 0xfffe
	s_or_b32 exec_lo, exec_lo, s2
	s_wait_storecnt 0x0
	; wave barrier
	s_wait_loadcnt_dscnt 0x0
	global_inv scope:SCOPE_SE
	ds_store_2addr_b64 v23, v[5:6], v[7:8] offset1:1
	; wave barrier
	s_wait_loadcnt_dscnt 0x0
	global_inv scope:SCOPE_SE
	ds_load_b64 v[0:1], v22 offset:128
	v_mov_b32_e32 v18, 0
	s_delay_alu instid0(VALU_DEP_1) | instskip(NEXT) | instid1(VALU_DEP_1)
	v_lshlrev_b64_e32 v[2:3], 3, v[17:18]
	v_add_co_u32 v2, vcc_lo, s16, v2
	s_wait_alu 0xfffd
	s_delay_alu instid0(VALU_DEP_2)
	v_add_co_ci_u32_e64 v3, null, s17, v3, vcc_lo
	s_and_saveexec_b32 s2, s0
	s_cbranch_execz .LBB264_72
; %bb.71:
	ds_load_b64 v[4:5], v22
	s_wait_dscnt 0x0
	global_store_b64 v[2:3], v[4:5], off
.LBB264_72:
	s_wait_alu 0xfffe
	s_or_b32 exec_lo, exec_lo, s2
	s_and_saveexec_b32 s0, s1
	s_cbranch_execz .LBB264_74
; %bb.73:
	s_lshl_b32 s0, s12, 4
	s_mov_b32 s1, 0
	s_delay_alu instid0(SALU_CYCLE_1) | instskip(NEXT) | instid1(SALU_CYCLE_1)
	s_lshl_b64 s[0:1], s[0:1], 3
	v_add_co_u32 v2, vcc_lo, v2, s0
	s_wait_alu 0xfffd
	v_add_co_ci_u32_e64 v3, null, s1, v3, vcc_lo
	s_wait_dscnt 0x0
	global_store_b64 v[2:3], v[0:1], off
.LBB264_74:
	s_endpgm
	.section	.rodata,"a",@progbits
	.p2align	6, 0x0
	.amdhsa_kernel _ZN2at6native18radixSortKVInPlaceILin2ELin1ELi16ELi2EbljEEvNS_4cuda6detail10TensorInfoIT3_T5_EES6_S6_S6_NS4_IT4_S6_EES6_b
		.amdhsa_group_segment_fixed_size 528
		.amdhsa_private_segment_fixed_size 0
		.amdhsa_kernarg_size 712
		.amdhsa_user_sgpr_count 2
		.amdhsa_user_sgpr_dispatch_ptr 0
		.amdhsa_user_sgpr_queue_ptr 0
		.amdhsa_user_sgpr_kernarg_segment_ptr 1
		.amdhsa_user_sgpr_dispatch_id 0
		.amdhsa_user_sgpr_private_segment_size 0
		.amdhsa_wavefront_size32 1
		.amdhsa_uses_dynamic_stack 0
		.amdhsa_enable_private_segment 0
		.amdhsa_system_sgpr_workgroup_id_x 1
		.amdhsa_system_sgpr_workgroup_id_y 1
		.amdhsa_system_sgpr_workgroup_id_z 1
		.amdhsa_system_sgpr_workgroup_info 0
		.amdhsa_system_vgpr_workitem_id 0
		.amdhsa_next_free_vgpr 35
		.amdhsa_next_free_sgpr 18
		.amdhsa_reserve_vcc 1
		.amdhsa_float_round_mode_32 0
		.amdhsa_float_round_mode_16_64 0
		.amdhsa_float_denorm_mode_32 3
		.amdhsa_float_denorm_mode_16_64 3
		.amdhsa_fp16_overflow 0
		.amdhsa_workgroup_processor_mode 1
		.amdhsa_memory_ordered 1
		.amdhsa_forward_progress 1
		.amdhsa_inst_pref_size 40
		.amdhsa_round_robin_scheduling 0
		.amdhsa_exception_fp_ieee_invalid_op 0
		.amdhsa_exception_fp_denorm_src 0
		.amdhsa_exception_fp_ieee_div_zero 0
		.amdhsa_exception_fp_ieee_overflow 0
		.amdhsa_exception_fp_ieee_underflow 0
		.amdhsa_exception_fp_ieee_inexact 0
		.amdhsa_exception_int_div_zero 0
	.end_amdhsa_kernel
	.section	.text._ZN2at6native18radixSortKVInPlaceILin2ELin1ELi16ELi2EbljEEvNS_4cuda6detail10TensorInfoIT3_T5_EES6_S6_S6_NS4_IT4_S6_EES6_b,"axG",@progbits,_ZN2at6native18radixSortKVInPlaceILin2ELin1ELi16ELi2EbljEEvNS_4cuda6detail10TensorInfoIT3_T5_EES6_S6_S6_NS4_IT4_S6_EES6_b,comdat
.Lfunc_end264:
	.size	_ZN2at6native18radixSortKVInPlaceILin2ELin1ELi16ELi2EbljEEvNS_4cuda6detail10TensorInfoIT3_T5_EES6_S6_S6_NS4_IT4_S6_EES6_b, .Lfunc_end264-_ZN2at6native18radixSortKVInPlaceILin2ELin1ELi16ELi2EbljEEvNS_4cuda6detail10TensorInfoIT3_T5_EES6_S6_S6_NS4_IT4_S6_EES6_b
                                        ; -- End function
	.set _ZN2at6native18radixSortKVInPlaceILin2ELin1ELi16ELi2EbljEEvNS_4cuda6detail10TensorInfoIT3_T5_EES6_S6_S6_NS4_IT4_S6_EES6_b.num_vgpr, 35
	.set _ZN2at6native18radixSortKVInPlaceILin2ELin1ELi16ELi2EbljEEvNS_4cuda6detail10TensorInfoIT3_T5_EES6_S6_S6_NS4_IT4_S6_EES6_b.num_agpr, 0
	.set _ZN2at6native18radixSortKVInPlaceILin2ELin1ELi16ELi2EbljEEvNS_4cuda6detail10TensorInfoIT3_T5_EES6_S6_S6_NS4_IT4_S6_EES6_b.numbered_sgpr, 18
	.set _ZN2at6native18radixSortKVInPlaceILin2ELin1ELi16ELi2EbljEEvNS_4cuda6detail10TensorInfoIT3_T5_EES6_S6_S6_NS4_IT4_S6_EES6_b.num_named_barrier, 0
	.set _ZN2at6native18radixSortKVInPlaceILin2ELin1ELi16ELi2EbljEEvNS_4cuda6detail10TensorInfoIT3_T5_EES6_S6_S6_NS4_IT4_S6_EES6_b.private_seg_size, 0
	.set _ZN2at6native18radixSortKVInPlaceILin2ELin1ELi16ELi2EbljEEvNS_4cuda6detail10TensorInfoIT3_T5_EES6_S6_S6_NS4_IT4_S6_EES6_b.uses_vcc, 1
	.set _ZN2at6native18radixSortKVInPlaceILin2ELin1ELi16ELi2EbljEEvNS_4cuda6detail10TensorInfoIT3_T5_EES6_S6_S6_NS4_IT4_S6_EES6_b.uses_flat_scratch, 0
	.set _ZN2at6native18radixSortKVInPlaceILin2ELin1ELi16ELi2EbljEEvNS_4cuda6detail10TensorInfoIT3_T5_EES6_S6_S6_NS4_IT4_S6_EES6_b.has_dyn_sized_stack, 0
	.set _ZN2at6native18radixSortKVInPlaceILin2ELin1ELi16ELi2EbljEEvNS_4cuda6detail10TensorInfoIT3_T5_EES6_S6_S6_NS4_IT4_S6_EES6_b.has_recursion, 0
	.set _ZN2at6native18radixSortKVInPlaceILin2ELin1ELi16ELi2EbljEEvNS_4cuda6detail10TensorInfoIT3_T5_EES6_S6_S6_NS4_IT4_S6_EES6_b.has_indirect_call, 0
	.section	.AMDGPU.csdata,"",@progbits
; Kernel info:
; codeLenInByte = 5064
; TotalNumSgprs: 20
; NumVgprs: 35
; ScratchSize: 0
; MemoryBound: 0
; FloatMode: 240
; IeeeMode: 1
; LDSByteSize: 528 bytes/workgroup (compile time only)
; SGPRBlocks: 0
; VGPRBlocks: 4
; NumSGPRsForWavesPerEU: 20
; NumVGPRsForWavesPerEU: 35
; Occupancy: 16
; WaveLimiterHint : 1
; COMPUTE_PGM_RSRC2:SCRATCH_EN: 0
; COMPUTE_PGM_RSRC2:USER_SGPR: 2
; COMPUTE_PGM_RSRC2:TRAP_HANDLER: 0
; COMPUTE_PGM_RSRC2:TGID_X_EN: 1
; COMPUTE_PGM_RSRC2:TGID_Y_EN: 1
; COMPUTE_PGM_RSRC2:TGID_Z_EN: 1
; COMPUTE_PGM_RSRC2:TIDIG_COMP_CNT: 0
	.section	.text._ZN2at6native18radixSortKVInPlaceILi2ELin1ELi512ELi8EbljEEvNS_4cuda6detail10TensorInfoIT3_T5_EES6_S6_S6_NS4_IT4_S6_EES6_b,"axG",@progbits,_ZN2at6native18radixSortKVInPlaceILi2ELin1ELi512ELi8EbljEEvNS_4cuda6detail10TensorInfoIT3_T5_EES6_S6_S6_NS4_IT4_S6_EES6_b,comdat
	.protected	_ZN2at6native18radixSortKVInPlaceILi2ELin1ELi512ELi8EbljEEvNS_4cuda6detail10TensorInfoIT3_T5_EES6_S6_S6_NS4_IT4_S6_EES6_b ; -- Begin function _ZN2at6native18radixSortKVInPlaceILi2ELin1ELi512ELi8EbljEEvNS_4cuda6detail10TensorInfoIT3_T5_EES6_S6_S6_NS4_IT4_S6_EES6_b
	.globl	_ZN2at6native18radixSortKVInPlaceILi2ELin1ELi512ELi8EbljEEvNS_4cuda6detail10TensorInfoIT3_T5_EES6_S6_S6_NS4_IT4_S6_EES6_b
	.p2align	8
	.type	_ZN2at6native18radixSortKVInPlaceILi2ELin1ELi512ELi8EbljEEvNS_4cuda6detail10TensorInfoIT3_T5_EES6_S6_S6_NS4_IT4_S6_EES6_b,@function
_ZN2at6native18radixSortKVInPlaceILi2ELin1ELi512ELi8EbljEEvNS_4cuda6detail10TensorInfoIT3_T5_EES6_S6_S6_NS4_IT4_S6_EES6_b: ; @_ZN2at6native18radixSortKVInPlaceILi2ELin1ELi512ELi8EbljEEvNS_4cuda6detail10TensorInfoIT3_T5_EES6_S6_S6_NS4_IT4_S6_EES6_b
; %bb.0:
	s_clause 0x1
	s_load_b64 s[2:3], s[0:1], 0x1c8
	s_load_b96 s[12:14], s[0:1], 0xd8
	s_lshr_b32 s4, ttmp7, 16
	s_wait_kmcnt 0x0
	s_mul_i32 s3, s3, s4
	s_and_b32 s4, ttmp7, 0xffff
	s_delay_alu instid0(SALU_CYCLE_1) | instskip(NEXT) | instid1(SALU_CYCLE_1)
	s_add_co_i32 s3, s3, s4
	s_mul_i32 s2, s3, s2
	s_delay_alu instid0(SALU_CYCLE_1) | instskip(NEXT) | instid1(SALU_CYCLE_1)
	s_add_co_i32 s2, s2, ttmp9
	s_cmp_ge_u32 s2, s12
	s_cbranch_scc1 .LBB265_102
; %bb.1:
	s_clause 0x2
	s_load_b32 s15, s[0:1], 0xc
	s_load_b64 s[4:5], s[0:1], 0x6c
	s_load_b32 s16, s[0:1], 0x1b8
	s_add_nc_u64 s[10:11], s[0:1], 0xe8
	s_mov_b32 s12, s2
	s_wait_kmcnt 0x0
	s_cvt_f32_u32 s3, s15
	s_delay_alu instid0(SALU_CYCLE_3) | instskip(NEXT) | instid1(TRANS32_DEP_1)
	v_rcp_iflag_f32_e32 v1, s3
	v_readfirstlane_b32 s3, v1
	s_mul_f32 s3, s3, 0x4f7ffffe
	s_wait_alu 0xfffe
	s_delay_alu instid0(SALU_CYCLE_2) | instskip(SKIP_2) | instid1(SALU_CYCLE_1)
	s_cvt_u32_f32 s6, s3
	s_sub_co_i32 s3, 0, s15
	s_wait_alu 0xfffe
	s_mul_i32 s7, s3, s6
	s_mov_b32 s3, 0
	s_mul_hi_u32 s8, s6, s7
	s_wait_alu 0xfffe
	s_mov_b32 s7, s3
	s_add_co_i32 s6, s6, s8
	s_cmp_lt_i32 s16, 2
	s_mov_b32 s9, s3
	s_cbranch_scc1 .LBB265_4
; %bb.2:
	s_add_co_i32 s8, s16, -1
	s_mov_b32 s9, 0
	s_mov_b32 s12, s2
	s_lshl_b64 s[18:19], s[8:9], 2
	s_add_co_i32 s8, s16, 1
	s_add_nc_u64 s[18:19], s[10:11], s[18:19]
	s_delay_alu instid0(SALU_CYCLE_1)
	s_add_nc_u64 s[16:17], s[18:19], 8
.LBB265_3:                              ; =>This Inner Loop Header: Depth=1
	s_clause 0x1
	s_load_b32 s18, s[16:17], 0x0
	s_load_b32 s19, s[16:17], 0x64
	s_mov_b32 s22, s12
	s_add_nc_u64 s[16:17], s[16:17], -4
	s_wait_kmcnt 0x0
	s_cvt_f32_u32 s20, s18
	s_sub_co_i32 s21, 0, s18
	s_wait_alu 0xfffe
	s_delay_alu instid0(SALU_CYCLE_1) | instskip(NEXT) | instid1(TRANS32_DEP_1)
	v_rcp_iflag_f32_e32 v1, s20
	v_readfirstlane_b32 s20, v1
	s_mul_f32 s20, s20, 0x4f7ffffe
	s_wait_alu 0xfffe
	s_delay_alu instid0(SALU_CYCLE_2) | instskip(SKIP_1) | instid1(SALU_CYCLE_2)
	s_cvt_u32_f32 s20, s20
	s_wait_alu 0xfffe
	s_mul_i32 s21, s21, s20
	s_wait_alu 0xfffe
	s_mul_hi_u32 s21, s20, s21
	s_wait_alu 0xfffe
	s_add_co_i32 s20, s20, s21
	s_wait_alu 0xfffe
	s_mul_hi_u32 s12, s12, s20
	s_delay_alu instid0(SALU_CYCLE_1)
	s_mul_i32 s20, s12, s18
	s_add_co_i32 s21, s12, 1
	s_wait_alu 0xfffe
	s_sub_co_i32 s20, s22, s20
	s_wait_alu 0xfffe
	s_sub_co_i32 s23, s20, s18
	s_cmp_ge_u32 s20, s18
	s_cselect_b32 s12, s21, s12
	s_cselect_b32 s20, s23, s20
	s_add_co_i32 s21, s12, 1
	s_wait_alu 0xfffe
	s_cmp_ge_u32 s20, s18
	s_cselect_b32 s12, s21, s12
	s_add_co_i32 s8, s8, -1
	s_mul_i32 s18, s12, s18
	s_delay_alu instid0(SALU_CYCLE_1) | instskip(NEXT) | instid1(SALU_CYCLE_1)
	s_sub_co_i32 s18, s22, s18
	s_mul_i32 s18, s19, s18
	s_delay_alu instid0(SALU_CYCLE_1)
	s_add_co_i32 s9, s18, s9
	s_cmp_gt_u32 s8, 2
	s_cbranch_scc1 .LBB265_3
.LBB265_4:
	s_mul_u64 s[6:7], s[2:3], s[6:7]
	s_clause 0x1
	s_load_b64 s[18:19], s[0:1], 0x0
	s_load_b64 s[16:17], s[0:1], 0x1c0
	s_mul_i32 s3, s7, s15
	s_add_nc_u64 s[20:21], s[0:1], 0x1c8
	s_wait_alu 0xfffe
	s_sub_co_i32 s0, s2, s3
	s_add_co_i32 s1, s7, 1
	s_sub_co_i32 s3, s0, s15
	s_cmp_ge_u32 s0, s15
	v_and_b32_e32 v44, 0x3ff, v0
	s_cselect_b32 s1, s1, s7
	s_wait_alu 0xfffe
	s_cselect_b32 s0, s3, s0
	s_add_co_i32 s3, s1, 1
	s_cmp_ge_u32 s0, s15
	v_mul_lo_u32 v47, s14, v44
	s_wait_alu 0xfffe
	s_cselect_b32 s0, s3, s1
	s_mov_b32 s3, 0
	s_mul_i32 s1, s0, s15
	s_mul_i32 s0, s0, s4
	s_sub_co_i32 s1, s2, s1
	s_delay_alu instid0(SALU_CYCLE_1) | instskip(NEXT) | instid1(SALU_CYCLE_1)
	s_mul_i32 s1, s1, s5
	s_add_co_i32 s2, s0, s1
	s_wait_kmcnt 0x0
	s_bitcmp1_b32 s17, 0
	s_wait_alu 0xfffe
	s_add_nc_u64 s[18:19], s[18:19], s[2:3]
	s_cselect_b32 s0, -1, 0
	s_delay_alu instid0(SALU_CYCLE_1) | instskip(SKIP_3) | instid1(VALU_DEP_2)
	s_xor_b32 s8, s0, -1
	v_cmp_gt_u32_e64 s0, s13, v44
	v_cndmask_b32_e64 v1, 0, 1, s8
	v_cndmask_b32_e64 v3, 0, 1, s8
	v_lshlrev_b32_e32 v2, 8, v1
	s_delay_alu instid0(VALU_DEP_1) | instskip(NEXT) | instid1(VALU_DEP_1)
	v_or_b32_e32 v1, v1, v2
	v_and_b32_e32 v2, 0x101, v1
	v_lshlrev_b32_e32 v1, 16, v1
	s_delay_alu instid0(VALU_DEP_1) | instskip(NEXT) | instid1(VALU_DEP_1)
	v_or_b32_e32 v1, v2, v1
	v_mov_b32_e32 v2, v1
	s_and_saveexec_b32 s1, s0
	s_cbranch_execz .LBB265_6
; %bb.5:
	global_load_u8 v3, v47, s[18:19]
	v_mov_b32_e32 v5, v1
	s_wait_loadcnt 0x0
	v_perm_b32 v4, v3, v1, 0x3020104
	s_delay_alu instid0(VALU_DEP_1)
	v_dual_mov_b32 v1, v4 :: v_dual_mov_b32 v2, v5
.LBB265_6:
	s_or_b32 exec_lo, exec_lo, s1
	v_add_nc_u32_e32 v28, 0x200, v44
	s_delay_alu instid0(VALU_DEP_1)
	v_cmp_gt_u32_e64 s1, s13, v28
	s_and_saveexec_b32 s2, s1
	s_cbranch_execz .LBB265_8
; %bb.7:
	v_mul_lo_u32 v4, s14, v28
	global_load_u8 v4, v4, s[18:19]
	s_wait_loadcnt 0x0
	v_perm_b32 v1, v1, v4, 0x7060004
.LBB265_8:
	s_wait_alu 0xfffe
	s_or_b32 exec_lo, exec_lo, s2
	v_or_b32_e32 v24, 0x400, v44
	s_delay_alu instid0(VALU_DEP_1)
	v_cmp_gt_u32_e64 s2, s13, v24
	s_and_saveexec_b32 s3, s2
	s_cbranch_execz .LBB265_10
; %bb.9:
	v_mul_lo_u32 v4, s14, v24
	global_load_u8 v4, v4, s[18:19]
	s_wait_loadcnt 0x0
	v_perm_b32 v4, v4, v1, 0xc0c0304
	s_delay_alu instid0(VALU_DEP_1) | instskip(NEXT) | instid1(VALU_DEP_1)
	v_lshlrev_b32_e32 v4, 16, v4
	v_and_or_b32 v1, 0xffff, v1, v4
.LBB265_10:
	s_wait_alu 0xfffe
	s_or_b32 exec_lo, exec_lo, s3
	v_add_nc_u32_e32 v21, 0x600, v44
	s_delay_alu instid0(VALU_DEP_1)
	v_cmp_gt_u32_e64 s3, s13, v21
	s_and_saveexec_b32 s4, s3
	s_cbranch_execz .LBB265_12
; %bb.11:
	v_mul_lo_u32 v4, s14, v21
	global_load_u8 v4, v4, s[18:19]
	s_wait_loadcnt 0x0
	v_perm_b32 v4, v1, v4, 0xc0c0006
	s_delay_alu instid0(VALU_DEP_1) | instskip(NEXT) | instid1(VALU_DEP_1)
	v_lshlrev_b32_e32 v4, 16, v4
	v_and_or_b32 v1, 0xffff, v1, v4
.LBB265_12:
	s_or_b32 exec_lo, exec_lo, s4
	v_or_b32_e32 v19, 0x800, v44
	s_delay_alu instid0(VALU_DEP_1)
	v_cmp_gt_u32_e64 s4, s13, v19
	s_and_saveexec_b32 s5, s4
	s_cbranch_execz .LBB265_14
; %bb.13:
	v_mul_lo_u32 v4, s14, v19
	global_load_u8 v4, v4, s[18:19]
	s_wait_loadcnt 0x0
	v_perm_b32 v2, v4, v2, 0x3020104
.LBB265_14:
	s_or_b32 exec_lo, exec_lo, s5
	v_add_nc_u32_e32 v17, 0xa00, v44
	s_delay_alu instid0(VALU_DEP_1)
	v_cmp_gt_u32_e64 s5, s13, v17
	s_and_saveexec_b32 s6, s5
	s_cbranch_execz .LBB265_16
; %bb.15:
	v_mul_lo_u32 v4, s14, v17
	global_load_u8 v4, v4, s[18:19]
	s_wait_loadcnt 0x0
	v_perm_b32 v2, v2, v4, 0x7060004
.LBB265_16:
	s_or_b32 exec_lo, exec_lo, s6
	v_or_b32_e32 v16, 0xc00, v44
	s_delay_alu instid0(VALU_DEP_1)
	v_cmp_gt_u32_e64 s6, s13, v16
	s_and_saveexec_b32 s7, s6
	s_cbranch_execz .LBB265_18
; %bb.17:
	v_mul_lo_u32 v4, s14, v16
	global_load_u8 v4, v4, s[18:19]
	s_wait_loadcnt 0x0
	v_perm_b32 v2, v2, v4, 0x7000504
.LBB265_18:
	s_or_b32 exec_lo, exec_lo, s7
	s_clause 0x1
	s_load_b32 s15, s[10:11], 0x6c
	s_load_b64 s[10:11], s[10:11], 0x0
	v_add_nc_u32_e32 v15, 0xe00, v44
	s_delay_alu instid0(VALU_DEP_1)
	v_cmp_gt_u32_e64 s7, s13, v15
	s_and_saveexec_b32 s13, s7
	s_cbranch_execz .LBB265_20
; %bb.19:
	v_mul_lo_u32 v4, s14, v15
	global_load_u8 v4, v4, s[18:19]
	s_wait_loadcnt 0x0
	v_perm_b32 v2, v2, v4, 0x60504
.LBB265_20:
	s_wait_alu 0xfffe
	s_or_b32 exec_lo, exec_lo, s13
	v_lshrrev_b32_e32 v65, 5, v44
	v_lshrrev_b32_e32 v18, 5, v28
	;; [unrolled: 1-line block ×5, first 2 shown]
	s_delay_alu instid0(VALU_DEP_4) | instskip(SKIP_4) | instid1(VALU_DEP_4)
	v_dual_mov_b32 v42, 0 :: v_dual_and_b32 v5, 60, v18
	v_and_b32_e32 v4, 28, v65
	v_and_b32_e32 v7, 0x5c, v23
	v_lshrrev_b32_e32 v22, 5, v21
	v_lshrrev_b32_e32 v29, 2, v44
	v_dual_mov_b32 v43, v42 :: v_dual_add_nc_u32 v48, v4, v44
	v_dual_mov_b32 v11, v42 :: v_dual_and_b32 v4, 60, v20
	v_mov_b32_e32 v12, v42
	v_add_nc_u32_e32 v52, v7, v44
	v_and_b32_e32 v7, 0x7c, v26
	s_delay_alu instid0(VALU_DEP_4)
	v_add_nc_u32_e32 v50, v4, v44
	v_and_b32_e32 v4, 0x7c, v22
	v_lshrrev_b32_e32 v25, 5, v17
	v_lshrrev_b32_e32 v27, 5, v15
	v_dual_mov_b32 v13, 0 :: v_dual_add_nc_u32 v54, v7, v44
	v_lshlrev_b32_e32 v61, 3, v44
	v_and_b32_e32 v7, 0xfc, v29
	v_add_nc_u32_e32 v51, v4, v44
	v_and_b32_e32 v4, 0x7c, v25
	v_and_b32_e32 v9, 0xfc, v27
	v_lshrrev_b32_e32 v6, 8, v1
	v_add_nc_u32_e32 v56, v7, v61
	v_dual_mov_b32 v10, v42 :: v_dual_add_nc_u32 v49, v5, v44
	v_lshrrev_b32_e32 v5, 24, v1
	v_lshrrev_b32_e32 v8, 8, v2
	v_dual_mov_b32 v14, 0 :: v_dual_add_nc_u32 v53, v4, v44
	v_lshrrev_b32_e32 v4, 24, v2
	v_add_nc_u32_e32 v55, v9, v44
	v_mov_b32_e32 v9, v42
	v_mov_b32_e32 v7, v42
	ds_store_b8 v48, v3
	ds_store_b8 v49, v6 offset:512
	ds_store_b8_d16_hi v50, v1 offset:1024
	ds_store_b8 v51, v5 offset:1536
	ds_store_b8 v52, v2 offset:2048
	;; [unrolled: 1-line block ×3, first 2 shown]
	ds_store_b8_d16_hi v54, v2 offset:3072
	ds_store_b8 v55, v4 offset:3584
	s_wait_dscnt 0x0
	s_barrier_signal -1
	s_barrier_wait -1
	global_inv scope:SCOPE_SE
	ds_load_2addr_b32 v[45:46], v56 offset1:1
	s_wait_kmcnt 0x0
	s_mul_i32 s12, s15, s12
	v_mul_lo_u32 v41, s16, v44
	s_mov_b32 s13, 0
	s_wait_alu 0xfffe
	s_add_co_i32 s12, s12, s9
	v_dual_mov_b32 v1, v42 :: v_dual_mov_b32 v2, v42
	v_dual_mov_b32 v3, v42 :: v_dual_mov_b32 v4, v42
	;; [unrolled: 1-line block ×3, first 2 shown]
	v_mov_b32_e32 v8, v42
	s_wait_alu 0xfffe
	s_lshl_b64 s[12:13], s[12:13], 3
	s_wait_loadcnt_dscnt 0x0
	s_wait_alu 0xfffe
	s_add_nc_u64 s[12:13], s[10:11], s[12:13]
	s_barrier_signal -1
	s_barrier_wait -1
	global_inv scope:SCOPE_SE
	s_and_saveexec_b32 s9, s0
	s_cbranch_execnz .LBB265_53
; %bb.21:
	s_wait_alu 0xfffe
	s_or_b32 exec_lo, exec_lo, s9
	s_and_saveexec_b32 s9, s1
	s_cbranch_execnz .LBB265_54
.LBB265_22:
	s_wait_alu 0xfffe
	s_or_b32 exec_lo, exec_lo, s9
	s_and_saveexec_b32 s9, s2
	s_cbranch_execnz .LBB265_55
.LBB265_23:
	s_wait_alu 0xfffe
	s_or_b32 exec_lo, exec_lo, s9
	s_and_saveexec_b32 s9, s3
	s_cbranch_execnz .LBB265_56
.LBB265_24:
	s_wait_alu 0xfffe
	s_or_b32 exec_lo, exec_lo, s9
	s_and_saveexec_b32 s9, s4
	s_cbranch_execnz .LBB265_57
.LBB265_25:
	s_wait_alu 0xfffe
	s_or_b32 exec_lo, exec_lo, s9
	s_and_saveexec_b32 s9, s5
	s_cbranch_execnz .LBB265_58
.LBB265_26:
	s_wait_alu 0xfffe
	s_or_b32 exec_lo, exec_lo, s9
	s_and_saveexec_b32 s9, s6
	s_cbranch_execnz .LBB265_59
.LBB265_27:
	s_wait_alu 0xfffe
	s_or_b32 exec_lo, exec_lo, s9
	s_and_saveexec_b32 s9, s7
	s_cbranch_execz .LBB265_29
.LBB265_28:
	v_mul_lo_u32 v7, s16, v15
	v_mov_b32_e32 v8, 0
	s_delay_alu instid0(VALU_DEP_1) | instskip(NEXT) | instid1(VALU_DEP_1)
	v_lshlrev_b64_e32 v[7:8], 3, v[7:8]
	v_add_co_u32 v7, vcc_lo, s12, v7
	s_wait_alu 0xfffd
	s_delay_alu instid0(VALU_DEP_2)
	v_add_co_ci_u32_e64 v8, null, s13, v8, vcc_lo
	global_load_b64 v[7:8], v[7:8], off
.LBB265_29:
	s_wait_alu 0xfffe
	s_or_b32 exec_lo, exec_lo, s9
	v_lshl_add_u32 v57, v65, 3, v61
	v_lshl_add_u32 v58, v18, 3, v61
	;; [unrolled: 1-line block ×5, first 2 shown]
	s_wait_loadcnt 0x0
	ds_store_b64 v57, v[13:14]
	ds_store_b64 v58, v[42:43] offset:4096
	ds_store_b64 v59, v[9:10] offset:8192
	;; [unrolled: 1-line block ×3, first 2 shown]
	v_lshlrev_b32_e32 v9, 3, v61
	v_lshl_add_u32 v42, v23, 3, v61
	v_lshl_add_u32 v43, v25, 3, v61
	;; [unrolled: 1-line block ×3, first 2 shown]
	ds_store_b64 v42, v[1:2] offset:16384
	ds_store_b64 v43, v[3:4] offset:20480
	;; [unrolled: 1-line block ×4, first 2 shown]
	v_lshl_add_u32 v64, v29, 3, v9
	s_wait_dscnt 0x0
	s_barrier_signal -1
	s_barrier_wait -1
	global_inv scope:SCOPE_SE
	ds_load_2addr_b64 v[13:16], v64 offset1:1
	ds_load_2addr_b64 v[9:12], v64 offset0:2 offset1:3
	ds_load_2addr_b64 v[5:8], v64 offset0:4 offset1:5
	ds_load_2addr_b64 v[1:4], v64 offset0:6 offset1:7
	v_bfe_u32 v69, v0, 10, 10
	v_bfe_u32 v70, v0, 20, 10
	v_mbcnt_lo_u32_b32 v67, -1, 0
	v_and_b32_e32 v68, 0x3e0, v44
	v_lshlrev_b32_e32 v66, 2, v61
	s_and_b32 vcc_lo, exec_lo, s8
	s_wait_loadcnt_dscnt 0x0
	s_barrier_signal -1
	s_barrier_wait -1
	global_inv scope:SCOPE_SE
	s_wait_alu 0xfffe
	s_cbranch_vccz .LBB265_60
; %bb.30:
	s_getpc_b64 s[8:9]
	s_wait_alu 0xfffe
	s_sext_i32_i16 s9, s9
	s_add_co_u32 s8, s8, _ZN7rocprim17ROCPRIM_400000_NS16block_radix_sortIbLj512ELj8ElLj1ELj1ELj0ELNS0_26block_radix_rank_algorithmE1ELNS0_18block_padding_hintE2ELNS0_4arch9wavefront6targetE0EE19radix_bits_per_passE@rel32@lo+12
	s_wait_alu 0xfffe
	s_add_co_ci_u32 s9, s9, _ZN7rocprim17ROCPRIM_400000_NS16block_radix_sortIbLj512ELj8ElLj1ELj1ELj0ELNS0_26block_radix_rank_algorithmE1ELNS0_18block_padding_hintE2ELNS0_4arch9wavefront6targetE0EE19radix_bits_per_passE@rel32@hi+24
	v_or_b32_e32 v17, v67, v68
	s_load_b32 s8, s[8:9], 0x0
	s_mov_b32 s24, 0
	v_and_or_b32 v19, 0x1f00, v61, v67
	s_mov_b32 s25, s24
	s_mov_b32 s26, s24
	;; [unrolled: 1-line block ×3, first 2 shown]
	v_lshlrev_b32_e32 v18, 3, v17
	ds_store_b64 v18, v[45:46]
	; wave barrier
	ds_load_u8 v0, v19
	ds_load_u8 v71, v19 offset:32
	ds_load_u8 v72, v19 offset:64
	;; [unrolled: 1-line block ×7, first 2 shown]
	v_mad_u32_u24 v17, v17, 56, v18
	v_mad_u32_u24 v18, v19, 7, v19
	s_wait_loadcnt_dscnt 0x0
	s_barrier_signal -1
	s_barrier_wait -1
	global_inv scope:SCOPE_SE
	ds_store_b128 v17, v[13:16]
	ds_store_b128 v17, v[9:12] offset:16
	ds_store_b128 v17, v[5:8] offset:32
	;; [unrolled: 1-line block ×3, first 2 shown]
	; wave barrier
	ds_load_2addr_b64 v[29:32], v18 offset1:32
	ds_load_2addr_b64 v[25:28], v18 offset0:64 offset1:96
	ds_load_2addr_b64 v[21:24], v18 offset0:128 offset1:160
	;; [unrolled: 1-line block ×3, first 2 shown]
	s_wait_loadcnt_dscnt 0x0
	s_barrier_signal -1
	s_barrier_wait -1
	global_inv scope:SCOPE_SE
	s_load_b32 s10, s[20:21], 0xc
	s_wait_kmcnt 0x0
	s_min_u32 s8, s8, 8
	s_wait_alu 0xfffe
	s_lshl_b32 s8, -1, s8
	s_wait_alu 0xfffe
	s_not_b32 s9, s8
	s_wait_alu 0xfffe
	v_and_b32_e32 v33, s9, v0
	s_delay_alu instid0(VALU_DEP_1) | instskip(NEXT) | instid1(VALU_DEP_1)
	v_and_b32_e32 v39, 1, v33
	v_add_co_u32 v35, s11, v39, -1
	s_delay_alu instid0(VALU_DEP_1)
	v_cndmask_b32_e64 v33, 0, 1, s11
	s_lshr_b32 s8, s10, 16
	s_wait_alu 0xfffe
	v_mad_u32_u24 v34, v70, s8, v69
	s_and_b32 s8, s10, 0xffff
	v_cmp_ne_u32_e32 vcc_lo, 0, v33
	s_wait_alu 0xfffe
	s_delay_alu instid0(VALU_DEP_2) | instskip(SKIP_4) | instid1(VALU_DEP_3)
	v_mad_co_u64_u32 v[33:34], null, v34, s8, v[44:45]
	s_wait_alu 0xfffd
	v_xor_b32_e32 v34, vcc_lo, v35
	v_dual_mov_b32 v38, s27 :: v_dual_mov_b32 v35, s24
	v_dual_mov_b32 v37, s26 :: v_dual_mov_b32 v36, s25
	v_and_b32_e32 v34, exec_lo, v34
	v_lshrrev_b32_e32 v33, 3, v33
	ds_store_b128 v66, v[35:38] offset:64
	ds_store_b128 v66, v[35:38] offset:80
	v_mbcnt_lo_u32_b32 v78, v34, 0
	v_lshlrev_b32_e32 v35, 6, v39
	v_and_b32_e32 v33, 0x1ffffffc, v33
	v_cmp_ne_u32_e64 s8, 0, v34
	s_wait_loadcnt_dscnt 0x0
	v_cmp_eq_u32_e32 vcc_lo, 0, v78
	s_barrier_signal -1
	v_add_nc_u32_e32 v81, v33, v35
	s_barrier_wait -1
	global_inv scope:SCOPE_SE
	s_and_b32 s10, s8, vcc_lo
	; wave barrier
	s_wait_alu 0xfffe
	s_and_saveexec_b32 s8, s10
; %bb.31:
	v_bcnt_u32_b32 v34, v34, 0
	ds_store_b32 v81, v34 offset:64
; %bb.32:
	s_wait_alu 0xfffe
	s_or_b32 exec_lo, exec_lo, s8
	v_and_b32_e32 v34, s9, v71
	; wave barrier
	s_delay_alu instid0(VALU_DEP_1) | instskip(NEXT) | instid1(VALU_DEP_1)
	v_and_b32_e32 v34, 0xff, v34
	v_add_co_u32 v35, s8, v34, -1
	s_wait_alu 0xf1ff
	v_cndmask_b32_e64 v36, 0, 1, s8
	v_lshlrev_b32_e32 v34, 6, v34
	s_delay_alu instid0(VALU_DEP_2) | instskip(NEXT) | instid1(VALU_DEP_2)
	v_cmp_ne_u32_e32 vcc_lo, 0, v36
	v_add_nc_u32_e32 v84, v33, v34
	s_wait_alu 0xfffd
	v_xor_b32_e32 v34, vcc_lo, v35
	ds_load_b32 v79, v84 offset:64
	; wave barrier
	v_and_b32_e32 v34, exec_lo, v34
	s_delay_alu instid0(VALU_DEP_1) | instskip(SKIP_1) | instid1(VALU_DEP_2)
	v_mbcnt_lo_u32_b32 v80, v34, 0
	v_cmp_ne_u32_e64 s8, 0, v34
	v_cmp_eq_u32_e32 vcc_lo, 0, v80
	s_and_b32 s10, s8, vcc_lo
	s_wait_alu 0xfffe
	s_and_saveexec_b32 s8, s10
	s_cbranch_execz .LBB265_34
; %bb.33:
	s_wait_dscnt 0x0
	v_bcnt_u32_b32 v34, v34, v79
	ds_store_b32 v84, v34 offset:64
.LBB265_34:
	s_wait_alu 0xfffe
	s_or_b32 exec_lo, exec_lo, s8
	v_and_b32_e32 v34, s9, v72
	; wave barrier
	s_delay_alu instid0(VALU_DEP_1) | instskip(NEXT) | instid1(VALU_DEP_1)
	v_and_b32_e32 v34, 0xff, v34
	v_add_co_u32 v35, s8, v34, -1
	s_wait_alu 0xf1ff
	v_cndmask_b32_e64 v36, 0, 1, s8
	v_lshlrev_b32_e32 v34, 6, v34
	s_delay_alu instid0(VALU_DEP_2) | instskip(NEXT) | instid1(VALU_DEP_2)
	v_cmp_ne_u32_e32 vcc_lo, 0, v36
	v_add_nc_u32_e32 v87, v33, v34
	s_wait_alu 0xfffd
	v_xor_b32_e32 v34, vcc_lo, v35
	ds_load_b32 v82, v87 offset:64
	; wave barrier
	v_and_b32_e32 v34, exec_lo, v34
	s_delay_alu instid0(VALU_DEP_1) | instskip(SKIP_1) | instid1(VALU_DEP_2)
	v_mbcnt_lo_u32_b32 v83, v34, 0
	v_cmp_ne_u32_e64 s8, 0, v34
	v_cmp_eq_u32_e32 vcc_lo, 0, v83
	s_and_b32 s10, s8, vcc_lo
	s_wait_alu 0xfffe
	s_and_saveexec_b32 s8, s10
	s_cbranch_execz .LBB265_36
; %bb.35:
	s_wait_dscnt 0x0
	v_bcnt_u32_b32 v34, v34, v82
	ds_store_b32 v87, v34 offset:64
.LBB265_36:
	;; [unrolled: 31-line block ×7, first 2 shown]
	s_wait_alu 0xfffe
	s_or_b32 exec_lo, exec_lo, s8
	; wave barrier
	s_wait_loadcnt_dscnt 0x0
	s_barrier_signal -1
	s_barrier_wait -1
	global_inv scope:SCOPE_SE
	ds_load_b128 v[37:40], v66 offset:64
	ds_load_b128 v[33:36], v66 offset:80
	v_min_u32_e32 v103, 0x1e0, v68
	s_mov_b32 s15, exec_lo
	s_wait_dscnt 0x1
	v_add_nc_u32_e32 v101, v38, v37
	s_delay_alu instid0(VALU_DEP_1) | instskip(SKIP_1) | instid1(VALU_DEP_1)
	v_add3_u32 v101, v101, v39, v40
	s_wait_dscnt 0x0
	v_add3_u32 v101, v101, v33, v34
	s_delay_alu instid0(VALU_DEP_1) | instskip(SKIP_1) | instid1(VALU_DEP_2)
	v_add3_u32 v36, v101, v35, v36
	v_and_b32_e32 v101, 15, v67
	v_mov_b32_dpp v102, v36 row_shr:1 row_mask:0xf bank_mask:0xf
	s_delay_alu instid0(VALU_DEP_2)
	v_cmp_eq_u32_e32 vcc_lo, 0, v101
	v_cmp_lt_u32_e64 s8, 1, v101
	v_cmp_lt_u32_e64 s9, 3, v101
	;; [unrolled: 1-line block ×3, first 2 shown]
	s_wait_alu 0xfffd
	v_cndmask_b32_e64 v102, v102, 0, vcc_lo
	s_delay_alu instid0(VALU_DEP_1) | instskip(NEXT) | instid1(VALU_DEP_1)
	v_add_nc_u32_e32 v36, v102, v36
	v_mov_b32_dpp v102, v36 row_shr:2 row_mask:0xf bank_mask:0xf
	s_wait_alu 0xf1ff
	s_delay_alu instid0(VALU_DEP_1) | instskip(NEXT) | instid1(VALU_DEP_1)
	v_cndmask_b32_e64 v102, 0, v102, s8
	v_add_nc_u32_e32 v36, v36, v102
	s_delay_alu instid0(VALU_DEP_1) | instskip(NEXT) | instid1(VALU_DEP_1)
	v_mov_b32_dpp v102, v36 row_shr:4 row_mask:0xf bank_mask:0xf
	v_cndmask_b32_e64 v102, 0, v102, s9
	s_delay_alu instid0(VALU_DEP_1) | instskip(NEXT) | instid1(VALU_DEP_1)
	v_add_nc_u32_e32 v36, v36, v102
	v_mov_b32_dpp v102, v36 row_shr:8 row_mask:0xf bank_mask:0xf
	s_delay_alu instid0(VALU_DEP_1) | instskip(SKIP_1) | instid1(VALU_DEP_2)
	v_cndmask_b32_e64 v101, 0, v102, s10
	v_bfe_i32 v102, v67, 4, 1
	v_add_nc_u32_e32 v36, v36, v101
	ds_swizzle_b32 v101, v36 offset:swizzle(BROADCAST,32,15)
	s_wait_dscnt 0x0
	v_and_b32_e32 v101, v102, v101
	v_or_b32_e32 v102, 31, v103
	s_delay_alu instid0(VALU_DEP_2) | instskip(NEXT) | instid1(VALU_DEP_2)
	v_add_nc_u32_e32 v36, v36, v101
	v_cmpx_eq_u32_e64 v44, v102
; %bb.47:
	v_lshlrev_b32_e32 v101, 2, v65
	ds_store_b32 v101, v36
; %bb.48:
	s_wait_alu 0xfffe
	s_or_b32 exec_lo, exec_lo, s15
	s_delay_alu instid0(SALU_CYCLE_1)
	s_mov_b32 s15, exec_lo
	s_wait_loadcnt_dscnt 0x0
	s_barrier_signal -1
	s_barrier_wait -1
	global_inv scope:SCOPE_SE
	v_cmpx_gt_u32_e32 16, v44
	s_cbranch_execz .LBB265_50
; %bb.49:
	v_lshlrev_b32_e32 v101, 2, v44
	ds_load_b32 v102, v101
	s_wait_dscnt 0x0
	v_mov_b32_dpp v103, v102 row_shr:1 row_mask:0xf bank_mask:0xf
	s_delay_alu instid0(VALU_DEP_1) | instskip(NEXT) | instid1(VALU_DEP_1)
	v_cndmask_b32_e64 v103, v103, 0, vcc_lo
	v_add_nc_u32_e32 v102, v103, v102
	s_delay_alu instid0(VALU_DEP_1) | instskip(NEXT) | instid1(VALU_DEP_1)
	v_mov_b32_dpp v103, v102 row_shr:2 row_mask:0xf bank_mask:0xf
	v_cndmask_b32_e64 v103, 0, v103, s8
	s_delay_alu instid0(VALU_DEP_1) | instskip(NEXT) | instid1(VALU_DEP_1)
	v_add_nc_u32_e32 v102, v102, v103
	v_mov_b32_dpp v103, v102 row_shr:4 row_mask:0xf bank_mask:0xf
	s_delay_alu instid0(VALU_DEP_1) | instskip(NEXT) | instid1(VALU_DEP_1)
	v_cndmask_b32_e64 v103, 0, v103, s9
	v_add_nc_u32_e32 v102, v102, v103
	s_delay_alu instid0(VALU_DEP_1) | instskip(NEXT) | instid1(VALU_DEP_1)
	v_mov_b32_dpp v103, v102 row_shr:8 row_mask:0xf bank_mask:0xf
	v_cndmask_b32_e64 v103, 0, v103, s10
	s_delay_alu instid0(VALU_DEP_1)
	v_add_nc_u32_e32 v102, v102, v103
	ds_store_b32 v101, v102
.LBB265_50:
	s_wait_alu 0xfffe
	s_or_b32 exec_lo, exec_lo, s15
	v_mov_b32_e32 v101, 0
	s_mov_b32 s8, exec_lo
	s_wait_loadcnt_dscnt 0x0
	s_barrier_signal -1
	s_barrier_wait -1
	global_inv scope:SCOPE_SE
	v_cmpx_lt_u32_e32 31, v44
; %bb.51:
	v_lshl_add_u32 v101, v65, 2, -4
	ds_load_b32 v101, v101
; %bb.52:
	s_wait_alu 0xfffe
	s_or_b32 exec_lo, exec_lo, s8
	v_sub_co_u32 v102, vcc_lo, v67, 1
	s_wait_dscnt 0x0
	v_add_nc_u32_e32 v36, v101, v36
	s_delay_alu instid0(VALU_DEP_2) | instskip(SKIP_1) | instid1(VALU_DEP_1)
	v_cmp_gt_i32_e64 s8, 0, v102
	s_wait_alu 0xf1ff
	v_cndmask_b32_e64 v102, v102, v67, s8
	s_delay_alu instid0(VALU_DEP_1)
	v_lshlrev_b32_e32 v102, 2, v102
	ds_bpermute_b32 v36, v102, v36
	s_wait_dscnt 0x0
	s_wait_alu 0xfffd
	v_cndmask_b32_e32 v36, v36, v101, vcc_lo
	v_cmp_ne_u32_e32 vcc_lo, 0, v44
	s_wait_alu 0xfffd
	s_delay_alu instid0(VALU_DEP_2) | instskip(NEXT) | instid1(VALU_DEP_1)
	v_cndmask_b32_e32 v36, 0, v36, vcc_lo
	v_add_nc_u32_e32 v37, v36, v37
	s_delay_alu instid0(VALU_DEP_1) | instskip(NEXT) | instid1(VALU_DEP_1)
	v_add_nc_u32_e32 v38, v37, v38
	v_add_nc_u32_e32 v39, v38, v39
	s_delay_alu instid0(VALU_DEP_1) | instskip(NEXT) | instid1(VALU_DEP_1)
	v_add_nc_u32_e32 v101, v39, v40
	;; [unrolled: 3-line block ×3, first 2 shown]
	v_add_nc_u32_e32 v104, v103, v35
	ds_store_b128 v66, v[36:39] offset:64
	ds_store_b128 v66, v[101:104] offset:80
	s_wait_loadcnt_dscnt 0x0
	s_barrier_signal -1
	s_barrier_wait -1
	global_inv scope:SCOPE_SE
	ds_load_b32 v33, v81 offset:64
	ds_load_b32 v34, v84 offset:64
	;; [unrolled: 1-line block ×8, first 2 shown]
	v_mad_u32_u24 v81, v44, 56, v61
	s_wait_loadcnt_dscnt 0x0
	s_barrier_signal -1
	s_barrier_wait -1
	global_inv scope:SCOPE_SE
	v_add_nc_u32_e32 v78, v33, v78
	v_add3_u32 v79, v80, v79, v34
	v_add3_u32 v35, v83, v82, v35
	;; [unrolled: 1-line block ×7, first 2 shown]
	ds_store_b8 v78, v0
	ds_store_b8 v79, v71
	ds_store_b8 v35, v72
	ds_store_b8 v36, v73
	ds_store_b8 v37, v74
	ds_store_b8 v38, v75
	ds_store_b8 v39, v76
	ds_store_b8 v40, v77
	v_lshlrev_b32_e32 v0, 3, v78
	v_lshlrev_b32_e32 v71, 3, v79
	;; [unrolled: 1-line block ×5, first 2 shown]
	s_wait_loadcnt_dscnt 0x0
	s_barrier_signal -1
	s_barrier_wait -1
	global_inv scope:SCOPE_SE
	ds_load_b64 v[33:34], v61
	s_wait_loadcnt_dscnt 0x0
	s_barrier_signal -1
	s_barrier_wait -1
	global_inv scope:SCOPE_SE
	v_lshlrev_b32_e32 v38, 3, v38
	v_lshlrev_b32_e32 v39, 3, v39
	;; [unrolled: 1-line block ×3, first 2 shown]
	ds_store_b64 v0, v[29:30]
	ds_store_b64 v71, v[31:32]
	;; [unrolled: 1-line block ×8, first 2 shown]
	s_wait_loadcnt_dscnt 0x0
	s_barrier_signal -1
	s_barrier_wait -1
	global_inv scope:SCOPE_SE
	ds_load_b128 v[29:32], v81
	ds_load_b128 v[25:28], v81 offset:16
	ds_load_b128 v[21:24], v81 offset:32
	;; [unrolled: 1-line block ×3, first 2 shown]
	s_branch .LBB265_84
.LBB265_53:
	v_lshlrev_b64_e32 v[1:2], 3, v[41:42]
	v_dual_mov_b32 v43, v42 :: v_dual_mov_b32 v10, v42
	v_dual_mov_b32 v9, v42 :: v_dual_mov_b32 v12, v42
	v_mov_b32_e32 v11, v42
	s_wait_alu 0xfffe
	s_delay_alu instid0(VALU_DEP_4) | instskip(NEXT) | instid1(VALU_DEP_1)
	v_add_co_u32 v1, vcc_lo, s12, v1
	v_add_co_ci_u32_e64 v2, null, s13, v2, vcc_lo
	v_dual_mov_b32 v3, v42 :: v_dual_mov_b32 v6, v42
	v_dual_mov_b32 v5, v42 :: v_dual_mov_b32 v8, v42
	global_load_b64 v[13:14], v[1:2], off
	v_dual_mov_b32 v1, v42 :: v_dual_mov_b32 v4, v42
	v_dual_mov_b32 v2, v42 :: v_dual_mov_b32 v7, v42
	s_or_b32 exec_lo, exec_lo, s9
	s_and_saveexec_b32 s9, s1
	s_cbranch_execz .LBB265_22
.LBB265_54:
	v_mul_lo_u32 v30, s16, v28
	v_mov_b32_e32 v31, 0
	s_delay_alu instid0(VALU_DEP_1) | instskip(NEXT) | instid1(VALU_DEP_1)
	v_lshlrev_b64_e32 v[30:31], 3, v[30:31]
	v_add_co_u32 v30, vcc_lo, s12, v30
	s_wait_alu 0xfffd
	s_delay_alu instid0(VALU_DEP_2)
	v_add_co_ci_u32_e64 v31, null, s13, v31, vcc_lo
	global_load_b64 v[42:43], v[30:31], off
	s_wait_alu 0xfffe
	s_or_b32 exec_lo, exec_lo, s9
	s_and_saveexec_b32 s9, s2
	s_cbranch_execz .LBB265_23
.LBB265_55:
	v_mul_lo_u32 v9, s16, v24
	v_mov_b32_e32 v10, 0
	s_delay_alu instid0(VALU_DEP_1) | instskip(NEXT) | instid1(VALU_DEP_1)
	v_lshlrev_b64_e32 v[9:10], 3, v[9:10]
	v_add_co_u32 v9, vcc_lo, s12, v9
	s_wait_alu 0xfffd
	s_delay_alu instid0(VALU_DEP_2)
	v_add_co_ci_u32_e64 v10, null, s13, v10, vcc_lo
	global_load_b64 v[9:10], v[9:10], off
	s_wait_alu 0xfffe
	s_or_b32 exec_lo, exec_lo, s9
	s_and_saveexec_b32 s9, s3
	s_cbranch_execz .LBB265_24
.LBB265_56:
	v_mul_lo_u32 v11, s16, v21
	v_mov_b32_e32 v12, 0
	s_delay_alu instid0(VALU_DEP_1) | instskip(NEXT) | instid1(VALU_DEP_1)
	v_lshlrev_b64_e32 v[11:12], 3, v[11:12]
	v_add_co_u32 v11, vcc_lo, s12, v11
	s_wait_alu 0xfffd
	s_delay_alu instid0(VALU_DEP_2)
	v_add_co_ci_u32_e64 v12, null, s13, v12, vcc_lo
	global_load_b64 v[11:12], v[11:12], off
	s_wait_alu 0xfffe
	s_or_b32 exec_lo, exec_lo, s9
	s_and_saveexec_b32 s9, s4
	s_cbranch_execz .LBB265_25
.LBB265_57:
	v_mul_lo_u32 v1, s16, v19
	v_mov_b32_e32 v2, 0
	s_delay_alu instid0(VALU_DEP_1) | instskip(NEXT) | instid1(VALU_DEP_1)
	v_lshlrev_b64_e32 v[1:2], 3, v[1:2]
	v_add_co_u32 v1, vcc_lo, s12, v1
	s_wait_alu 0xfffd
	s_delay_alu instid0(VALU_DEP_2)
	v_add_co_ci_u32_e64 v2, null, s13, v2, vcc_lo
	global_load_b64 v[1:2], v[1:2], off
	s_wait_alu 0xfffe
	s_or_b32 exec_lo, exec_lo, s9
	s_and_saveexec_b32 s9, s5
	s_cbranch_execz .LBB265_26
.LBB265_58:
	v_mul_lo_u32 v3, s16, v17
	v_mov_b32_e32 v4, 0
	s_delay_alu instid0(VALU_DEP_1) | instskip(NEXT) | instid1(VALU_DEP_1)
	v_lshlrev_b64_e32 v[3:4], 3, v[3:4]
	v_add_co_u32 v3, vcc_lo, s12, v3
	s_wait_alu 0xfffd
	s_delay_alu instid0(VALU_DEP_2)
	v_add_co_ci_u32_e64 v4, null, s13, v4, vcc_lo
	global_load_b64 v[3:4], v[3:4], off
	s_wait_alu 0xfffe
	s_or_b32 exec_lo, exec_lo, s9
	s_and_saveexec_b32 s9, s6
	s_cbranch_execz .LBB265_27
.LBB265_59:
	v_mul_lo_u32 v5, s16, v16
	v_mov_b32_e32 v6, 0
	s_delay_alu instid0(VALU_DEP_1) | instskip(NEXT) | instid1(VALU_DEP_1)
	v_lshlrev_b64_e32 v[5:6], 3, v[5:6]
	v_add_co_u32 v5, vcc_lo, s12, v5
	s_wait_alu 0xfffd
	s_delay_alu instid0(VALU_DEP_2)
	v_add_co_ci_u32_e64 v6, null, s13, v6, vcc_lo
	global_load_b64 v[5:6], v[5:6], off
	s_wait_alu 0xfffe
	s_or_b32 exec_lo, exec_lo, s9
	s_and_saveexec_b32 s9, s7
	s_cbranch_execnz .LBB265_28
	s_branch .LBB265_29
.LBB265_60:
                                        ; implicit-def: $vgpr19_vgpr20
                                        ; implicit-def: $vgpr23_vgpr24
                                        ; implicit-def: $vgpr27_vgpr28
                                        ; implicit-def: $vgpr31_vgpr32
                                        ; implicit-def: $vgpr34
	s_cbranch_execz .LBB265_84
; %bb.61:
	v_lshrrev_b16 v0, 8, v45
	s_wait_dscnt 0x0
	v_lshrrev_b32_e32 v17, 24, v45
	v_lshrrev_b32_e32 v18, 16, v45
	;; [unrolled: 1-line block ×3, first 2 shown]
	v_lshrrev_b16 v21, 8, v46
	v_and_b32_e32 v0, 1, v0
	v_and_b32_e32 v17, 1, v17
	;; [unrolled: 1-line block ×3, first 2 shown]
	v_lshrrev_b32_e32 v20, 16, v46
	v_and_b32_e32 v19, 1, v19
	v_cmp_eq_u32_e32 vcc_lo, 1, v0
	v_cmp_ne_u32_e64 s8, 1, v17
	v_and_b32_e32 v0, 1, v18
	v_and_b32_e32 v18, 1, v21
	;; [unrolled: 1-line block ×4, first 2 shown]
	s_wait_alu 0xf1ff
	v_cndmask_b32_e64 v17, 0, 1, s8
	s_xor_b32 s8, vcc_lo, -1
	v_cmp_ne_u32_e32 vcc_lo, 1, v0
	s_wait_alu 0xfffe
	v_cndmask_b32_e64 v21, 0, 1, s8
	v_cmp_ne_u32_e64 s8, 1, v22
	v_lshlrev_b16 v17, 8, v17
	s_wait_alu 0xfffd
	v_cndmask_b32_e64 v0, 0, 1, vcc_lo
	v_cmp_eq_u32_e32 vcc_lo, 1, v18
	s_wait_alu 0xf1ff
	v_cndmask_b32_e64 v18, 0, 1, s8
	v_cmp_ne_u32_e64 s8, 1, v19
	v_lshlrev_b16 v21, 8, v21
	v_or_b32_e32 v0, v0, v17
	s_wait_alu 0xf1ff
	s_delay_alu instid0(VALU_DEP_3)
	v_cndmask_b32_e64 v19, 0, 1, s8
	s_xor_b32 s8, vcc_lo, -1
	v_cmp_ne_u32_e32 vcc_lo, 1, v20
	s_wait_alu 0xfffe
	v_cndmask_b32_e64 v22, 0, 1, s8
	v_or_b32_e32 v17, v18, v21
	v_lshlrev_b16 v19, 8, v19
	s_getpc_b64 s[8:9]
	s_wait_alu 0xfffe
	s_sext_i32_i16 s9, s9
	s_add_co_u32 s8, s8, _ZN7rocprim17ROCPRIM_400000_NS16block_radix_sortIbLj512ELj8ElLj1ELj1ELj0ELNS0_26block_radix_rank_algorithmE1ELNS0_18block_padding_hintE2ELNS0_4arch9wavefront6targetE0EE19radix_bits_per_passE@rel32@lo+12
	s_wait_alu 0xfffe
	s_add_co_ci_u32 s9, s9, _ZN7rocprim17ROCPRIM_400000_NS16block_radix_sortIbLj512ELj8ElLj1ELj1ELj0ELNS0_26block_radix_rank_algorithmE1ELNS0_18block_padding_hintE2ELNS0_4arch9wavefront6targetE0EE19radix_bits_per_passE@rel32@hi+24
	s_wait_alu 0xfffd
	v_cndmask_b32_e64 v20, 0, 1, vcc_lo
	v_cmp_ne_u32_e32 vcc_lo, 1, v23
	v_lshlrev_b16 v22, 8, v22
	s_load_b32 s8, s[8:9], 0x0
	v_lshlrev_b32_e32 v0, 16, v0
	v_or_b32_e32 v18, v20, v19
	v_cndmask_b32_e64 v23, 0, 1, vcc_lo
	v_or_b32_e32 v20, v67, v68
	v_and_b32_e32 v17, 0xffff, v17
	s_delay_alu instid0(VALU_DEP_4) | instskip(NEXT) | instid1(VALU_DEP_4)
	v_lshlrev_b32_e32 v18, 16, v18
	v_or_b32_e32 v19, v23, v22
	s_delay_alu instid0(VALU_DEP_4) | instskip(NEXT) | instid1(VALU_DEP_4)
	v_lshlrev_b32_e32 v21, 3, v20
	v_or_b32_e32 v17, v17, v0
	v_and_or_b32 v0, 0x1f00, v61, v67
	s_delay_alu instid0(VALU_DEP_4) | instskip(NEXT) | instid1(VALU_DEP_1)
	v_and_b32_e32 v19, 0xffff, v19
	v_or_b32_e32 v18, v19, v18
	s_wait_kmcnt 0x0
	s_min_u32 s8, s8, 8
	s_wait_alu 0xfffe
	s_lshl_b32 s8, -1, s8
	ds_store_b64 v21, v[17:18]
	; wave barrier
	ds_load_u8 v24, v0
	ds_load_u8 v25, v0 offset:32
	ds_load_u8 v26, v0 offset:64
	;; [unrolled: 1-line block ×7, first 2 shown]
	v_mad_u32_u24 v17, v20, 56, v21
	v_mad_u32_u24 v0, v0, 7, v0
	s_wait_loadcnt_dscnt 0x0
	s_barrier_signal -1
	s_barrier_wait -1
	global_inv scope:SCOPE_SE
	ds_store_b128 v17, v[13:16]
	ds_store_b128 v17, v[9:12] offset:16
	ds_store_b128 v17, v[5:8] offset:32
	;; [unrolled: 1-line block ×3, first 2 shown]
	; wave barrier
	ds_load_2addr_b64 v[12:15], v0 offset1:32
	ds_load_2addr_b64 v[8:11], v0 offset0:64 offset1:96
	ds_load_2addr_b64 v[4:7], v0 offset0:128 offset1:160
	;; [unrolled: 1-line block ×3, first 2 shown]
	s_wait_loadcnt_dscnt 0x0
	s_barrier_signal -1
	s_barrier_wait -1
	global_inv scope:SCOPE_SE
	s_load_b32 s10, s[20:21], 0xc
	s_not_b32 s9, s8
	s_mov_b32 s20, 0
	s_wait_alu 0xfffe
	v_and_b32_e32 v16, s9, v24
	s_mov_b32 s21, s20
	s_mov_b32 s22, s20
	;; [unrolled: 1-line block ×3, first 2 shown]
	s_delay_alu instid0(VALU_DEP_1) | instskip(NEXT) | instid1(VALU_DEP_1)
	v_and_b32_e32 v22, 1, v16
	v_add_co_u32 v18, s11, v22, -1
	s_delay_alu instid0(VALU_DEP_1) | instskip(SKIP_2) | instid1(VALU_DEP_1)
	v_cndmask_b32_e64 v16, 0, 1, s11
	s_wait_kmcnt 0x0
	s_lshr_b32 s8, s10, 16
	v_cmp_ne_u32_e32 vcc_lo, 0, v16
	s_wait_alu 0xfffe
	v_mad_u32_u24 v17, v70, s8, v69
	s_and_b32 s8, s10, 0xffff
	s_wait_alu 0xfffe
	s_delay_alu instid0(VALU_DEP_1) | instskip(SKIP_4) | instid1(VALU_DEP_3)
	v_mad_co_u64_u32 v[16:17], null, v17, s8, v[44:45]
	s_wait_alu 0xfffd
	v_xor_b32_e32 v17, vcc_lo, v18
	v_dual_mov_b32 v18, s20 :: v_dual_mov_b32 v19, s21
	v_dual_mov_b32 v20, s22 :: v_dual_mov_b32 v21, s23
	v_and_b32_e32 v17, exec_lo, v17
	v_lshrrev_b32_e32 v16, 3, v16
	ds_store_b128 v66, v[18:21] offset:64
	ds_store_b128 v66, v[18:21] offset:80
	v_mbcnt_lo_u32_b32 v32, v17, 0
	v_and_b32_e32 v16, 0x1ffffffc, v16
	v_lshlrev_b32_e32 v18, 6, v22
	v_cmp_ne_u32_e64 s8, 0, v17
	s_wait_loadcnt_dscnt 0x0
	v_cmp_eq_u32_e32 vcc_lo, 0, v32
	s_barrier_signal -1
	v_add_nc_u32_e32 v35, v16, v18
	s_barrier_wait -1
	global_inv scope:SCOPE_SE
	s_and_b32 s10, s8, vcc_lo
	; wave barrier
	s_wait_alu 0xfffe
	s_and_saveexec_b32 s8, s10
; %bb.62:
	v_bcnt_u32_b32 v17, v17, 0
	ds_store_b32 v35, v17 offset:64
; %bb.63:
	s_wait_alu 0xfffe
	s_or_b32 exec_lo, exec_lo, s8
	v_and_b32_e32 v17, s9, v25
	; wave barrier
	s_delay_alu instid0(VALU_DEP_1) | instskip(NEXT) | instid1(VALU_DEP_1)
	v_and_b32_e32 v17, 0xff, v17
	v_add_co_u32 v18, s8, v17, -1
	s_wait_alu 0xf1ff
	v_cndmask_b32_e64 v19, 0, 1, s8
	v_lshlrev_b32_e32 v17, 6, v17
	s_delay_alu instid0(VALU_DEP_2) | instskip(NEXT) | instid1(VALU_DEP_2)
	v_cmp_ne_u32_e32 vcc_lo, 0, v19
	v_add_nc_u32_e32 v37, v16, v17
	s_wait_alu 0xfffd
	v_xor_b32_e32 v17, vcc_lo, v18
	ds_load_b32 v33, v37 offset:64
	; wave barrier
	v_and_b32_e32 v17, exec_lo, v17
	s_delay_alu instid0(VALU_DEP_1) | instskip(SKIP_1) | instid1(VALU_DEP_2)
	v_mbcnt_lo_u32_b32 v34, v17, 0
	v_cmp_ne_u32_e64 s8, 0, v17
	v_cmp_eq_u32_e32 vcc_lo, 0, v34
	s_and_b32 s10, s8, vcc_lo
	s_wait_alu 0xfffe
	s_and_saveexec_b32 s8, s10
	s_cbranch_execz .LBB265_65
; %bb.64:
	s_wait_dscnt 0x0
	v_bcnt_u32_b32 v17, v17, v33
	ds_store_b32 v37, v17 offset:64
.LBB265_65:
	s_wait_alu 0xfffe
	s_or_b32 exec_lo, exec_lo, s8
	v_and_b32_e32 v17, s9, v26
	; wave barrier
	s_delay_alu instid0(VALU_DEP_1) | instskip(NEXT) | instid1(VALU_DEP_1)
	v_and_b32_e32 v17, 0xff, v17
	v_add_co_u32 v18, s8, v17, -1
	s_wait_alu 0xf1ff
	v_cndmask_b32_e64 v19, 0, 1, s8
	v_lshlrev_b32_e32 v17, 6, v17
	s_delay_alu instid0(VALU_DEP_2) | instskip(NEXT) | instid1(VALU_DEP_2)
	v_cmp_ne_u32_e32 vcc_lo, 0, v19
	v_add_nc_u32_e32 v39, v16, v17
	s_wait_alu 0xfffd
	v_xor_b32_e32 v17, vcc_lo, v18
	ds_load_b32 v36, v39 offset:64
	; wave barrier
	v_and_b32_e32 v17, exec_lo, v17
	s_delay_alu instid0(VALU_DEP_1) | instskip(SKIP_1) | instid1(VALU_DEP_2)
	v_mbcnt_lo_u32_b32 v38, v17, 0
	v_cmp_ne_u32_e64 s8, 0, v17
	v_cmp_eq_u32_e32 vcc_lo, 0, v38
	s_and_b32 s10, s8, vcc_lo
	s_wait_alu 0xfffe
	s_and_saveexec_b32 s8, s10
	s_cbranch_execz .LBB265_67
; %bb.66:
	s_wait_dscnt 0x0
	v_bcnt_u32_b32 v17, v17, v36
	ds_store_b32 v39, v17 offset:64
.LBB265_67:
	;; [unrolled: 31-line block ×7, first 2 shown]
	s_wait_alu 0xfffe
	s_or_b32 exec_lo, exec_lo, s8
	; wave barrier
	s_wait_loadcnt_dscnt 0x0
	s_barrier_signal -1
	s_barrier_wait -1
	global_inv scope:SCOPE_SE
	ds_load_b128 v[20:23], v66 offset:64
	ds_load_b128 v[16:19], v66 offset:80
	v_min_u32_e32 v68, 0x1e0, v68
	s_mov_b32 s15, exec_lo
	s_delay_alu instid0(VALU_DEP_1) | instskip(SKIP_2) | instid1(VALU_DEP_1)
	v_or_b32_e32 v68, 31, v68
	s_wait_dscnt 0x1
	v_add_nc_u32_e32 v81, v21, v20
	v_add3_u32 v81, v81, v22, v23
	s_wait_dscnt 0x0
	s_delay_alu instid0(VALU_DEP_1) | instskip(NEXT) | instid1(VALU_DEP_1)
	v_add3_u32 v81, v81, v16, v17
	v_add3_u32 v19, v81, v18, v19
	v_and_b32_e32 v81, 15, v67
	s_delay_alu instid0(VALU_DEP_2) | instskip(NEXT) | instid1(VALU_DEP_2)
	v_mov_b32_dpp v82, v19 row_shr:1 row_mask:0xf bank_mask:0xf
	v_cmp_eq_u32_e32 vcc_lo, 0, v81
	v_cmp_lt_u32_e64 s8, 1, v81
	v_cmp_lt_u32_e64 s9, 3, v81
	;; [unrolled: 1-line block ×3, first 2 shown]
	s_wait_alu 0xfffd
	v_cndmask_b32_e64 v82, v82, 0, vcc_lo
	s_delay_alu instid0(VALU_DEP_1) | instskip(NEXT) | instid1(VALU_DEP_1)
	v_add_nc_u32_e32 v19, v82, v19
	v_mov_b32_dpp v82, v19 row_shr:2 row_mask:0xf bank_mask:0xf
	s_wait_alu 0xf1ff
	s_delay_alu instid0(VALU_DEP_1) | instskip(NEXT) | instid1(VALU_DEP_1)
	v_cndmask_b32_e64 v82, 0, v82, s8
	v_add_nc_u32_e32 v19, v19, v82
	s_delay_alu instid0(VALU_DEP_1) | instskip(NEXT) | instid1(VALU_DEP_1)
	v_mov_b32_dpp v82, v19 row_shr:4 row_mask:0xf bank_mask:0xf
	v_cndmask_b32_e64 v82, 0, v82, s9
	s_delay_alu instid0(VALU_DEP_1) | instskip(NEXT) | instid1(VALU_DEP_1)
	v_add_nc_u32_e32 v19, v19, v82
	v_mov_b32_dpp v82, v19 row_shr:8 row_mask:0xf bank_mask:0xf
	s_delay_alu instid0(VALU_DEP_1) | instskip(SKIP_1) | instid1(VALU_DEP_2)
	v_cndmask_b32_e64 v81, 0, v82, s10
	v_bfe_i32 v82, v67, 4, 1
	v_add_nc_u32_e32 v19, v19, v81
	ds_swizzle_b32 v81, v19 offset:swizzle(BROADCAST,32,15)
	s_wait_dscnt 0x0
	v_and_b32_e32 v81, v82, v81
	s_delay_alu instid0(VALU_DEP_1)
	v_add_nc_u32_e32 v19, v19, v81
	v_cmpx_eq_u32_e64 v44, v68
; %bb.78:
	v_lshlrev_b32_e32 v68, 2, v65
	ds_store_b32 v68, v19
; %bb.79:
	s_wait_alu 0xfffe
	s_or_b32 exec_lo, exec_lo, s15
	s_delay_alu instid0(SALU_CYCLE_1)
	s_mov_b32 s15, exec_lo
	s_wait_loadcnt_dscnt 0x0
	s_barrier_signal -1
	s_barrier_wait -1
	global_inv scope:SCOPE_SE
	v_cmpx_gt_u32_e32 16, v44
	s_cbranch_execz .LBB265_81
; %bb.80:
	v_lshlrev_b32_e32 v68, 2, v44
	ds_load_b32 v81, v68
	s_wait_dscnt 0x0
	v_mov_b32_dpp v82, v81 row_shr:1 row_mask:0xf bank_mask:0xf
	s_delay_alu instid0(VALU_DEP_1) | instskip(NEXT) | instid1(VALU_DEP_1)
	v_cndmask_b32_e64 v82, v82, 0, vcc_lo
	v_add_nc_u32_e32 v81, v82, v81
	s_delay_alu instid0(VALU_DEP_1) | instskip(NEXT) | instid1(VALU_DEP_1)
	v_mov_b32_dpp v82, v81 row_shr:2 row_mask:0xf bank_mask:0xf
	v_cndmask_b32_e64 v82, 0, v82, s8
	s_delay_alu instid0(VALU_DEP_1) | instskip(NEXT) | instid1(VALU_DEP_1)
	v_add_nc_u32_e32 v81, v81, v82
	v_mov_b32_dpp v82, v81 row_shr:4 row_mask:0xf bank_mask:0xf
	s_delay_alu instid0(VALU_DEP_1) | instskip(NEXT) | instid1(VALU_DEP_1)
	v_cndmask_b32_e64 v82, 0, v82, s9
	v_add_nc_u32_e32 v81, v81, v82
	s_delay_alu instid0(VALU_DEP_1) | instskip(NEXT) | instid1(VALU_DEP_1)
	v_mov_b32_dpp v82, v81 row_shr:8 row_mask:0xf bank_mask:0xf
	v_cndmask_b32_e64 v82, 0, v82, s10
	s_delay_alu instid0(VALU_DEP_1)
	v_add_nc_u32_e32 v81, v81, v82
	ds_store_b32 v68, v81
.LBB265_81:
	s_wait_alu 0xfffe
	s_or_b32 exec_lo, exec_lo, s15
	v_mov_b32_e32 v68, 0
	s_mov_b32 s8, exec_lo
	s_wait_loadcnt_dscnt 0x0
	s_barrier_signal -1
	s_barrier_wait -1
	global_inv scope:SCOPE_SE
	v_cmpx_lt_u32_e32 31, v44
; %bb.82:
	v_lshl_add_u32 v65, v65, 2, -4
	ds_load_b32 v68, v65
; %bb.83:
	s_wait_alu 0xfffe
	s_or_b32 exec_lo, exec_lo, s8
	v_sub_co_u32 v65, vcc_lo, v67, 1
	s_wait_dscnt 0x0
	v_add_nc_u32_e32 v19, v68, v19
	s_delay_alu instid0(VALU_DEP_2) | instskip(SKIP_1) | instid1(VALU_DEP_1)
	v_cmp_gt_i32_e64 s8, 0, v65
	s_wait_alu 0xf1ff
	v_cndmask_b32_e64 v65, v65, v67, s8
	s_delay_alu instid0(VALU_DEP_1)
	v_lshlrev_b32_e32 v65, 2, v65
	ds_bpermute_b32 v19, v65, v19
	s_wait_dscnt 0x0
	s_wait_alu 0xfffd
	v_cndmask_b32_e32 v19, v19, v68, vcc_lo
	v_cmp_ne_u32_e32 vcc_lo, 0, v44
	s_wait_alu 0xfffd
	s_delay_alu instid0(VALU_DEP_2) | instskip(NEXT) | instid1(VALU_DEP_1)
	v_cndmask_b32_e32 v19, 0, v19, vcc_lo
	v_add_nc_u32_e32 v20, v19, v20
	s_delay_alu instid0(VALU_DEP_1) | instskip(NEXT) | instid1(VALU_DEP_1)
	v_add_nc_u32_e32 v21, v20, v21
	v_add_nc_u32_e32 v22, v21, v22
	s_delay_alu instid0(VALU_DEP_1) | instskip(NEXT) | instid1(VALU_DEP_1)
	v_add_nc_u32_e32 v81, v22, v23
	v_add_nc_u32_e32 v82, v81, v16
	s_delay_alu instid0(VALU_DEP_1) | instskip(NEXT) | instid1(VALU_DEP_1)
	v_add_nc_u32_e32 v83, v82, v17
	v_add_nc_u32_e32 v84, v83, v18
	ds_store_b128 v66, v[19:22] offset:64
	ds_store_b128 v66, v[81:84] offset:80
	s_wait_loadcnt_dscnt 0x0
	s_barrier_signal -1
	s_barrier_wait -1
	global_inv scope:SCOPE_SE
	ds_load_b32 v16, v35 offset:64
	ds_load_b32 v17, v37 offset:64
	;; [unrolled: 1-line block ×8, first 2 shown]
	s_wait_loadcnt_dscnt 0x0
	s_barrier_signal -1
	s_barrier_wait -1
	global_inv scope:SCOPE_SE
	v_mad_u32_u24 v35, v44, 56, v61
	v_add_nc_u32_e32 v16, v16, v32
	v_add3_u32 v17, v34, v33, v17
	v_add3_u32 v18, v38, v36, v18
	;; [unrolled: 1-line block ×7, first 2 shown]
	ds_store_b8 v16, v24
	ds_store_b8 v17, v25
	;; [unrolled: 1-line block ×8, first 2 shown]
	s_wait_loadcnt_dscnt 0x0
	s_barrier_signal -1
	s_barrier_wait -1
	global_inv scope:SCOPE_SE
	ds_load_b64 v[33:34], v61
	v_lshlrev_b32_e32 v16, 3, v16
	v_lshlrev_b32_e32 v17, 3, v17
	;; [unrolled: 1-line block ×8, first 2 shown]
	s_wait_loadcnt_dscnt 0x0
	s_barrier_signal -1
	s_barrier_wait -1
	global_inv scope:SCOPE_SE
	ds_store_b64 v16, v[12:13]
	ds_store_b64 v17, v[14:15]
	;; [unrolled: 1-line block ×8, first 2 shown]
	s_wait_loadcnt_dscnt 0x0
	s_barrier_signal -1
	s_barrier_wait -1
	global_inv scope:SCOPE_SE
	ds_load_b128 v[29:32], v35
	ds_load_b128 v[25:28], v35 offset:16
	ds_load_b128 v[21:24], v35 offset:32
	;; [unrolled: 1-line block ×3, first 2 shown]
	v_lshrrev_b32_e32 v0, 16, v33
	v_lshrrev_b32_e32 v3, 16, v34
	v_and_b32_e32 v1, 0xffffff00, v33
	v_xor_b32_e32 v2, 1, v33
	v_and_b32_e32 v4, 0xffffff00, v34
	v_xor_b32_e32 v5, 1, v34
	;; [unrolled: 2-line block ×4, first 2 shown]
	v_xor_b32_e32 v1, 0x100, v1
	v_and_b32_e32 v2, 0xff, v2
	v_xor_b32_e32 v4, 0x100, v4
	v_and_b32_e32 v5, 0xff, v5
	;; [unrolled: 2-line block ×4, first 2 shown]
	v_or_b32_e32 v1, v2, v1
	v_or_b32_e32 v2, v5, v4
	;; [unrolled: 1-line block ×3, first 2 shown]
	s_delay_alu instid0(VALU_DEP_4) | instskip(NEXT) | instid1(VALU_DEP_4)
	v_or_b32_e32 v3, v3, v7
	v_and_b32_e32 v1, 0xffff, v1
	s_delay_alu instid0(VALU_DEP_4) | instskip(NEXT) | instid1(VALU_DEP_4)
	v_and_b32_e32 v2, 0xffff, v2
	v_lshlrev_b32_e32 v0, 16, v0
	s_delay_alu instid0(VALU_DEP_4) | instskip(NEXT) | instid1(VALU_DEP_2)
	v_lshlrev_b32_e32 v3, 16, v3
	v_or_b32_e32 v33, v1, v0
	s_delay_alu instid0(VALU_DEP_2)
	v_or_b32_e32 v34, v2, v3
.LBB265_84:
	s_wait_loadcnt_dscnt 0x0
	s_barrier_signal -1
	s_barrier_wait -1
	global_inv scope:SCOPE_SE
	ds_store_2addr_b32 v56, v33, v34 offset1:1
	s_wait_loadcnt_dscnt 0x0
	s_barrier_signal -1
	s_barrier_wait -1
	global_inv scope:SCOPE_SE
	ds_load_u8 v8, v49 offset:512
	ds_load_u8 v7, v50 offset:1024
	;; [unrolled: 1-line block ×7, first 2 shown]
	v_add_co_u32 v0, s8, s18, v47
	s_wait_alu 0xf1ff
	v_add_co_ci_u32_e64 v1, null, s19, 0, s8
	s_and_saveexec_b32 s8, s0
	s_cbranch_execnz .LBB265_103
; %bb.85:
	s_wait_alu 0xfffe
	s_or_b32 exec_lo, exec_lo, s8
	s_and_saveexec_b32 s8, s1
	s_cbranch_execnz .LBB265_104
.LBB265_86:
	s_wait_alu 0xfffe
	s_or_b32 exec_lo, exec_lo, s8
	s_and_saveexec_b32 s8, s2
	s_cbranch_execnz .LBB265_105
.LBB265_87:
	s_wait_alu 0xfffe
	s_or_b32 exec_lo, exec_lo, s8
	s_and_saveexec_b32 s8, s3
	s_cbranch_execnz .LBB265_106
.LBB265_88:
	s_wait_alu 0xfffe
	s_or_b32 exec_lo, exec_lo, s8
	s_and_saveexec_b32 s8, s4
	s_cbranch_execnz .LBB265_107
.LBB265_89:
	s_wait_alu 0xfffe
	s_or_b32 exec_lo, exec_lo, s8
	s_and_saveexec_b32 s8, s5
	s_cbranch_execnz .LBB265_108
.LBB265_90:
	s_wait_alu 0xfffe
	s_or_b32 exec_lo, exec_lo, s8
	s_and_saveexec_b32 s8, s6
	s_cbranch_execnz .LBB265_109
.LBB265_91:
	s_wait_alu 0xfffe
	s_or_b32 exec_lo, exec_lo, s8
	s_and_saveexec_b32 s8, s7
	s_cbranch_execz .LBB265_93
.LBB265_92:
	s_mul_i32 s9, s14, 0xe00
	s_wait_alu 0xfffe
	v_add_co_u32 v0, vcc_lo, v0, s9
	s_wait_alu 0xfffd
	v_add_co_ci_u32_e64 v1, null, 0, v1, vcc_lo
	s_wait_dscnt 0x0
	global_store_b8 v[0:1], v2, off
.LBB265_93:
	s_wait_alu 0xfffe
	s_or_b32 exec_lo, exec_lo, s8
	s_wait_storecnt 0x0
	s_wait_loadcnt_dscnt 0x0
	s_barrier_signal -1
	s_barrier_wait -1
	global_inv scope:SCOPE_SE
	ds_store_2addr_b64 v64, v[29:30], v[31:32] offset1:1
	ds_store_2addr_b64 v64, v[25:26], v[27:28] offset0:2 offset1:3
	ds_store_2addr_b64 v64, v[21:22], v[23:24] offset0:4 offset1:5
	;; [unrolled: 1-line block ×3, first 2 shown]
	s_wait_loadcnt_dscnt 0x0
	s_barrier_signal -1
	s_barrier_wait -1
	global_inv scope:SCOPE_SE
	ds_load_b64 v[14:15], v58 offset:4096
	ds_load_b64 v[12:13], v59 offset:8192
	;; [unrolled: 1-line block ×7, first 2 shown]
	v_mov_b32_e32 v42, 0
	s_delay_alu instid0(VALU_DEP_1) | instskip(NEXT) | instid1(VALU_DEP_1)
	v_lshlrev_b64_e32 v[2:3], 3, v[41:42]
	v_add_co_u32 v2, vcc_lo, s12, v2
	s_wait_alu 0xfffd
	s_delay_alu instid0(VALU_DEP_2)
	v_add_co_ci_u32_e64 v3, null, s13, v3, vcc_lo
	s_and_saveexec_b32 s8, s0
	s_cbranch_execnz .LBB265_110
; %bb.94:
	s_wait_alu 0xfffe
	s_or_b32 exec_lo, exec_lo, s8
	s_and_saveexec_b32 s0, s1
	s_cbranch_execnz .LBB265_111
.LBB265_95:
	s_or_b32 exec_lo, exec_lo, s0
	s_and_saveexec_b32 s0, s2
	s_cbranch_execnz .LBB265_112
.LBB265_96:
	s_or_b32 exec_lo, exec_lo, s0
	s_and_saveexec_b32 s0, s3
	s_cbranch_execnz .LBB265_113
.LBB265_97:
	s_or_b32 exec_lo, exec_lo, s0
	s_and_saveexec_b32 s0, s4
	s_cbranch_execnz .LBB265_114
.LBB265_98:
	s_or_b32 exec_lo, exec_lo, s0
	s_and_saveexec_b32 s0, s5
	s_cbranch_execnz .LBB265_115
.LBB265_99:
	s_or_b32 exec_lo, exec_lo, s0
	s_and_saveexec_b32 s0, s6
	s_cbranch_execnz .LBB265_116
.LBB265_100:
	s_or_b32 exec_lo, exec_lo, s0
	s_and_saveexec_b32 s0, s7
	s_cbranch_execz .LBB265_102
.LBB265_101:
	s_mul_i32 s0, s16, 0xe00
	s_mov_b32 s1, 0
	s_delay_alu instid0(SALU_CYCLE_1) | instskip(NEXT) | instid1(SALU_CYCLE_1)
	s_lshl_b64 s[0:1], s[0:1], 3
	v_add_co_u32 v2, vcc_lo, v2, s0
	s_wait_alu 0xfffd
	v_add_co_ci_u32_e64 v3, null, s1, v3, vcc_lo
	s_wait_dscnt 0x0
	global_store_b64 v[2:3], v[0:1], off
.LBB265_102:
	s_nop 0
	s_sendmsg sendmsg(MSG_DEALLOC_VGPRS)
	s_endpgm
.LBB265_103:
	ds_load_u8 v9, v48
	s_wait_dscnt 0x0
	global_store_b8 v[0:1], v9, off
	s_wait_alu 0xfffe
	s_or_b32 exec_lo, exec_lo, s8
	s_and_saveexec_b32 s8, s1
	s_cbranch_execz .LBB265_86
.LBB265_104:
	s_lshl_b32 s9, s14, 9
	s_wait_alu 0xfffe
	v_add_co_u32 v9, vcc_lo, v0, s9
	s_wait_alu 0xfffd
	v_add_co_ci_u32_e64 v10, null, 0, v1, vcc_lo
	s_wait_dscnt 0x6
	global_store_b8 v[9:10], v8, off
	s_or_b32 exec_lo, exec_lo, s8
	s_and_saveexec_b32 s8, s2
	s_cbranch_execz .LBB265_87
.LBB265_105:
	s_lshl_b32 s9, s14, 10
	s_wait_dscnt 0x6
	s_wait_alu 0xfffe
	v_add_co_u32 v8, vcc_lo, v0, s9
	s_wait_alu 0xfffd
	v_add_co_ci_u32_e64 v9, null, 0, v1, vcc_lo
	s_wait_dscnt 0x5
	global_store_b8 v[8:9], v7, off
	s_or_b32 exec_lo, exec_lo, s8
	s_and_saveexec_b32 s8, s3
	s_cbranch_execz .LBB265_88
.LBB265_106:
	s_mul_i32 s9, s14, 0x600
	s_wait_dscnt 0x5
	s_wait_alu 0xfffe
	v_add_co_u32 v7, vcc_lo, v0, s9
	s_wait_alu 0xfffd
	v_add_co_ci_u32_e64 v8, null, 0, v1, vcc_lo
	s_wait_dscnt 0x4
	global_store_b8 v[7:8], v6, off
	s_or_b32 exec_lo, exec_lo, s8
	s_and_saveexec_b32 s8, s4
	s_cbranch_execz .LBB265_89
.LBB265_107:
	s_lshl_b32 s9, s14, 11
	s_wait_dscnt 0x4
	s_wait_alu 0xfffe
	v_add_co_u32 v6, vcc_lo, v0, s9
	s_wait_alu 0xfffd
	v_add_co_ci_u32_e64 v7, null, 0, v1, vcc_lo
	s_wait_dscnt 0x3
	global_store_b8 v[6:7], v5, off
	s_or_b32 exec_lo, exec_lo, s8
	s_and_saveexec_b32 s8, s5
	s_cbranch_execz .LBB265_90
.LBB265_108:
	s_mul_i32 s9, s14, 0xa00
	s_wait_dscnt 0x3
	s_wait_alu 0xfffe
	v_add_co_u32 v5, vcc_lo, v0, s9
	s_wait_alu 0xfffd
	v_add_co_ci_u32_e64 v6, null, 0, v1, vcc_lo
	s_wait_dscnt 0x2
	global_store_b8 v[5:6], v4, off
	s_or_b32 exec_lo, exec_lo, s8
	s_and_saveexec_b32 s8, s6
	s_cbranch_execz .LBB265_91
.LBB265_109:
	s_mul_i32 s9, s14, 0xc00
	s_wait_dscnt 0x2
	s_wait_alu 0xfffe
	v_add_co_u32 v4, vcc_lo, v0, s9
	s_wait_alu 0xfffd
	v_add_co_ci_u32_e64 v5, null, 0, v1, vcc_lo
	s_wait_dscnt 0x1
	global_store_b8 v[4:5], v3, off
	s_or_b32 exec_lo, exec_lo, s8
	s_and_saveexec_b32 s8, s7
	s_cbranch_execnz .LBB265_92
	s_branch .LBB265_93
.LBB265_110:
	ds_load_b64 v[16:17], v57
	s_wait_dscnt 0x0
	global_store_b64 v[2:3], v[16:17], off
	s_wait_alu 0xfffe
	s_or_b32 exec_lo, exec_lo, s8
	s_and_saveexec_b32 s0, s1
	s_cbranch_execz .LBB265_95
.LBB265_111:
	s_lshl_b32 s8, s16, 9
	s_mov_b32 s9, 0
	s_wait_alu 0xfffe
	s_lshl_b64 s[8:9], s[8:9], 3
	s_wait_alu 0xfffe
	v_add_co_u32 v16, vcc_lo, v2, s8
	s_wait_alu 0xfffd
	v_add_co_ci_u32_e64 v17, null, s9, v3, vcc_lo
	s_wait_dscnt 0x6
	global_store_b64 v[16:17], v[14:15], off
	s_or_b32 exec_lo, exec_lo, s0
	s_and_saveexec_b32 s0, s2
	s_cbranch_execz .LBB265_96
.LBB265_112:
	s_lshl_b32 s8, s16, 10
	s_mov_b32 s9, 0
	s_wait_alu 0xfffe
	s_lshl_b64 s[8:9], s[8:9], 3
	s_wait_dscnt 0x6
	s_wait_alu 0xfffe
	v_add_co_u32 v14, vcc_lo, v2, s8
	s_wait_alu 0xfffd
	v_add_co_ci_u32_e64 v15, null, s9, v3, vcc_lo
	s_wait_dscnt 0x5
	global_store_b64 v[14:15], v[12:13], off
	s_or_b32 exec_lo, exec_lo, s0
	s_and_saveexec_b32 s0, s3
	s_cbranch_execz .LBB265_97
.LBB265_113:
	s_mul_i32 s2, s16, 0x600
	s_mov_b32 s3, 0
	s_wait_alu 0xfffe
	s_lshl_b64 s[2:3], s[2:3], 3
	s_wait_dscnt 0x5
	s_wait_alu 0xfffe
	v_add_co_u32 v12, vcc_lo, v2, s2
	s_wait_alu 0xfffd
	v_add_co_ci_u32_e64 v13, null, s3, v3, vcc_lo
	s_wait_dscnt 0x4
	global_store_b64 v[12:13], v[10:11], off
	s_or_b32 exec_lo, exec_lo, s0
	s_and_saveexec_b32 s0, s4
	s_cbranch_execz .LBB265_98
.LBB265_114:
	s_lshl_b32 s2, s16, 11
	s_mov_b32 s3, 0
	s_wait_alu 0xfffe
	s_lshl_b64 s[2:3], s[2:3], 3
	s_wait_dscnt 0x4
	s_wait_alu 0xfffe
	v_add_co_u32 v10, vcc_lo, v2, s2
	s_wait_alu 0xfffd
	v_add_co_ci_u32_e64 v11, null, s3, v3, vcc_lo
	s_wait_dscnt 0x3
	global_store_b64 v[10:11], v[8:9], off
	s_or_b32 exec_lo, exec_lo, s0
	s_and_saveexec_b32 s0, s5
	s_cbranch_execz .LBB265_99
.LBB265_115:
	s_mul_i32 s2, s16, 0xa00
	s_mov_b32 s3, 0
	s_wait_alu 0xfffe
	s_lshl_b64 s[2:3], s[2:3], 3
	s_wait_dscnt 0x3
	s_wait_alu 0xfffe
	v_add_co_u32 v8, vcc_lo, v2, s2
	s_wait_alu 0xfffd
	v_add_co_ci_u32_e64 v9, null, s3, v3, vcc_lo
	s_wait_dscnt 0x2
	global_store_b64 v[8:9], v[6:7], off
	s_or_b32 exec_lo, exec_lo, s0
	s_and_saveexec_b32 s0, s6
	s_cbranch_execz .LBB265_100
.LBB265_116:
	s_mul_i32 s2, s16, 0xc00
	s_mov_b32 s3, 0
	s_wait_alu 0xfffe
	s_lshl_b64 s[2:3], s[2:3], 3
	s_wait_dscnt 0x2
	s_wait_alu 0xfffe
	v_add_co_u32 v6, vcc_lo, v2, s2
	s_wait_alu 0xfffd
	v_add_co_ci_u32_e64 v7, null, s3, v3, vcc_lo
	s_wait_dscnt 0x1
	global_store_b64 v[6:7], v[4:5], off
	s_or_b32 exec_lo, exec_lo, s0
	s_and_saveexec_b32 s0, s7
	s_cbranch_execnz .LBB265_101
	s_branch .LBB265_102
	.section	.rodata,"a",@progbits
	.p2align	6, 0x0
	.amdhsa_kernel _ZN2at6native18radixSortKVInPlaceILi2ELin1ELi512ELi8EbljEEvNS_4cuda6detail10TensorInfoIT3_T5_EES6_S6_S6_NS4_IT4_S6_EES6_b
		.amdhsa_group_segment_fixed_size 33792
		.amdhsa_private_segment_fixed_size 0
		.amdhsa_kernarg_size 712
		.amdhsa_user_sgpr_count 2
		.amdhsa_user_sgpr_dispatch_ptr 0
		.amdhsa_user_sgpr_queue_ptr 0
		.amdhsa_user_sgpr_kernarg_segment_ptr 1
		.amdhsa_user_sgpr_dispatch_id 0
		.amdhsa_user_sgpr_private_segment_size 0
		.amdhsa_wavefront_size32 1
		.amdhsa_uses_dynamic_stack 0
		.amdhsa_enable_private_segment 0
		.amdhsa_system_sgpr_workgroup_id_x 1
		.amdhsa_system_sgpr_workgroup_id_y 1
		.amdhsa_system_sgpr_workgroup_id_z 1
		.amdhsa_system_sgpr_workgroup_info 0
		.amdhsa_system_vgpr_workitem_id 2
		.amdhsa_next_free_vgpr 105
		.amdhsa_next_free_sgpr 28
		.amdhsa_reserve_vcc 1
		.amdhsa_float_round_mode_32 0
		.amdhsa_float_round_mode_16_64 0
		.amdhsa_float_denorm_mode_32 3
		.amdhsa_float_denorm_mode_16_64 3
		.amdhsa_fp16_overflow 0
		.amdhsa_workgroup_processor_mode 1
		.amdhsa_memory_ordered 1
		.amdhsa_forward_progress 1
		.amdhsa_inst_pref_size 78
		.amdhsa_round_robin_scheduling 0
		.amdhsa_exception_fp_ieee_invalid_op 0
		.amdhsa_exception_fp_denorm_src 0
		.amdhsa_exception_fp_ieee_div_zero 0
		.amdhsa_exception_fp_ieee_overflow 0
		.amdhsa_exception_fp_ieee_underflow 0
		.amdhsa_exception_fp_ieee_inexact 0
		.amdhsa_exception_int_div_zero 0
	.end_amdhsa_kernel
	.section	.text._ZN2at6native18radixSortKVInPlaceILi2ELin1ELi512ELi8EbljEEvNS_4cuda6detail10TensorInfoIT3_T5_EES6_S6_S6_NS4_IT4_S6_EES6_b,"axG",@progbits,_ZN2at6native18radixSortKVInPlaceILi2ELin1ELi512ELi8EbljEEvNS_4cuda6detail10TensorInfoIT3_T5_EES6_S6_S6_NS4_IT4_S6_EES6_b,comdat
.Lfunc_end265:
	.size	_ZN2at6native18radixSortKVInPlaceILi2ELin1ELi512ELi8EbljEEvNS_4cuda6detail10TensorInfoIT3_T5_EES6_S6_S6_NS4_IT4_S6_EES6_b, .Lfunc_end265-_ZN2at6native18radixSortKVInPlaceILi2ELin1ELi512ELi8EbljEEvNS_4cuda6detail10TensorInfoIT3_T5_EES6_S6_S6_NS4_IT4_S6_EES6_b
                                        ; -- End function
	.set _ZN2at6native18radixSortKVInPlaceILi2ELin1ELi512ELi8EbljEEvNS_4cuda6detail10TensorInfoIT3_T5_EES6_S6_S6_NS4_IT4_S6_EES6_b.num_vgpr, 105
	.set _ZN2at6native18radixSortKVInPlaceILi2ELin1ELi512ELi8EbljEEvNS_4cuda6detail10TensorInfoIT3_T5_EES6_S6_S6_NS4_IT4_S6_EES6_b.num_agpr, 0
	.set _ZN2at6native18radixSortKVInPlaceILi2ELin1ELi512ELi8EbljEEvNS_4cuda6detail10TensorInfoIT3_T5_EES6_S6_S6_NS4_IT4_S6_EES6_b.numbered_sgpr, 28
	.set _ZN2at6native18radixSortKVInPlaceILi2ELin1ELi512ELi8EbljEEvNS_4cuda6detail10TensorInfoIT3_T5_EES6_S6_S6_NS4_IT4_S6_EES6_b.num_named_barrier, 0
	.set _ZN2at6native18radixSortKVInPlaceILi2ELin1ELi512ELi8EbljEEvNS_4cuda6detail10TensorInfoIT3_T5_EES6_S6_S6_NS4_IT4_S6_EES6_b.private_seg_size, 0
	.set _ZN2at6native18radixSortKVInPlaceILi2ELin1ELi512ELi8EbljEEvNS_4cuda6detail10TensorInfoIT3_T5_EES6_S6_S6_NS4_IT4_S6_EES6_b.uses_vcc, 1
	.set _ZN2at6native18radixSortKVInPlaceILi2ELin1ELi512ELi8EbljEEvNS_4cuda6detail10TensorInfoIT3_T5_EES6_S6_S6_NS4_IT4_S6_EES6_b.uses_flat_scratch, 0
	.set _ZN2at6native18radixSortKVInPlaceILi2ELin1ELi512ELi8EbljEEvNS_4cuda6detail10TensorInfoIT3_T5_EES6_S6_S6_NS4_IT4_S6_EES6_b.has_dyn_sized_stack, 0
	.set _ZN2at6native18radixSortKVInPlaceILi2ELin1ELi512ELi8EbljEEvNS_4cuda6detail10TensorInfoIT3_T5_EES6_S6_S6_NS4_IT4_S6_EES6_b.has_recursion, 0
	.set _ZN2at6native18radixSortKVInPlaceILi2ELin1ELi512ELi8EbljEEvNS_4cuda6detail10TensorInfoIT3_T5_EES6_S6_S6_NS4_IT4_S6_EES6_b.has_indirect_call, 0
	.section	.AMDGPU.csdata,"",@progbits
; Kernel info:
; codeLenInByte = 9960
; TotalNumSgprs: 30
; NumVgprs: 105
; ScratchSize: 0
; MemoryBound: 0
; FloatMode: 240
; IeeeMode: 1
; LDSByteSize: 33792 bytes/workgroup (compile time only)
; SGPRBlocks: 0
; VGPRBlocks: 13
; NumSGPRsForWavesPerEU: 30
; NumVGPRsForWavesPerEU: 105
; Occupancy: 12
; WaveLimiterHint : 1
; COMPUTE_PGM_RSRC2:SCRATCH_EN: 0
; COMPUTE_PGM_RSRC2:USER_SGPR: 2
; COMPUTE_PGM_RSRC2:TRAP_HANDLER: 0
; COMPUTE_PGM_RSRC2:TGID_X_EN: 1
; COMPUTE_PGM_RSRC2:TGID_Y_EN: 1
; COMPUTE_PGM_RSRC2:TGID_Z_EN: 1
; COMPUTE_PGM_RSRC2:TIDIG_COMP_CNT: 2
	.section	.text._ZN2at6native18radixSortKVInPlaceILi2ELin1ELi256ELi8EbljEEvNS_4cuda6detail10TensorInfoIT3_T5_EES6_S6_S6_NS4_IT4_S6_EES6_b,"axG",@progbits,_ZN2at6native18radixSortKVInPlaceILi2ELin1ELi256ELi8EbljEEvNS_4cuda6detail10TensorInfoIT3_T5_EES6_S6_S6_NS4_IT4_S6_EES6_b,comdat
	.protected	_ZN2at6native18radixSortKVInPlaceILi2ELin1ELi256ELi8EbljEEvNS_4cuda6detail10TensorInfoIT3_T5_EES6_S6_S6_NS4_IT4_S6_EES6_b ; -- Begin function _ZN2at6native18radixSortKVInPlaceILi2ELin1ELi256ELi8EbljEEvNS_4cuda6detail10TensorInfoIT3_T5_EES6_S6_S6_NS4_IT4_S6_EES6_b
	.globl	_ZN2at6native18radixSortKVInPlaceILi2ELin1ELi256ELi8EbljEEvNS_4cuda6detail10TensorInfoIT3_T5_EES6_S6_S6_NS4_IT4_S6_EES6_b
	.p2align	8
	.type	_ZN2at6native18radixSortKVInPlaceILi2ELin1ELi256ELi8EbljEEvNS_4cuda6detail10TensorInfoIT3_T5_EES6_S6_S6_NS4_IT4_S6_EES6_b,@function
_ZN2at6native18radixSortKVInPlaceILi2ELin1ELi256ELi8EbljEEvNS_4cuda6detail10TensorInfoIT3_T5_EES6_S6_S6_NS4_IT4_S6_EES6_b: ; @_ZN2at6native18radixSortKVInPlaceILi2ELin1ELi256ELi8EbljEEvNS_4cuda6detail10TensorInfoIT3_T5_EES6_S6_S6_NS4_IT4_S6_EES6_b
; %bb.0:
	s_clause 0x1
	s_load_b64 s[2:3], s[0:1], 0x1c8
	s_load_b96 s[8:10], s[0:1], 0xd8
	s_lshr_b32 s4, ttmp7, 16
	s_wait_kmcnt 0x0
	s_mul_i32 s3, s3, s4
	s_and_b32 s4, ttmp7, 0xffff
	s_delay_alu instid0(SALU_CYCLE_1) | instskip(NEXT) | instid1(SALU_CYCLE_1)
	s_add_co_i32 s3, s3, s4
	s_mul_i32 s2, s3, s2
	s_delay_alu instid0(SALU_CYCLE_1) | instskip(NEXT) | instid1(SALU_CYCLE_1)
	s_add_co_i32 s2, s2, ttmp9
	s_cmp_ge_u32 s2, s8
	s_cbranch_scc1 .LBB266_102
; %bb.1:
	s_clause 0x2
	s_load_b32 s8, s[0:1], 0xc
	s_load_b64 s[4:5], s[0:1], 0x6c
	s_load_b32 s12, s[0:1], 0x1b8
	s_add_nc_u64 s[20:21], s[0:1], 0xe8
	s_wait_kmcnt 0x0
	s_cvt_f32_u32 s3, s8
	s_delay_alu instid0(SALU_CYCLE_3) | instskip(NEXT) | instid1(TRANS32_DEP_1)
	v_rcp_iflag_f32_e32 v1, s3
	v_readfirstlane_b32 s3, v1
	s_mul_f32 s3, s3, 0x4f7ffffe
	s_wait_alu 0xfffe
	s_delay_alu instid0(SALU_CYCLE_2) | instskip(SKIP_2) | instid1(SALU_CYCLE_1)
	s_cvt_u32_f32 s6, s3
	s_sub_co_i32 s3, 0, s8
	s_wait_alu 0xfffe
	s_mul_i32 s7, s3, s6
	s_mov_b32 s3, 0
	s_mul_hi_u32 s11, s6, s7
	s_wait_alu 0xfffe
	s_mov_b32 s7, s3
	s_add_co_i32 s6, s6, s11
	s_cmp_lt_i32 s12, 2
	s_mov_b32 s11, s2
	s_mov_b32 s17, s3
	s_cbranch_scc1 .LBB266_4
; %bb.2:
	s_add_co_i32 s16, s12, -1
	s_mov_b32 s17, 0
	s_mov_b32 s11, s2
	s_lshl_b64 s[14:15], s[16:17], 2
	s_delay_alu instid0(SALU_CYCLE_1)
	s_add_nc_u64 s[18:19], s[20:21], s[14:15]
	s_add_co_i32 s14, s12, 1
	s_add_nc_u64 s[12:13], s[18:19], 8
.LBB266_3:                              ; =>This Inner Loop Header: Depth=1
	s_clause 0x1
	s_load_b32 s15, s[12:13], 0x0
	s_load_b32 s16, s[12:13], 0x64
	s_mov_b32 s22, s11
	s_add_nc_u64 s[12:13], s[12:13], -4
	s_wait_kmcnt 0x0
	s_cvt_f32_u32 s18, s15
	s_sub_co_i32 s19, 0, s15
	s_wait_alu 0xfffe
	s_delay_alu instid0(SALU_CYCLE_1) | instskip(NEXT) | instid1(TRANS32_DEP_1)
	v_rcp_iflag_f32_e32 v1, s18
	v_readfirstlane_b32 s18, v1
	s_mul_f32 s18, s18, 0x4f7ffffe
	s_wait_alu 0xfffe
	s_delay_alu instid0(SALU_CYCLE_2) | instskip(SKIP_1) | instid1(SALU_CYCLE_2)
	s_cvt_u32_f32 s18, s18
	s_wait_alu 0xfffe
	s_mul_i32 s19, s19, s18
	s_wait_alu 0xfffe
	s_mul_hi_u32 s19, s18, s19
	s_wait_alu 0xfffe
	s_add_co_i32 s18, s18, s19
	s_wait_alu 0xfffe
	s_mul_hi_u32 s11, s11, s18
	s_delay_alu instid0(SALU_CYCLE_1)
	s_mul_i32 s18, s11, s15
	s_add_co_i32 s19, s11, 1
	s_wait_alu 0xfffe
	s_sub_co_i32 s18, s22, s18
	s_wait_alu 0xfffe
	s_sub_co_i32 s23, s18, s15
	s_cmp_ge_u32 s18, s15
	s_cselect_b32 s11, s19, s11
	s_cselect_b32 s18, s23, s18
	s_add_co_i32 s19, s11, 1
	s_wait_alu 0xfffe
	s_cmp_ge_u32 s18, s15
	s_cselect_b32 s11, s19, s11
	s_add_co_i32 s14, s14, -1
	s_mul_i32 s15, s11, s15
	s_delay_alu instid0(SALU_CYCLE_1) | instskip(NEXT) | instid1(SALU_CYCLE_1)
	s_sub_co_i32 s15, s22, s15
	s_mul_i32 s15, s16, s15
	s_delay_alu instid0(SALU_CYCLE_1)
	s_add_co_i32 s17, s15, s17
	s_cmp_gt_u32 s14, 2
	s_cbranch_scc1 .LBB266_3
.LBB266_4:
	s_mul_u64 s[6:7], s[2:3], s[6:7]
	s_clause 0x1
	s_load_b64 s[14:15], s[0:1], 0x0
	s_load_b64 s[12:13], s[0:1], 0x1c0
	s_mul_i32 s3, s7, s8
	s_add_nc_u64 s[18:19], s[0:1], 0x1c8
	s_wait_alu 0xfffe
	s_sub_co_i32 s0, s2, s3
	s_add_co_i32 s1, s7, 1
	s_sub_co_i32 s3, s0, s8
	s_cmp_ge_u32 s0, s8
	v_and_b32_e32 v44, 0x3ff, v0
	s_cselect_b32 s1, s1, s7
	s_wait_alu 0xfffe
	s_cselect_b32 s0, s3, s0
	s_add_co_i32 s3, s1, 1
	s_cmp_ge_u32 s0, s8
	v_mul_lo_u32 v47, s10, v44
	s_wait_alu 0xfffe
	s_cselect_b32 s0, s3, s1
	s_mov_b32 s3, 0
	s_mul_i32 s1, s0, s8
	s_mul_i32 s0, s0, s4
	s_sub_co_i32 s1, s2, s1
	s_delay_alu instid0(SALU_CYCLE_1) | instskip(NEXT) | instid1(SALU_CYCLE_1)
	s_mul_i32 s1, s1, s5
	s_add_co_i32 s2, s0, s1
	s_wait_kmcnt 0x0
	s_bitcmp1_b32 s13, 0
	s_wait_alu 0xfffe
	s_add_nc_u64 s[14:15], s[14:15], s[2:3]
	s_cselect_b32 s0, -1, 0
	s_delay_alu instid0(SALU_CYCLE_1) | instskip(SKIP_3) | instid1(VALU_DEP_2)
	s_xor_b32 s8, s0, -1
	v_cmp_gt_u32_e64 s0, s9, v44
	v_cndmask_b32_e64 v1, 0, 1, s8
	v_cndmask_b32_e64 v3, 0, 1, s8
	v_lshlrev_b32_e32 v2, 8, v1
	s_delay_alu instid0(VALU_DEP_1) | instskip(NEXT) | instid1(VALU_DEP_1)
	v_or_b32_e32 v1, v1, v2
	v_and_b32_e32 v2, 0x101, v1
	v_lshlrev_b32_e32 v1, 16, v1
	s_delay_alu instid0(VALU_DEP_1) | instskip(NEXT) | instid1(VALU_DEP_1)
	v_or_b32_e32 v1, v2, v1
	v_mov_b32_e32 v2, v1
	s_and_saveexec_b32 s1, s0
	s_cbranch_execz .LBB266_6
; %bb.5:
	global_load_u8 v3, v47, s[14:15]
	v_mov_b32_e32 v5, v1
	s_wait_loadcnt 0x0
	v_perm_b32 v4, v3, v1, 0x3020104
	s_delay_alu instid0(VALU_DEP_1)
	v_dual_mov_b32 v1, v4 :: v_dual_mov_b32 v2, v5
.LBB266_6:
	s_or_b32 exec_lo, exec_lo, s1
	v_add_nc_u32_e32 v28, 0x100, v44
	s_delay_alu instid0(VALU_DEP_1)
	v_cmp_gt_u32_e64 s1, s9, v28
	s_and_saveexec_b32 s2, s1
	s_cbranch_execz .LBB266_8
; %bb.7:
	v_mul_lo_u32 v4, s10, v28
	global_load_u8 v4, v4, s[14:15]
	s_wait_loadcnt 0x0
	v_perm_b32 v1, v1, v4, 0x7060004
.LBB266_8:
	s_wait_alu 0xfffe
	s_or_b32 exec_lo, exec_lo, s2
	v_add_nc_u32_e32 v24, 0x200, v44
	s_delay_alu instid0(VALU_DEP_1)
	v_cmp_gt_u32_e64 s2, s9, v24
	s_and_saveexec_b32 s3, s2
	s_cbranch_execz .LBB266_10
; %bb.9:
	v_mul_lo_u32 v4, s10, v24
	global_load_u8 v4, v4, s[14:15]
	s_wait_loadcnt 0x0
	v_perm_b32 v4, v4, v1, 0xc0c0304
	s_delay_alu instid0(VALU_DEP_1) | instskip(NEXT) | instid1(VALU_DEP_1)
	v_lshlrev_b32_e32 v4, 16, v4
	v_and_or_b32 v1, 0xffff, v1, v4
.LBB266_10:
	s_wait_alu 0xfffe
	s_or_b32 exec_lo, exec_lo, s3
	v_add_nc_u32_e32 v21, 0x300, v44
	s_delay_alu instid0(VALU_DEP_1)
	v_cmp_gt_u32_e64 s3, s9, v21
	s_and_saveexec_b32 s4, s3
	s_cbranch_execz .LBB266_12
; %bb.11:
	v_mul_lo_u32 v4, s10, v21
	global_load_u8 v4, v4, s[14:15]
	s_wait_loadcnt 0x0
	v_perm_b32 v4, v1, v4, 0xc0c0006
	s_delay_alu instid0(VALU_DEP_1) | instskip(NEXT) | instid1(VALU_DEP_1)
	v_lshlrev_b32_e32 v4, 16, v4
	v_and_or_b32 v1, 0xffff, v1, v4
.LBB266_12:
	s_or_b32 exec_lo, exec_lo, s4
	v_or_b32_e32 v19, 0x400, v44
	s_delay_alu instid0(VALU_DEP_1)
	v_cmp_gt_u32_e64 s4, s9, v19
	s_and_saveexec_b32 s5, s4
	s_cbranch_execz .LBB266_14
; %bb.13:
	v_mul_lo_u32 v4, s10, v19
	global_load_u8 v4, v4, s[14:15]
	s_wait_loadcnt 0x0
	v_perm_b32 v2, v4, v2, 0x3020104
.LBB266_14:
	s_or_b32 exec_lo, exec_lo, s5
	v_add_nc_u32_e32 v17, 0x500, v44
	s_delay_alu instid0(VALU_DEP_1)
	v_cmp_gt_u32_e64 s5, s9, v17
	s_and_saveexec_b32 s6, s5
	s_cbranch_execz .LBB266_16
; %bb.15:
	v_mul_lo_u32 v4, s10, v17
	global_load_u8 v4, v4, s[14:15]
	s_wait_loadcnt 0x0
	v_perm_b32 v2, v2, v4, 0x7060004
.LBB266_16:
	s_or_b32 exec_lo, exec_lo, s6
	v_add_nc_u32_e32 v16, 0x600, v44
	s_delay_alu instid0(VALU_DEP_1)
	v_cmp_gt_u32_e64 s6, s9, v16
	s_and_saveexec_b32 s7, s6
	s_cbranch_execz .LBB266_18
; %bb.17:
	v_mul_lo_u32 v4, s10, v16
	global_load_u8 v4, v4, s[14:15]
	s_wait_loadcnt 0x0
	v_perm_b32 v2, v2, v4, 0x7000504
.LBB266_18:
	s_or_b32 exec_lo, exec_lo, s7
	s_clause 0x1
	s_load_b32 s13, s[20:21], 0x6c
	s_load_b64 s[20:21], s[20:21], 0x0
	v_add_nc_u32_e32 v15, 0x700, v44
	s_delay_alu instid0(VALU_DEP_1)
	v_cmp_gt_u32_e64 s7, s9, v15
	s_and_saveexec_b32 s9, s7
	s_cbranch_execz .LBB266_20
; %bb.19:
	v_mul_lo_u32 v4, s10, v15
	global_load_u8 v4, v4, s[14:15]
	s_wait_loadcnt 0x0
	v_perm_b32 v2, v2, v4, 0x60504
.LBB266_20:
	s_wait_alu 0xfffe
	s_or_b32 exec_lo, exec_lo, s9
	v_lshrrev_b32_e32 v65, 5, v44
	v_lshrrev_b32_e32 v18, 5, v28
	v_lshrrev_b32_e32 v23, 5, v19
	v_lshrrev_b32_e32 v20, 5, v24
	v_lshrrev_b32_e32 v26, 5, v16
	s_delay_alu instid0(VALU_DEP_4) | instskip(SKIP_4) | instid1(VALU_DEP_4)
	v_dual_mov_b32 v42, 0 :: v_dual_and_b32 v5, 60, v18
	v_and_b32_e32 v4, 28, v65
	v_and_b32_e32 v7, 60, v23
	v_lshrrev_b32_e32 v22, 5, v21
	v_lshrrev_b32_e32 v29, 2, v44
	v_dual_mov_b32 v43, v42 :: v_dual_add_nc_u32 v48, v4, v44
	v_dual_mov_b32 v11, v42 :: v_dual_and_b32 v4, 60, v20
	v_mov_b32_e32 v12, v42
	v_add_nc_u32_e32 v52, v7, v44
	v_and_b32_e32 v7, 0x7c, v26
	s_delay_alu instid0(VALU_DEP_4)
	v_add_nc_u32_e32 v50, v4, v44
	v_and_b32_e32 v4, 60, v22
	v_lshrrev_b32_e32 v25, 5, v17
	v_lshrrev_b32_e32 v27, 5, v15
	v_dual_mov_b32 v13, 0 :: v_dual_add_nc_u32 v54, v7, v44
	v_lshlrev_b32_e32 v61, 3, v44
	v_and_b32_e32 v7, 0xfc, v29
	v_add_nc_u32_e32 v51, v4, v44
	v_and_b32_e32 v4, 0x7c, v25
	v_and_b32_e32 v9, 0x7c, v27
	v_lshrrev_b32_e32 v6, 8, v1
	v_add_nc_u32_e32 v56, v7, v61
	v_dual_mov_b32 v10, v42 :: v_dual_add_nc_u32 v49, v5, v44
	v_lshrrev_b32_e32 v5, 24, v1
	v_lshrrev_b32_e32 v8, 8, v2
	v_dual_mov_b32 v14, 0 :: v_dual_add_nc_u32 v53, v4, v44
	v_lshrrev_b32_e32 v4, 24, v2
	v_add_nc_u32_e32 v55, v9, v44
	v_mov_b32_e32 v9, v42
	v_mov_b32_e32 v7, v42
	ds_store_b8 v48, v3
	ds_store_b8 v49, v6 offset:256
	ds_store_b8_d16_hi v50, v1 offset:512
	ds_store_b8 v51, v5 offset:768
	ds_store_b8 v52, v2 offset:1024
	;; [unrolled: 1-line block ×3, first 2 shown]
	ds_store_b8_d16_hi v54, v2 offset:1536
	ds_store_b8 v55, v4 offset:1792
	s_wait_dscnt 0x0
	s_barrier_signal -1
	s_barrier_wait -1
	global_inv scope:SCOPE_SE
	ds_load_2addr_b32 v[45:46], v56 offset1:1
	s_wait_kmcnt 0x0
	s_mul_i32 s9, s13, s11
	v_mul_lo_u32 v41, s12, v44
	s_mov_b32 s23, 0
	s_wait_alu 0xfffe
	s_add_co_i32 s22, s9, s17
	v_dual_mov_b32 v1, v42 :: v_dual_mov_b32 v2, v42
	v_dual_mov_b32 v3, v42 :: v_dual_mov_b32 v4, v42
	;; [unrolled: 1-line block ×3, first 2 shown]
	v_mov_b32_e32 v8, v42
	s_lshl_b64 s[16:17], s[22:23], 3
	s_wait_loadcnt_dscnt 0x0
	s_add_nc_u64 s[16:17], s[20:21], s[16:17]
	s_barrier_signal -1
	s_barrier_wait -1
	global_inv scope:SCOPE_SE
	s_and_saveexec_b32 s9, s0
	s_cbranch_execnz .LBB266_53
; %bb.21:
	s_wait_alu 0xfffe
	s_or_b32 exec_lo, exec_lo, s9
	s_and_saveexec_b32 s9, s1
	s_cbranch_execnz .LBB266_54
.LBB266_22:
	s_wait_alu 0xfffe
	s_or_b32 exec_lo, exec_lo, s9
	s_and_saveexec_b32 s9, s2
	s_cbranch_execnz .LBB266_55
.LBB266_23:
	s_wait_alu 0xfffe
	s_or_b32 exec_lo, exec_lo, s9
	s_and_saveexec_b32 s9, s3
	s_cbranch_execnz .LBB266_56
.LBB266_24:
	s_wait_alu 0xfffe
	s_or_b32 exec_lo, exec_lo, s9
	s_and_saveexec_b32 s9, s4
	s_cbranch_execnz .LBB266_57
.LBB266_25:
	s_wait_alu 0xfffe
	s_or_b32 exec_lo, exec_lo, s9
	s_and_saveexec_b32 s9, s5
	s_cbranch_execnz .LBB266_58
.LBB266_26:
	s_wait_alu 0xfffe
	s_or_b32 exec_lo, exec_lo, s9
	s_and_saveexec_b32 s9, s6
	s_cbranch_execnz .LBB266_59
.LBB266_27:
	s_wait_alu 0xfffe
	s_or_b32 exec_lo, exec_lo, s9
	s_and_saveexec_b32 s9, s7
	s_cbranch_execz .LBB266_29
.LBB266_28:
	v_mul_lo_u32 v7, s12, v15
	v_mov_b32_e32 v8, 0
	s_delay_alu instid0(VALU_DEP_1) | instskip(NEXT) | instid1(VALU_DEP_1)
	v_lshlrev_b64_e32 v[7:8], 3, v[7:8]
	v_add_co_u32 v7, vcc_lo, s16, v7
	s_wait_alu 0xfffd
	s_delay_alu instid0(VALU_DEP_2)
	v_add_co_ci_u32_e64 v8, null, s17, v8, vcc_lo
	global_load_b64 v[7:8], v[7:8], off
.LBB266_29:
	s_wait_alu 0xfffe
	s_or_b32 exec_lo, exec_lo, s9
	v_lshl_add_u32 v57, v65, 3, v61
	v_lshl_add_u32 v58, v18, 3, v61
	;; [unrolled: 1-line block ×5, first 2 shown]
	s_wait_loadcnt 0x0
	ds_store_b64 v57, v[13:14]
	ds_store_b64 v58, v[42:43] offset:2048
	ds_store_b64 v59, v[9:10] offset:4096
	;; [unrolled: 1-line block ×3, first 2 shown]
	v_lshlrev_b32_e32 v9, 3, v61
	v_lshl_add_u32 v42, v23, 3, v61
	v_lshl_add_u32 v43, v25, 3, v61
	;; [unrolled: 1-line block ×3, first 2 shown]
	ds_store_b64 v42, v[1:2] offset:8192
	ds_store_b64 v43, v[3:4] offset:10240
	;; [unrolled: 1-line block ×4, first 2 shown]
	v_lshl_add_u32 v64, v29, 3, v9
	s_wait_dscnt 0x0
	s_barrier_signal -1
	s_barrier_wait -1
	global_inv scope:SCOPE_SE
	ds_load_2addr_b64 v[13:16], v64 offset1:1
	ds_load_2addr_b64 v[9:12], v64 offset0:2 offset1:3
	ds_load_2addr_b64 v[5:8], v64 offset0:4 offset1:5
	;; [unrolled: 1-line block ×3, first 2 shown]
	v_bfe_u32 v69, v0, 10, 10
	v_bfe_u32 v70, v0, 20, 10
	v_mbcnt_lo_u32_b32 v67, -1, 0
	v_and_b32_e32 v68, 0x3e0, v44
	v_lshlrev_b32_e32 v66, 2, v61
	s_and_b32 vcc_lo, exec_lo, s8
	s_wait_loadcnt_dscnt 0x0
	s_barrier_signal -1
	s_barrier_wait -1
	global_inv scope:SCOPE_SE
	s_wait_alu 0xfffe
	s_cbranch_vccz .LBB266_60
; %bb.30:
	s_getpc_b64 s[8:9]
	s_wait_alu 0xfffe
	s_sext_i32_i16 s9, s9
	s_add_co_u32 s8, s8, _ZN7rocprim17ROCPRIM_400000_NS16block_radix_sortIbLj256ELj8ElLj1ELj1ELj0ELNS0_26block_radix_rank_algorithmE1ELNS0_18block_padding_hintE2ELNS0_4arch9wavefront6targetE0EE19radix_bits_per_passE@rel32@lo+12
	s_wait_alu 0xfffe
	s_add_co_ci_u32 s9, s9, _ZN7rocprim17ROCPRIM_400000_NS16block_radix_sortIbLj256ELj8ElLj1ELj1ELj0ELNS0_26block_radix_rank_algorithmE1ELNS0_18block_padding_hintE2ELNS0_4arch9wavefront6targetE0EE19radix_bits_per_passE@rel32@hi+24
	v_or_b32_e32 v17, v67, v68
	s_load_b32 s8, s[8:9], 0x0
	s_mov_b32 s20, 0
	v_and_or_b32 v19, 0x1f00, v61, v67
	s_mov_b32 s21, s20
	s_mov_b32 s22, s20
	;; [unrolled: 1-line block ×3, first 2 shown]
	v_lshlrev_b32_e32 v18, 3, v17
	ds_store_b64 v18, v[45:46]
	; wave barrier
	ds_load_u8 v0, v19
	ds_load_u8 v71, v19 offset:32
	ds_load_u8 v72, v19 offset:64
	;; [unrolled: 1-line block ×7, first 2 shown]
	v_mad_u32_u24 v17, v17, 56, v18
	v_mad_u32_u24 v18, v19, 7, v19
	s_wait_loadcnt_dscnt 0x0
	s_barrier_signal -1
	s_barrier_wait -1
	global_inv scope:SCOPE_SE
	ds_store_b128 v17, v[13:16]
	ds_store_b128 v17, v[9:12] offset:16
	ds_store_b128 v17, v[5:8] offset:32
	;; [unrolled: 1-line block ×3, first 2 shown]
	; wave barrier
	ds_load_2addr_b64 v[29:32], v18 offset1:32
	ds_load_2addr_b64 v[25:28], v18 offset0:64 offset1:96
	ds_load_2addr_b64 v[21:24], v18 offset0:128 offset1:160
	;; [unrolled: 1-line block ×3, first 2 shown]
	s_wait_loadcnt_dscnt 0x0
	s_barrier_signal -1
	s_barrier_wait -1
	global_inv scope:SCOPE_SE
	s_load_b32 s11, s[18:19], 0xc
	s_wait_kmcnt 0x0
	s_min_u32 s8, s8, 8
	s_wait_alu 0xfffe
	s_lshl_b32 s8, -1, s8
	s_wait_alu 0xfffe
	s_not_b32 s9, s8
	s_wait_alu 0xfffe
	v_and_b32_e32 v33, s9, v0
	s_delay_alu instid0(VALU_DEP_1) | instskip(NEXT) | instid1(VALU_DEP_1)
	v_and_b32_e32 v39, 1, v33
	v_add_co_u32 v35, s13, v39, -1
	s_wait_alu 0xf1ff
	v_cndmask_b32_e64 v33, 0, 1, s13
	s_lshr_b32 s8, s11, 16
	s_wait_alu 0xfffe
	v_mad_u32_u24 v34, v70, s8, v69
	s_and_b32 s8, s11, 0xffff
	v_cmp_ne_u32_e32 vcc_lo, 0, v33
	s_wait_alu 0xfffe
	s_delay_alu instid0(VALU_DEP_2) | instskip(SKIP_4) | instid1(VALU_DEP_3)
	v_mad_co_u64_u32 v[33:34], null, v34, s8, v[44:45]
	s_wait_alu 0xfffd
	v_xor_b32_e32 v34, vcc_lo, v35
	v_dual_mov_b32 v38, s23 :: v_dual_mov_b32 v35, s20
	v_dual_mov_b32 v37, s22 :: v_dual_mov_b32 v36, s21
	v_and_b32_e32 v34, exec_lo, v34
	v_lshrrev_b32_e32 v33, 3, v33
	ds_store_b128 v66, v[35:38] offset:32
	ds_store_b128 v66, v[35:38] offset:48
	v_mbcnt_lo_u32_b32 v78, v34, 0
	v_lshlrev_b32_e32 v35, 5, v39
	v_and_b32_e32 v33, 0x1ffffffc, v33
	v_cmp_ne_u32_e64 s8, 0, v34
	s_wait_loadcnt_dscnt 0x0
	v_cmp_eq_u32_e32 vcc_lo, 0, v78
	s_barrier_signal -1
	v_add_nc_u32_e32 v81, v33, v35
	s_barrier_wait -1
	global_inv scope:SCOPE_SE
	s_and_b32 s11, s8, vcc_lo
	; wave barrier
	s_wait_alu 0xfffe
	s_and_saveexec_b32 s8, s11
; %bb.31:
	v_bcnt_u32_b32 v34, v34, 0
	ds_store_b32 v81, v34 offset:32
; %bb.32:
	s_wait_alu 0xfffe
	s_or_b32 exec_lo, exec_lo, s8
	v_and_b32_e32 v34, s9, v71
	; wave barrier
	s_delay_alu instid0(VALU_DEP_1) | instskip(NEXT) | instid1(VALU_DEP_1)
	v_and_b32_e32 v34, 0xff, v34
	v_add_co_u32 v35, s8, v34, -1
	s_wait_alu 0xf1ff
	v_cndmask_b32_e64 v36, 0, 1, s8
	v_lshlrev_b32_e32 v34, 5, v34
	s_delay_alu instid0(VALU_DEP_2) | instskip(NEXT) | instid1(VALU_DEP_2)
	v_cmp_ne_u32_e32 vcc_lo, 0, v36
	v_add_nc_u32_e32 v84, v33, v34
	s_wait_alu 0xfffd
	v_xor_b32_e32 v34, vcc_lo, v35
	ds_load_b32 v79, v84 offset:32
	; wave barrier
	v_and_b32_e32 v34, exec_lo, v34
	s_delay_alu instid0(VALU_DEP_1) | instskip(SKIP_1) | instid1(VALU_DEP_2)
	v_mbcnt_lo_u32_b32 v80, v34, 0
	v_cmp_ne_u32_e64 s8, 0, v34
	v_cmp_eq_u32_e32 vcc_lo, 0, v80
	s_and_b32 s11, s8, vcc_lo
	s_wait_alu 0xfffe
	s_and_saveexec_b32 s8, s11
	s_cbranch_execz .LBB266_34
; %bb.33:
	s_wait_dscnt 0x0
	v_bcnt_u32_b32 v34, v34, v79
	ds_store_b32 v84, v34 offset:32
.LBB266_34:
	s_wait_alu 0xfffe
	s_or_b32 exec_lo, exec_lo, s8
	v_and_b32_e32 v34, s9, v72
	; wave barrier
	s_delay_alu instid0(VALU_DEP_1) | instskip(NEXT) | instid1(VALU_DEP_1)
	v_and_b32_e32 v34, 0xff, v34
	v_add_co_u32 v35, s8, v34, -1
	s_wait_alu 0xf1ff
	v_cndmask_b32_e64 v36, 0, 1, s8
	v_lshlrev_b32_e32 v34, 5, v34
	s_delay_alu instid0(VALU_DEP_2) | instskip(NEXT) | instid1(VALU_DEP_2)
	v_cmp_ne_u32_e32 vcc_lo, 0, v36
	v_add_nc_u32_e32 v87, v33, v34
	s_wait_alu 0xfffd
	v_xor_b32_e32 v34, vcc_lo, v35
	ds_load_b32 v82, v87 offset:32
	; wave barrier
	v_and_b32_e32 v34, exec_lo, v34
	s_delay_alu instid0(VALU_DEP_1) | instskip(SKIP_1) | instid1(VALU_DEP_2)
	v_mbcnt_lo_u32_b32 v83, v34, 0
	v_cmp_ne_u32_e64 s8, 0, v34
	v_cmp_eq_u32_e32 vcc_lo, 0, v83
	s_and_b32 s11, s8, vcc_lo
	s_wait_alu 0xfffe
	s_and_saveexec_b32 s8, s11
	s_cbranch_execz .LBB266_36
; %bb.35:
	s_wait_dscnt 0x0
	v_bcnt_u32_b32 v34, v34, v82
	ds_store_b32 v87, v34 offset:32
.LBB266_36:
	;; [unrolled: 31-line block ×7, first 2 shown]
	s_wait_alu 0xfffe
	s_or_b32 exec_lo, exec_lo, s8
	; wave barrier
	s_wait_loadcnt_dscnt 0x0
	s_barrier_signal -1
	s_barrier_wait -1
	global_inv scope:SCOPE_SE
	ds_load_b128 v[37:40], v66 offset:32
	ds_load_b128 v[33:36], v66 offset:48
	v_min_u32_e32 v103, 0xe0, v68
	s_mov_b32 s8, exec_lo
	s_wait_dscnt 0x1
	v_add_nc_u32_e32 v101, v38, v37
	s_delay_alu instid0(VALU_DEP_1) | instskip(SKIP_1) | instid1(VALU_DEP_1)
	v_add3_u32 v101, v101, v39, v40
	s_wait_dscnt 0x0
	v_add3_u32 v101, v101, v33, v34
	s_delay_alu instid0(VALU_DEP_1) | instskip(SKIP_1) | instid1(VALU_DEP_2)
	v_add3_u32 v36, v101, v35, v36
	v_and_b32_e32 v101, 15, v67
	v_mov_b32_dpp v102, v36 row_shr:1 row_mask:0xf bank_mask:0xf
	s_delay_alu instid0(VALU_DEP_2) | instskip(SKIP_1) | instid1(VALU_DEP_2)
	v_cmp_ne_u32_e32 vcc_lo, 0, v101
	s_wait_alu 0xfffd
	v_cndmask_b32_e32 v102, 0, v102, vcc_lo
	v_cmp_lt_u32_e32 vcc_lo, 1, v101
	s_delay_alu instid0(VALU_DEP_2) | instskip(NEXT) | instid1(VALU_DEP_1)
	v_add_nc_u32_e32 v36, v102, v36
	v_mov_b32_dpp v102, v36 row_shr:2 row_mask:0xf bank_mask:0xf
	s_wait_alu 0xfffd
	s_delay_alu instid0(VALU_DEP_1) | instskip(SKIP_1) | instid1(VALU_DEP_2)
	v_cndmask_b32_e32 v102, 0, v102, vcc_lo
	v_cmp_lt_u32_e32 vcc_lo, 3, v101
	v_add_nc_u32_e32 v36, v36, v102
	s_delay_alu instid0(VALU_DEP_1) | instskip(SKIP_1) | instid1(VALU_DEP_1)
	v_mov_b32_dpp v102, v36 row_shr:4 row_mask:0xf bank_mask:0xf
	s_wait_alu 0xfffd
	v_cndmask_b32_e32 v102, 0, v102, vcc_lo
	v_cmp_lt_u32_e32 vcc_lo, 7, v101
	s_delay_alu instid0(VALU_DEP_2) | instskip(NEXT) | instid1(VALU_DEP_1)
	v_add_nc_u32_e32 v36, v36, v102
	v_mov_b32_dpp v102, v36 row_shr:8 row_mask:0xf bank_mask:0xf
	s_wait_alu 0xfffd
	s_delay_alu instid0(VALU_DEP_1) | instskip(SKIP_1) | instid1(VALU_DEP_2)
	v_cndmask_b32_e32 v101, 0, v102, vcc_lo
	v_bfe_i32 v102, v67, 4, 1
	v_add_nc_u32_e32 v36, v36, v101
	ds_swizzle_b32 v101, v36 offset:swizzle(BROADCAST,32,15)
	s_wait_dscnt 0x0
	v_and_b32_e32 v101, v102, v101
	v_or_b32_e32 v102, 31, v103
	s_delay_alu instid0(VALU_DEP_2) | instskip(NEXT) | instid1(VALU_DEP_2)
	v_add_nc_u32_e32 v36, v36, v101
	v_cmpx_eq_u32_e64 v44, v102
; %bb.47:
	v_lshlrev_b32_e32 v101, 2, v65
	ds_store_b32 v101, v36
; %bb.48:
	s_wait_alu 0xfffe
	s_or_b32 exec_lo, exec_lo, s8
	s_delay_alu instid0(SALU_CYCLE_1)
	s_mov_b32 s8, exec_lo
	s_wait_loadcnt_dscnt 0x0
	s_barrier_signal -1
	s_barrier_wait -1
	global_inv scope:SCOPE_SE
	v_cmpx_gt_u32_e32 8, v44
	s_cbranch_execz .LBB266_50
; %bb.49:
	v_lshlrev_b32_e32 v101, 2, v44
	ds_load_b32 v102, v101
	s_wait_dscnt 0x0
	v_mov_b32_dpp v104, v102 row_shr:1 row_mask:0xf bank_mask:0xf
	v_and_b32_e32 v103, 7, v67
	s_delay_alu instid0(VALU_DEP_1) | instskip(SKIP_1) | instid1(VALU_DEP_3)
	v_cmp_ne_u32_e32 vcc_lo, 0, v103
	s_wait_alu 0xfffd
	v_cndmask_b32_e32 v104, 0, v104, vcc_lo
	v_cmp_lt_u32_e32 vcc_lo, 1, v103
	s_delay_alu instid0(VALU_DEP_2) | instskip(NEXT) | instid1(VALU_DEP_1)
	v_add_nc_u32_e32 v102, v104, v102
	v_mov_b32_dpp v104, v102 row_shr:2 row_mask:0xf bank_mask:0xf
	s_wait_alu 0xfffd
	s_delay_alu instid0(VALU_DEP_1) | instskip(SKIP_1) | instid1(VALU_DEP_2)
	v_cndmask_b32_e32 v104, 0, v104, vcc_lo
	v_cmp_lt_u32_e32 vcc_lo, 3, v103
	v_add_nc_u32_e32 v102, v102, v104
	s_delay_alu instid0(VALU_DEP_1) | instskip(SKIP_1) | instid1(VALU_DEP_1)
	v_mov_b32_dpp v104, v102 row_shr:4 row_mask:0xf bank_mask:0xf
	s_wait_alu 0xfffd
	v_cndmask_b32_e32 v103, 0, v104, vcc_lo
	s_delay_alu instid0(VALU_DEP_1)
	v_add_nc_u32_e32 v102, v102, v103
	ds_store_b32 v101, v102
.LBB266_50:
	s_wait_alu 0xfffe
	s_or_b32 exec_lo, exec_lo, s8
	v_mov_b32_e32 v101, 0
	s_mov_b32 s8, exec_lo
	s_wait_loadcnt_dscnt 0x0
	s_barrier_signal -1
	s_barrier_wait -1
	global_inv scope:SCOPE_SE
	v_cmpx_lt_u32_e32 31, v44
; %bb.51:
	v_lshl_add_u32 v101, v65, 2, -4
	ds_load_b32 v101, v101
; %bb.52:
	s_wait_alu 0xfffe
	s_or_b32 exec_lo, exec_lo, s8
	v_sub_co_u32 v102, vcc_lo, v67, 1
	s_wait_dscnt 0x0
	v_add_nc_u32_e32 v36, v101, v36
	s_delay_alu instid0(VALU_DEP_2) | instskip(SKIP_1) | instid1(VALU_DEP_1)
	v_cmp_gt_i32_e64 s8, 0, v102
	s_wait_alu 0xf1ff
	v_cndmask_b32_e64 v102, v102, v67, s8
	s_delay_alu instid0(VALU_DEP_1)
	v_lshlrev_b32_e32 v102, 2, v102
	ds_bpermute_b32 v36, v102, v36
	s_wait_dscnt 0x0
	s_wait_alu 0xfffd
	v_cndmask_b32_e32 v36, v36, v101, vcc_lo
	v_cmp_ne_u32_e32 vcc_lo, 0, v44
	s_wait_alu 0xfffd
	s_delay_alu instid0(VALU_DEP_2) | instskip(NEXT) | instid1(VALU_DEP_1)
	v_cndmask_b32_e32 v36, 0, v36, vcc_lo
	v_add_nc_u32_e32 v37, v36, v37
	s_delay_alu instid0(VALU_DEP_1) | instskip(NEXT) | instid1(VALU_DEP_1)
	v_add_nc_u32_e32 v38, v37, v38
	v_add_nc_u32_e32 v39, v38, v39
	s_delay_alu instid0(VALU_DEP_1) | instskip(NEXT) | instid1(VALU_DEP_1)
	v_add_nc_u32_e32 v101, v39, v40
	;; [unrolled: 3-line block ×3, first 2 shown]
	v_add_nc_u32_e32 v104, v103, v35
	ds_store_b128 v66, v[36:39] offset:32
	ds_store_b128 v66, v[101:104] offset:48
	s_wait_loadcnt_dscnt 0x0
	s_barrier_signal -1
	s_barrier_wait -1
	global_inv scope:SCOPE_SE
	ds_load_b32 v33, v81 offset:32
	ds_load_b32 v34, v84 offset:32
	;; [unrolled: 1-line block ×8, first 2 shown]
	v_mad_u32_u24 v81, v44, 56, v61
	s_wait_loadcnt_dscnt 0x0
	s_barrier_signal -1
	s_barrier_wait -1
	global_inv scope:SCOPE_SE
	v_add_nc_u32_e32 v78, v33, v78
	v_add3_u32 v79, v80, v79, v34
	v_add3_u32 v35, v83, v82, v35
	;; [unrolled: 1-line block ×7, first 2 shown]
	ds_store_b8 v78, v0
	ds_store_b8 v79, v71
	;; [unrolled: 1-line block ×8, first 2 shown]
	v_lshlrev_b32_e32 v0, 3, v78
	v_lshlrev_b32_e32 v71, 3, v79
	v_lshlrev_b32_e32 v35, 3, v35
	v_lshlrev_b32_e32 v36, 3, v36
	v_lshlrev_b32_e32 v37, 3, v37
	s_wait_loadcnt_dscnt 0x0
	s_barrier_signal -1
	s_barrier_wait -1
	global_inv scope:SCOPE_SE
	ds_load_b64 v[33:34], v61
	s_wait_loadcnt_dscnt 0x0
	s_barrier_signal -1
	s_barrier_wait -1
	global_inv scope:SCOPE_SE
	v_lshlrev_b32_e32 v38, 3, v38
	v_lshlrev_b32_e32 v39, 3, v39
	;; [unrolled: 1-line block ×3, first 2 shown]
	ds_store_b64 v0, v[29:30]
	ds_store_b64 v71, v[31:32]
	;; [unrolled: 1-line block ×8, first 2 shown]
	s_wait_loadcnt_dscnt 0x0
	s_barrier_signal -1
	s_barrier_wait -1
	global_inv scope:SCOPE_SE
	ds_load_b128 v[29:32], v81
	ds_load_b128 v[25:28], v81 offset:16
	ds_load_b128 v[21:24], v81 offset:32
	;; [unrolled: 1-line block ×3, first 2 shown]
	s_branch .LBB266_84
.LBB266_53:
	v_lshlrev_b64_e32 v[1:2], 3, v[41:42]
	v_dual_mov_b32 v43, v42 :: v_dual_mov_b32 v10, v42
	v_dual_mov_b32 v9, v42 :: v_dual_mov_b32 v12, v42
	v_mov_b32_e32 v11, v42
	s_delay_alu instid0(VALU_DEP_4) | instskip(NEXT) | instid1(VALU_DEP_1)
	v_add_co_u32 v1, vcc_lo, s16, v1
	v_add_co_ci_u32_e64 v2, null, s17, v2, vcc_lo
	v_dual_mov_b32 v3, v42 :: v_dual_mov_b32 v6, v42
	v_dual_mov_b32 v5, v42 :: v_dual_mov_b32 v8, v42
	global_load_b64 v[13:14], v[1:2], off
	v_dual_mov_b32 v1, v42 :: v_dual_mov_b32 v4, v42
	v_dual_mov_b32 v2, v42 :: v_dual_mov_b32 v7, v42
	s_wait_alu 0xfffe
	s_or_b32 exec_lo, exec_lo, s9
	s_and_saveexec_b32 s9, s1
	s_cbranch_execz .LBB266_22
.LBB266_54:
	v_mul_lo_u32 v30, s12, v28
	v_mov_b32_e32 v31, 0
	s_delay_alu instid0(VALU_DEP_1) | instskip(NEXT) | instid1(VALU_DEP_1)
	v_lshlrev_b64_e32 v[30:31], 3, v[30:31]
	v_add_co_u32 v30, vcc_lo, s16, v30
	s_wait_alu 0xfffd
	s_delay_alu instid0(VALU_DEP_2)
	v_add_co_ci_u32_e64 v31, null, s17, v31, vcc_lo
	global_load_b64 v[42:43], v[30:31], off
	s_wait_alu 0xfffe
	s_or_b32 exec_lo, exec_lo, s9
	s_and_saveexec_b32 s9, s2
	s_cbranch_execz .LBB266_23
.LBB266_55:
	v_mul_lo_u32 v9, s12, v24
	v_mov_b32_e32 v10, 0
	s_delay_alu instid0(VALU_DEP_1) | instskip(NEXT) | instid1(VALU_DEP_1)
	v_lshlrev_b64_e32 v[9:10], 3, v[9:10]
	v_add_co_u32 v9, vcc_lo, s16, v9
	s_wait_alu 0xfffd
	s_delay_alu instid0(VALU_DEP_2)
	v_add_co_ci_u32_e64 v10, null, s17, v10, vcc_lo
	global_load_b64 v[9:10], v[9:10], off
	s_wait_alu 0xfffe
	s_or_b32 exec_lo, exec_lo, s9
	s_and_saveexec_b32 s9, s3
	s_cbranch_execz .LBB266_24
.LBB266_56:
	v_mul_lo_u32 v11, s12, v21
	v_mov_b32_e32 v12, 0
	s_delay_alu instid0(VALU_DEP_1) | instskip(NEXT) | instid1(VALU_DEP_1)
	v_lshlrev_b64_e32 v[11:12], 3, v[11:12]
	v_add_co_u32 v11, vcc_lo, s16, v11
	s_wait_alu 0xfffd
	s_delay_alu instid0(VALU_DEP_2)
	v_add_co_ci_u32_e64 v12, null, s17, v12, vcc_lo
	global_load_b64 v[11:12], v[11:12], off
	s_wait_alu 0xfffe
	s_or_b32 exec_lo, exec_lo, s9
	s_and_saveexec_b32 s9, s4
	s_cbranch_execz .LBB266_25
.LBB266_57:
	v_mul_lo_u32 v1, s12, v19
	v_mov_b32_e32 v2, 0
	s_delay_alu instid0(VALU_DEP_1) | instskip(NEXT) | instid1(VALU_DEP_1)
	v_lshlrev_b64_e32 v[1:2], 3, v[1:2]
	v_add_co_u32 v1, vcc_lo, s16, v1
	s_wait_alu 0xfffd
	s_delay_alu instid0(VALU_DEP_2)
	v_add_co_ci_u32_e64 v2, null, s17, v2, vcc_lo
	global_load_b64 v[1:2], v[1:2], off
	s_wait_alu 0xfffe
	s_or_b32 exec_lo, exec_lo, s9
	s_and_saveexec_b32 s9, s5
	s_cbranch_execz .LBB266_26
.LBB266_58:
	v_mul_lo_u32 v3, s12, v17
	v_mov_b32_e32 v4, 0
	s_delay_alu instid0(VALU_DEP_1) | instskip(NEXT) | instid1(VALU_DEP_1)
	v_lshlrev_b64_e32 v[3:4], 3, v[3:4]
	v_add_co_u32 v3, vcc_lo, s16, v3
	s_wait_alu 0xfffd
	s_delay_alu instid0(VALU_DEP_2)
	v_add_co_ci_u32_e64 v4, null, s17, v4, vcc_lo
	global_load_b64 v[3:4], v[3:4], off
	s_wait_alu 0xfffe
	s_or_b32 exec_lo, exec_lo, s9
	s_and_saveexec_b32 s9, s6
	s_cbranch_execz .LBB266_27
.LBB266_59:
	v_mul_lo_u32 v5, s12, v16
	v_mov_b32_e32 v6, 0
	s_delay_alu instid0(VALU_DEP_1) | instskip(NEXT) | instid1(VALU_DEP_1)
	v_lshlrev_b64_e32 v[5:6], 3, v[5:6]
	v_add_co_u32 v5, vcc_lo, s16, v5
	s_wait_alu 0xfffd
	s_delay_alu instid0(VALU_DEP_2)
	v_add_co_ci_u32_e64 v6, null, s17, v6, vcc_lo
	global_load_b64 v[5:6], v[5:6], off
	s_wait_alu 0xfffe
	s_or_b32 exec_lo, exec_lo, s9
	s_and_saveexec_b32 s9, s7
	s_cbranch_execnz .LBB266_28
	s_branch .LBB266_29
.LBB266_60:
                                        ; implicit-def: $vgpr19_vgpr20
                                        ; implicit-def: $vgpr23_vgpr24
                                        ; implicit-def: $vgpr27_vgpr28
                                        ; implicit-def: $vgpr31_vgpr32
                                        ; implicit-def: $vgpr34
	s_cbranch_execz .LBB266_84
; %bb.61:
	v_lshrrev_b16 v0, 8, v45
	s_wait_dscnt 0x0
	v_lshrrev_b32_e32 v17, 24, v45
	s_mov_b32 s20, 0
	v_lshrrev_b32_e32 v18, 16, v45
	s_mov_b32 s21, s20
	s_mov_b32 s22, s20
	;; [unrolled: 1-line block ×3, first 2 shown]
	v_and_b32_e32 v0, 1, v0
	v_and_b32_e32 v17, 1, v17
	v_lshrrev_b32_e32 v19, 24, v46
	v_lshrrev_b16 v21, 8, v46
	v_and_b32_e32 v22, 1, v45
	v_cmp_eq_u32_e32 vcc_lo, 1, v0
	v_cmp_ne_u32_e64 s8, 1, v17
	v_and_b32_e32 v0, 1, v18
	v_lshrrev_b32_e32 v20, 16, v46
	v_and_b32_e32 v18, 1, v21
	v_and_b32_e32 v19, 1, v19
	s_wait_alu 0xf1ff
	v_cndmask_b32_e64 v17, 0, 1, s8
	s_xor_b32 s8, vcc_lo, -1
	v_cmp_ne_u32_e32 vcc_lo, 1, v0
	s_wait_alu 0xfffe
	v_cndmask_b32_e64 v21, 0, 1, s8
	v_cmp_ne_u32_e64 s8, 1, v22
	v_and_b32_e32 v20, 1, v20
	v_and_b32_e32 v23, 1, v46
	s_wait_alu 0xfffd
	v_cndmask_b32_e64 v0, 0, 1, vcc_lo
	v_cmp_eq_u32_e32 vcc_lo, 1, v18
	s_wait_alu 0xf1ff
	v_cndmask_b32_e64 v18, 0, 1, s8
	v_cmp_ne_u32_e64 s8, 1, v19
	v_lshlrev_b16 v17, 8, v17
	v_lshlrev_b16 v21, 8, v21
	s_wait_alu 0xf1ff
	s_delay_alu instid0(VALU_DEP_3)
	v_cndmask_b32_e64 v19, 0, 1, s8
	s_xor_b32 s8, vcc_lo, -1
	v_cmp_ne_u32_e32 vcc_lo, 1, v20
	s_wait_alu 0xfffe
	v_cndmask_b32_e64 v22, 0, 1, s8
	v_or_b32_e32 v0, v0, v17
	v_lshlrev_b16 v19, 8, v19
	v_or_b32_e32 v17, v18, v21
	s_wait_alu 0xfffd
	v_cndmask_b32_e64 v20, 0, 1, vcc_lo
	v_cmp_ne_u32_e32 vcc_lo, 1, v23
	v_lshlrev_b16 v22, 8, v22
	s_getpc_b64 s[8:9]
	s_wait_alu 0xfffe
	s_sext_i32_i16 s9, s9
	s_add_co_u32 s8, s8, _ZN7rocprim17ROCPRIM_400000_NS16block_radix_sortIbLj256ELj8ElLj1ELj1ELj0ELNS0_26block_radix_rank_algorithmE1ELNS0_18block_padding_hintE2ELNS0_4arch9wavefront6targetE0EE19radix_bits_per_passE@rel32@lo+12
	s_wait_alu 0xfffe
	s_add_co_ci_u32 s9, s9, _ZN7rocprim17ROCPRIM_400000_NS16block_radix_sortIbLj256ELj8ElLj1ELj1ELj0ELNS0_26block_radix_rank_algorithmE1ELNS0_18block_padding_hintE2ELNS0_4arch9wavefront6targetE0EE19radix_bits_per_passE@rel32@hi+24
	v_lshlrev_b32_e32 v0, 16, v0
	v_or_b32_e32 v18, v20, v19
	s_wait_alu 0xfffd
	v_cndmask_b32_e64 v23, 0, 1, vcc_lo
	s_load_b32 s8, s[8:9], 0x0
	v_or_b32_e32 v20, v67, v68
	v_and_b32_e32 v17, 0xffff, v17
	v_lshlrev_b32_e32 v18, 16, v18
	v_or_b32_e32 v19, v23, v22
	s_delay_alu instid0(VALU_DEP_4) | instskip(NEXT) | instid1(VALU_DEP_4)
	v_lshlrev_b32_e32 v21, 3, v20
	v_or_b32_e32 v17, v17, v0
	v_and_or_b32 v0, 0x1f00, v61, v67
	s_delay_alu instid0(VALU_DEP_4) | instskip(NEXT) | instid1(VALU_DEP_1)
	v_and_b32_e32 v19, 0xffff, v19
	v_or_b32_e32 v18, v19, v18
	ds_store_b64 v21, v[17:18]
	; wave barrier
	ds_load_u8 v24, v0
	ds_load_u8 v25, v0 offset:32
	ds_load_u8 v26, v0 offset:64
	ds_load_u8 v27, v0 offset:96
	ds_load_u8 v28, v0 offset:128
	ds_load_u8 v29, v0 offset:160
	ds_load_u8 v30, v0 offset:192
	ds_load_u8 v31, v0 offset:224
	v_mad_u32_u24 v17, v20, 56, v21
	v_mad_u32_u24 v0, v0, 7, v0
	s_wait_loadcnt_dscnt 0x0
	s_barrier_signal -1
	s_barrier_wait -1
	global_inv scope:SCOPE_SE
	ds_store_b128 v17, v[13:16]
	ds_store_b128 v17, v[9:12] offset:16
	ds_store_b128 v17, v[5:8] offset:32
	;; [unrolled: 1-line block ×3, first 2 shown]
	; wave barrier
	ds_load_2addr_b64 v[12:15], v0 offset1:32
	ds_load_2addr_b64 v[8:11], v0 offset0:64 offset1:96
	ds_load_2addr_b64 v[4:7], v0 offset0:128 offset1:160
	;; [unrolled: 1-line block ×3, first 2 shown]
	s_wait_loadcnt_dscnt 0x0
	s_barrier_signal -1
	s_barrier_wait -1
	global_inv scope:SCOPE_SE
	s_load_b32 s11, s[18:19], 0xc
	s_wait_kmcnt 0x0
	s_min_u32 s8, s8, 8
	s_wait_alu 0xfffe
	s_lshl_b32 s8, -1, s8
	s_wait_alu 0xfffe
	s_not_b32 s9, s8
	s_wait_alu 0xfffe
	v_and_b32_e32 v16, s9, v24
	s_delay_alu instid0(VALU_DEP_1) | instskip(NEXT) | instid1(VALU_DEP_1)
	v_and_b32_e32 v22, 1, v16
	v_add_co_u32 v18, s13, v22, -1
	s_wait_alu 0xf1ff
	v_cndmask_b32_e64 v16, 0, 1, s13
	s_lshr_b32 s8, s11, 16
	s_wait_alu 0xfffe
	v_mad_u32_u24 v17, v70, s8, v69
	s_and_b32 s8, s11, 0xffff
	v_cmp_ne_u32_e32 vcc_lo, 0, v16
	s_wait_alu 0xfffe
	s_delay_alu instid0(VALU_DEP_2) | instskip(SKIP_4) | instid1(VALU_DEP_3)
	v_mad_co_u64_u32 v[16:17], null, v17, s8, v[44:45]
	s_wait_alu 0xfffd
	v_xor_b32_e32 v17, vcc_lo, v18
	v_dual_mov_b32 v18, s20 :: v_dual_mov_b32 v19, s21
	v_dual_mov_b32 v20, s22 :: v_dual_mov_b32 v21, s23
	v_and_b32_e32 v17, exec_lo, v17
	v_lshrrev_b32_e32 v16, 3, v16
	ds_store_b128 v66, v[18:21] offset:32
	ds_store_b128 v66, v[18:21] offset:48
	v_mbcnt_lo_u32_b32 v32, v17, 0
	v_and_b32_e32 v16, 0x1ffffffc, v16
	v_lshlrev_b32_e32 v18, 5, v22
	v_cmp_ne_u32_e64 s8, 0, v17
	s_wait_loadcnt_dscnt 0x0
	v_cmp_eq_u32_e32 vcc_lo, 0, v32
	s_barrier_signal -1
	v_add_nc_u32_e32 v35, v16, v18
	s_barrier_wait -1
	global_inv scope:SCOPE_SE
	s_and_b32 s11, s8, vcc_lo
	; wave barrier
	s_wait_alu 0xfffe
	s_and_saveexec_b32 s8, s11
; %bb.62:
	v_bcnt_u32_b32 v17, v17, 0
	ds_store_b32 v35, v17 offset:32
; %bb.63:
	s_wait_alu 0xfffe
	s_or_b32 exec_lo, exec_lo, s8
	v_and_b32_e32 v17, s9, v25
	; wave barrier
	s_delay_alu instid0(VALU_DEP_1) | instskip(NEXT) | instid1(VALU_DEP_1)
	v_and_b32_e32 v17, 0xff, v17
	v_add_co_u32 v18, s8, v17, -1
	s_wait_alu 0xf1ff
	v_cndmask_b32_e64 v19, 0, 1, s8
	v_lshlrev_b32_e32 v17, 5, v17
	s_delay_alu instid0(VALU_DEP_2) | instskip(NEXT) | instid1(VALU_DEP_2)
	v_cmp_ne_u32_e32 vcc_lo, 0, v19
	v_add_nc_u32_e32 v37, v16, v17
	s_wait_alu 0xfffd
	v_xor_b32_e32 v17, vcc_lo, v18
	ds_load_b32 v33, v37 offset:32
	; wave barrier
	v_and_b32_e32 v17, exec_lo, v17
	s_delay_alu instid0(VALU_DEP_1) | instskip(SKIP_1) | instid1(VALU_DEP_2)
	v_mbcnt_lo_u32_b32 v34, v17, 0
	v_cmp_ne_u32_e64 s8, 0, v17
	v_cmp_eq_u32_e32 vcc_lo, 0, v34
	s_and_b32 s11, s8, vcc_lo
	s_wait_alu 0xfffe
	s_and_saveexec_b32 s8, s11
	s_cbranch_execz .LBB266_65
; %bb.64:
	s_wait_dscnt 0x0
	v_bcnt_u32_b32 v17, v17, v33
	ds_store_b32 v37, v17 offset:32
.LBB266_65:
	s_wait_alu 0xfffe
	s_or_b32 exec_lo, exec_lo, s8
	v_and_b32_e32 v17, s9, v26
	; wave barrier
	s_delay_alu instid0(VALU_DEP_1) | instskip(NEXT) | instid1(VALU_DEP_1)
	v_and_b32_e32 v17, 0xff, v17
	v_add_co_u32 v18, s8, v17, -1
	s_wait_alu 0xf1ff
	v_cndmask_b32_e64 v19, 0, 1, s8
	v_lshlrev_b32_e32 v17, 5, v17
	s_delay_alu instid0(VALU_DEP_2) | instskip(NEXT) | instid1(VALU_DEP_2)
	v_cmp_ne_u32_e32 vcc_lo, 0, v19
	v_add_nc_u32_e32 v39, v16, v17
	s_wait_alu 0xfffd
	v_xor_b32_e32 v17, vcc_lo, v18
	ds_load_b32 v36, v39 offset:32
	; wave barrier
	v_and_b32_e32 v17, exec_lo, v17
	s_delay_alu instid0(VALU_DEP_1) | instskip(SKIP_1) | instid1(VALU_DEP_2)
	v_mbcnt_lo_u32_b32 v38, v17, 0
	v_cmp_ne_u32_e64 s8, 0, v17
	v_cmp_eq_u32_e32 vcc_lo, 0, v38
	s_and_b32 s11, s8, vcc_lo
	s_wait_alu 0xfffe
	s_and_saveexec_b32 s8, s11
	s_cbranch_execz .LBB266_67
; %bb.66:
	s_wait_dscnt 0x0
	v_bcnt_u32_b32 v17, v17, v36
	ds_store_b32 v39, v17 offset:32
.LBB266_67:
	;; [unrolled: 31-line block ×7, first 2 shown]
	s_wait_alu 0xfffe
	s_or_b32 exec_lo, exec_lo, s8
	; wave barrier
	s_wait_loadcnt_dscnt 0x0
	s_barrier_signal -1
	s_barrier_wait -1
	global_inv scope:SCOPE_SE
	ds_load_b128 v[20:23], v66 offset:32
	ds_load_b128 v[16:19], v66 offset:48
	v_min_u32_e32 v68, 0xe0, v68
	s_mov_b32 s8, exec_lo
	s_delay_alu instid0(VALU_DEP_1) | instskip(SKIP_2) | instid1(VALU_DEP_1)
	v_or_b32_e32 v68, 31, v68
	s_wait_dscnt 0x1
	v_add_nc_u32_e32 v81, v21, v20
	v_add3_u32 v81, v81, v22, v23
	s_wait_dscnt 0x0
	s_delay_alu instid0(VALU_DEP_1) | instskip(NEXT) | instid1(VALU_DEP_1)
	v_add3_u32 v81, v81, v16, v17
	v_add3_u32 v19, v81, v18, v19
	v_and_b32_e32 v81, 15, v67
	s_delay_alu instid0(VALU_DEP_2) | instskip(NEXT) | instid1(VALU_DEP_2)
	v_mov_b32_dpp v82, v19 row_shr:1 row_mask:0xf bank_mask:0xf
	v_cmp_ne_u32_e32 vcc_lo, 0, v81
	s_wait_alu 0xfffd
	s_delay_alu instid0(VALU_DEP_2) | instskip(SKIP_1) | instid1(VALU_DEP_2)
	v_cndmask_b32_e32 v82, 0, v82, vcc_lo
	v_cmp_lt_u32_e32 vcc_lo, 1, v81
	v_add_nc_u32_e32 v19, v82, v19
	s_delay_alu instid0(VALU_DEP_1) | instskip(SKIP_1) | instid1(VALU_DEP_1)
	v_mov_b32_dpp v82, v19 row_shr:2 row_mask:0xf bank_mask:0xf
	s_wait_alu 0xfffd
	v_cndmask_b32_e32 v82, 0, v82, vcc_lo
	v_cmp_lt_u32_e32 vcc_lo, 3, v81
	s_delay_alu instid0(VALU_DEP_2) | instskip(NEXT) | instid1(VALU_DEP_1)
	v_add_nc_u32_e32 v19, v19, v82
	v_mov_b32_dpp v82, v19 row_shr:4 row_mask:0xf bank_mask:0xf
	s_wait_alu 0xfffd
	s_delay_alu instid0(VALU_DEP_1) | instskip(SKIP_1) | instid1(VALU_DEP_2)
	v_cndmask_b32_e32 v82, 0, v82, vcc_lo
	v_cmp_lt_u32_e32 vcc_lo, 7, v81
	v_add_nc_u32_e32 v19, v19, v82
	s_delay_alu instid0(VALU_DEP_1) | instskip(SKIP_1) | instid1(VALU_DEP_1)
	v_mov_b32_dpp v82, v19 row_shr:8 row_mask:0xf bank_mask:0xf
	s_wait_alu 0xfffd
	v_cndmask_b32_e32 v81, 0, v82, vcc_lo
	v_bfe_i32 v82, v67, 4, 1
	s_delay_alu instid0(VALU_DEP_2) | instskip(SKIP_3) | instid1(VALU_DEP_1)
	v_add_nc_u32_e32 v19, v19, v81
	ds_swizzle_b32 v81, v19 offset:swizzle(BROADCAST,32,15)
	s_wait_dscnt 0x0
	v_and_b32_e32 v81, v82, v81
	v_add_nc_u32_e32 v19, v19, v81
	v_cmpx_eq_u32_e64 v44, v68
; %bb.78:
	v_lshlrev_b32_e32 v68, 2, v65
	ds_store_b32 v68, v19
; %bb.79:
	s_wait_alu 0xfffe
	s_or_b32 exec_lo, exec_lo, s8
	s_delay_alu instid0(SALU_CYCLE_1)
	s_mov_b32 s8, exec_lo
	s_wait_loadcnt_dscnt 0x0
	s_barrier_signal -1
	s_barrier_wait -1
	global_inv scope:SCOPE_SE
	v_cmpx_gt_u32_e32 8, v44
	s_cbranch_execz .LBB266_81
; %bb.80:
	v_and_b32_e32 v82, 7, v67
	s_delay_alu instid0(VALU_DEP_1)
	v_cmp_ne_u32_e32 vcc_lo, 0, v82
	v_lshlrev_b32_e32 v68, 2, v44
	ds_load_b32 v81, v68
	s_wait_dscnt 0x0
	v_mov_b32_dpp v83, v81 row_shr:1 row_mask:0xf bank_mask:0xf
	s_wait_alu 0xfffd
	s_delay_alu instid0(VALU_DEP_1) | instskip(SKIP_1) | instid1(VALU_DEP_2)
	v_cndmask_b32_e32 v83, 0, v83, vcc_lo
	v_cmp_lt_u32_e32 vcc_lo, 1, v82
	v_add_nc_u32_e32 v81, v83, v81
	s_delay_alu instid0(VALU_DEP_1) | instskip(SKIP_1) | instid1(VALU_DEP_1)
	v_mov_b32_dpp v83, v81 row_shr:2 row_mask:0xf bank_mask:0xf
	s_wait_alu 0xfffd
	v_cndmask_b32_e32 v83, 0, v83, vcc_lo
	v_cmp_lt_u32_e32 vcc_lo, 3, v82
	s_delay_alu instid0(VALU_DEP_2) | instskip(NEXT) | instid1(VALU_DEP_1)
	v_add_nc_u32_e32 v81, v81, v83
	v_mov_b32_dpp v83, v81 row_shr:4 row_mask:0xf bank_mask:0xf
	s_wait_alu 0xfffd
	s_delay_alu instid0(VALU_DEP_1) | instskip(NEXT) | instid1(VALU_DEP_1)
	v_cndmask_b32_e32 v82, 0, v83, vcc_lo
	v_add_nc_u32_e32 v81, v81, v82
	ds_store_b32 v68, v81
.LBB266_81:
	s_wait_alu 0xfffe
	s_or_b32 exec_lo, exec_lo, s8
	v_mov_b32_e32 v68, 0
	s_mov_b32 s8, exec_lo
	s_wait_loadcnt_dscnt 0x0
	s_barrier_signal -1
	s_barrier_wait -1
	global_inv scope:SCOPE_SE
	v_cmpx_lt_u32_e32 31, v44
; %bb.82:
	v_lshl_add_u32 v65, v65, 2, -4
	ds_load_b32 v68, v65
; %bb.83:
	s_wait_alu 0xfffe
	s_or_b32 exec_lo, exec_lo, s8
	v_sub_co_u32 v65, vcc_lo, v67, 1
	s_wait_dscnt 0x0
	v_add_nc_u32_e32 v19, v68, v19
	s_delay_alu instid0(VALU_DEP_2) | instskip(SKIP_1) | instid1(VALU_DEP_1)
	v_cmp_gt_i32_e64 s8, 0, v65
	s_wait_alu 0xf1ff
	v_cndmask_b32_e64 v65, v65, v67, s8
	s_delay_alu instid0(VALU_DEP_1)
	v_lshlrev_b32_e32 v65, 2, v65
	ds_bpermute_b32 v19, v65, v19
	s_wait_dscnt 0x0
	s_wait_alu 0xfffd
	v_cndmask_b32_e32 v19, v19, v68, vcc_lo
	v_cmp_ne_u32_e32 vcc_lo, 0, v44
	s_wait_alu 0xfffd
	s_delay_alu instid0(VALU_DEP_2) | instskip(NEXT) | instid1(VALU_DEP_1)
	v_cndmask_b32_e32 v19, 0, v19, vcc_lo
	v_add_nc_u32_e32 v20, v19, v20
	s_delay_alu instid0(VALU_DEP_1) | instskip(NEXT) | instid1(VALU_DEP_1)
	v_add_nc_u32_e32 v21, v20, v21
	v_add_nc_u32_e32 v22, v21, v22
	s_delay_alu instid0(VALU_DEP_1) | instskip(NEXT) | instid1(VALU_DEP_1)
	v_add_nc_u32_e32 v81, v22, v23
	v_add_nc_u32_e32 v82, v81, v16
	s_delay_alu instid0(VALU_DEP_1) | instskip(NEXT) | instid1(VALU_DEP_1)
	v_add_nc_u32_e32 v83, v82, v17
	v_add_nc_u32_e32 v84, v83, v18
	ds_store_b128 v66, v[19:22] offset:32
	ds_store_b128 v66, v[81:84] offset:48
	s_wait_loadcnt_dscnt 0x0
	s_barrier_signal -1
	s_barrier_wait -1
	global_inv scope:SCOPE_SE
	ds_load_b32 v16, v35 offset:32
	ds_load_b32 v17, v37 offset:32
	;; [unrolled: 1-line block ×8, first 2 shown]
	s_wait_loadcnt_dscnt 0x0
	s_barrier_signal -1
	s_barrier_wait -1
	global_inv scope:SCOPE_SE
	v_mad_u32_u24 v35, v44, 56, v61
	v_add_nc_u32_e32 v16, v16, v32
	v_add3_u32 v17, v34, v33, v17
	v_add3_u32 v18, v38, v36, v18
	v_add3_u32 v19, v45, v40, v19
	v_add3_u32 v20, v70, v69, v20
	v_add3_u32 v21, v73, v72, v21
	v_add3_u32 v22, v76, v75, v22
	v_add3_u32 v23, v79, v78, v23
	ds_store_b8 v16, v24
	ds_store_b8 v17, v25
	;; [unrolled: 1-line block ×8, first 2 shown]
	s_wait_loadcnt_dscnt 0x0
	s_barrier_signal -1
	s_barrier_wait -1
	global_inv scope:SCOPE_SE
	ds_load_b64 v[33:34], v61
	v_lshlrev_b32_e32 v16, 3, v16
	v_lshlrev_b32_e32 v17, 3, v17
	v_lshlrev_b32_e32 v18, 3, v18
	v_lshlrev_b32_e32 v19, 3, v19
	v_lshlrev_b32_e32 v20, 3, v20
	v_lshlrev_b32_e32 v21, 3, v21
	v_lshlrev_b32_e32 v22, 3, v22
	v_lshlrev_b32_e32 v23, 3, v23
	s_wait_loadcnt_dscnt 0x0
	s_barrier_signal -1
	s_barrier_wait -1
	global_inv scope:SCOPE_SE
	ds_store_b64 v16, v[12:13]
	ds_store_b64 v17, v[14:15]
	;; [unrolled: 1-line block ×8, first 2 shown]
	s_wait_loadcnt_dscnt 0x0
	s_barrier_signal -1
	s_barrier_wait -1
	global_inv scope:SCOPE_SE
	ds_load_b128 v[29:32], v35
	ds_load_b128 v[25:28], v35 offset:16
	ds_load_b128 v[21:24], v35 offset:32
	;; [unrolled: 1-line block ×3, first 2 shown]
	v_lshrrev_b32_e32 v0, 16, v33
	v_lshrrev_b32_e32 v3, 16, v34
	v_and_b32_e32 v1, 0xffffff00, v33
	v_xor_b32_e32 v2, 1, v33
	v_and_b32_e32 v4, 0xffffff00, v34
	v_xor_b32_e32 v5, 1, v34
	;; [unrolled: 2-line block ×4, first 2 shown]
	v_xor_b32_e32 v1, 0x100, v1
	v_and_b32_e32 v2, 0xff, v2
	v_xor_b32_e32 v4, 0x100, v4
	v_and_b32_e32 v5, 0xff, v5
	;; [unrolled: 2-line block ×4, first 2 shown]
	v_or_b32_e32 v1, v2, v1
	v_or_b32_e32 v2, v5, v4
	;; [unrolled: 1-line block ×3, first 2 shown]
	s_delay_alu instid0(VALU_DEP_4) | instskip(NEXT) | instid1(VALU_DEP_4)
	v_or_b32_e32 v3, v3, v7
	v_and_b32_e32 v1, 0xffff, v1
	s_delay_alu instid0(VALU_DEP_4) | instskip(NEXT) | instid1(VALU_DEP_4)
	v_and_b32_e32 v2, 0xffff, v2
	v_lshlrev_b32_e32 v0, 16, v0
	s_delay_alu instid0(VALU_DEP_4) | instskip(NEXT) | instid1(VALU_DEP_2)
	v_lshlrev_b32_e32 v3, 16, v3
	v_or_b32_e32 v33, v1, v0
	s_delay_alu instid0(VALU_DEP_2)
	v_or_b32_e32 v34, v2, v3
.LBB266_84:
	s_wait_loadcnt_dscnt 0x0
	s_barrier_signal -1
	s_barrier_wait -1
	global_inv scope:SCOPE_SE
	ds_store_2addr_b32 v56, v33, v34 offset1:1
	s_wait_loadcnt_dscnt 0x0
	s_barrier_signal -1
	s_barrier_wait -1
	global_inv scope:SCOPE_SE
	ds_load_u8 v8, v49 offset:256
	ds_load_u8 v7, v50 offset:512
	;; [unrolled: 1-line block ×7, first 2 shown]
	v_add_co_u32 v0, s8, s14, v47
	s_wait_alu 0xf1ff
	v_add_co_ci_u32_e64 v1, null, s15, 0, s8
	s_and_saveexec_b32 s8, s0
	s_cbranch_execnz .LBB266_103
; %bb.85:
	s_wait_alu 0xfffe
	s_or_b32 exec_lo, exec_lo, s8
	s_and_saveexec_b32 s8, s1
	s_cbranch_execnz .LBB266_104
.LBB266_86:
	s_wait_alu 0xfffe
	s_or_b32 exec_lo, exec_lo, s8
	s_and_saveexec_b32 s8, s2
	s_cbranch_execnz .LBB266_105
.LBB266_87:
	s_wait_alu 0xfffe
	s_or_b32 exec_lo, exec_lo, s8
	s_and_saveexec_b32 s8, s3
	s_cbranch_execnz .LBB266_106
.LBB266_88:
	s_wait_alu 0xfffe
	s_or_b32 exec_lo, exec_lo, s8
	s_and_saveexec_b32 s8, s4
	s_cbranch_execnz .LBB266_107
.LBB266_89:
	s_wait_alu 0xfffe
	s_or_b32 exec_lo, exec_lo, s8
	s_and_saveexec_b32 s8, s5
	s_cbranch_execnz .LBB266_108
.LBB266_90:
	s_wait_alu 0xfffe
	s_or_b32 exec_lo, exec_lo, s8
	s_and_saveexec_b32 s8, s6
	s_cbranch_execnz .LBB266_109
.LBB266_91:
	s_wait_alu 0xfffe
	s_or_b32 exec_lo, exec_lo, s8
	s_and_saveexec_b32 s8, s7
	s_cbranch_execz .LBB266_93
.LBB266_92:
	s_mul_i32 s9, s10, 0x700
	s_wait_alu 0xfffe
	v_add_co_u32 v0, vcc_lo, v0, s9
	s_wait_alu 0xfffd
	v_add_co_ci_u32_e64 v1, null, 0, v1, vcc_lo
	s_wait_dscnt 0x0
	global_store_b8 v[0:1], v2, off
.LBB266_93:
	s_wait_alu 0xfffe
	s_or_b32 exec_lo, exec_lo, s8
	s_wait_storecnt 0x0
	s_wait_loadcnt_dscnt 0x0
	s_barrier_signal -1
	s_barrier_wait -1
	global_inv scope:SCOPE_SE
	ds_store_2addr_b64 v64, v[29:30], v[31:32] offset1:1
	ds_store_2addr_b64 v64, v[25:26], v[27:28] offset0:2 offset1:3
	ds_store_2addr_b64 v64, v[21:22], v[23:24] offset0:4 offset1:5
	;; [unrolled: 1-line block ×3, first 2 shown]
	s_wait_loadcnt_dscnt 0x0
	s_barrier_signal -1
	s_barrier_wait -1
	global_inv scope:SCOPE_SE
	ds_load_b64 v[14:15], v58 offset:2048
	ds_load_b64 v[12:13], v59 offset:4096
	;; [unrolled: 1-line block ×7, first 2 shown]
	v_mov_b32_e32 v42, 0
	s_delay_alu instid0(VALU_DEP_1) | instskip(NEXT) | instid1(VALU_DEP_1)
	v_lshlrev_b64_e32 v[2:3], 3, v[41:42]
	v_add_co_u32 v2, vcc_lo, s16, v2
	s_wait_alu 0xfffd
	s_delay_alu instid0(VALU_DEP_2)
	v_add_co_ci_u32_e64 v3, null, s17, v3, vcc_lo
	s_and_saveexec_b32 s8, s0
	s_cbranch_execnz .LBB266_110
; %bb.94:
	s_wait_alu 0xfffe
	s_or_b32 exec_lo, exec_lo, s8
	s_and_saveexec_b32 s0, s1
	s_cbranch_execnz .LBB266_111
.LBB266_95:
	s_or_b32 exec_lo, exec_lo, s0
	s_and_saveexec_b32 s0, s2
	s_cbranch_execnz .LBB266_112
.LBB266_96:
	s_or_b32 exec_lo, exec_lo, s0
	s_and_saveexec_b32 s0, s3
	s_cbranch_execnz .LBB266_113
.LBB266_97:
	s_or_b32 exec_lo, exec_lo, s0
	s_and_saveexec_b32 s0, s4
	s_cbranch_execnz .LBB266_114
.LBB266_98:
	s_or_b32 exec_lo, exec_lo, s0
	s_and_saveexec_b32 s0, s5
	s_cbranch_execnz .LBB266_115
.LBB266_99:
	s_or_b32 exec_lo, exec_lo, s0
	s_and_saveexec_b32 s0, s6
	s_cbranch_execnz .LBB266_116
.LBB266_100:
	s_or_b32 exec_lo, exec_lo, s0
	s_and_saveexec_b32 s0, s7
	s_cbranch_execz .LBB266_102
.LBB266_101:
	s_mul_i32 s0, s12, 0x700
	s_mov_b32 s1, 0
	s_delay_alu instid0(SALU_CYCLE_1) | instskip(NEXT) | instid1(SALU_CYCLE_1)
	s_lshl_b64 s[0:1], s[0:1], 3
	v_add_co_u32 v2, vcc_lo, v2, s0
	s_wait_alu 0xfffd
	v_add_co_ci_u32_e64 v3, null, s1, v3, vcc_lo
	s_wait_dscnt 0x0
	global_store_b64 v[2:3], v[0:1], off
.LBB266_102:
	s_nop 0
	s_sendmsg sendmsg(MSG_DEALLOC_VGPRS)
	s_endpgm
.LBB266_103:
	ds_load_u8 v9, v48
	s_wait_dscnt 0x0
	global_store_b8 v[0:1], v9, off
	s_wait_alu 0xfffe
	s_or_b32 exec_lo, exec_lo, s8
	s_and_saveexec_b32 s8, s1
	s_cbranch_execz .LBB266_86
.LBB266_104:
	s_lshl_b32 s9, s10, 8
	s_wait_alu 0xfffe
	v_add_co_u32 v9, vcc_lo, v0, s9
	s_wait_alu 0xfffd
	v_add_co_ci_u32_e64 v10, null, 0, v1, vcc_lo
	s_wait_dscnt 0x6
	global_store_b8 v[9:10], v8, off
	s_or_b32 exec_lo, exec_lo, s8
	s_and_saveexec_b32 s8, s2
	s_cbranch_execz .LBB266_87
.LBB266_105:
	s_lshl_b32 s9, s10, 9
	s_wait_dscnt 0x6
	s_wait_alu 0xfffe
	v_add_co_u32 v8, vcc_lo, v0, s9
	s_wait_alu 0xfffd
	v_add_co_ci_u32_e64 v9, null, 0, v1, vcc_lo
	s_wait_dscnt 0x5
	global_store_b8 v[8:9], v7, off
	s_or_b32 exec_lo, exec_lo, s8
	s_and_saveexec_b32 s8, s3
	s_cbranch_execz .LBB266_88
.LBB266_106:
	s_mul_i32 s9, s10, 0x300
	s_wait_dscnt 0x5
	s_wait_alu 0xfffe
	v_add_co_u32 v7, vcc_lo, v0, s9
	s_wait_alu 0xfffd
	v_add_co_ci_u32_e64 v8, null, 0, v1, vcc_lo
	s_wait_dscnt 0x4
	global_store_b8 v[7:8], v6, off
	s_or_b32 exec_lo, exec_lo, s8
	s_and_saveexec_b32 s8, s4
	s_cbranch_execz .LBB266_89
.LBB266_107:
	s_lshl_b32 s9, s10, 10
	s_wait_dscnt 0x4
	s_wait_alu 0xfffe
	v_add_co_u32 v6, vcc_lo, v0, s9
	s_wait_alu 0xfffd
	v_add_co_ci_u32_e64 v7, null, 0, v1, vcc_lo
	s_wait_dscnt 0x3
	global_store_b8 v[6:7], v5, off
	s_or_b32 exec_lo, exec_lo, s8
	s_and_saveexec_b32 s8, s5
	s_cbranch_execz .LBB266_90
.LBB266_108:
	s_mul_i32 s9, s10, 0x500
	s_wait_dscnt 0x3
	s_wait_alu 0xfffe
	v_add_co_u32 v5, vcc_lo, v0, s9
	s_wait_alu 0xfffd
	v_add_co_ci_u32_e64 v6, null, 0, v1, vcc_lo
	s_wait_dscnt 0x2
	global_store_b8 v[5:6], v4, off
	s_or_b32 exec_lo, exec_lo, s8
	s_and_saveexec_b32 s8, s6
	s_cbranch_execz .LBB266_91
.LBB266_109:
	s_mul_i32 s9, s10, 0x600
	s_wait_dscnt 0x2
	s_wait_alu 0xfffe
	v_add_co_u32 v4, vcc_lo, v0, s9
	s_wait_alu 0xfffd
	v_add_co_ci_u32_e64 v5, null, 0, v1, vcc_lo
	s_wait_dscnt 0x1
	global_store_b8 v[4:5], v3, off
	s_or_b32 exec_lo, exec_lo, s8
	s_and_saveexec_b32 s8, s7
	s_cbranch_execnz .LBB266_92
	s_branch .LBB266_93
.LBB266_110:
	ds_load_b64 v[16:17], v57
	s_wait_dscnt 0x0
	global_store_b64 v[2:3], v[16:17], off
	s_wait_alu 0xfffe
	s_or_b32 exec_lo, exec_lo, s8
	s_and_saveexec_b32 s0, s1
	s_cbranch_execz .LBB266_95
.LBB266_111:
	s_lshl_b32 s8, s12, 8
	s_mov_b32 s9, 0
	s_wait_alu 0xfffe
	s_lshl_b64 s[8:9], s[8:9], 3
	s_wait_alu 0xfffe
	v_add_co_u32 v16, vcc_lo, v2, s8
	s_wait_alu 0xfffd
	v_add_co_ci_u32_e64 v17, null, s9, v3, vcc_lo
	s_wait_dscnt 0x6
	global_store_b64 v[16:17], v[14:15], off
	s_or_b32 exec_lo, exec_lo, s0
	s_and_saveexec_b32 s0, s2
	s_cbranch_execz .LBB266_96
.LBB266_112:
	s_lshl_b32 s8, s12, 9
	s_mov_b32 s9, 0
	s_wait_alu 0xfffe
	s_lshl_b64 s[8:9], s[8:9], 3
	s_wait_dscnt 0x6
	s_wait_alu 0xfffe
	v_add_co_u32 v14, vcc_lo, v2, s8
	s_wait_alu 0xfffd
	v_add_co_ci_u32_e64 v15, null, s9, v3, vcc_lo
	s_wait_dscnt 0x5
	global_store_b64 v[14:15], v[12:13], off
	s_or_b32 exec_lo, exec_lo, s0
	s_and_saveexec_b32 s0, s3
	s_cbranch_execz .LBB266_97
.LBB266_113:
	s_mul_i32 s2, s12, 0x300
	s_mov_b32 s3, 0
	s_wait_alu 0xfffe
	s_lshl_b64 s[2:3], s[2:3], 3
	s_wait_dscnt 0x5
	s_wait_alu 0xfffe
	v_add_co_u32 v12, vcc_lo, v2, s2
	s_wait_alu 0xfffd
	v_add_co_ci_u32_e64 v13, null, s3, v3, vcc_lo
	s_wait_dscnt 0x4
	global_store_b64 v[12:13], v[10:11], off
	s_or_b32 exec_lo, exec_lo, s0
	s_and_saveexec_b32 s0, s4
	s_cbranch_execz .LBB266_98
.LBB266_114:
	s_lshl_b32 s2, s12, 10
	s_mov_b32 s3, 0
	s_wait_alu 0xfffe
	s_lshl_b64 s[2:3], s[2:3], 3
	s_wait_dscnt 0x4
	s_wait_alu 0xfffe
	v_add_co_u32 v10, vcc_lo, v2, s2
	s_wait_alu 0xfffd
	v_add_co_ci_u32_e64 v11, null, s3, v3, vcc_lo
	s_wait_dscnt 0x3
	global_store_b64 v[10:11], v[8:9], off
	s_or_b32 exec_lo, exec_lo, s0
	s_and_saveexec_b32 s0, s5
	s_cbranch_execz .LBB266_99
.LBB266_115:
	s_mul_i32 s2, s12, 0x500
	s_mov_b32 s3, 0
	s_wait_alu 0xfffe
	s_lshl_b64 s[2:3], s[2:3], 3
	s_wait_dscnt 0x3
	s_wait_alu 0xfffe
	v_add_co_u32 v8, vcc_lo, v2, s2
	s_wait_alu 0xfffd
	v_add_co_ci_u32_e64 v9, null, s3, v3, vcc_lo
	s_wait_dscnt 0x2
	global_store_b64 v[8:9], v[6:7], off
	s_or_b32 exec_lo, exec_lo, s0
	s_and_saveexec_b32 s0, s6
	s_cbranch_execz .LBB266_100
.LBB266_116:
	s_mul_i32 s2, s12, 0x600
	s_mov_b32 s3, 0
	s_wait_alu 0xfffe
	s_lshl_b64 s[2:3], s[2:3], 3
	s_wait_dscnt 0x2
	s_wait_alu 0xfffe
	v_add_co_u32 v6, vcc_lo, v2, s2
	s_wait_alu 0xfffd
	v_add_co_ci_u32_e64 v7, null, s3, v3, vcc_lo
	s_wait_dscnt 0x1
	global_store_b64 v[6:7], v[4:5], off
	s_or_b32 exec_lo, exec_lo, s0
	s_and_saveexec_b32 s0, s7
	s_cbranch_execnz .LBB266_101
	s_branch .LBB266_102
	.section	.rodata,"a",@progbits
	.p2align	6, 0x0
	.amdhsa_kernel _ZN2at6native18radixSortKVInPlaceILi2ELin1ELi256ELi8EbljEEvNS_4cuda6detail10TensorInfoIT3_T5_EES6_S6_S6_NS4_IT4_S6_EES6_b
		.amdhsa_group_segment_fixed_size 16896
		.amdhsa_private_segment_fixed_size 0
		.amdhsa_kernarg_size 712
		.amdhsa_user_sgpr_count 2
		.amdhsa_user_sgpr_dispatch_ptr 0
		.amdhsa_user_sgpr_queue_ptr 0
		.amdhsa_user_sgpr_kernarg_segment_ptr 1
		.amdhsa_user_sgpr_dispatch_id 0
		.amdhsa_user_sgpr_private_segment_size 0
		.amdhsa_wavefront_size32 1
		.amdhsa_uses_dynamic_stack 0
		.amdhsa_enable_private_segment 0
		.amdhsa_system_sgpr_workgroup_id_x 1
		.amdhsa_system_sgpr_workgroup_id_y 1
		.amdhsa_system_sgpr_workgroup_id_z 1
		.amdhsa_system_sgpr_workgroup_info 0
		.amdhsa_system_vgpr_workitem_id 2
		.amdhsa_next_free_vgpr 105
		.amdhsa_next_free_sgpr 24
		.amdhsa_reserve_vcc 1
		.amdhsa_float_round_mode_32 0
		.amdhsa_float_round_mode_16_64 0
		.amdhsa_float_denorm_mode_32 3
		.amdhsa_float_denorm_mode_16_64 3
		.amdhsa_fp16_overflow 0
		.amdhsa_workgroup_processor_mode 1
		.amdhsa_memory_ordered 1
		.amdhsa_forward_progress 1
		.amdhsa_inst_pref_size 78
		.amdhsa_round_robin_scheduling 0
		.amdhsa_exception_fp_ieee_invalid_op 0
		.amdhsa_exception_fp_denorm_src 0
		.amdhsa_exception_fp_ieee_div_zero 0
		.amdhsa_exception_fp_ieee_overflow 0
		.amdhsa_exception_fp_ieee_underflow 0
		.amdhsa_exception_fp_ieee_inexact 0
		.amdhsa_exception_int_div_zero 0
	.end_amdhsa_kernel
	.section	.text._ZN2at6native18radixSortKVInPlaceILi2ELin1ELi256ELi8EbljEEvNS_4cuda6detail10TensorInfoIT3_T5_EES6_S6_S6_NS4_IT4_S6_EES6_b,"axG",@progbits,_ZN2at6native18radixSortKVInPlaceILi2ELin1ELi256ELi8EbljEEvNS_4cuda6detail10TensorInfoIT3_T5_EES6_S6_S6_NS4_IT4_S6_EES6_b,comdat
.Lfunc_end266:
	.size	_ZN2at6native18radixSortKVInPlaceILi2ELin1ELi256ELi8EbljEEvNS_4cuda6detail10TensorInfoIT3_T5_EES6_S6_S6_NS4_IT4_S6_EES6_b, .Lfunc_end266-_ZN2at6native18radixSortKVInPlaceILi2ELin1ELi256ELi8EbljEEvNS_4cuda6detail10TensorInfoIT3_T5_EES6_S6_S6_NS4_IT4_S6_EES6_b
                                        ; -- End function
	.set _ZN2at6native18radixSortKVInPlaceILi2ELin1ELi256ELi8EbljEEvNS_4cuda6detail10TensorInfoIT3_T5_EES6_S6_S6_NS4_IT4_S6_EES6_b.num_vgpr, 105
	.set _ZN2at6native18radixSortKVInPlaceILi2ELin1ELi256ELi8EbljEEvNS_4cuda6detail10TensorInfoIT3_T5_EES6_S6_S6_NS4_IT4_S6_EES6_b.num_agpr, 0
	.set _ZN2at6native18radixSortKVInPlaceILi2ELin1ELi256ELi8EbljEEvNS_4cuda6detail10TensorInfoIT3_T5_EES6_S6_S6_NS4_IT4_S6_EES6_b.numbered_sgpr, 24
	.set _ZN2at6native18radixSortKVInPlaceILi2ELin1ELi256ELi8EbljEEvNS_4cuda6detail10TensorInfoIT3_T5_EES6_S6_S6_NS4_IT4_S6_EES6_b.num_named_barrier, 0
	.set _ZN2at6native18radixSortKVInPlaceILi2ELin1ELi256ELi8EbljEEvNS_4cuda6detail10TensorInfoIT3_T5_EES6_S6_S6_NS4_IT4_S6_EES6_b.private_seg_size, 0
	.set _ZN2at6native18radixSortKVInPlaceILi2ELin1ELi256ELi8EbljEEvNS_4cuda6detail10TensorInfoIT3_T5_EES6_S6_S6_NS4_IT4_S6_EES6_b.uses_vcc, 1
	.set _ZN2at6native18radixSortKVInPlaceILi2ELin1ELi256ELi8EbljEEvNS_4cuda6detail10TensorInfoIT3_T5_EES6_S6_S6_NS4_IT4_S6_EES6_b.uses_flat_scratch, 0
	.set _ZN2at6native18radixSortKVInPlaceILi2ELin1ELi256ELi8EbljEEvNS_4cuda6detail10TensorInfoIT3_T5_EES6_S6_S6_NS4_IT4_S6_EES6_b.has_dyn_sized_stack, 0
	.set _ZN2at6native18radixSortKVInPlaceILi2ELin1ELi256ELi8EbljEEvNS_4cuda6detail10TensorInfoIT3_T5_EES6_S6_S6_NS4_IT4_S6_EES6_b.has_recursion, 0
	.set _ZN2at6native18radixSortKVInPlaceILi2ELin1ELi256ELi8EbljEEvNS_4cuda6detail10TensorInfoIT3_T5_EES6_S6_S6_NS4_IT4_S6_EES6_b.has_indirect_call, 0
	.section	.AMDGPU.csdata,"",@progbits
; Kernel info:
; codeLenInByte = 9888
; TotalNumSgprs: 26
; NumVgprs: 105
; ScratchSize: 0
; MemoryBound: 0
; FloatMode: 240
; IeeeMode: 1
; LDSByteSize: 16896 bytes/workgroup (compile time only)
; SGPRBlocks: 0
; VGPRBlocks: 13
; NumSGPRsForWavesPerEU: 26
; NumVGPRsForWavesPerEU: 105
; Occupancy: 12
; WaveLimiterHint : 1
; COMPUTE_PGM_RSRC2:SCRATCH_EN: 0
; COMPUTE_PGM_RSRC2:USER_SGPR: 2
; COMPUTE_PGM_RSRC2:TRAP_HANDLER: 0
; COMPUTE_PGM_RSRC2:TGID_X_EN: 1
; COMPUTE_PGM_RSRC2:TGID_Y_EN: 1
; COMPUTE_PGM_RSRC2:TGID_Z_EN: 1
; COMPUTE_PGM_RSRC2:TIDIG_COMP_CNT: 2
	.section	.text._ZN2at6native18radixSortKVInPlaceILi2ELin1ELi128ELi8EbljEEvNS_4cuda6detail10TensorInfoIT3_T5_EES6_S6_S6_NS4_IT4_S6_EES6_b,"axG",@progbits,_ZN2at6native18radixSortKVInPlaceILi2ELin1ELi128ELi8EbljEEvNS_4cuda6detail10TensorInfoIT3_T5_EES6_S6_S6_NS4_IT4_S6_EES6_b,comdat
	.protected	_ZN2at6native18radixSortKVInPlaceILi2ELin1ELi128ELi8EbljEEvNS_4cuda6detail10TensorInfoIT3_T5_EES6_S6_S6_NS4_IT4_S6_EES6_b ; -- Begin function _ZN2at6native18radixSortKVInPlaceILi2ELin1ELi128ELi8EbljEEvNS_4cuda6detail10TensorInfoIT3_T5_EES6_S6_S6_NS4_IT4_S6_EES6_b
	.globl	_ZN2at6native18radixSortKVInPlaceILi2ELin1ELi128ELi8EbljEEvNS_4cuda6detail10TensorInfoIT3_T5_EES6_S6_S6_NS4_IT4_S6_EES6_b
	.p2align	8
	.type	_ZN2at6native18radixSortKVInPlaceILi2ELin1ELi128ELi8EbljEEvNS_4cuda6detail10TensorInfoIT3_T5_EES6_S6_S6_NS4_IT4_S6_EES6_b,@function
_ZN2at6native18radixSortKVInPlaceILi2ELin1ELi128ELi8EbljEEvNS_4cuda6detail10TensorInfoIT3_T5_EES6_S6_S6_NS4_IT4_S6_EES6_b: ; @_ZN2at6native18radixSortKVInPlaceILi2ELin1ELi128ELi8EbljEEvNS_4cuda6detail10TensorInfoIT3_T5_EES6_S6_S6_NS4_IT4_S6_EES6_b
; %bb.0:
	s_clause 0x1
	s_load_b64 s[2:3], s[0:1], 0x1c8
	s_load_b96 s[8:10], s[0:1], 0xd8
	s_lshr_b32 s4, ttmp7, 16
	s_wait_kmcnt 0x0
	s_mul_i32 s3, s3, s4
	s_and_b32 s4, ttmp7, 0xffff
	s_delay_alu instid0(SALU_CYCLE_1) | instskip(NEXT) | instid1(SALU_CYCLE_1)
	s_add_co_i32 s3, s3, s4
	s_mul_i32 s2, s3, s2
	s_delay_alu instid0(SALU_CYCLE_1) | instskip(NEXT) | instid1(SALU_CYCLE_1)
	s_add_co_i32 s2, s2, ttmp9
	s_cmp_ge_u32 s2, s8
	s_cbranch_scc1 .LBB267_102
; %bb.1:
	s_clause 0x2
	s_load_b32 s8, s[0:1], 0xc
	s_load_b64 s[4:5], s[0:1], 0x6c
	s_load_b32 s12, s[0:1], 0x1b8
	s_add_nc_u64 s[20:21], s[0:1], 0xe8
	s_wait_kmcnt 0x0
	s_cvt_f32_u32 s3, s8
	s_delay_alu instid0(SALU_CYCLE_3) | instskip(NEXT) | instid1(TRANS32_DEP_1)
	v_rcp_iflag_f32_e32 v1, s3
	v_readfirstlane_b32 s3, v1
	s_mul_f32 s3, s3, 0x4f7ffffe
	s_wait_alu 0xfffe
	s_delay_alu instid0(SALU_CYCLE_2) | instskip(SKIP_2) | instid1(SALU_CYCLE_1)
	s_cvt_u32_f32 s6, s3
	s_sub_co_i32 s3, 0, s8
	s_wait_alu 0xfffe
	s_mul_i32 s7, s3, s6
	s_mov_b32 s3, 0
	s_mul_hi_u32 s11, s6, s7
	s_wait_alu 0xfffe
	s_mov_b32 s7, s3
	s_add_co_i32 s6, s6, s11
	s_cmp_lt_i32 s12, 2
	s_mov_b32 s11, s2
	s_mov_b32 s17, s3
	s_cbranch_scc1 .LBB267_4
; %bb.2:
	s_add_co_i32 s16, s12, -1
	s_mov_b32 s17, 0
	s_mov_b32 s11, s2
	s_lshl_b64 s[14:15], s[16:17], 2
	s_delay_alu instid0(SALU_CYCLE_1)
	s_add_nc_u64 s[18:19], s[20:21], s[14:15]
	s_add_co_i32 s14, s12, 1
	s_add_nc_u64 s[12:13], s[18:19], 8
.LBB267_3:                              ; =>This Inner Loop Header: Depth=1
	s_clause 0x1
	s_load_b32 s15, s[12:13], 0x0
	s_load_b32 s16, s[12:13], 0x64
	s_mov_b32 s22, s11
	s_add_nc_u64 s[12:13], s[12:13], -4
	s_wait_kmcnt 0x0
	s_cvt_f32_u32 s18, s15
	s_sub_co_i32 s19, 0, s15
	s_wait_alu 0xfffe
	s_delay_alu instid0(SALU_CYCLE_1) | instskip(NEXT) | instid1(TRANS32_DEP_1)
	v_rcp_iflag_f32_e32 v1, s18
	v_readfirstlane_b32 s18, v1
	s_mul_f32 s18, s18, 0x4f7ffffe
	s_wait_alu 0xfffe
	s_delay_alu instid0(SALU_CYCLE_2) | instskip(SKIP_1) | instid1(SALU_CYCLE_2)
	s_cvt_u32_f32 s18, s18
	s_wait_alu 0xfffe
	s_mul_i32 s19, s19, s18
	s_wait_alu 0xfffe
	s_mul_hi_u32 s19, s18, s19
	s_wait_alu 0xfffe
	s_add_co_i32 s18, s18, s19
	s_wait_alu 0xfffe
	s_mul_hi_u32 s11, s11, s18
	s_delay_alu instid0(SALU_CYCLE_1)
	s_mul_i32 s18, s11, s15
	s_add_co_i32 s19, s11, 1
	s_wait_alu 0xfffe
	s_sub_co_i32 s18, s22, s18
	s_wait_alu 0xfffe
	s_sub_co_i32 s23, s18, s15
	s_cmp_ge_u32 s18, s15
	s_cselect_b32 s11, s19, s11
	s_cselect_b32 s18, s23, s18
	s_add_co_i32 s19, s11, 1
	s_wait_alu 0xfffe
	s_cmp_ge_u32 s18, s15
	s_cselect_b32 s11, s19, s11
	s_add_co_i32 s14, s14, -1
	s_mul_i32 s15, s11, s15
	s_delay_alu instid0(SALU_CYCLE_1) | instskip(NEXT) | instid1(SALU_CYCLE_1)
	s_sub_co_i32 s15, s22, s15
	s_mul_i32 s15, s16, s15
	s_delay_alu instid0(SALU_CYCLE_1)
	s_add_co_i32 s17, s15, s17
	s_cmp_gt_u32 s14, 2
	s_cbranch_scc1 .LBB267_3
.LBB267_4:
	s_mul_u64 s[6:7], s[2:3], s[6:7]
	s_clause 0x1
	s_load_b64 s[14:15], s[0:1], 0x0
	s_load_b64 s[12:13], s[0:1], 0x1c0
	s_mul_i32 s3, s7, s8
	s_add_nc_u64 s[18:19], s[0:1], 0x1c8
	s_wait_alu 0xfffe
	s_sub_co_i32 s0, s2, s3
	s_add_co_i32 s1, s7, 1
	s_sub_co_i32 s3, s0, s8
	s_cmp_ge_u32 s0, s8
	v_and_b32_e32 v44, 0x3ff, v0
	s_cselect_b32 s1, s1, s7
	s_wait_alu 0xfffe
	s_cselect_b32 s0, s3, s0
	s_add_co_i32 s3, s1, 1
	s_cmp_ge_u32 s0, s8
	v_mul_lo_u32 v47, s10, v44
	s_wait_alu 0xfffe
	s_cselect_b32 s0, s3, s1
	s_mov_b32 s3, 0
	s_mul_i32 s1, s0, s8
	s_mul_i32 s0, s0, s4
	s_sub_co_i32 s1, s2, s1
	s_delay_alu instid0(SALU_CYCLE_1) | instskip(NEXT) | instid1(SALU_CYCLE_1)
	s_mul_i32 s1, s1, s5
	s_add_co_i32 s2, s0, s1
	s_wait_kmcnt 0x0
	s_bitcmp1_b32 s13, 0
	s_wait_alu 0xfffe
	s_add_nc_u64 s[14:15], s[14:15], s[2:3]
	s_cselect_b32 s0, -1, 0
	s_delay_alu instid0(SALU_CYCLE_1) | instskip(SKIP_3) | instid1(VALU_DEP_2)
	s_xor_b32 s8, s0, -1
	v_cmp_gt_u32_e64 s0, s9, v44
	v_cndmask_b32_e64 v1, 0, 1, s8
	v_cndmask_b32_e64 v3, 0, 1, s8
	v_lshlrev_b32_e32 v2, 8, v1
	s_delay_alu instid0(VALU_DEP_1) | instskip(NEXT) | instid1(VALU_DEP_1)
	v_or_b32_e32 v1, v1, v2
	v_and_b32_e32 v2, 0x101, v1
	v_lshlrev_b32_e32 v1, 16, v1
	s_delay_alu instid0(VALU_DEP_1) | instskip(NEXT) | instid1(VALU_DEP_1)
	v_or_b32_e32 v1, v2, v1
	v_mov_b32_e32 v2, v1
	s_and_saveexec_b32 s1, s0
	s_cbranch_execz .LBB267_6
; %bb.5:
	global_load_u8 v3, v47, s[14:15]
	v_mov_b32_e32 v5, v1
	s_wait_loadcnt 0x0
	v_perm_b32 v4, v3, v1, 0x3020104
	s_delay_alu instid0(VALU_DEP_1)
	v_dual_mov_b32 v1, v4 :: v_dual_mov_b32 v2, v5
.LBB267_6:
	s_or_b32 exec_lo, exec_lo, s1
	v_add_nc_u32_e32 v28, 0x80, v44
	s_delay_alu instid0(VALU_DEP_1)
	v_cmp_gt_u32_e64 s1, s9, v28
	s_and_saveexec_b32 s2, s1
	s_cbranch_execz .LBB267_8
; %bb.7:
	v_mul_lo_u32 v4, s10, v28
	global_load_u8 v4, v4, s[14:15]
	s_wait_loadcnt 0x0
	v_perm_b32 v1, v1, v4, 0x7060004
.LBB267_8:
	s_wait_alu 0xfffe
	s_or_b32 exec_lo, exec_lo, s2
	v_add_nc_u32_e32 v24, 0x100, v44
	s_delay_alu instid0(VALU_DEP_1)
	v_cmp_gt_u32_e64 s2, s9, v24
	s_and_saveexec_b32 s3, s2
	s_cbranch_execz .LBB267_10
; %bb.9:
	v_mul_lo_u32 v4, s10, v24
	global_load_u8 v4, v4, s[14:15]
	s_wait_loadcnt 0x0
	v_perm_b32 v4, v4, v1, 0xc0c0304
	s_delay_alu instid0(VALU_DEP_1) | instskip(NEXT) | instid1(VALU_DEP_1)
	v_lshlrev_b32_e32 v4, 16, v4
	v_and_or_b32 v1, 0xffff, v1, v4
.LBB267_10:
	s_wait_alu 0xfffe
	s_or_b32 exec_lo, exec_lo, s3
	v_add_nc_u32_e32 v21, 0x180, v44
	s_delay_alu instid0(VALU_DEP_1)
	v_cmp_gt_u32_e64 s3, s9, v21
	s_and_saveexec_b32 s4, s3
	s_cbranch_execz .LBB267_12
; %bb.11:
	v_mul_lo_u32 v4, s10, v21
	global_load_u8 v4, v4, s[14:15]
	s_wait_loadcnt 0x0
	v_perm_b32 v4, v1, v4, 0xc0c0006
	s_delay_alu instid0(VALU_DEP_1) | instskip(NEXT) | instid1(VALU_DEP_1)
	v_lshlrev_b32_e32 v4, 16, v4
	v_and_or_b32 v1, 0xffff, v1, v4
.LBB267_12:
	s_or_b32 exec_lo, exec_lo, s4
	v_add_nc_u32_e32 v19, 0x200, v44
	s_delay_alu instid0(VALU_DEP_1)
	v_cmp_gt_u32_e64 s4, s9, v19
	s_and_saveexec_b32 s5, s4
	s_cbranch_execz .LBB267_14
; %bb.13:
	v_mul_lo_u32 v4, s10, v19
	global_load_u8 v4, v4, s[14:15]
	s_wait_loadcnt 0x0
	v_perm_b32 v2, v4, v2, 0x3020104
.LBB267_14:
	s_or_b32 exec_lo, exec_lo, s5
	v_add_nc_u32_e32 v17, 0x280, v44
	s_delay_alu instid0(VALU_DEP_1)
	v_cmp_gt_u32_e64 s5, s9, v17
	s_and_saveexec_b32 s6, s5
	s_cbranch_execz .LBB267_16
; %bb.15:
	v_mul_lo_u32 v4, s10, v17
	global_load_u8 v4, v4, s[14:15]
	s_wait_loadcnt 0x0
	v_perm_b32 v2, v2, v4, 0x7060004
.LBB267_16:
	;; [unrolled: 12-line block ×3, first 2 shown]
	s_or_b32 exec_lo, exec_lo, s7
	s_clause 0x1
	s_load_b32 s13, s[20:21], 0x6c
	s_load_b64 s[20:21], s[20:21], 0x0
	v_add_nc_u32_e32 v15, 0x380, v44
	s_delay_alu instid0(VALU_DEP_1)
	v_cmp_gt_u32_e64 s7, s9, v15
	s_and_saveexec_b32 s9, s7
	s_cbranch_execz .LBB267_20
; %bb.19:
	v_mul_lo_u32 v4, s10, v15
	global_load_u8 v4, v4, s[14:15]
	s_wait_loadcnt 0x0
	v_perm_b32 v2, v2, v4, 0x60504
.LBB267_20:
	s_wait_alu 0xfffe
	s_or_b32 exec_lo, exec_lo, s9
	v_lshrrev_b32_e32 v65, 5, v44
	v_lshrrev_b32_e32 v18, 5, v28
	;; [unrolled: 1-line block ×5, first 2 shown]
	s_delay_alu instid0(VALU_DEP_4) | instskip(SKIP_4) | instid1(VALU_DEP_4)
	v_dual_mov_b32 v42, 0 :: v_dual_and_b32 v5, 60, v18
	v_and_b32_e32 v4, 28, v65
	v_and_b32_e32 v7, 60, v23
	v_lshrrev_b32_e32 v22, 5, v21
	v_lshrrev_b32_e32 v29, 2, v44
	v_dual_mov_b32 v43, v42 :: v_dual_add_nc_u32 v48, v4, v44
	v_dual_mov_b32 v11, v42 :: v_dual_and_b32 v4, 60, v20
	v_mov_b32_e32 v12, v42
	v_add_nc_u32_e32 v52, v7, v44
	v_and_b32_e32 v7, 60, v26
	s_delay_alu instid0(VALU_DEP_4)
	v_add_nc_u32_e32 v50, v4, v44
	v_and_b32_e32 v4, 60, v22
	v_lshrrev_b32_e32 v25, 5, v17
	v_lshrrev_b32_e32 v27, 5, v15
	v_dual_mov_b32 v13, 0 :: v_dual_add_nc_u32 v54, v7, v44
	v_lshlrev_b32_e32 v61, 3, v44
	v_and_b32_e32 v7, 0xfc, v29
	v_add_nc_u32_e32 v51, v4, v44
	v_and_b32_e32 v4, 60, v25
	v_and_b32_e32 v9, 60, v27
	v_lshrrev_b32_e32 v6, 8, v1
	v_add_nc_u32_e32 v56, v7, v61
	v_dual_mov_b32 v10, v42 :: v_dual_add_nc_u32 v49, v5, v44
	v_lshrrev_b32_e32 v5, 24, v1
	v_lshrrev_b32_e32 v8, 8, v2
	v_dual_mov_b32 v14, 0 :: v_dual_add_nc_u32 v53, v4, v44
	v_lshrrev_b32_e32 v4, 24, v2
	v_add_nc_u32_e32 v55, v9, v44
	v_mov_b32_e32 v9, v42
	v_mov_b32_e32 v7, v42
	ds_store_b8 v48, v3
	ds_store_b8 v49, v6 offset:128
	ds_store_b8_d16_hi v50, v1 offset:256
	ds_store_b8 v51, v5 offset:384
	ds_store_b8 v52, v2 offset:512
	ds_store_b8 v53, v8 offset:640
	ds_store_b8_d16_hi v54, v2 offset:768
	ds_store_b8 v55, v4 offset:896
	s_wait_dscnt 0x0
	s_barrier_signal -1
	s_barrier_wait -1
	global_inv scope:SCOPE_SE
	ds_load_2addr_b32 v[45:46], v56 offset1:1
	s_wait_kmcnt 0x0
	s_mul_i32 s9, s13, s11
	v_mul_lo_u32 v41, s12, v44
	s_mov_b32 s23, 0
	s_wait_alu 0xfffe
	s_add_co_i32 s22, s9, s17
	v_dual_mov_b32 v1, v42 :: v_dual_mov_b32 v2, v42
	v_dual_mov_b32 v3, v42 :: v_dual_mov_b32 v4, v42
	;; [unrolled: 1-line block ×3, first 2 shown]
	v_mov_b32_e32 v8, v42
	s_lshl_b64 s[16:17], s[22:23], 3
	s_wait_loadcnt_dscnt 0x0
	s_add_nc_u64 s[16:17], s[20:21], s[16:17]
	s_barrier_signal -1
	s_barrier_wait -1
	global_inv scope:SCOPE_SE
	s_and_saveexec_b32 s9, s0
	s_cbranch_execnz .LBB267_53
; %bb.21:
	s_wait_alu 0xfffe
	s_or_b32 exec_lo, exec_lo, s9
	s_and_saveexec_b32 s9, s1
	s_cbranch_execnz .LBB267_54
.LBB267_22:
	s_wait_alu 0xfffe
	s_or_b32 exec_lo, exec_lo, s9
	s_and_saveexec_b32 s9, s2
	s_cbranch_execnz .LBB267_55
.LBB267_23:
	s_wait_alu 0xfffe
	s_or_b32 exec_lo, exec_lo, s9
	s_and_saveexec_b32 s9, s3
	s_cbranch_execnz .LBB267_56
.LBB267_24:
	s_wait_alu 0xfffe
	s_or_b32 exec_lo, exec_lo, s9
	s_and_saveexec_b32 s9, s4
	s_cbranch_execnz .LBB267_57
.LBB267_25:
	s_wait_alu 0xfffe
	s_or_b32 exec_lo, exec_lo, s9
	s_and_saveexec_b32 s9, s5
	s_cbranch_execnz .LBB267_58
.LBB267_26:
	s_wait_alu 0xfffe
	s_or_b32 exec_lo, exec_lo, s9
	s_and_saveexec_b32 s9, s6
	s_cbranch_execnz .LBB267_59
.LBB267_27:
	s_wait_alu 0xfffe
	s_or_b32 exec_lo, exec_lo, s9
	s_and_saveexec_b32 s9, s7
	s_cbranch_execz .LBB267_29
.LBB267_28:
	v_mul_lo_u32 v7, s12, v15
	v_mov_b32_e32 v8, 0
	s_delay_alu instid0(VALU_DEP_1) | instskip(NEXT) | instid1(VALU_DEP_1)
	v_lshlrev_b64_e32 v[7:8], 3, v[7:8]
	v_add_co_u32 v7, vcc_lo, s16, v7
	s_wait_alu 0xfffd
	s_delay_alu instid0(VALU_DEP_2)
	v_add_co_ci_u32_e64 v8, null, s17, v8, vcc_lo
	global_load_b64 v[7:8], v[7:8], off
.LBB267_29:
	s_wait_alu 0xfffe
	s_or_b32 exec_lo, exec_lo, s9
	v_lshl_add_u32 v57, v65, 3, v61
	v_lshl_add_u32 v58, v18, 3, v61
	;; [unrolled: 1-line block ×5, first 2 shown]
	s_wait_loadcnt 0x0
	ds_store_b64 v57, v[13:14]
	ds_store_b64 v58, v[42:43] offset:1024
	ds_store_b64 v59, v[9:10] offset:2048
	;; [unrolled: 1-line block ×3, first 2 shown]
	v_lshlrev_b32_e32 v9, 3, v61
	v_lshl_add_u32 v42, v23, 3, v61
	v_lshl_add_u32 v43, v25, 3, v61
	;; [unrolled: 1-line block ×3, first 2 shown]
	ds_store_b64 v42, v[1:2] offset:4096
	ds_store_b64 v43, v[3:4] offset:5120
	;; [unrolled: 1-line block ×4, first 2 shown]
	v_lshl_add_u32 v64, v29, 3, v9
	s_wait_dscnt 0x0
	s_barrier_signal -1
	s_barrier_wait -1
	global_inv scope:SCOPE_SE
	ds_load_2addr_b64 v[13:16], v64 offset1:1
	ds_load_2addr_b64 v[9:12], v64 offset0:2 offset1:3
	ds_load_2addr_b64 v[5:8], v64 offset0:4 offset1:5
	;; [unrolled: 1-line block ×3, first 2 shown]
	v_bfe_u32 v69, v0, 10, 10
	v_bfe_u32 v70, v0, 20, 10
	v_mbcnt_lo_u32_b32 v67, -1, 0
	v_and_b32_e32 v68, 0x3e0, v44
	v_lshlrev_b32_e32 v66, 2, v61
	s_and_b32 vcc_lo, exec_lo, s8
	s_wait_loadcnt_dscnt 0x0
	s_barrier_signal -1
	s_barrier_wait -1
	global_inv scope:SCOPE_SE
	s_wait_alu 0xfffe
	s_cbranch_vccz .LBB267_60
; %bb.30:
	s_getpc_b64 s[8:9]
	s_wait_alu 0xfffe
	s_sext_i32_i16 s9, s9
	s_add_co_u32 s8, s8, _ZN7rocprim17ROCPRIM_400000_NS16block_radix_sortIbLj128ELj8ElLj1ELj1ELj0ELNS0_26block_radix_rank_algorithmE1ELNS0_18block_padding_hintE2ELNS0_4arch9wavefront6targetE0EE19radix_bits_per_passE@rel32@lo+12
	s_wait_alu 0xfffe
	s_add_co_ci_u32 s9, s9, _ZN7rocprim17ROCPRIM_400000_NS16block_radix_sortIbLj128ELj8ElLj1ELj1ELj0ELNS0_26block_radix_rank_algorithmE1ELNS0_18block_padding_hintE2ELNS0_4arch9wavefront6targetE0EE19radix_bits_per_passE@rel32@hi+24
	v_or_b32_e32 v17, v67, v68
	s_load_b32 s8, s[8:9], 0x0
	s_mov_b32 s20, 0
	v_and_or_b32 v19, 0x1f00, v61, v67
	s_mov_b32 s21, s20
	s_mov_b32 s22, s20
	;; [unrolled: 1-line block ×3, first 2 shown]
	v_lshlrev_b32_e32 v18, 3, v17
	ds_store_b64 v18, v[45:46]
	; wave barrier
	ds_load_u8 v0, v19
	ds_load_u8 v71, v19 offset:32
	ds_load_u8 v72, v19 offset:64
	;; [unrolled: 1-line block ×7, first 2 shown]
	v_mad_u32_u24 v17, v17, 56, v18
	v_mad_u32_u24 v18, v19, 7, v19
	s_wait_loadcnt_dscnt 0x0
	s_barrier_signal -1
	s_barrier_wait -1
	global_inv scope:SCOPE_SE
	ds_store_b128 v17, v[13:16]
	ds_store_b128 v17, v[9:12] offset:16
	ds_store_b128 v17, v[5:8] offset:32
	;; [unrolled: 1-line block ×3, first 2 shown]
	; wave barrier
	ds_load_2addr_b64 v[29:32], v18 offset1:32
	ds_load_2addr_b64 v[25:28], v18 offset0:64 offset1:96
	ds_load_2addr_b64 v[21:24], v18 offset0:128 offset1:160
	;; [unrolled: 1-line block ×3, first 2 shown]
	s_wait_loadcnt_dscnt 0x0
	s_barrier_signal -1
	s_barrier_wait -1
	global_inv scope:SCOPE_SE
	s_load_b32 s11, s[18:19], 0xc
	s_wait_kmcnt 0x0
	s_min_u32 s8, s8, 8
	s_wait_alu 0xfffe
	s_lshl_b32 s8, -1, s8
	s_wait_alu 0xfffe
	s_not_b32 s9, s8
	s_wait_alu 0xfffe
	v_and_b32_e32 v33, s9, v0
	s_delay_alu instid0(VALU_DEP_1) | instskip(NEXT) | instid1(VALU_DEP_1)
	v_and_b32_e32 v39, 1, v33
	v_add_co_u32 v35, s13, v39, -1
	s_wait_alu 0xf1ff
	v_cndmask_b32_e64 v33, 0, 1, s13
	s_lshr_b32 s8, s11, 16
	s_wait_alu 0xfffe
	v_mad_u32_u24 v34, v70, s8, v69
	s_and_b32 s8, s11, 0xffff
	v_cmp_ne_u32_e32 vcc_lo, 0, v33
	s_wait_alu 0xfffe
	s_delay_alu instid0(VALU_DEP_2) | instskip(SKIP_4) | instid1(VALU_DEP_3)
	v_mad_co_u64_u32 v[33:34], null, v34, s8, v[44:45]
	s_wait_alu 0xfffd
	v_xor_b32_e32 v34, vcc_lo, v35
	v_dual_mov_b32 v38, s23 :: v_dual_mov_b32 v35, s20
	v_dual_mov_b32 v37, s22 :: v_dual_mov_b32 v36, s21
	v_and_b32_e32 v34, exec_lo, v34
	v_lshrrev_b32_e32 v33, 3, v33
	ds_store_b128 v66, v[35:38] offset:16
	ds_store_b128 v66, v[35:38] offset:32
	v_mbcnt_lo_u32_b32 v78, v34, 0
	v_lshlrev_b32_e32 v35, 4, v39
	v_and_b32_e32 v33, 0x1ffffffc, v33
	v_cmp_ne_u32_e64 s8, 0, v34
	s_wait_loadcnt_dscnt 0x0
	v_cmp_eq_u32_e32 vcc_lo, 0, v78
	s_barrier_signal -1
	v_add_nc_u32_e32 v81, v33, v35
	s_barrier_wait -1
	global_inv scope:SCOPE_SE
	s_and_b32 s11, s8, vcc_lo
	; wave barrier
	s_wait_alu 0xfffe
	s_and_saveexec_b32 s8, s11
; %bb.31:
	v_bcnt_u32_b32 v34, v34, 0
	ds_store_b32 v81, v34 offset:16
; %bb.32:
	s_wait_alu 0xfffe
	s_or_b32 exec_lo, exec_lo, s8
	v_and_b32_e32 v34, s9, v71
	; wave barrier
	s_delay_alu instid0(VALU_DEP_1) | instskip(NEXT) | instid1(VALU_DEP_1)
	v_and_b32_e32 v34, 0xff, v34
	v_add_co_u32 v35, s8, v34, -1
	s_wait_alu 0xf1ff
	v_cndmask_b32_e64 v36, 0, 1, s8
	v_lshlrev_b32_e32 v34, 4, v34
	s_delay_alu instid0(VALU_DEP_2) | instskip(NEXT) | instid1(VALU_DEP_2)
	v_cmp_ne_u32_e32 vcc_lo, 0, v36
	v_add_nc_u32_e32 v84, v33, v34
	s_wait_alu 0xfffd
	v_xor_b32_e32 v34, vcc_lo, v35
	ds_load_b32 v79, v84 offset:16
	; wave barrier
	v_and_b32_e32 v34, exec_lo, v34
	s_delay_alu instid0(VALU_DEP_1) | instskip(SKIP_1) | instid1(VALU_DEP_2)
	v_mbcnt_lo_u32_b32 v80, v34, 0
	v_cmp_ne_u32_e64 s8, 0, v34
	v_cmp_eq_u32_e32 vcc_lo, 0, v80
	s_and_b32 s11, s8, vcc_lo
	s_wait_alu 0xfffe
	s_and_saveexec_b32 s8, s11
	s_cbranch_execz .LBB267_34
; %bb.33:
	s_wait_dscnt 0x0
	v_bcnt_u32_b32 v34, v34, v79
	ds_store_b32 v84, v34 offset:16
.LBB267_34:
	s_wait_alu 0xfffe
	s_or_b32 exec_lo, exec_lo, s8
	v_and_b32_e32 v34, s9, v72
	; wave barrier
	s_delay_alu instid0(VALU_DEP_1) | instskip(NEXT) | instid1(VALU_DEP_1)
	v_and_b32_e32 v34, 0xff, v34
	v_add_co_u32 v35, s8, v34, -1
	s_wait_alu 0xf1ff
	v_cndmask_b32_e64 v36, 0, 1, s8
	v_lshlrev_b32_e32 v34, 4, v34
	s_delay_alu instid0(VALU_DEP_2) | instskip(NEXT) | instid1(VALU_DEP_2)
	v_cmp_ne_u32_e32 vcc_lo, 0, v36
	v_add_nc_u32_e32 v87, v33, v34
	s_wait_alu 0xfffd
	v_xor_b32_e32 v34, vcc_lo, v35
	ds_load_b32 v82, v87 offset:16
	; wave barrier
	v_and_b32_e32 v34, exec_lo, v34
	s_delay_alu instid0(VALU_DEP_1) | instskip(SKIP_1) | instid1(VALU_DEP_2)
	v_mbcnt_lo_u32_b32 v83, v34, 0
	v_cmp_ne_u32_e64 s8, 0, v34
	v_cmp_eq_u32_e32 vcc_lo, 0, v83
	s_and_b32 s11, s8, vcc_lo
	s_wait_alu 0xfffe
	s_and_saveexec_b32 s8, s11
	s_cbranch_execz .LBB267_36
; %bb.35:
	s_wait_dscnt 0x0
	v_bcnt_u32_b32 v34, v34, v82
	ds_store_b32 v87, v34 offset:16
.LBB267_36:
	s_wait_alu 0xfffe
	s_or_b32 exec_lo, exec_lo, s8
	v_and_b32_e32 v34, s9, v73
	; wave barrier
	s_delay_alu instid0(VALU_DEP_1) | instskip(NEXT) | instid1(VALU_DEP_1)
	v_and_b32_e32 v34, 0xff, v34
	v_add_co_u32 v35, s8, v34, -1
	s_wait_alu 0xf1ff
	v_cndmask_b32_e64 v36, 0, 1, s8
	v_lshlrev_b32_e32 v34, 4, v34
	s_delay_alu instid0(VALU_DEP_2) | instskip(NEXT) | instid1(VALU_DEP_2)
	v_cmp_ne_u32_e32 vcc_lo, 0, v36
	v_add_nc_u32_e32 v90, v33, v34
	s_wait_alu 0xfffd
	v_xor_b32_e32 v34, vcc_lo, v35
	ds_load_b32 v85, v90 offset:16
	; wave barrier
	v_and_b32_e32 v34, exec_lo, v34
	s_delay_alu instid0(VALU_DEP_1) | instskip(SKIP_1) | instid1(VALU_DEP_2)
	v_mbcnt_lo_u32_b32 v86, v34, 0
	v_cmp_ne_u32_e64 s8, 0, v34
	v_cmp_eq_u32_e32 vcc_lo, 0, v86
	s_and_b32 s11, s8, vcc_lo
	s_wait_alu 0xfffe
	s_and_saveexec_b32 s8, s11
	s_cbranch_execz .LBB267_38
; %bb.37:
	s_wait_dscnt 0x0
	v_bcnt_u32_b32 v34, v34, v85
	ds_store_b32 v90, v34 offset:16
.LBB267_38:
	s_wait_alu 0xfffe
	s_or_b32 exec_lo, exec_lo, s8
	v_and_b32_e32 v34, s9, v74
	; wave barrier
	s_delay_alu instid0(VALU_DEP_1) | instskip(NEXT) | instid1(VALU_DEP_1)
	v_and_b32_e32 v34, 0xff, v34
	v_add_co_u32 v35, s8, v34, -1
	s_wait_alu 0xf1ff
	v_cndmask_b32_e64 v36, 0, 1, s8
	v_lshlrev_b32_e32 v34, 4, v34
	s_delay_alu instid0(VALU_DEP_2) | instskip(NEXT) | instid1(VALU_DEP_2)
	v_cmp_ne_u32_e32 vcc_lo, 0, v36
	v_add_nc_u32_e32 v93, v33, v34
	s_wait_alu 0xfffd
	v_xor_b32_e32 v34, vcc_lo, v35
	ds_load_b32 v88, v93 offset:16
	; wave barrier
	v_and_b32_e32 v34, exec_lo, v34
	s_delay_alu instid0(VALU_DEP_1) | instskip(SKIP_1) | instid1(VALU_DEP_2)
	v_mbcnt_lo_u32_b32 v89, v34, 0
	v_cmp_ne_u32_e64 s8, 0, v34
	v_cmp_eq_u32_e32 vcc_lo, 0, v89
	s_and_b32 s11, s8, vcc_lo
	s_wait_alu 0xfffe
	s_and_saveexec_b32 s8, s11
	s_cbranch_execz .LBB267_40
; %bb.39:
	s_wait_dscnt 0x0
	v_bcnt_u32_b32 v34, v34, v88
	ds_store_b32 v93, v34 offset:16
.LBB267_40:
	s_wait_alu 0xfffe
	s_or_b32 exec_lo, exec_lo, s8
	v_and_b32_e32 v34, s9, v75
	; wave barrier
	s_delay_alu instid0(VALU_DEP_1) | instskip(NEXT) | instid1(VALU_DEP_1)
	v_and_b32_e32 v34, 0xff, v34
	v_add_co_u32 v35, s8, v34, -1
	s_wait_alu 0xf1ff
	v_cndmask_b32_e64 v36, 0, 1, s8
	v_lshlrev_b32_e32 v34, 4, v34
	s_delay_alu instid0(VALU_DEP_2) | instskip(NEXT) | instid1(VALU_DEP_2)
	v_cmp_ne_u32_e32 vcc_lo, 0, v36
	v_add_nc_u32_e32 v96, v33, v34
	s_wait_alu 0xfffd
	v_xor_b32_e32 v34, vcc_lo, v35
	ds_load_b32 v91, v96 offset:16
	; wave barrier
	v_and_b32_e32 v34, exec_lo, v34
	s_delay_alu instid0(VALU_DEP_1) | instskip(SKIP_1) | instid1(VALU_DEP_2)
	v_mbcnt_lo_u32_b32 v92, v34, 0
	v_cmp_ne_u32_e64 s8, 0, v34
	v_cmp_eq_u32_e32 vcc_lo, 0, v92
	s_and_b32 s11, s8, vcc_lo
	s_wait_alu 0xfffe
	s_and_saveexec_b32 s8, s11
	s_cbranch_execz .LBB267_42
; %bb.41:
	s_wait_dscnt 0x0
	v_bcnt_u32_b32 v34, v34, v91
	ds_store_b32 v96, v34 offset:16
.LBB267_42:
	s_wait_alu 0xfffe
	s_or_b32 exec_lo, exec_lo, s8
	v_and_b32_e32 v34, s9, v76
	; wave barrier
	s_delay_alu instid0(VALU_DEP_1) | instskip(NEXT) | instid1(VALU_DEP_1)
	v_and_b32_e32 v34, 0xff, v34
	v_add_co_u32 v35, s8, v34, -1
	s_wait_alu 0xf1ff
	v_cndmask_b32_e64 v36, 0, 1, s8
	v_lshlrev_b32_e32 v34, 4, v34
	s_delay_alu instid0(VALU_DEP_2) | instskip(NEXT) | instid1(VALU_DEP_2)
	v_cmp_ne_u32_e32 vcc_lo, 0, v36
	v_add_nc_u32_e32 v99, v33, v34
	s_wait_alu 0xfffd
	v_xor_b32_e32 v34, vcc_lo, v35
	ds_load_b32 v94, v99 offset:16
	; wave barrier
	v_and_b32_e32 v34, exec_lo, v34
	s_delay_alu instid0(VALU_DEP_1) | instskip(SKIP_1) | instid1(VALU_DEP_2)
	v_mbcnt_lo_u32_b32 v95, v34, 0
	v_cmp_ne_u32_e64 s8, 0, v34
	v_cmp_eq_u32_e32 vcc_lo, 0, v95
	s_and_b32 s11, s8, vcc_lo
	s_wait_alu 0xfffe
	s_and_saveexec_b32 s8, s11
	s_cbranch_execz .LBB267_44
; %bb.43:
	s_wait_dscnt 0x0
	v_bcnt_u32_b32 v34, v34, v94
	ds_store_b32 v99, v34 offset:16
.LBB267_44:
	s_wait_alu 0xfffe
	s_or_b32 exec_lo, exec_lo, s8
	v_and_b32_e32 v34, s9, v77
	; wave barrier
	s_delay_alu instid0(VALU_DEP_1) | instskip(NEXT) | instid1(VALU_DEP_1)
	v_and_b32_e32 v34, 0xff, v34
	v_add_co_u32 v35, s8, v34, -1
	s_wait_alu 0xf1ff
	v_cndmask_b32_e64 v36, 0, 1, s8
	v_lshlrev_b32_e32 v34, 4, v34
	s_delay_alu instid0(VALU_DEP_2) | instskip(NEXT) | instid1(VALU_DEP_2)
	v_cmp_ne_u32_e32 vcc_lo, 0, v36
	v_add_nc_u32_e32 v100, v33, v34
	s_wait_alu 0xfffd
	v_xor_b32_e32 v33, vcc_lo, v35
	ds_load_b32 v97, v100 offset:16
	; wave barrier
	v_and_b32_e32 v33, exec_lo, v33
	s_delay_alu instid0(VALU_DEP_1) | instskip(SKIP_1) | instid1(VALU_DEP_2)
	v_mbcnt_lo_u32_b32 v98, v33, 0
	v_cmp_ne_u32_e64 s8, 0, v33
	v_cmp_eq_u32_e32 vcc_lo, 0, v98
	s_and_b32 s9, s8, vcc_lo
	s_wait_alu 0xfffe
	s_and_saveexec_b32 s8, s9
	s_cbranch_execz .LBB267_46
; %bb.45:
	s_wait_dscnt 0x0
	v_bcnt_u32_b32 v33, v33, v97
	ds_store_b32 v100, v33 offset:16
.LBB267_46:
	s_wait_alu 0xfffe
	s_or_b32 exec_lo, exec_lo, s8
	; wave barrier
	s_wait_loadcnt_dscnt 0x0
	s_barrier_signal -1
	s_barrier_wait -1
	global_inv scope:SCOPE_SE
	ds_load_b128 v[37:40], v66 offset:16
	ds_load_b128 v[33:36], v66 offset:32
	v_min_u32_e32 v103, 0x60, v68
	s_mov_b32 s8, exec_lo
	s_wait_dscnt 0x1
	v_add_nc_u32_e32 v101, v38, v37
	s_delay_alu instid0(VALU_DEP_1) | instskip(SKIP_1) | instid1(VALU_DEP_1)
	v_add3_u32 v101, v101, v39, v40
	s_wait_dscnt 0x0
	v_add3_u32 v101, v101, v33, v34
	s_delay_alu instid0(VALU_DEP_1) | instskip(SKIP_1) | instid1(VALU_DEP_2)
	v_add3_u32 v36, v101, v35, v36
	v_and_b32_e32 v101, 15, v67
	v_mov_b32_dpp v102, v36 row_shr:1 row_mask:0xf bank_mask:0xf
	s_delay_alu instid0(VALU_DEP_2) | instskip(SKIP_1) | instid1(VALU_DEP_2)
	v_cmp_ne_u32_e32 vcc_lo, 0, v101
	s_wait_alu 0xfffd
	v_cndmask_b32_e32 v102, 0, v102, vcc_lo
	v_cmp_lt_u32_e32 vcc_lo, 1, v101
	s_delay_alu instid0(VALU_DEP_2) | instskip(NEXT) | instid1(VALU_DEP_1)
	v_add_nc_u32_e32 v36, v102, v36
	v_mov_b32_dpp v102, v36 row_shr:2 row_mask:0xf bank_mask:0xf
	s_wait_alu 0xfffd
	s_delay_alu instid0(VALU_DEP_1) | instskip(SKIP_1) | instid1(VALU_DEP_2)
	v_cndmask_b32_e32 v102, 0, v102, vcc_lo
	v_cmp_lt_u32_e32 vcc_lo, 3, v101
	v_add_nc_u32_e32 v36, v36, v102
	s_delay_alu instid0(VALU_DEP_1) | instskip(SKIP_1) | instid1(VALU_DEP_1)
	v_mov_b32_dpp v102, v36 row_shr:4 row_mask:0xf bank_mask:0xf
	s_wait_alu 0xfffd
	v_cndmask_b32_e32 v102, 0, v102, vcc_lo
	v_cmp_lt_u32_e32 vcc_lo, 7, v101
	s_delay_alu instid0(VALU_DEP_2) | instskip(NEXT) | instid1(VALU_DEP_1)
	v_add_nc_u32_e32 v36, v36, v102
	v_mov_b32_dpp v102, v36 row_shr:8 row_mask:0xf bank_mask:0xf
	s_wait_alu 0xfffd
	s_delay_alu instid0(VALU_DEP_1) | instskip(SKIP_1) | instid1(VALU_DEP_2)
	v_cndmask_b32_e32 v101, 0, v102, vcc_lo
	v_bfe_i32 v102, v67, 4, 1
	v_add_nc_u32_e32 v36, v36, v101
	ds_swizzle_b32 v101, v36 offset:swizzle(BROADCAST,32,15)
	s_wait_dscnt 0x0
	v_and_b32_e32 v101, v102, v101
	v_or_b32_e32 v102, 31, v103
	s_delay_alu instid0(VALU_DEP_2) | instskip(NEXT) | instid1(VALU_DEP_2)
	v_add_nc_u32_e32 v36, v36, v101
	v_cmpx_eq_u32_e64 v44, v102
; %bb.47:
	v_lshlrev_b32_e32 v101, 2, v65
	ds_store_b32 v101, v36
; %bb.48:
	s_wait_alu 0xfffe
	s_or_b32 exec_lo, exec_lo, s8
	s_delay_alu instid0(SALU_CYCLE_1)
	s_mov_b32 s8, exec_lo
	s_wait_loadcnt_dscnt 0x0
	s_barrier_signal -1
	s_barrier_wait -1
	global_inv scope:SCOPE_SE
	v_cmpx_gt_u32_e32 4, v44
	s_cbranch_execz .LBB267_50
; %bb.49:
	v_lshlrev_b32_e32 v101, 2, v44
	ds_load_b32 v102, v101
	s_wait_dscnt 0x0
	v_mov_b32_dpp v104, v102 row_shr:1 row_mask:0xf bank_mask:0xf
	v_and_b32_e32 v103, 3, v67
	s_delay_alu instid0(VALU_DEP_1) | instskip(SKIP_1) | instid1(VALU_DEP_3)
	v_cmp_ne_u32_e32 vcc_lo, 0, v103
	s_wait_alu 0xfffd
	v_cndmask_b32_e32 v104, 0, v104, vcc_lo
	v_cmp_lt_u32_e32 vcc_lo, 1, v103
	s_delay_alu instid0(VALU_DEP_2) | instskip(NEXT) | instid1(VALU_DEP_1)
	v_add_nc_u32_e32 v102, v104, v102
	v_mov_b32_dpp v104, v102 row_shr:2 row_mask:0xf bank_mask:0xf
	s_wait_alu 0xfffd
	s_delay_alu instid0(VALU_DEP_1) | instskip(NEXT) | instid1(VALU_DEP_1)
	v_cndmask_b32_e32 v103, 0, v104, vcc_lo
	v_add_nc_u32_e32 v102, v102, v103
	ds_store_b32 v101, v102
.LBB267_50:
	s_wait_alu 0xfffe
	s_or_b32 exec_lo, exec_lo, s8
	v_mov_b32_e32 v101, 0
	s_mov_b32 s8, exec_lo
	s_wait_loadcnt_dscnt 0x0
	s_barrier_signal -1
	s_barrier_wait -1
	global_inv scope:SCOPE_SE
	v_cmpx_lt_u32_e32 31, v44
; %bb.51:
	v_lshl_add_u32 v101, v65, 2, -4
	ds_load_b32 v101, v101
; %bb.52:
	s_wait_alu 0xfffe
	s_or_b32 exec_lo, exec_lo, s8
	v_sub_co_u32 v102, vcc_lo, v67, 1
	s_wait_dscnt 0x0
	v_add_nc_u32_e32 v36, v101, v36
	s_delay_alu instid0(VALU_DEP_2) | instskip(SKIP_1) | instid1(VALU_DEP_1)
	v_cmp_gt_i32_e64 s8, 0, v102
	s_wait_alu 0xf1ff
	v_cndmask_b32_e64 v102, v102, v67, s8
	s_delay_alu instid0(VALU_DEP_1)
	v_lshlrev_b32_e32 v102, 2, v102
	ds_bpermute_b32 v36, v102, v36
	s_wait_dscnt 0x0
	s_wait_alu 0xfffd
	v_cndmask_b32_e32 v36, v36, v101, vcc_lo
	v_cmp_ne_u32_e32 vcc_lo, 0, v44
	s_wait_alu 0xfffd
	s_delay_alu instid0(VALU_DEP_2) | instskip(NEXT) | instid1(VALU_DEP_1)
	v_cndmask_b32_e32 v36, 0, v36, vcc_lo
	v_add_nc_u32_e32 v37, v36, v37
	s_delay_alu instid0(VALU_DEP_1) | instskip(NEXT) | instid1(VALU_DEP_1)
	v_add_nc_u32_e32 v38, v37, v38
	v_add_nc_u32_e32 v39, v38, v39
	s_delay_alu instid0(VALU_DEP_1) | instskip(NEXT) | instid1(VALU_DEP_1)
	v_add_nc_u32_e32 v101, v39, v40
	;; [unrolled: 3-line block ×3, first 2 shown]
	v_add_nc_u32_e32 v104, v103, v35
	ds_store_b128 v66, v[36:39] offset:16
	ds_store_b128 v66, v[101:104] offset:32
	s_wait_loadcnt_dscnt 0x0
	s_barrier_signal -1
	s_barrier_wait -1
	global_inv scope:SCOPE_SE
	ds_load_b32 v33, v81 offset:16
	ds_load_b32 v34, v84 offset:16
	;; [unrolled: 1-line block ×8, first 2 shown]
	v_mad_u32_u24 v81, v44, 56, v61
	s_wait_loadcnt_dscnt 0x0
	s_barrier_signal -1
	s_barrier_wait -1
	global_inv scope:SCOPE_SE
	v_add_nc_u32_e32 v78, v33, v78
	v_add3_u32 v79, v80, v79, v34
	v_add3_u32 v35, v83, v82, v35
	;; [unrolled: 1-line block ×7, first 2 shown]
	ds_store_b8 v78, v0
	ds_store_b8 v79, v71
	ds_store_b8 v35, v72
	ds_store_b8 v36, v73
	ds_store_b8 v37, v74
	ds_store_b8 v38, v75
	ds_store_b8 v39, v76
	ds_store_b8 v40, v77
	v_lshlrev_b32_e32 v0, 3, v78
	v_lshlrev_b32_e32 v71, 3, v79
	v_lshlrev_b32_e32 v35, 3, v35
	v_lshlrev_b32_e32 v36, 3, v36
	v_lshlrev_b32_e32 v37, 3, v37
	s_wait_loadcnt_dscnt 0x0
	s_barrier_signal -1
	s_barrier_wait -1
	global_inv scope:SCOPE_SE
	ds_load_b64 v[33:34], v61
	s_wait_loadcnt_dscnt 0x0
	s_barrier_signal -1
	s_barrier_wait -1
	global_inv scope:SCOPE_SE
	v_lshlrev_b32_e32 v38, 3, v38
	v_lshlrev_b32_e32 v39, 3, v39
	;; [unrolled: 1-line block ×3, first 2 shown]
	ds_store_b64 v0, v[29:30]
	ds_store_b64 v71, v[31:32]
	;; [unrolled: 1-line block ×8, first 2 shown]
	s_wait_loadcnt_dscnt 0x0
	s_barrier_signal -1
	s_barrier_wait -1
	global_inv scope:SCOPE_SE
	ds_load_b128 v[29:32], v81
	ds_load_b128 v[25:28], v81 offset:16
	ds_load_b128 v[21:24], v81 offset:32
	;; [unrolled: 1-line block ×3, first 2 shown]
	s_branch .LBB267_84
.LBB267_53:
	v_lshlrev_b64_e32 v[1:2], 3, v[41:42]
	v_dual_mov_b32 v43, v42 :: v_dual_mov_b32 v10, v42
	v_dual_mov_b32 v9, v42 :: v_dual_mov_b32 v12, v42
	v_mov_b32_e32 v11, v42
	s_delay_alu instid0(VALU_DEP_4) | instskip(NEXT) | instid1(VALU_DEP_1)
	v_add_co_u32 v1, vcc_lo, s16, v1
	v_add_co_ci_u32_e64 v2, null, s17, v2, vcc_lo
	v_dual_mov_b32 v3, v42 :: v_dual_mov_b32 v6, v42
	v_dual_mov_b32 v5, v42 :: v_dual_mov_b32 v8, v42
	global_load_b64 v[13:14], v[1:2], off
	v_dual_mov_b32 v1, v42 :: v_dual_mov_b32 v4, v42
	v_dual_mov_b32 v2, v42 :: v_dual_mov_b32 v7, v42
	s_wait_alu 0xfffe
	s_or_b32 exec_lo, exec_lo, s9
	s_and_saveexec_b32 s9, s1
	s_cbranch_execz .LBB267_22
.LBB267_54:
	v_mul_lo_u32 v30, s12, v28
	v_mov_b32_e32 v31, 0
	s_delay_alu instid0(VALU_DEP_1) | instskip(NEXT) | instid1(VALU_DEP_1)
	v_lshlrev_b64_e32 v[30:31], 3, v[30:31]
	v_add_co_u32 v30, vcc_lo, s16, v30
	s_wait_alu 0xfffd
	s_delay_alu instid0(VALU_DEP_2)
	v_add_co_ci_u32_e64 v31, null, s17, v31, vcc_lo
	global_load_b64 v[42:43], v[30:31], off
	s_wait_alu 0xfffe
	s_or_b32 exec_lo, exec_lo, s9
	s_and_saveexec_b32 s9, s2
	s_cbranch_execz .LBB267_23
.LBB267_55:
	v_mul_lo_u32 v9, s12, v24
	v_mov_b32_e32 v10, 0
	s_delay_alu instid0(VALU_DEP_1) | instskip(NEXT) | instid1(VALU_DEP_1)
	v_lshlrev_b64_e32 v[9:10], 3, v[9:10]
	v_add_co_u32 v9, vcc_lo, s16, v9
	s_wait_alu 0xfffd
	s_delay_alu instid0(VALU_DEP_2)
	v_add_co_ci_u32_e64 v10, null, s17, v10, vcc_lo
	global_load_b64 v[9:10], v[9:10], off
	s_wait_alu 0xfffe
	s_or_b32 exec_lo, exec_lo, s9
	s_and_saveexec_b32 s9, s3
	s_cbranch_execz .LBB267_24
.LBB267_56:
	v_mul_lo_u32 v11, s12, v21
	v_mov_b32_e32 v12, 0
	s_delay_alu instid0(VALU_DEP_1) | instskip(NEXT) | instid1(VALU_DEP_1)
	v_lshlrev_b64_e32 v[11:12], 3, v[11:12]
	v_add_co_u32 v11, vcc_lo, s16, v11
	s_wait_alu 0xfffd
	s_delay_alu instid0(VALU_DEP_2)
	v_add_co_ci_u32_e64 v12, null, s17, v12, vcc_lo
	global_load_b64 v[11:12], v[11:12], off
	s_wait_alu 0xfffe
	s_or_b32 exec_lo, exec_lo, s9
	s_and_saveexec_b32 s9, s4
	s_cbranch_execz .LBB267_25
.LBB267_57:
	v_mul_lo_u32 v1, s12, v19
	v_mov_b32_e32 v2, 0
	s_delay_alu instid0(VALU_DEP_1) | instskip(NEXT) | instid1(VALU_DEP_1)
	v_lshlrev_b64_e32 v[1:2], 3, v[1:2]
	v_add_co_u32 v1, vcc_lo, s16, v1
	s_wait_alu 0xfffd
	s_delay_alu instid0(VALU_DEP_2)
	v_add_co_ci_u32_e64 v2, null, s17, v2, vcc_lo
	global_load_b64 v[1:2], v[1:2], off
	s_wait_alu 0xfffe
	s_or_b32 exec_lo, exec_lo, s9
	s_and_saveexec_b32 s9, s5
	s_cbranch_execz .LBB267_26
.LBB267_58:
	v_mul_lo_u32 v3, s12, v17
	v_mov_b32_e32 v4, 0
	s_delay_alu instid0(VALU_DEP_1) | instskip(NEXT) | instid1(VALU_DEP_1)
	v_lshlrev_b64_e32 v[3:4], 3, v[3:4]
	v_add_co_u32 v3, vcc_lo, s16, v3
	s_wait_alu 0xfffd
	s_delay_alu instid0(VALU_DEP_2)
	v_add_co_ci_u32_e64 v4, null, s17, v4, vcc_lo
	global_load_b64 v[3:4], v[3:4], off
	s_wait_alu 0xfffe
	s_or_b32 exec_lo, exec_lo, s9
	s_and_saveexec_b32 s9, s6
	s_cbranch_execz .LBB267_27
.LBB267_59:
	v_mul_lo_u32 v5, s12, v16
	v_mov_b32_e32 v6, 0
	s_delay_alu instid0(VALU_DEP_1) | instskip(NEXT) | instid1(VALU_DEP_1)
	v_lshlrev_b64_e32 v[5:6], 3, v[5:6]
	v_add_co_u32 v5, vcc_lo, s16, v5
	s_wait_alu 0xfffd
	s_delay_alu instid0(VALU_DEP_2)
	v_add_co_ci_u32_e64 v6, null, s17, v6, vcc_lo
	global_load_b64 v[5:6], v[5:6], off
	s_wait_alu 0xfffe
	s_or_b32 exec_lo, exec_lo, s9
	s_and_saveexec_b32 s9, s7
	s_cbranch_execnz .LBB267_28
	s_branch .LBB267_29
.LBB267_60:
                                        ; implicit-def: $vgpr19_vgpr20
                                        ; implicit-def: $vgpr23_vgpr24
                                        ; implicit-def: $vgpr27_vgpr28
                                        ; implicit-def: $vgpr31_vgpr32
                                        ; implicit-def: $vgpr34
	s_cbranch_execz .LBB267_84
; %bb.61:
	v_lshrrev_b16 v0, 8, v45
	s_wait_dscnt 0x0
	v_lshrrev_b32_e32 v17, 24, v45
	s_mov_b32 s20, 0
	v_lshrrev_b32_e32 v18, 16, v45
	s_mov_b32 s21, s20
	s_mov_b32 s22, s20
	;; [unrolled: 1-line block ×3, first 2 shown]
	v_and_b32_e32 v0, 1, v0
	v_and_b32_e32 v17, 1, v17
	v_lshrrev_b32_e32 v19, 24, v46
	v_lshrrev_b16 v21, 8, v46
	v_and_b32_e32 v22, 1, v45
	v_cmp_eq_u32_e32 vcc_lo, 1, v0
	v_cmp_ne_u32_e64 s8, 1, v17
	v_and_b32_e32 v0, 1, v18
	v_lshrrev_b32_e32 v20, 16, v46
	v_and_b32_e32 v18, 1, v21
	v_and_b32_e32 v19, 1, v19
	s_wait_alu 0xf1ff
	v_cndmask_b32_e64 v17, 0, 1, s8
	s_xor_b32 s8, vcc_lo, -1
	v_cmp_ne_u32_e32 vcc_lo, 1, v0
	s_wait_alu 0xfffe
	v_cndmask_b32_e64 v21, 0, 1, s8
	v_cmp_ne_u32_e64 s8, 1, v22
	v_and_b32_e32 v20, 1, v20
	v_and_b32_e32 v23, 1, v46
	s_wait_alu 0xfffd
	v_cndmask_b32_e64 v0, 0, 1, vcc_lo
	v_cmp_eq_u32_e32 vcc_lo, 1, v18
	s_wait_alu 0xf1ff
	v_cndmask_b32_e64 v18, 0, 1, s8
	v_cmp_ne_u32_e64 s8, 1, v19
	v_lshlrev_b16 v17, 8, v17
	v_lshlrev_b16 v21, 8, v21
	s_wait_alu 0xf1ff
	s_delay_alu instid0(VALU_DEP_3)
	v_cndmask_b32_e64 v19, 0, 1, s8
	s_xor_b32 s8, vcc_lo, -1
	v_cmp_ne_u32_e32 vcc_lo, 1, v20
	s_wait_alu 0xfffe
	v_cndmask_b32_e64 v22, 0, 1, s8
	v_or_b32_e32 v0, v0, v17
	v_lshlrev_b16 v19, 8, v19
	v_or_b32_e32 v17, v18, v21
	s_wait_alu 0xfffd
	v_cndmask_b32_e64 v20, 0, 1, vcc_lo
	v_cmp_ne_u32_e32 vcc_lo, 1, v23
	v_lshlrev_b16 v22, 8, v22
	s_getpc_b64 s[8:9]
	s_wait_alu 0xfffe
	s_sext_i32_i16 s9, s9
	s_add_co_u32 s8, s8, _ZN7rocprim17ROCPRIM_400000_NS16block_radix_sortIbLj128ELj8ElLj1ELj1ELj0ELNS0_26block_radix_rank_algorithmE1ELNS0_18block_padding_hintE2ELNS0_4arch9wavefront6targetE0EE19radix_bits_per_passE@rel32@lo+12
	s_wait_alu 0xfffe
	s_add_co_ci_u32 s9, s9, _ZN7rocprim17ROCPRIM_400000_NS16block_radix_sortIbLj128ELj8ElLj1ELj1ELj0ELNS0_26block_radix_rank_algorithmE1ELNS0_18block_padding_hintE2ELNS0_4arch9wavefront6targetE0EE19radix_bits_per_passE@rel32@hi+24
	v_lshlrev_b32_e32 v0, 16, v0
	v_or_b32_e32 v18, v20, v19
	s_wait_alu 0xfffd
	v_cndmask_b32_e64 v23, 0, 1, vcc_lo
	s_load_b32 s8, s[8:9], 0x0
	v_or_b32_e32 v20, v67, v68
	v_and_b32_e32 v17, 0xffff, v17
	v_lshlrev_b32_e32 v18, 16, v18
	v_or_b32_e32 v19, v23, v22
	s_delay_alu instid0(VALU_DEP_4) | instskip(NEXT) | instid1(VALU_DEP_4)
	v_lshlrev_b32_e32 v21, 3, v20
	v_or_b32_e32 v17, v17, v0
	v_and_or_b32 v0, 0x1f00, v61, v67
	s_delay_alu instid0(VALU_DEP_4) | instskip(NEXT) | instid1(VALU_DEP_1)
	v_and_b32_e32 v19, 0xffff, v19
	v_or_b32_e32 v18, v19, v18
	ds_store_b64 v21, v[17:18]
	; wave barrier
	ds_load_u8 v24, v0
	ds_load_u8 v25, v0 offset:32
	ds_load_u8 v26, v0 offset:64
	;; [unrolled: 1-line block ×7, first 2 shown]
	v_mad_u32_u24 v17, v20, 56, v21
	v_mad_u32_u24 v0, v0, 7, v0
	s_wait_loadcnt_dscnt 0x0
	s_barrier_signal -1
	s_barrier_wait -1
	global_inv scope:SCOPE_SE
	ds_store_b128 v17, v[13:16]
	ds_store_b128 v17, v[9:12] offset:16
	ds_store_b128 v17, v[5:8] offset:32
	;; [unrolled: 1-line block ×3, first 2 shown]
	; wave barrier
	ds_load_2addr_b64 v[12:15], v0 offset1:32
	ds_load_2addr_b64 v[8:11], v0 offset0:64 offset1:96
	ds_load_2addr_b64 v[4:7], v0 offset0:128 offset1:160
	ds_load_2addr_b64 v[0:3], v0 offset0:192 offset1:224
	s_wait_loadcnt_dscnt 0x0
	s_barrier_signal -1
	s_barrier_wait -1
	global_inv scope:SCOPE_SE
	s_load_b32 s11, s[18:19], 0xc
	s_wait_kmcnt 0x0
	s_min_u32 s8, s8, 8
	s_wait_alu 0xfffe
	s_lshl_b32 s8, -1, s8
	s_wait_alu 0xfffe
	s_not_b32 s9, s8
	s_wait_alu 0xfffe
	v_and_b32_e32 v16, s9, v24
	s_delay_alu instid0(VALU_DEP_1) | instskip(NEXT) | instid1(VALU_DEP_1)
	v_and_b32_e32 v22, 1, v16
	v_add_co_u32 v18, s13, v22, -1
	s_wait_alu 0xf1ff
	v_cndmask_b32_e64 v16, 0, 1, s13
	s_lshr_b32 s8, s11, 16
	s_wait_alu 0xfffe
	v_mad_u32_u24 v17, v70, s8, v69
	s_and_b32 s8, s11, 0xffff
	v_cmp_ne_u32_e32 vcc_lo, 0, v16
	s_wait_alu 0xfffe
	s_delay_alu instid0(VALU_DEP_2) | instskip(SKIP_4) | instid1(VALU_DEP_3)
	v_mad_co_u64_u32 v[16:17], null, v17, s8, v[44:45]
	s_wait_alu 0xfffd
	v_xor_b32_e32 v17, vcc_lo, v18
	v_dual_mov_b32 v18, s20 :: v_dual_mov_b32 v19, s21
	v_dual_mov_b32 v20, s22 :: v_dual_mov_b32 v21, s23
	v_and_b32_e32 v17, exec_lo, v17
	v_lshrrev_b32_e32 v16, 3, v16
	ds_store_b128 v66, v[18:21] offset:16
	ds_store_b128 v66, v[18:21] offset:32
	v_mbcnt_lo_u32_b32 v32, v17, 0
	v_and_b32_e32 v16, 0x1ffffffc, v16
	v_lshlrev_b32_e32 v18, 4, v22
	v_cmp_ne_u32_e64 s8, 0, v17
	s_wait_loadcnt_dscnt 0x0
	v_cmp_eq_u32_e32 vcc_lo, 0, v32
	s_barrier_signal -1
	v_add_nc_u32_e32 v35, v16, v18
	s_barrier_wait -1
	global_inv scope:SCOPE_SE
	s_and_b32 s11, s8, vcc_lo
	; wave barrier
	s_wait_alu 0xfffe
	s_and_saveexec_b32 s8, s11
; %bb.62:
	v_bcnt_u32_b32 v17, v17, 0
	ds_store_b32 v35, v17 offset:16
; %bb.63:
	s_wait_alu 0xfffe
	s_or_b32 exec_lo, exec_lo, s8
	v_and_b32_e32 v17, s9, v25
	; wave barrier
	s_delay_alu instid0(VALU_DEP_1) | instskip(NEXT) | instid1(VALU_DEP_1)
	v_and_b32_e32 v17, 0xff, v17
	v_add_co_u32 v18, s8, v17, -1
	s_wait_alu 0xf1ff
	v_cndmask_b32_e64 v19, 0, 1, s8
	v_lshlrev_b32_e32 v17, 4, v17
	s_delay_alu instid0(VALU_DEP_2) | instskip(NEXT) | instid1(VALU_DEP_2)
	v_cmp_ne_u32_e32 vcc_lo, 0, v19
	v_add_nc_u32_e32 v37, v16, v17
	s_wait_alu 0xfffd
	v_xor_b32_e32 v17, vcc_lo, v18
	ds_load_b32 v33, v37 offset:16
	; wave barrier
	v_and_b32_e32 v17, exec_lo, v17
	s_delay_alu instid0(VALU_DEP_1) | instskip(SKIP_1) | instid1(VALU_DEP_2)
	v_mbcnt_lo_u32_b32 v34, v17, 0
	v_cmp_ne_u32_e64 s8, 0, v17
	v_cmp_eq_u32_e32 vcc_lo, 0, v34
	s_and_b32 s11, s8, vcc_lo
	s_wait_alu 0xfffe
	s_and_saveexec_b32 s8, s11
	s_cbranch_execz .LBB267_65
; %bb.64:
	s_wait_dscnt 0x0
	v_bcnt_u32_b32 v17, v17, v33
	ds_store_b32 v37, v17 offset:16
.LBB267_65:
	s_wait_alu 0xfffe
	s_or_b32 exec_lo, exec_lo, s8
	v_and_b32_e32 v17, s9, v26
	; wave barrier
	s_delay_alu instid0(VALU_DEP_1) | instskip(NEXT) | instid1(VALU_DEP_1)
	v_and_b32_e32 v17, 0xff, v17
	v_add_co_u32 v18, s8, v17, -1
	s_wait_alu 0xf1ff
	v_cndmask_b32_e64 v19, 0, 1, s8
	v_lshlrev_b32_e32 v17, 4, v17
	s_delay_alu instid0(VALU_DEP_2) | instskip(NEXT) | instid1(VALU_DEP_2)
	v_cmp_ne_u32_e32 vcc_lo, 0, v19
	v_add_nc_u32_e32 v39, v16, v17
	s_wait_alu 0xfffd
	v_xor_b32_e32 v17, vcc_lo, v18
	ds_load_b32 v36, v39 offset:16
	; wave barrier
	v_and_b32_e32 v17, exec_lo, v17
	s_delay_alu instid0(VALU_DEP_1) | instskip(SKIP_1) | instid1(VALU_DEP_2)
	v_mbcnt_lo_u32_b32 v38, v17, 0
	v_cmp_ne_u32_e64 s8, 0, v17
	v_cmp_eq_u32_e32 vcc_lo, 0, v38
	s_and_b32 s11, s8, vcc_lo
	s_wait_alu 0xfffe
	s_and_saveexec_b32 s8, s11
	s_cbranch_execz .LBB267_67
; %bb.66:
	s_wait_dscnt 0x0
	v_bcnt_u32_b32 v17, v17, v36
	ds_store_b32 v39, v17 offset:16
.LBB267_67:
	;; [unrolled: 31-line block ×7, first 2 shown]
	s_wait_alu 0xfffe
	s_or_b32 exec_lo, exec_lo, s8
	; wave barrier
	s_wait_loadcnt_dscnt 0x0
	s_barrier_signal -1
	s_barrier_wait -1
	global_inv scope:SCOPE_SE
	ds_load_b128 v[20:23], v66 offset:16
	ds_load_b128 v[16:19], v66 offset:32
	v_min_u32_e32 v68, 0x60, v68
	s_mov_b32 s8, exec_lo
	s_delay_alu instid0(VALU_DEP_1) | instskip(SKIP_2) | instid1(VALU_DEP_1)
	v_or_b32_e32 v68, 31, v68
	s_wait_dscnt 0x1
	v_add_nc_u32_e32 v81, v21, v20
	v_add3_u32 v81, v81, v22, v23
	s_wait_dscnt 0x0
	s_delay_alu instid0(VALU_DEP_1) | instskip(NEXT) | instid1(VALU_DEP_1)
	v_add3_u32 v81, v81, v16, v17
	v_add3_u32 v19, v81, v18, v19
	v_and_b32_e32 v81, 15, v67
	s_delay_alu instid0(VALU_DEP_2) | instskip(NEXT) | instid1(VALU_DEP_2)
	v_mov_b32_dpp v82, v19 row_shr:1 row_mask:0xf bank_mask:0xf
	v_cmp_ne_u32_e32 vcc_lo, 0, v81
	s_wait_alu 0xfffd
	s_delay_alu instid0(VALU_DEP_2) | instskip(SKIP_1) | instid1(VALU_DEP_2)
	v_cndmask_b32_e32 v82, 0, v82, vcc_lo
	v_cmp_lt_u32_e32 vcc_lo, 1, v81
	v_add_nc_u32_e32 v19, v82, v19
	s_delay_alu instid0(VALU_DEP_1) | instskip(SKIP_1) | instid1(VALU_DEP_1)
	v_mov_b32_dpp v82, v19 row_shr:2 row_mask:0xf bank_mask:0xf
	s_wait_alu 0xfffd
	v_cndmask_b32_e32 v82, 0, v82, vcc_lo
	v_cmp_lt_u32_e32 vcc_lo, 3, v81
	s_delay_alu instid0(VALU_DEP_2) | instskip(NEXT) | instid1(VALU_DEP_1)
	v_add_nc_u32_e32 v19, v19, v82
	v_mov_b32_dpp v82, v19 row_shr:4 row_mask:0xf bank_mask:0xf
	s_wait_alu 0xfffd
	s_delay_alu instid0(VALU_DEP_1) | instskip(SKIP_1) | instid1(VALU_DEP_2)
	v_cndmask_b32_e32 v82, 0, v82, vcc_lo
	v_cmp_lt_u32_e32 vcc_lo, 7, v81
	v_add_nc_u32_e32 v19, v19, v82
	s_delay_alu instid0(VALU_DEP_1) | instskip(SKIP_1) | instid1(VALU_DEP_1)
	v_mov_b32_dpp v82, v19 row_shr:8 row_mask:0xf bank_mask:0xf
	s_wait_alu 0xfffd
	v_cndmask_b32_e32 v81, 0, v82, vcc_lo
	v_bfe_i32 v82, v67, 4, 1
	s_delay_alu instid0(VALU_DEP_2) | instskip(SKIP_3) | instid1(VALU_DEP_1)
	v_add_nc_u32_e32 v19, v19, v81
	ds_swizzle_b32 v81, v19 offset:swizzle(BROADCAST,32,15)
	s_wait_dscnt 0x0
	v_and_b32_e32 v81, v82, v81
	v_add_nc_u32_e32 v19, v19, v81
	v_cmpx_eq_u32_e64 v44, v68
; %bb.78:
	v_lshlrev_b32_e32 v68, 2, v65
	ds_store_b32 v68, v19
; %bb.79:
	s_wait_alu 0xfffe
	s_or_b32 exec_lo, exec_lo, s8
	s_delay_alu instid0(SALU_CYCLE_1)
	s_mov_b32 s8, exec_lo
	s_wait_loadcnt_dscnt 0x0
	s_barrier_signal -1
	s_barrier_wait -1
	global_inv scope:SCOPE_SE
	v_cmpx_gt_u32_e32 4, v44
	s_cbranch_execz .LBB267_81
; %bb.80:
	v_and_b32_e32 v82, 3, v67
	s_delay_alu instid0(VALU_DEP_1)
	v_cmp_ne_u32_e32 vcc_lo, 0, v82
	v_lshlrev_b32_e32 v68, 2, v44
	ds_load_b32 v81, v68
	s_wait_dscnt 0x0
	v_mov_b32_dpp v83, v81 row_shr:1 row_mask:0xf bank_mask:0xf
	s_wait_alu 0xfffd
	s_delay_alu instid0(VALU_DEP_1) | instskip(SKIP_1) | instid1(VALU_DEP_2)
	v_cndmask_b32_e32 v83, 0, v83, vcc_lo
	v_cmp_lt_u32_e32 vcc_lo, 1, v82
	v_add_nc_u32_e32 v81, v83, v81
	s_delay_alu instid0(VALU_DEP_1) | instskip(SKIP_1) | instid1(VALU_DEP_1)
	v_mov_b32_dpp v83, v81 row_shr:2 row_mask:0xf bank_mask:0xf
	s_wait_alu 0xfffd
	v_cndmask_b32_e32 v82, 0, v83, vcc_lo
	s_delay_alu instid0(VALU_DEP_1)
	v_add_nc_u32_e32 v81, v81, v82
	ds_store_b32 v68, v81
.LBB267_81:
	s_wait_alu 0xfffe
	s_or_b32 exec_lo, exec_lo, s8
	v_mov_b32_e32 v68, 0
	s_mov_b32 s8, exec_lo
	s_wait_loadcnt_dscnt 0x0
	s_barrier_signal -1
	s_barrier_wait -1
	global_inv scope:SCOPE_SE
	v_cmpx_lt_u32_e32 31, v44
; %bb.82:
	v_lshl_add_u32 v65, v65, 2, -4
	ds_load_b32 v68, v65
; %bb.83:
	s_wait_alu 0xfffe
	s_or_b32 exec_lo, exec_lo, s8
	v_sub_co_u32 v65, vcc_lo, v67, 1
	s_wait_dscnt 0x0
	v_add_nc_u32_e32 v19, v68, v19
	s_delay_alu instid0(VALU_DEP_2) | instskip(SKIP_1) | instid1(VALU_DEP_1)
	v_cmp_gt_i32_e64 s8, 0, v65
	s_wait_alu 0xf1ff
	v_cndmask_b32_e64 v65, v65, v67, s8
	s_delay_alu instid0(VALU_DEP_1)
	v_lshlrev_b32_e32 v65, 2, v65
	ds_bpermute_b32 v19, v65, v19
	s_wait_dscnt 0x0
	s_wait_alu 0xfffd
	v_cndmask_b32_e32 v19, v19, v68, vcc_lo
	v_cmp_ne_u32_e32 vcc_lo, 0, v44
	s_wait_alu 0xfffd
	s_delay_alu instid0(VALU_DEP_2) | instskip(NEXT) | instid1(VALU_DEP_1)
	v_cndmask_b32_e32 v19, 0, v19, vcc_lo
	v_add_nc_u32_e32 v20, v19, v20
	s_delay_alu instid0(VALU_DEP_1) | instskip(NEXT) | instid1(VALU_DEP_1)
	v_add_nc_u32_e32 v21, v20, v21
	v_add_nc_u32_e32 v22, v21, v22
	s_delay_alu instid0(VALU_DEP_1) | instskip(NEXT) | instid1(VALU_DEP_1)
	v_add_nc_u32_e32 v81, v22, v23
	;; [unrolled: 3-line block ×3, first 2 shown]
	v_add_nc_u32_e32 v84, v83, v18
	ds_store_b128 v66, v[19:22] offset:16
	ds_store_b128 v66, v[81:84] offset:32
	s_wait_loadcnt_dscnt 0x0
	s_barrier_signal -1
	s_barrier_wait -1
	global_inv scope:SCOPE_SE
	ds_load_b32 v16, v35 offset:16
	ds_load_b32 v17, v37 offset:16
	;; [unrolled: 1-line block ×8, first 2 shown]
	s_wait_loadcnt_dscnt 0x0
	s_barrier_signal -1
	s_barrier_wait -1
	global_inv scope:SCOPE_SE
	v_mad_u32_u24 v35, v44, 56, v61
	v_add_nc_u32_e32 v16, v16, v32
	v_add3_u32 v17, v34, v33, v17
	v_add3_u32 v18, v38, v36, v18
	;; [unrolled: 1-line block ×7, first 2 shown]
	ds_store_b8 v16, v24
	ds_store_b8 v17, v25
	;; [unrolled: 1-line block ×8, first 2 shown]
	s_wait_loadcnt_dscnt 0x0
	s_barrier_signal -1
	s_barrier_wait -1
	global_inv scope:SCOPE_SE
	ds_load_b64 v[33:34], v61
	v_lshlrev_b32_e32 v16, 3, v16
	v_lshlrev_b32_e32 v17, 3, v17
	;; [unrolled: 1-line block ×8, first 2 shown]
	s_wait_loadcnt_dscnt 0x0
	s_barrier_signal -1
	s_barrier_wait -1
	global_inv scope:SCOPE_SE
	ds_store_b64 v16, v[12:13]
	ds_store_b64 v17, v[14:15]
	;; [unrolled: 1-line block ×8, first 2 shown]
	s_wait_loadcnt_dscnt 0x0
	s_barrier_signal -1
	s_barrier_wait -1
	global_inv scope:SCOPE_SE
	ds_load_b128 v[29:32], v35
	ds_load_b128 v[25:28], v35 offset:16
	ds_load_b128 v[21:24], v35 offset:32
	;; [unrolled: 1-line block ×3, first 2 shown]
	v_lshrrev_b32_e32 v0, 16, v33
	v_lshrrev_b32_e32 v3, 16, v34
	v_and_b32_e32 v1, 0xffffff00, v33
	v_xor_b32_e32 v2, 1, v33
	v_and_b32_e32 v4, 0xffffff00, v34
	v_xor_b32_e32 v5, 1, v34
	;; [unrolled: 2-line block ×4, first 2 shown]
	v_xor_b32_e32 v1, 0x100, v1
	v_and_b32_e32 v2, 0xff, v2
	v_xor_b32_e32 v4, 0x100, v4
	v_and_b32_e32 v5, 0xff, v5
	;; [unrolled: 2-line block ×4, first 2 shown]
	v_or_b32_e32 v1, v2, v1
	v_or_b32_e32 v2, v5, v4
	;; [unrolled: 1-line block ×3, first 2 shown]
	s_delay_alu instid0(VALU_DEP_4) | instskip(NEXT) | instid1(VALU_DEP_4)
	v_or_b32_e32 v3, v3, v7
	v_and_b32_e32 v1, 0xffff, v1
	s_delay_alu instid0(VALU_DEP_4) | instskip(NEXT) | instid1(VALU_DEP_4)
	v_and_b32_e32 v2, 0xffff, v2
	v_lshlrev_b32_e32 v0, 16, v0
	s_delay_alu instid0(VALU_DEP_4) | instskip(NEXT) | instid1(VALU_DEP_2)
	v_lshlrev_b32_e32 v3, 16, v3
	v_or_b32_e32 v33, v1, v0
	s_delay_alu instid0(VALU_DEP_2)
	v_or_b32_e32 v34, v2, v3
.LBB267_84:
	s_wait_loadcnt_dscnt 0x0
	s_barrier_signal -1
	s_barrier_wait -1
	global_inv scope:SCOPE_SE
	ds_store_2addr_b32 v56, v33, v34 offset1:1
	s_wait_loadcnt_dscnt 0x0
	s_barrier_signal -1
	s_barrier_wait -1
	global_inv scope:SCOPE_SE
	ds_load_u8 v8, v49 offset:128
	ds_load_u8 v7, v50 offset:256
	;; [unrolled: 1-line block ×7, first 2 shown]
	v_add_co_u32 v0, s8, s14, v47
	s_wait_alu 0xf1ff
	v_add_co_ci_u32_e64 v1, null, s15, 0, s8
	s_and_saveexec_b32 s8, s0
	s_cbranch_execnz .LBB267_103
; %bb.85:
	s_wait_alu 0xfffe
	s_or_b32 exec_lo, exec_lo, s8
	s_and_saveexec_b32 s8, s1
	s_cbranch_execnz .LBB267_104
.LBB267_86:
	s_wait_alu 0xfffe
	s_or_b32 exec_lo, exec_lo, s8
	s_and_saveexec_b32 s8, s2
	s_cbranch_execnz .LBB267_105
.LBB267_87:
	s_wait_alu 0xfffe
	s_or_b32 exec_lo, exec_lo, s8
	s_and_saveexec_b32 s8, s3
	s_cbranch_execnz .LBB267_106
.LBB267_88:
	s_wait_alu 0xfffe
	s_or_b32 exec_lo, exec_lo, s8
	s_and_saveexec_b32 s8, s4
	s_cbranch_execnz .LBB267_107
.LBB267_89:
	s_wait_alu 0xfffe
	s_or_b32 exec_lo, exec_lo, s8
	s_and_saveexec_b32 s8, s5
	s_cbranch_execnz .LBB267_108
.LBB267_90:
	s_wait_alu 0xfffe
	s_or_b32 exec_lo, exec_lo, s8
	s_and_saveexec_b32 s8, s6
	s_cbranch_execnz .LBB267_109
.LBB267_91:
	s_wait_alu 0xfffe
	s_or_b32 exec_lo, exec_lo, s8
	s_and_saveexec_b32 s8, s7
	s_cbranch_execz .LBB267_93
.LBB267_92:
	s_mul_i32 s9, s10, 0x380
	s_wait_alu 0xfffe
	v_add_co_u32 v0, vcc_lo, v0, s9
	s_wait_alu 0xfffd
	v_add_co_ci_u32_e64 v1, null, 0, v1, vcc_lo
	s_wait_dscnt 0x0
	global_store_b8 v[0:1], v2, off
.LBB267_93:
	s_wait_alu 0xfffe
	s_or_b32 exec_lo, exec_lo, s8
	s_wait_storecnt 0x0
	s_wait_loadcnt_dscnt 0x0
	s_barrier_signal -1
	s_barrier_wait -1
	global_inv scope:SCOPE_SE
	ds_store_2addr_b64 v64, v[29:30], v[31:32] offset1:1
	ds_store_2addr_b64 v64, v[25:26], v[27:28] offset0:2 offset1:3
	ds_store_2addr_b64 v64, v[21:22], v[23:24] offset0:4 offset1:5
	;; [unrolled: 1-line block ×3, first 2 shown]
	s_wait_loadcnt_dscnt 0x0
	s_barrier_signal -1
	s_barrier_wait -1
	global_inv scope:SCOPE_SE
	ds_load_b64 v[14:15], v58 offset:1024
	ds_load_b64 v[12:13], v59 offset:2048
	;; [unrolled: 1-line block ×7, first 2 shown]
	v_mov_b32_e32 v42, 0
	s_delay_alu instid0(VALU_DEP_1) | instskip(NEXT) | instid1(VALU_DEP_1)
	v_lshlrev_b64_e32 v[2:3], 3, v[41:42]
	v_add_co_u32 v2, vcc_lo, s16, v2
	s_wait_alu 0xfffd
	s_delay_alu instid0(VALU_DEP_2)
	v_add_co_ci_u32_e64 v3, null, s17, v3, vcc_lo
	s_and_saveexec_b32 s8, s0
	s_cbranch_execnz .LBB267_110
; %bb.94:
	s_wait_alu 0xfffe
	s_or_b32 exec_lo, exec_lo, s8
	s_and_saveexec_b32 s0, s1
	s_cbranch_execnz .LBB267_111
.LBB267_95:
	s_or_b32 exec_lo, exec_lo, s0
	s_and_saveexec_b32 s0, s2
	s_cbranch_execnz .LBB267_112
.LBB267_96:
	s_or_b32 exec_lo, exec_lo, s0
	s_and_saveexec_b32 s0, s3
	s_cbranch_execnz .LBB267_113
.LBB267_97:
	s_or_b32 exec_lo, exec_lo, s0
	s_and_saveexec_b32 s0, s4
	s_cbranch_execnz .LBB267_114
.LBB267_98:
	s_or_b32 exec_lo, exec_lo, s0
	s_and_saveexec_b32 s0, s5
	s_cbranch_execnz .LBB267_115
.LBB267_99:
	s_or_b32 exec_lo, exec_lo, s0
	s_and_saveexec_b32 s0, s6
	s_cbranch_execnz .LBB267_116
.LBB267_100:
	s_or_b32 exec_lo, exec_lo, s0
	s_and_saveexec_b32 s0, s7
	s_cbranch_execz .LBB267_102
.LBB267_101:
	s_mul_i32 s0, s12, 0x380
	s_mov_b32 s1, 0
	s_delay_alu instid0(SALU_CYCLE_1) | instskip(NEXT) | instid1(SALU_CYCLE_1)
	s_lshl_b64 s[0:1], s[0:1], 3
	v_add_co_u32 v2, vcc_lo, v2, s0
	s_wait_alu 0xfffd
	v_add_co_ci_u32_e64 v3, null, s1, v3, vcc_lo
	s_wait_dscnt 0x0
	global_store_b64 v[2:3], v[0:1], off
.LBB267_102:
	s_nop 0
	s_sendmsg sendmsg(MSG_DEALLOC_VGPRS)
	s_endpgm
.LBB267_103:
	ds_load_u8 v9, v48
	s_wait_dscnt 0x0
	global_store_b8 v[0:1], v9, off
	s_wait_alu 0xfffe
	s_or_b32 exec_lo, exec_lo, s8
	s_and_saveexec_b32 s8, s1
	s_cbranch_execz .LBB267_86
.LBB267_104:
	s_lshl_b32 s9, s10, 7
	s_wait_alu 0xfffe
	v_add_co_u32 v9, vcc_lo, v0, s9
	s_wait_alu 0xfffd
	v_add_co_ci_u32_e64 v10, null, 0, v1, vcc_lo
	s_wait_dscnt 0x6
	global_store_b8 v[9:10], v8, off
	s_or_b32 exec_lo, exec_lo, s8
	s_and_saveexec_b32 s8, s2
	s_cbranch_execz .LBB267_87
.LBB267_105:
	s_lshl_b32 s9, s10, 8
	s_wait_dscnt 0x6
	s_wait_alu 0xfffe
	v_add_co_u32 v8, vcc_lo, v0, s9
	s_wait_alu 0xfffd
	v_add_co_ci_u32_e64 v9, null, 0, v1, vcc_lo
	s_wait_dscnt 0x5
	global_store_b8 v[8:9], v7, off
	s_or_b32 exec_lo, exec_lo, s8
	s_and_saveexec_b32 s8, s3
	s_cbranch_execz .LBB267_88
.LBB267_106:
	s_mul_i32 s9, s10, 0x180
	s_wait_dscnt 0x5
	s_wait_alu 0xfffe
	v_add_co_u32 v7, vcc_lo, v0, s9
	s_wait_alu 0xfffd
	v_add_co_ci_u32_e64 v8, null, 0, v1, vcc_lo
	s_wait_dscnt 0x4
	global_store_b8 v[7:8], v6, off
	s_or_b32 exec_lo, exec_lo, s8
	s_and_saveexec_b32 s8, s4
	s_cbranch_execz .LBB267_89
.LBB267_107:
	s_lshl_b32 s9, s10, 9
	s_wait_dscnt 0x4
	s_wait_alu 0xfffe
	v_add_co_u32 v6, vcc_lo, v0, s9
	s_wait_alu 0xfffd
	v_add_co_ci_u32_e64 v7, null, 0, v1, vcc_lo
	s_wait_dscnt 0x3
	global_store_b8 v[6:7], v5, off
	s_or_b32 exec_lo, exec_lo, s8
	s_and_saveexec_b32 s8, s5
	s_cbranch_execz .LBB267_90
.LBB267_108:
	s_mul_i32 s9, s10, 0x280
	s_wait_dscnt 0x3
	s_wait_alu 0xfffe
	v_add_co_u32 v5, vcc_lo, v0, s9
	s_wait_alu 0xfffd
	v_add_co_ci_u32_e64 v6, null, 0, v1, vcc_lo
	s_wait_dscnt 0x2
	global_store_b8 v[5:6], v4, off
	s_or_b32 exec_lo, exec_lo, s8
	s_and_saveexec_b32 s8, s6
	s_cbranch_execz .LBB267_91
.LBB267_109:
	s_mul_i32 s9, s10, 0x300
	s_wait_dscnt 0x2
	s_wait_alu 0xfffe
	v_add_co_u32 v4, vcc_lo, v0, s9
	s_wait_alu 0xfffd
	v_add_co_ci_u32_e64 v5, null, 0, v1, vcc_lo
	s_wait_dscnt 0x1
	global_store_b8 v[4:5], v3, off
	s_or_b32 exec_lo, exec_lo, s8
	s_and_saveexec_b32 s8, s7
	s_cbranch_execnz .LBB267_92
	s_branch .LBB267_93
.LBB267_110:
	ds_load_b64 v[16:17], v57
	s_wait_dscnt 0x0
	global_store_b64 v[2:3], v[16:17], off
	s_wait_alu 0xfffe
	s_or_b32 exec_lo, exec_lo, s8
	s_and_saveexec_b32 s0, s1
	s_cbranch_execz .LBB267_95
.LBB267_111:
	s_lshl_b32 s8, s12, 7
	s_mov_b32 s9, 0
	s_wait_alu 0xfffe
	s_lshl_b64 s[8:9], s[8:9], 3
	s_wait_alu 0xfffe
	v_add_co_u32 v16, vcc_lo, v2, s8
	s_wait_alu 0xfffd
	v_add_co_ci_u32_e64 v17, null, s9, v3, vcc_lo
	s_wait_dscnt 0x6
	global_store_b64 v[16:17], v[14:15], off
	s_or_b32 exec_lo, exec_lo, s0
	s_and_saveexec_b32 s0, s2
	s_cbranch_execz .LBB267_96
.LBB267_112:
	s_lshl_b32 s8, s12, 8
	s_mov_b32 s9, 0
	s_wait_alu 0xfffe
	s_lshl_b64 s[8:9], s[8:9], 3
	s_wait_dscnt 0x6
	s_wait_alu 0xfffe
	v_add_co_u32 v14, vcc_lo, v2, s8
	s_wait_alu 0xfffd
	v_add_co_ci_u32_e64 v15, null, s9, v3, vcc_lo
	s_wait_dscnt 0x5
	global_store_b64 v[14:15], v[12:13], off
	s_or_b32 exec_lo, exec_lo, s0
	s_and_saveexec_b32 s0, s3
	s_cbranch_execz .LBB267_97
.LBB267_113:
	s_mul_i32 s2, s12, 0x180
	s_mov_b32 s3, 0
	s_wait_alu 0xfffe
	s_lshl_b64 s[2:3], s[2:3], 3
	s_wait_dscnt 0x5
	s_wait_alu 0xfffe
	v_add_co_u32 v12, vcc_lo, v2, s2
	s_wait_alu 0xfffd
	v_add_co_ci_u32_e64 v13, null, s3, v3, vcc_lo
	s_wait_dscnt 0x4
	global_store_b64 v[12:13], v[10:11], off
	s_or_b32 exec_lo, exec_lo, s0
	s_and_saveexec_b32 s0, s4
	s_cbranch_execz .LBB267_98
.LBB267_114:
	s_lshl_b32 s2, s12, 9
	s_mov_b32 s3, 0
	s_wait_alu 0xfffe
	s_lshl_b64 s[2:3], s[2:3], 3
	s_wait_dscnt 0x4
	s_wait_alu 0xfffe
	v_add_co_u32 v10, vcc_lo, v2, s2
	s_wait_alu 0xfffd
	v_add_co_ci_u32_e64 v11, null, s3, v3, vcc_lo
	s_wait_dscnt 0x3
	global_store_b64 v[10:11], v[8:9], off
	s_or_b32 exec_lo, exec_lo, s0
	s_and_saveexec_b32 s0, s5
	s_cbranch_execz .LBB267_99
.LBB267_115:
	s_mul_i32 s2, s12, 0x280
	s_mov_b32 s3, 0
	s_wait_alu 0xfffe
	s_lshl_b64 s[2:3], s[2:3], 3
	s_wait_dscnt 0x3
	s_wait_alu 0xfffe
	v_add_co_u32 v8, vcc_lo, v2, s2
	s_wait_alu 0xfffd
	v_add_co_ci_u32_e64 v9, null, s3, v3, vcc_lo
	s_wait_dscnt 0x2
	global_store_b64 v[8:9], v[6:7], off
	s_or_b32 exec_lo, exec_lo, s0
	s_and_saveexec_b32 s0, s6
	s_cbranch_execz .LBB267_100
.LBB267_116:
	s_mul_i32 s2, s12, 0x300
	s_mov_b32 s3, 0
	s_wait_alu 0xfffe
	s_lshl_b64 s[2:3], s[2:3], 3
	s_wait_dscnt 0x2
	s_wait_alu 0xfffe
	v_add_co_u32 v6, vcc_lo, v2, s2
	s_wait_alu 0xfffd
	v_add_co_ci_u32_e64 v7, null, s3, v3, vcc_lo
	s_wait_dscnt 0x1
	global_store_b64 v[6:7], v[4:5], off
	s_or_b32 exec_lo, exec_lo, s0
	s_and_saveexec_b32 s0, s7
	s_cbranch_execnz .LBB267_101
	s_branch .LBB267_102
	.section	.rodata,"a",@progbits
	.p2align	6, 0x0
	.amdhsa_kernel _ZN2at6native18radixSortKVInPlaceILi2ELin1ELi128ELi8EbljEEvNS_4cuda6detail10TensorInfoIT3_T5_EES6_S6_S6_NS4_IT4_S6_EES6_b
		.amdhsa_group_segment_fixed_size 8448
		.amdhsa_private_segment_fixed_size 0
		.amdhsa_kernarg_size 712
		.amdhsa_user_sgpr_count 2
		.amdhsa_user_sgpr_dispatch_ptr 0
		.amdhsa_user_sgpr_queue_ptr 0
		.amdhsa_user_sgpr_kernarg_segment_ptr 1
		.amdhsa_user_sgpr_dispatch_id 0
		.amdhsa_user_sgpr_private_segment_size 0
		.amdhsa_wavefront_size32 1
		.amdhsa_uses_dynamic_stack 0
		.amdhsa_enable_private_segment 0
		.amdhsa_system_sgpr_workgroup_id_x 1
		.amdhsa_system_sgpr_workgroup_id_y 1
		.amdhsa_system_sgpr_workgroup_id_z 1
		.amdhsa_system_sgpr_workgroup_info 0
		.amdhsa_system_vgpr_workitem_id 2
		.amdhsa_next_free_vgpr 105
		.amdhsa_next_free_sgpr 24
		.amdhsa_reserve_vcc 1
		.amdhsa_float_round_mode_32 0
		.amdhsa_float_round_mode_16_64 0
		.amdhsa_float_denorm_mode_32 3
		.amdhsa_float_denorm_mode_16_64 3
		.amdhsa_fp16_overflow 0
		.amdhsa_workgroup_processor_mode 1
		.amdhsa_memory_ordered 1
		.amdhsa_forward_progress 1
		.amdhsa_inst_pref_size 77
		.amdhsa_round_robin_scheduling 0
		.amdhsa_exception_fp_ieee_invalid_op 0
		.amdhsa_exception_fp_denorm_src 0
		.amdhsa_exception_fp_ieee_div_zero 0
		.amdhsa_exception_fp_ieee_overflow 0
		.amdhsa_exception_fp_ieee_underflow 0
		.amdhsa_exception_fp_ieee_inexact 0
		.amdhsa_exception_int_div_zero 0
	.end_amdhsa_kernel
	.section	.text._ZN2at6native18radixSortKVInPlaceILi2ELin1ELi128ELi8EbljEEvNS_4cuda6detail10TensorInfoIT3_T5_EES6_S6_S6_NS4_IT4_S6_EES6_b,"axG",@progbits,_ZN2at6native18radixSortKVInPlaceILi2ELin1ELi128ELi8EbljEEvNS_4cuda6detail10TensorInfoIT3_T5_EES6_S6_S6_NS4_IT4_S6_EES6_b,comdat
.Lfunc_end267:
	.size	_ZN2at6native18radixSortKVInPlaceILi2ELin1ELi128ELi8EbljEEvNS_4cuda6detail10TensorInfoIT3_T5_EES6_S6_S6_NS4_IT4_S6_EES6_b, .Lfunc_end267-_ZN2at6native18radixSortKVInPlaceILi2ELin1ELi128ELi8EbljEEvNS_4cuda6detail10TensorInfoIT3_T5_EES6_S6_S6_NS4_IT4_S6_EES6_b
                                        ; -- End function
	.set _ZN2at6native18radixSortKVInPlaceILi2ELin1ELi128ELi8EbljEEvNS_4cuda6detail10TensorInfoIT3_T5_EES6_S6_S6_NS4_IT4_S6_EES6_b.num_vgpr, 105
	.set _ZN2at6native18radixSortKVInPlaceILi2ELin1ELi128ELi8EbljEEvNS_4cuda6detail10TensorInfoIT3_T5_EES6_S6_S6_NS4_IT4_S6_EES6_b.num_agpr, 0
	.set _ZN2at6native18radixSortKVInPlaceILi2ELin1ELi128ELi8EbljEEvNS_4cuda6detail10TensorInfoIT3_T5_EES6_S6_S6_NS4_IT4_S6_EES6_b.numbered_sgpr, 24
	.set _ZN2at6native18radixSortKVInPlaceILi2ELin1ELi128ELi8EbljEEvNS_4cuda6detail10TensorInfoIT3_T5_EES6_S6_S6_NS4_IT4_S6_EES6_b.num_named_barrier, 0
	.set _ZN2at6native18radixSortKVInPlaceILi2ELin1ELi128ELi8EbljEEvNS_4cuda6detail10TensorInfoIT3_T5_EES6_S6_S6_NS4_IT4_S6_EES6_b.private_seg_size, 0
	.set _ZN2at6native18radixSortKVInPlaceILi2ELin1ELi128ELi8EbljEEvNS_4cuda6detail10TensorInfoIT3_T5_EES6_S6_S6_NS4_IT4_S6_EES6_b.uses_vcc, 1
	.set _ZN2at6native18radixSortKVInPlaceILi2ELin1ELi128ELi8EbljEEvNS_4cuda6detail10TensorInfoIT3_T5_EES6_S6_S6_NS4_IT4_S6_EES6_b.uses_flat_scratch, 0
	.set _ZN2at6native18radixSortKVInPlaceILi2ELin1ELi128ELi8EbljEEvNS_4cuda6detail10TensorInfoIT3_T5_EES6_S6_S6_NS4_IT4_S6_EES6_b.has_dyn_sized_stack, 0
	.set _ZN2at6native18radixSortKVInPlaceILi2ELin1ELi128ELi8EbljEEvNS_4cuda6detail10TensorInfoIT3_T5_EES6_S6_S6_NS4_IT4_S6_EES6_b.has_recursion, 0
	.set _ZN2at6native18radixSortKVInPlaceILi2ELin1ELi128ELi8EbljEEvNS_4cuda6detail10TensorInfoIT3_T5_EES6_S6_S6_NS4_IT4_S6_EES6_b.has_indirect_call, 0
	.section	.AMDGPU.csdata,"",@progbits
; Kernel info:
; codeLenInByte = 9816
; TotalNumSgprs: 26
; NumVgprs: 105
; ScratchSize: 0
; MemoryBound: 0
; FloatMode: 240
; IeeeMode: 1
; LDSByteSize: 8448 bytes/workgroup (compile time only)
; SGPRBlocks: 0
; VGPRBlocks: 13
; NumSGPRsForWavesPerEU: 26
; NumVGPRsForWavesPerEU: 105
; Occupancy: 12
; WaveLimiterHint : 1
; COMPUTE_PGM_RSRC2:SCRATCH_EN: 0
; COMPUTE_PGM_RSRC2:USER_SGPR: 2
; COMPUTE_PGM_RSRC2:TRAP_HANDLER: 0
; COMPUTE_PGM_RSRC2:TGID_X_EN: 1
; COMPUTE_PGM_RSRC2:TGID_Y_EN: 1
; COMPUTE_PGM_RSRC2:TGID_Z_EN: 1
; COMPUTE_PGM_RSRC2:TIDIG_COMP_CNT: 2
	.section	.text._ZN2at6native18radixSortKVInPlaceILi2ELin1ELi32ELi4EbljEEvNS_4cuda6detail10TensorInfoIT3_T5_EES6_S6_S6_NS4_IT4_S6_EES6_b,"axG",@progbits,_ZN2at6native18radixSortKVInPlaceILi2ELin1ELi32ELi4EbljEEvNS_4cuda6detail10TensorInfoIT3_T5_EES6_S6_S6_NS4_IT4_S6_EES6_b,comdat
	.protected	_ZN2at6native18radixSortKVInPlaceILi2ELin1ELi32ELi4EbljEEvNS_4cuda6detail10TensorInfoIT3_T5_EES6_S6_S6_NS4_IT4_S6_EES6_b ; -- Begin function _ZN2at6native18radixSortKVInPlaceILi2ELin1ELi32ELi4EbljEEvNS_4cuda6detail10TensorInfoIT3_T5_EES6_S6_S6_NS4_IT4_S6_EES6_b
	.globl	_ZN2at6native18radixSortKVInPlaceILi2ELin1ELi32ELi4EbljEEvNS_4cuda6detail10TensorInfoIT3_T5_EES6_S6_S6_NS4_IT4_S6_EES6_b
	.p2align	8
	.type	_ZN2at6native18radixSortKVInPlaceILi2ELin1ELi32ELi4EbljEEvNS_4cuda6detail10TensorInfoIT3_T5_EES6_S6_S6_NS4_IT4_S6_EES6_b,@function
_ZN2at6native18radixSortKVInPlaceILi2ELin1ELi32ELi4EbljEEvNS_4cuda6detail10TensorInfoIT3_T5_EES6_S6_S6_NS4_IT4_S6_EES6_b: ; @_ZN2at6native18radixSortKVInPlaceILi2ELin1ELi32ELi4EbljEEvNS_4cuda6detail10TensorInfoIT3_T5_EES6_S6_S6_NS4_IT4_S6_EES6_b
; %bb.0:
	s_clause 0x1
	s_load_b64 s[2:3], s[0:1], 0x1c8
	s_load_b96 s[8:10], s[0:1], 0xd8
	s_lshr_b32 s4, ttmp7, 16
	s_wait_kmcnt 0x0
	s_mul_i32 s3, s3, s4
	s_and_b32 s4, ttmp7, 0xffff
	s_delay_alu instid0(SALU_CYCLE_1) | instskip(NEXT) | instid1(SALU_CYCLE_1)
	s_add_co_i32 s3, s3, s4
	s_mul_i32 s2, s3, s2
	s_delay_alu instid0(SALU_CYCLE_1) | instskip(NEXT) | instid1(SALU_CYCLE_1)
	s_add_co_i32 s2, s2, ttmp9
	s_cmp_ge_u32 s2, s8
	s_cbranch_scc1 .LBB268_54
; %bb.1:
	s_clause 0x2
	s_load_b32 s11, s[0:1], 0xc
	s_load_b64 s[14:15], s[0:1], 0x6c
	s_load_b32 s16, s[0:1], 0x1b8
	s_add_nc_u64 s[6:7], s[0:1], 0xe8
	s_mov_b32 s8, s2
	s_wait_kmcnt 0x0
	s_cvt_f32_u32 s3, s11
	s_delay_alu instid0(SALU_CYCLE_3) | instskip(NEXT) | instid1(TRANS32_DEP_1)
	v_rcp_iflag_f32_e32 v1, s3
	v_readfirstlane_b32 s3, v1
	s_mul_f32 s3, s3, 0x4f7ffffe
	s_wait_alu 0xfffe
	s_delay_alu instid0(SALU_CYCLE_2) | instskip(SKIP_2) | instid1(SALU_CYCLE_1)
	s_cvt_u32_f32 s4, s3
	s_sub_co_i32 s3, 0, s11
	s_wait_alu 0xfffe
	s_mul_i32 s5, s3, s4
	s_mov_b32 s3, 0
	s_mul_hi_u32 s5, s4, s5
	s_wait_alu 0xfffe
	s_mov_b32 s13, s3
	s_add_co_i32 s12, s4, s5
	s_cmp_lt_i32 s16, 2
	s_mov_b32 s5, s3
	s_cbranch_scc1 .LBB268_4
; %bb.2:
	s_add_co_i32 s4, s16, -1
	s_mov_b32 s5, 0
	s_mov_b32 s8, s2
	s_lshl_b64 s[18:19], s[4:5], 2
	s_add_co_i32 s4, s16, 1
	s_add_nc_u64 s[18:19], s[6:7], s[18:19]
	s_delay_alu instid0(SALU_CYCLE_1)
	s_add_nc_u64 s[16:17], s[18:19], 8
.LBB268_3:                              ; =>This Inner Loop Header: Depth=1
	s_clause 0x1
	s_load_b32 s18, s[16:17], 0x0
	s_load_b32 s19, s[16:17], 0x64
	s_mov_b32 s22, s8
	s_add_nc_u64 s[16:17], s[16:17], -4
	s_wait_kmcnt 0x0
	s_cvt_f32_u32 s20, s18
	s_sub_co_i32 s21, 0, s18
	s_wait_alu 0xfffe
	s_delay_alu instid0(SALU_CYCLE_1) | instskip(NEXT) | instid1(TRANS32_DEP_1)
	v_rcp_iflag_f32_e32 v1, s20
	v_readfirstlane_b32 s20, v1
	s_mul_f32 s20, s20, 0x4f7ffffe
	s_wait_alu 0xfffe
	s_delay_alu instid0(SALU_CYCLE_2) | instskip(SKIP_1) | instid1(SALU_CYCLE_2)
	s_cvt_u32_f32 s20, s20
	s_wait_alu 0xfffe
	s_mul_i32 s21, s21, s20
	s_wait_alu 0xfffe
	s_mul_hi_u32 s21, s20, s21
	s_wait_alu 0xfffe
	s_add_co_i32 s20, s20, s21
	s_wait_alu 0xfffe
	s_mul_hi_u32 s8, s8, s20
	s_delay_alu instid0(SALU_CYCLE_1)
	s_mul_i32 s20, s8, s18
	s_add_co_i32 s21, s8, 1
	s_wait_alu 0xfffe
	s_sub_co_i32 s20, s22, s20
	s_wait_alu 0xfffe
	s_sub_co_i32 s23, s20, s18
	s_cmp_ge_u32 s20, s18
	s_cselect_b32 s8, s21, s8
	s_cselect_b32 s20, s23, s20
	s_add_co_i32 s21, s8, 1
	s_wait_alu 0xfffe
	s_cmp_ge_u32 s20, s18
	s_cselect_b32 s8, s21, s8
	s_add_co_i32 s4, s4, -1
	s_mul_i32 s18, s8, s18
	s_delay_alu instid0(SALU_CYCLE_1) | instskip(NEXT) | instid1(SALU_CYCLE_1)
	s_sub_co_i32 s18, s22, s18
	s_mul_i32 s18, s19, s18
	s_delay_alu instid0(SALU_CYCLE_1)
	s_add_co_i32 s5, s18, s5
	s_cmp_gt_u32 s4, 2
	s_cbranch_scc1 .LBB268_3
.LBB268_4:
	s_mul_u64 s[20:21], s[2:3], s[12:13]
	s_clause 0x1
	s_load_b64 s[16:17], s[0:1], 0x0
	s_load_b64 s[12:13], s[0:1], 0x1c0
	s_mul_i32 s3, s21, s11
	s_add_nc_u64 s[18:19], s[0:1], 0x1c8
	s_wait_alu 0xfffe
	s_sub_co_i32 s0, s2, s3
	s_add_co_i32 s1, s21, 1
	s_sub_co_i32 s3, s0, s11
	s_cmp_ge_u32 s0, s11
	v_and_b32_e32 v11, 0x3ff, v0
	s_cselect_b32 s1, s1, s21
	s_wait_alu 0xfffe
	s_cselect_b32 s0, s3, s0
	s_add_co_i32 s3, s1, 1
	s_cmp_ge_u32 s0, s11
	v_mul_lo_u32 v20, s10, v11
	s_wait_alu 0xfffe
	s_cselect_b32 s0, s3, s1
	s_mov_b32 s3, 0
	s_mul_i32 s1, s0, s11
	s_mul_i32 s0, s0, s14
	s_sub_co_i32 s1, s2, s1
	s_delay_alu instid0(SALU_CYCLE_1) | instskip(NEXT) | instid1(SALU_CYCLE_1)
	s_mul_i32 s1, s1, s15
	s_add_co_i32 s2, s0, s1
	s_wait_kmcnt 0x0
	s_bitcmp1_b32 s13, 0
	s_wait_alu 0xfffe
	s_add_nc_u64 s[14:15], s[16:17], s[2:3]
	s_cselect_b32 s0, -1, 0
	s_delay_alu instid0(SALU_CYCLE_1) | instskip(SKIP_3) | instid1(VALU_DEP_2)
	s_xor_b32 s4, s0, -1
	v_cmp_gt_u32_e64 s0, s9, v11
	v_cndmask_b32_e64 v2, 0, 1, s4
	v_cndmask_b32_e64 v1, 0, 1, s4
	v_lshlrev_b32_e32 v3, 8, v2
	s_delay_alu instid0(VALU_DEP_1) | instskip(NEXT) | instid1(VALU_DEP_1)
	v_or_b32_e32 v2, v2, v3
	v_and_b32_e32 v3, 0x101, v2
	v_lshlrev_b32_e32 v2, 16, v2
	s_delay_alu instid0(VALU_DEP_1)
	v_or_b32_e32 v2, v3, v2
	s_and_saveexec_b32 s1, s0
	s_cbranch_execz .LBB268_6
; %bb.5:
	global_load_u8 v1, v20, s[14:15]
	s_wait_loadcnt 0x0
	v_perm_b32 v2, v1, v2, 0x3020104
.LBB268_6:
	s_or_b32 exec_lo, exec_lo, s1
	v_add_nc_u32_e32 v5, 32, v11
	s_delay_alu instid0(VALU_DEP_1)
	v_cmp_gt_u32_e64 s3, s9, v5
	s_and_saveexec_b32 s1, s3
	s_cbranch_execz .LBB268_8
; %bb.7:
	v_mul_lo_u32 v3, s10, v5
	global_load_u8 v3, v3, s[14:15]
	s_wait_loadcnt 0x0
	v_perm_b32 v2, v2, v3, 0x7060004
.LBB268_8:
	s_or_b32 exec_lo, exec_lo, s1
	v_add_nc_u32_e32 v16, 64, v11
	s_delay_alu instid0(VALU_DEP_1)
	v_cmp_gt_u32_e64 s1, s9, v16
	s_and_saveexec_b32 s2, s1
	s_cbranch_execz .LBB268_10
; %bb.9:
	v_mul_lo_u32 v3, s10, v16
	global_load_u8 v3, v3, s[14:15]
	s_wait_loadcnt 0x0
	v_perm_b32 v2, v2, v3, 0x7000504
.LBB268_10:
	s_wait_alu 0xfffe
	s_or_b32 exec_lo, exec_lo, s2
	s_clause 0x1
	s_load_b32 s11, s[6:7], 0x6c
	s_load_b64 s[6:7], s[6:7], 0x0
	v_add_nc_u32_e32 v14, 0x60, v11
	s_delay_alu instid0(VALU_DEP_1)
	v_cmp_gt_u32_e64 s2, s9, v14
	s_and_saveexec_b32 s9, s2
	s_cbranch_execz .LBB268_12
; %bb.11:
	v_mul_lo_u32 v3, s10, v14
	global_load_u8 v3, v3, s[14:15]
	s_wait_loadcnt 0x0
	v_perm_b32 v2, v2, v3, 0x60504
.LBB268_12:
	s_wait_alu 0xfffe
	s_or_b32 exec_lo, exec_lo, s9
	v_lshrrev_b32_e32 v13, 5, v5
	v_lshrrev_b32_e32 v12, 5, v11
	;; [unrolled: 1-line block ×5, first 2 shown]
	v_and_b32_e32 v6, 60, v13
	v_and_b32_e32 v4, 28, v12
	;; [unrolled: 1-line block ×3, first 2 shown]
	v_lshlrev_b32_e32 v31, 2, v11
	v_lshrrev_b32_e32 v3, 8, v2
	v_add_nc_u32_e32 v22, v6, v11
	v_and_b32_e32 v6, 0x7c, v18
	v_add_nc_u32_e32 v21, v4, v11
	v_and_b32_e32 v4, 60, v17
	v_add_nc_u32_e32 v23, v7, v11
	v_lshrrev_b32_e32 v7, 24, v2
	v_add_nc_u32_e32 v25, v6, v31
	ds_store_b8 v21, v1
	ds_store_b8 v22, v3 offset:32
	v_add_nc_u32_e32 v24, v4, v11
	ds_store_b8_d16_hi v23, v2 offset:64
	ds_store_b8 v24, v7 offset:96
	s_wait_dscnt 0x0
	; wave barrier
	global_inv scope:SCOPE_SE
	ds_load_b32 v35, v25
	s_wait_kmcnt 0x0
	s_mul_i32 s8, s11, s8
	v_mul_lo_u32 v9, s12, v11
	s_wait_alu 0xfffe
	s_add_co_i32 s8, s8, s5
	s_mov_b32 s9, 0
	v_mov_b32_e32 v1, 0
	v_dual_mov_b32 v3, 0 :: v_dual_mov_b32 v2, 0
	v_mov_b32_e32 v4, 0
	s_wait_alu 0xfffe
	s_lshl_b64 s[8:9], s[8:9], 3
	s_wait_loadcnt_dscnt 0x0
	s_wait_alu 0xfffe
	s_add_nc_u64 s[16:17], s[6:7], s[8:9]
	; wave barrier
	global_inv scope:SCOPE_SE
	s_and_saveexec_b32 s5, s0
	s_cbranch_execz .LBB268_14
; %bb.13:
	v_mov_b32_e32 v10, 0
	s_delay_alu instid0(VALU_DEP_1) | instskip(NEXT) | instid1(VALU_DEP_1)
	v_lshlrev_b64_e32 v[3:4], 3, v[9:10]
	v_add_co_u32 v3, vcc_lo, s16, v3
	s_delay_alu instid0(VALU_DEP_1)
	v_add_co_ci_u32_e64 v4, null, s17, v4, vcc_lo
	global_load_b64 v[3:4], v[3:4], off
.LBB268_14:
	s_wait_alu 0xfffe
	s_or_b32 exec_lo, exec_lo, s5
	s_and_saveexec_b32 s5, s3
	s_cbranch_execz .LBB268_16
; %bb.15:
	v_mul_lo_u32 v1, s12, v5
	v_mov_b32_e32 v2, 0
	s_delay_alu instid0(VALU_DEP_1) | instskip(NEXT) | instid1(VALU_DEP_1)
	v_lshlrev_b64_e32 v[1:2], 3, v[1:2]
	v_add_co_u32 v1, vcc_lo, s16, v1
	s_wait_alu 0xfffd
	s_delay_alu instid0(VALU_DEP_2)
	v_add_co_ci_u32_e64 v2, null, s17, v2, vcc_lo
	global_load_b64 v[1:2], v[1:2], off
.LBB268_16:
	s_wait_alu 0xfffe
	s_or_b32 exec_lo, exec_lo, s5
	v_mov_b32_e32 v5, 0
	v_dual_mov_b32 v6, 0 :: v_dual_mov_b32 v7, 0
	v_mov_b32_e32 v8, 0
	s_and_saveexec_b32 s5, s1
	s_cbranch_execz .LBB268_18
; %bb.17:
	v_mul_lo_u32 v7, s12, v16
	v_mov_b32_e32 v8, 0
	s_delay_alu instid0(VALU_DEP_1) | instskip(NEXT) | instid1(VALU_DEP_1)
	v_lshlrev_b64_e32 v[7:8], 3, v[7:8]
	v_add_co_u32 v7, vcc_lo, s16, v7
	s_wait_alu 0xfffd
	s_delay_alu instid0(VALU_DEP_2)
	v_add_co_ci_u32_e64 v8, null, s17, v8, vcc_lo
	global_load_b64 v[7:8], v[7:8], off
.LBB268_18:
	s_wait_alu 0xfffe
	s_or_b32 exec_lo, exec_lo, s5
	s_and_saveexec_b32 s5, s2
	s_cbranch_execz .LBB268_20
; %bb.19:
	v_mul_lo_u32 v5, s12, v14
	v_mov_b32_e32 v6, 0
	s_delay_alu instid0(VALU_DEP_1) | instskip(NEXT) | instid1(VALU_DEP_1)
	v_lshlrev_b64_e32 v[5:6], 3, v[5:6]
	v_add_co_u32 v5, vcc_lo, s16, v5
	s_wait_alu 0xfffd
	s_delay_alu instid0(VALU_DEP_2)
	v_add_co_ci_u32_e64 v6, null, s17, v6, vcc_lo
	global_load_b64 v[5:6], v[5:6], off
.LBB268_20:
	s_wait_alu 0xfffe
	s_or_b32 exec_lo, exec_lo, s5
	v_lshlrev_b32_e32 v14, 3, v11
	v_lshlrev_b32_e32 v10, 3, v31
	v_lshrrev_b32_e32 v37, 16, v35
	v_lshrrev_b32_e32 v38, 8, v35
	;; [unrolled: 1-line block ×3, first 2 shown]
	v_lshl_add_u32 v26, v12, 3, v14
	v_lshl_add_u32 v30, v18, 3, v10
	v_lshl_add_u32 v27, v13, 3, v14
	v_lshl_add_u32 v28, v15, 3, v14
	v_lshl_add_u32 v29, v17, 3, v14
	s_wait_loadcnt 0x0
	ds_store_b64 v26, v[3:4]
	ds_store_b64 v27, v[1:2] offset:256
	ds_store_b64 v28, v[7:8] offset:512
	;; [unrolled: 1-line block ×3, first 2 shown]
	s_wait_dscnt 0x0
	; wave barrier
	global_inv scope:SCOPE_SE
	ds_load_2addr_b64 v[5:8], v30 offset1:1
	ds_load_2addr_b64 v[1:4], v30 offset0:2 offset1:3
	v_bfe_u32 v34, v0, 10, 10
	v_bfe_u32 v0, v0, 20, 10
	v_mbcnt_lo_u32_b32 v33, -1, 0
	v_lshlrev_b32_e32 v32, 5, v11
	s_and_b32 vcc_lo, exec_lo, s4
	; wave barrier
	s_wait_loadcnt_dscnt 0x0
	global_inv scope:SCOPE_SE
	s_wait_alu 0xfffe
	s_cbranch_vccz .LBB268_32
; %bb.21:
	v_and_b32_e32 v14, 28, v33
	v_and_b32_e32 v15, 0xff, v37
	;; [unrolled: 1-line block ×5, first 2 shown]
	s_getpc_b64 s[8:9]
	s_wait_alu 0xfffe
	s_sext_i32_i16 s9, s9
	s_add_co_u32 s8, s8, _ZN7rocprim17ROCPRIM_400000_NS16block_radix_sortIbLj32ELj4ElLj1ELj1ELj0ELNS0_26block_radix_rank_algorithmE1ELNS0_18block_padding_hintE2ELNS0_4arch9wavefront6targetE0EE19radix_bits_per_passE@rel32@lo+12
	s_wait_alu 0xfffe
	s_add_co_ci_u32 s9, s9, _ZN7rocprim17ROCPRIM_400000_NS16block_radix_sortIbLj32ELj4ElLj1ELj1ELj0ELNS0_26block_radix_rank_algorithmE1ELNS0_18block_padding_hintE2ELNS0_4arch9wavefront6targetE0EE19radix_bits_per_passE@rel32@hi+24
	ds_bpermute_b32 v19, v14, v15
	v_cmp_eq_u32_e32 vcc_lo, 2, v39
	ds_bpermute_b32 v16, v14, v12
	ds_bpermute_b32 v40, v14, v18
	v_cmp_eq_u32_e64 s6, 0, v39
	ds_bpermute_b32 v41, v14, v12 offset:32
	v_cmp_eq_u32_e64 s5, 1, v39
	v_cmp_eq_u32_e64 s4, 3, v39
	s_load_b32 s8, s[8:9], 0x0
	v_cndmask_b32_e64 v42, 0, 1, s6
	; wave barrier
	s_wait_loadcnt_dscnt 0x0
	global_inv scope:SCOPE_SE
	s_load_b32 s7, s[18:19], 0xc
	ds_bpermute_b32 v54, v14, v5
	ds_bpermute_b32 v58, v14, v6
	ds_bpermute_b32 v52, v14, v7
	ds_bpermute_b32 v53, v14, v8
	ds_bpermute_b32 v43, v14, v1
	ds_bpermute_b32 v44, v14, v2
	ds_bpermute_b32 v63, v14, v5 offset:32
	v_and_b32_e32 v19, 1, v19
	v_and_b32_e32 v13, 0xff, v38
	;; [unrolled: 1-line block ×3, first 2 shown]
	ds_bpermute_b32 v64, v14, v6 offset:32
	ds_bpermute_b32 v49, v14, v7 offset:32
	;; [unrolled: 1-line block ×3, first 2 shown]
	ds_bpermute_b32 v17, v14, v13
	ds_bpermute_b32 v46, v14, v1 offset:32
	s_wait_kmcnt 0x0
	s_min_u32 s8, s8, 8
	ds_bpermute_b32 v47, v14, v2 offset:32
	s_wait_alu 0xfffe
	s_lshl_b32 s8, -1, s8
	ds_bpermute_b32 v45, v14, v4 offset:32
	s_wait_alu 0xfffe
	s_not_b32 s9, s8
	s_lshr_b32 s8, s7, 16
	ds_bpermute_b32 v69, v14, v5 offset:64
	ds_bpermute_b32 v70, v14, v6 offset:64
	;; [unrolled: 1-line block ×12, first 2 shown]
	s_wait_dscnt 0xf
	v_and_b32_e32 v17, 1, v17
	ds_bpermute_b32 v56, v14, v1 offset:96
	ds_bpermute_b32 v61, v14, v2 offset:96
	;; [unrolled: 1-line block ×4, first 2 shown]
	v_cndmask_b32_e64 v16, v16, v17, s5
	v_and_b32_e32 v17, 1, v40
	v_and_b32_e32 v40, 1, v41
	ds_bpermute_b32 v41, v14, v4
	v_cndmask_b32_e32 v16, v16, v19, vcc_lo
	ds_bpermute_b32 v19, v14, v13 offset:32
	v_cndmask_b32_e64 v16, v16, v17, s4
	v_lshlrev_b16 v17, 8, v40
	ds_bpermute_b32 v40, v14, v3
	v_and_b32_e32 v39, 1, v16
	s_delay_alu instid0(VALU_DEP_1) | instskip(NEXT) | instid1(VALU_DEP_1)
	v_or_b32_e32 v17, v39, v17
	v_and_b32_e32 v17, 0xffff, v17
	s_wait_dscnt 0x1
	v_and_b32_e32 v19, 1, v19
	s_delay_alu instid0(VALU_DEP_2) | instskip(SKIP_3) | instid1(VALU_DEP_1)
	v_cndmask_b32_e64 v16, v16, v17, s6
	ds_bpermute_b32 v17, v14, v15 offset:32
	v_lshlrev_b16 v19, 8, v19
	v_and_b32_e32 v39, 0xff, v16
	v_or_b32_e32 v19, v39, v19
	s_delay_alu instid0(VALU_DEP_1) | instskip(NEXT) | instid1(VALU_DEP_1)
	v_and_b32_e32 v19, 0xffff, v19
	v_and_or_b32 v19, 0xffff0000, v16, v19
	s_wait_dscnt 0x0
	v_and_b32_e32 v17, 1, v17
	s_delay_alu instid0(VALU_DEP_2) | instskip(SKIP_3) | instid1(VALU_DEP_1)
	v_cndmask_b32_e64 v16, v16, v19, s5
	ds_bpermute_b32 v19, v14, v18 offset:32
	v_lshlrev_b16 v17, 8, v17
	v_and_b32_e32 v39, 0xff, v16
	v_or_b32_e32 v17, v39, v17
	ds_bpermute_b32 v39, v14, v3 offset:32
	v_and_b32_e32 v17, 0xffff, v17
	s_delay_alu instid0(VALU_DEP_1) | instskip(SKIP_1) | instid1(VALU_DEP_1)
	v_and_or_b32 v17, 0xffff0000, v16, v17
	s_wait_dscnt 0x1
	v_dual_cndmask_b32 v16, v16, v17 :: v_dual_and_b32 v19, 1, v19
	s_delay_alu instid0(VALU_DEP_1) | instskip(NEXT) | instid1(VALU_DEP_2)
	v_lshlrev_b16 v17, 8, v19
	v_and_b32_e32 v19, 0xff, v16
	s_delay_alu instid0(VALU_DEP_1) | instskip(SKIP_3) | instid1(VALU_DEP_1)
	v_or_b32_e32 v17, v19, v17
	ds_bpermute_b32 v19, v14, v12 offset:64
	ds_bpermute_b32 v12, v14, v12 offset:96
	v_and_b32_e32 v17, 0xffff, v17
	v_and_or_b32 v17, 0xffff0000, v16, v17
	s_delay_alu instid0(VALU_DEP_1) | instskip(NEXT) | instid1(VALU_DEP_1)
	v_cndmask_b32_e64 v16, v16, v17, s4
	v_lshrrev_b32_e32 v17, 16, v16
	s_wait_dscnt 0x1
	v_and_b32_e32 v19, 1, v19
	s_wait_dscnt 0x0
	v_and_b32_e32 v12, 1, v12
	v_and_b32_e32 v17, 0xffffff00, v17
	s_delay_alu instid0(VALU_DEP_2) | instskip(NEXT) | instid1(VALU_DEP_2)
	v_lshlrev_b16 v12, 8, v12
	v_or_b32_e32 v17, v19, v17
	ds_bpermute_b32 v19, v14, v13 offset:64
	ds_bpermute_b32 v13, v14, v13 offset:96
	v_lshlrev_b32_e32 v17, 16, v17
	s_delay_alu instid0(VALU_DEP_1) | instskip(NEXT) | instid1(VALU_DEP_1)
	v_and_or_b32 v17, 0xffff, v16, v17
	v_cndmask_b32_e64 v16, v16, v17, s6
	s_delay_alu instid0(VALU_DEP_1)
	v_lshrrev_b32_e32 v17, 16, v16
	s_wait_dscnt 0x1
	v_and_b32_e32 v19, 1, v19
	s_wait_dscnt 0x0
	v_and_b32_e32 v13, 1, v13
	v_and_b32_e32 v17, 0xffffff00, v17
	s_delay_alu instid0(VALU_DEP_2) | instskip(NEXT) | instid1(VALU_DEP_2)
	v_lshlrev_b16 v13, 8, v13
	v_or_b32_e32 v17, v19, v17
	ds_bpermute_b32 v19, v14, v15 offset:64
	ds_bpermute_b32 v15, v14, v15 offset:96
	v_lshlrev_b32_e32 v17, 16, v17
	s_delay_alu instid0(VALU_DEP_1) | instskip(NEXT) | instid1(VALU_DEP_1)
	v_and_or_b32 v17, 0xffff, v16, v17
	v_cndmask_b32_e64 v16, v16, v17, s5
	s_delay_alu instid0(VALU_DEP_1) | instskip(SKIP_2) | instid1(VALU_DEP_2)
	v_lshrrev_b32_e32 v17, 16, v16
	s_wait_dscnt 0x1
	v_and_b32_e32 v19, 1, v19
	v_and_b32_e32 v17, 0xffffff00, v17
	s_delay_alu instid0(VALU_DEP_1) | instskip(SKIP_2) | instid1(VALU_DEP_1)
	v_or_b32_e32 v17, v19, v17
	ds_bpermute_b32 v19, v14, v18 offset:64
	v_lshlrev_b32_e32 v17, 16, v17
	v_and_or_b32 v17, 0xffff, v16, v17
	s_delay_alu instid0(VALU_DEP_1) | instskip(NEXT) | instid1(VALU_DEP_1)
	v_cndmask_b32_e32 v16, v16, v17, vcc_lo
	v_lshrrev_b32_e32 v17, 16, v16
	s_wait_dscnt 0x0
	v_and_b32_e32 v19, 1, v19
	s_delay_alu instid0(VALU_DEP_2) | instskip(NEXT) | instid1(VALU_DEP_1)
	v_and_b32_e32 v17, 0xffffff00, v17
	v_or_b32_e32 v17, v19, v17
	s_delay_alu instid0(VALU_DEP_1) | instskip(NEXT) | instid1(VALU_DEP_1)
	v_lshlrev_b32_e32 v17, 16, v17
	v_and_or_b32 v17, 0xffff, v16, v17
	s_delay_alu instid0(VALU_DEP_1) | instskip(NEXT) | instid1(VALU_DEP_1)
	v_cndmask_b32_e64 v16, v16, v17, s4
	v_lshrrev_b32_e32 v17, 16, v16
	s_delay_alu instid0(VALU_DEP_1) | instskip(NEXT) | instid1(VALU_DEP_1)
	v_and_b32_e32 v17, 0xff, v17
	v_or_b32_e32 v12, v17, v12
	s_delay_alu instid0(VALU_DEP_1) | instskip(NEXT) | instid1(VALU_DEP_1)
	v_lshlrev_b32_e32 v12, 16, v12
	v_and_or_b32 v12, 0xffff, v16, v12
	s_delay_alu instid0(VALU_DEP_1) | instskip(NEXT) | instid1(VALU_DEP_1)
	v_cndmask_b32_e64 v12, v16, v12, s6
	v_lshrrev_b32_e32 v16, 16, v12
	s_delay_alu instid0(VALU_DEP_1) | instskip(NEXT) | instid1(VALU_DEP_1)
	v_and_b32_e32 v16, 0xff, v16
	v_or_b32_e32 v13, v16, v13
	ds_bpermute_b32 v16, v14, v18 offset:96
	v_mov_b32_e32 v14, 0
	ds_store_2addr_b32 v32, v14, v14 offset0:1 offset1:2
	ds_store_2addr_b32 v32, v14, v14 offset0:3 offset1:4
	;; [unrolled: 1-line block ×4, first 2 shown]
	v_lshlrev_b32_e32 v13, 16, v13
	; wave barrier
	s_wait_loadcnt_dscnt 0x0
	global_inv scope:SCOPE_SE
	; wave barrier
	v_and_or_b32 v13, 0xffff, v12, v13
	s_delay_alu instid0(VALU_DEP_1) | instskip(SKIP_1) | instid1(VALU_DEP_2)
	v_cndmask_b32_e64 v12, v12, v13, s5
	v_and_b32_e32 v13, 1, v15
	v_lshrrev_b32_e32 v15, 16, v12
	s_delay_alu instid0(VALU_DEP_2) | instskip(NEXT) | instid1(VALU_DEP_2)
	v_lshlrev_b16 v13, 8, v13
	v_and_b32_e32 v15, 0xff, v15
	s_delay_alu instid0(VALU_DEP_1) | instskip(NEXT) | instid1(VALU_DEP_1)
	v_or_b32_e32 v13, v15, v13
	v_lshlrev_b32_e32 v13, 16, v13
	s_delay_alu instid0(VALU_DEP_1) | instskip(NEXT) | instid1(VALU_DEP_1)
	v_and_or_b32 v13, 0xffff, v12, v13
	v_dual_cndmask_b32 v12, v12, v13 :: v_dual_and_b32 v13, 1, v16
	s_delay_alu instid0(VALU_DEP_1) | instskip(NEXT) | instid1(VALU_DEP_2)
	v_lshrrev_b32_e32 v15, 16, v12
	v_lshlrev_b16 v13, 8, v13
	s_delay_alu instid0(VALU_DEP_2) | instskip(NEXT) | instid1(VALU_DEP_1)
	v_and_b32_e32 v15, 0xff, v15
	v_or_b32_e32 v13, v15, v13
	s_delay_alu instid0(VALU_DEP_1) | instskip(NEXT) | instid1(VALU_DEP_1)
	v_lshlrev_b32_e32 v13, 16, v13
	v_and_or_b32 v13, 0xffff, v12, v13
	s_delay_alu instid0(VALU_DEP_1) | instskip(SKIP_3) | instid1(VALU_DEP_2)
	v_cndmask_b32_e64 v42, v12, v13, s4
	s_wait_alu 0xfffe
	v_mad_u32_u24 v13, v0, s8, v34
	s_and_b32 s8, s7, 0xffff
	v_and_b32_e32 v12, s9, v42
	s_delay_alu instid0(VALU_DEP_1) | instskip(NEXT) | instid1(VALU_DEP_1)
	v_and_b32_e32 v15, 0xff, v12
	v_add_co_u32 v16, s11, v15, -1
	s_wait_alu 0xf1ff
	v_cndmask_b32_e64 v12, 0, 1, s11
	s_delay_alu instid0(VALU_DEP_1) | instskip(SKIP_3) | instid1(VALU_DEP_2)
	v_cmp_ne_u32_e64 s7, 0, v12
	s_wait_alu 0xfffe
	v_mad_co_u64_u32 v[12:13], null, v13, s8, v[11:12]
	s_wait_alu 0xf1ff
	v_xor_b32_e32 v13, s7, v16
	s_delay_alu instid0(VALU_DEP_2) | instskip(NEXT) | instid1(VALU_DEP_2)
	v_lshrrev_b32_e32 v12, 3, v12
	v_and_b32_e32 v13, exec_lo, v13
	s_delay_alu instid0(VALU_DEP_2) | instskip(NEXT) | instid1(VALU_DEP_2)
	v_and_b32_e32 v12, 0x1ffffffc, v12
	v_mbcnt_lo_u32_b32 v67, v13, 0
	v_cmp_ne_u32_e64 s8, 0, v13
	s_delay_alu instid0(VALU_DEP_3) | instskip(NEXT) | instid1(VALU_DEP_3)
	v_lshl_add_u32 v74, v15, 2, v12
	v_cmp_eq_u32_e64 s7, 0, v67
	s_and_b32 s8, s8, s7
	s_wait_alu 0xfffe
	s_and_saveexec_b32 s7, s8
; %bb.22:
	v_bcnt_u32_b32 v13, v13, 0
	ds_store_b32 v74, v13 offset:4
; %bb.23:
	s_wait_alu 0xfffe
	s_or_b32 exec_lo, exec_lo, s7
	v_lshrrev_b32_e32 v71, 8, v42
	; wave barrier
	s_delay_alu instid0(VALU_DEP_1) | instskip(NEXT) | instid1(VALU_DEP_1)
	v_and_b32_e32 v13, s9, v71
	v_and_b32_e32 v13, 0xff, v13
	s_delay_alu instid0(VALU_DEP_1) | instskip(SKIP_3) | instid1(VALU_DEP_2)
	v_add_co_u32 v14, s7, v13, -1
	s_wait_alu 0xf1ff
	v_cndmask_b32_e64 v15, 0, 1, s7
	v_lshl_add_u32 v78, v13, 2, v12
	v_cmp_ne_u32_e64 s7, 0, v15
	ds_load_b32 v75, v78 offset:4
	; wave barrier
	s_wait_alu 0xf1ff
	v_xor_b32_e32 v13, s7, v14
	s_delay_alu instid0(VALU_DEP_1) | instskip(NEXT) | instid1(VALU_DEP_1)
	v_and_b32_e32 v13, exec_lo, v13
	v_mbcnt_lo_u32_b32 v76, v13, 0
	v_cmp_ne_u32_e64 s8, 0, v13
	s_delay_alu instid0(VALU_DEP_2)
	v_cmp_eq_u32_e64 s7, 0, v76
	s_and_b32 s8, s8, s7
	s_wait_alu 0xfffe
	s_and_saveexec_b32 s7, s8
	s_cbranch_execz .LBB268_25
; %bb.24:
	s_wait_dscnt 0x0
	v_bcnt_u32_b32 v13, v13, v75
	ds_store_b32 v78, v13 offset:4
.LBB268_25:
	s_wait_alu 0xfffe
	s_or_b32 exec_lo, exec_lo, s7
	v_lshrrev_b32_e32 v77, 16, v42
	; wave barrier
	s_delay_alu instid0(VALU_DEP_1) | instskip(NEXT) | instid1(VALU_DEP_1)
	v_and_b32_e32 v13, s9, v77
	v_and_b32_e32 v13, 0xff, v13
	s_delay_alu instid0(VALU_DEP_1) | instskip(SKIP_3) | instid1(VALU_DEP_2)
	v_add_co_u32 v14, s7, v13, -1
	s_wait_alu 0xf1ff
	v_cndmask_b32_e64 v15, 0, 1, s7
	v_lshl_add_u32 v82, v13, 2, v12
	v_cmp_ne_u32_e64 s7, 0, v15
	ds_load_b32 v79, v82 offset:4
	; wave barrier
	s_wait_alu 0xf1ff
	v_xor_b32_e32 v13, s7, v14
	s_delay_alu instid0(VALU_DEP_1) | instskip(NEXT) | instid1(VALU_DEP_1)
	v_and_b32_e32 v13, exec_lo, v13
	v_mbcnt_lo_u32_b32 v80, v13, 0
	v_cmp_ne_u32_e64 s8, 0, v13
	s_delay_alu instid0(VALU_DEP_2)
	v_cmp_eq_u32_e64 s7, 0, v80
	s_and_b32 s8, s8, s7
	s_wait_alu 0xfffe
	s_and_saveexec_b32 s7, s8
	s_cbranch_execz .LBB268_27
; %bb.26:
	s_wait_dscnt 0x0
	v_bcnt_u32_b32 v13, v13, v79
	ds_store_b32 v82, v13 offset:4
.LBB268_27:
	s_wait_alu 0xfffe
	s_or_b32 exec_lo, exec_lo, s7
	v_lshrrev_b32_e32 v81, 24, v42
	; wave barrier
	s_delay_alu instid0(VALU_DEP_1) | instskip(NEXT) | instid1(VALU_DEP_1)
	v_and_b32_e32 v13, s9, v81
	v_add_co_u32 v14, s7, v13, -1
	s_wait_alu 0xf1ff
	v_cndmask_b32_e64 v15, 0, 1, s7
	v_lshl_add_u32 v85, v13, 2, v12
	s_delay_alu instid0(VALU_DEP_2) | instskip(SKIP_3) | instid1(VALU_DEP_1)
	v_cmp_ne_u32_e64 s7, 0, v15
	ds_load_b32 v83, v85 offset:4
	; wave barrier
	s_wait_alu 0xf1ff
	v_xor_b32_e32 v12, s7, v14
	v_and_b32_e32 v12, exec_lo, v12
	s_delay_alu instid0(VALU_DEP_1) | instskip(SKIP_1) | instid1(VALU_DEP_2)
	v_mbcnt_lo_u32_b32 v84, v12, 0
	v_cmp_ne_u32_e64 s8, 0, v12
	v_cmp_eq_u32_e64 s7, 0, v84
	s_and_b32 s8, s8, s7
	s_wait_alu 0xfffe
	s_and_saveexec_b32 s7, s8
	s_cbranch_execz .LBB268_29
; %bb.28:
	s_wait_dscnt 0x0
	v_bcnt_u32_b32 v12, v12, v83
	ds_store_b32 v85, v12 offset:4
.LBB268_29:
	s_wait_alu 0xfffe
	s_or_b32 exec_lo, exec_lo, s7
	; wave barrier
	; wave barrier
	s_wait_loadcnt_dscnt 0x0
	global_inv scope:SCOPE_SE
	ds_load_2addr_b32 v[18:19], v32 offset0:1 offset1:2
	ds_load_2addr_b32 v[16:17], v32 offset0:3 offset1:4
	;; [unrolled: 1-line block ×4, first 2 shown]
	s_mov_b32 s8, 0
	s_mov_b32 s9, exec_lo
	s_wait_dscnt 0x3
	v_add_nc_u32_e32 v86, v19, v18
	s_wait_dscnt 0x2
	s_delay_alu instid0(VALU_DEP_1) | instskip(SKIP_1) | instid1(VALU_DEP_1)
	v_add3_u32 v86, v86, v16, v17
	s_wait_dscnt 0x1
	v_add3_u32 v86, v86, v14, v15
	s_wait_dscnt 0x0
	s_delay_alu instid0(VALU_DEP_1) | instskip(SKIP_1) | instid1(VALU_DEP_2)
	v_add3_u32 v13, v86, v12, v13
	v_and_b32_e32 v86, 15, v33
	v_mov_b32_dpp v87, v13 row_shr:1 row_mask:0xf bank_mask:0xf
	s_delay_alu instid0(VALU_DEP_2) | instskip(SKIP_1) | instid1(VALU_DEP_1)
	v_cmp_ne_u32_e64 s7, 0, v86
	s_wait_alu 0xf1ff
	v_cndmask_b32_e64 v87, 0, v87, s7
	v_cmp_lt_u32_e64 s7, 1, v86
	s_delay_alu instid0(VALU_DEP_2) | instskip(NEXT) | instid1(VALU_DEP_1)
	v_add_nc_u32_e32 v13, v87, v13
	v_mov_b32_dpp v87, v13 row_shr:2 row_mask:0xf bank_mask:0xf
	s_wait_alu 0xf1ff
	s_delay_alu instid0(VALU_DEP_1) | instskip(SKIP_1) | instid1(VALU_DEP_2)
	v_cndmask_b32_e64 v87, 0, v87, s7
	v_cmp_lt_u32_e64 s7, 3, v86
	v_add_nc_u32_e32 v13, v13, v87
	s_delay_alu instid0(VALU_DEP_1) | instskip(SKIP_1) | instid1(VALU_DEP_1)
	v_mov_b32_dpp v87, v13 row_shr:4 row_mask:0xf bank_mask:0xf
	s_wait_alu 0xf1ff
	v_cndmask_b32_e64 v87, 0, v87, s7
	v_cmp_lt_u32_e64 s7, 7, v86
	s_delay_alu instid0(VALU_DEP_2) | instskip(NEXT) | instid1(VALU_DEP_1)
	v_add_nc_u32_e32 v13, v13, v87
	v_mov_b32_dpp v87, v13 row_shr:8 row_mask:0xf bank_mask:0xf
	s_wait_alu 0xf1ff
	s_delay_alu instid0(VALU_DEP_1) | instskip(SKIP_1) | instid1(VALU_DEP_2)
	v_cndmask_b32_e64 v86, 0, v87, s7
	v_bfe_i32 v87, v33, 4, 1
	v_add_nc_u32_e32 v13, v13, v86
	ds_swizzle_b32 v86, v13 offset:swizzle(BROADCAST,32,15)
	s_wait_dscnt 0x0
	v_and_b32_e32 v86, v87, v86
	s_delay_alu instid0(VALU_DEP_1)
	v_add_nc_u32_e32 v13, v13, v86
	v_cmpx_eq_u32_e32 31, v11
; %bb.30:
	v_mov_b32_e32 v86, 0
	ds_store_b32 v86, v13
; %bb.31:
	s_wait_alu 0xfffe
	s_or_b32 exec_lo, exec_lo, s9
	v_sub_co_u32 v86, s9, v33, 1
	v_cndmask_b32_e64 v54, 0, v54, s6
	v_cndmask_b32_e64 v58, 0, v58, s6
	s_wait_loadcnt_dscnt 0x0
	s_delay_alu instid0(VALU_DEP_3)
	v_cmp_gt_i32_e64 s7, 0, v86
	; wave barrier
	global_inv scope:SCOPE_SE
	v_cndmask_b32_e64 v52, v54, v52, s5
	v_cndmask_b32_e64 v53, v58, v53, s5
	;; [unrolled: 1-line block ×3, first 2 shown]
	s_wait_alu 0xf1ff
	v_cndmask_b32_e64 v86, v86, v33, s7
	v_cmp_eq_u32_e64 s7, 0, v11
	v_cndmask_b32_e64 v63, 0, v63, s6
	v_cndmask_b32_e64 v70, 0, v70, s6
	;; [unrolled: 1-line block ×3, first 2 shown]
	v_dual_cndmask_b32 v43, v52, v43 :: v_dual_lshlrev_b32 v86, 2, v86
	s_or_b32 s7, s7, s9
	v_cndmask_b32_e64 v69, 0, v69, s6
	v_cndmask_b32_e64 v72, 0, v72, s6
	ds_bpermute_b32 v13, v86, v13
	v_cndmask_b32_e32 v44, v53, v44, vcc_lo
	s_wait_dscnt 0x0
	s_wait_alu 0xfffe
	v_cndmask_b32_e64 v13, v13, 0, s7
	s_delay_alu instid0(VALU_DEP_1) | instskip(NEXT) | instid1(VALU_DEP_1)
	v_add_nc_u32_e32 v18, v13, v18
	v_add_nc_u32_e32 v19, v18, v19
	s_delay_alu instid0(VALU_DEP_1) | instskip(NEXT) | instid1(VALU_DEP_1)
	v_add_nc_u32_e32 v16, v19, v16
	v_add_nc_u32_e32 v17, v16, v17
	;; [unrolled: 3-line block ×3, first 2 shown]
	s_delay_alu instid0(VALU_DEP_1)
	v_add_nc_u32_e32 v12, v15, v12
	ds_store_2addr_b32 v32, v13, v18 offset0:1 offset1:2
	ds_store_2addr_b32 v32, v19, v16 offset0:3 offset1:4
	;; [unrolled: 1-line block ×4, first 2 shown]
	; wave barrier
	s_wait_loadcnt_dscnt 0x0
	global_inv scope:SCOPE_SE
	ds_load_b32 v12, v74 offset:4
	ds_load_b32 v15, v78 offset:4
	;; [unrolled: 1-line block ×4, first 2 shown]
	v_cndmask_b32_e64 v13, v64, v51, s5
	v_cndmask_b32_e64 v14, v63, v49, s5
	;; [unrolled: 1-line block ×4, first 2 shown]
	s_wait_loadcnt_dscnt 0x0
	s_delay_alu instid0(VALU_DEP_3) | instskip(SKIP_3) | instid1(VALU_DEP_4)
	v_dual_cndmask_b32 v47, v13, v47 :: v_dual_cndmask_b32 v46, v14, v46
	v_cndmask_b32_e64 v14, v44, v41, s4
	v_cndmask_b32_e64 v13, v43, v40, s4
	v_cndmask_b32_e32 v52, v16, v60, vcc_lo
	v_cndmask_b32_e64 v16, v47, v45, s4
	; wave barrier
	global_inv scope:SCOPE_SE
	v_cndmask_b32_e64 v19, v69, v62, s5
	v_cndmask_b32_e32 v40, v49, v61, vcc_lo
	v_cndmask_b32_e64 v51, v72, v66, s5
	v_add_nc_u32_e32 v41, v12, v67
	v_add3_u32 v43, v76, v75, v15
	v_add3_u32 v44, v80, v79, v17
	v_add3_u32 v45, v84, v83, v18
	ds_store_b8 v41, v42
	ds_store_b8 v43, v71
	;; [unrolled: 1-line block ×4, first 2 shown]
	; wave barrier
	s_wait_loadcnt_dscnt 0x0
	global_inv scope:SCOPE_SE
	ds_load_b32 v12, v31
	v_cndmask_b32_e32 v19, v19, v59, vcc_lo
	v_cndmask_b32_e32 v42, v51, v56, vcc_lo
	v_cndmask_b32_e64 v15, v46, v39, s4
	v_cndmask_b32_e64 v18, v52, v50, s4
	;; [unrolled: 1-line block ×4, first 2 shown]
	v_lshlrev_b32_e32 v19, 3, v41
	v_lshlrev_b32_e32 v41, 3, v43
	v_cndmask_b32_e64 v39, v42, v55, s4
	v_lshlrev_b32_e32 v42, 3, v44
	v_lshlrev_b32_e32 v43, 3, v45
	; wave barrier
	s_wait_loadcnt_dscnt 0x0
	global_inv scope:SCOPE_SE
	ds_store_b64 v19, v[13:14]
	ds_store_b64 v41, v[15:16]
	ds_store_b64 v42, v[17:18]
	ds_store_b64 v43, v[39:40]
	; wave barrier
	s_wait_loadcnt_dscnt 0x0
	global_inv scope:SCOPE_SE
	s_and_b32 vcc_lo, exec_lo, s8
	s_wait_alu 0xfffe
	s_cbranch_vccnz .LBB268_33
	s_branch .LBB268_44
.LBB268_32:
                                        ; implicit-def: $vgpr12
	s_cbranch_execz .LBB268_44
.LBB268_33:
	v_xor_b32_e32 v12, 1, v35
	v_xor_b32_e32 v13, 1, v38
	v_and_b32_e32 v19, 3, v33
	v_xor_b32_e32 v14, 1, v37
	v_xor_b32_e32 v15, 1, v36
	v_and_b32_e32 v12, 0xff, v12
	v_and_b32_e32 v13, 0xff, v13
	v_cmp_eq_u32_e32 vcc_lo, 3, v19
	v_and_b32_e32 v58, 28, v33
	v_and_b32_e32 v14, 0xff, v14
	v_cmp_eq_u32_e64 s6, 0, v19
	v_cmp_eq_u32_e64 s5, 1, v19
	;; [unrolled: 1-line block ×3, first 2 shown]
	ds_bpermute_b32 v16, v58, v12
	ds_bpermute_b32 v17, v58, v13
	;; [unrolled: 1-line block ×3, first 2 shown]
	s_wait_alu 0xf1ff
	v_cndmask_b32_e64 v37, 0, 1, s6
	ds_bpermute_b32 v36, v58, v12 offset:32
	s_getpc_b64 s[8:9]
	s_wait_alu 0xfffe
	s_sext_i32_i16 s9, s9
	s_add_co_u32 s8, s8, _ZN7rocprim17ROCPRIM_400000_NS16block_radix_sortIbLj32ELj4ElLj1ELj1ELj0ELNS0_26block_radix_rank_algorithmE1ELNS0_18block_padding_hintE2ELNS0_4arch9wavefront6targetE0EE19radix_bits_per_passE@rel32@lo+12
	s_wait_alu 0xfffe
	s_add_co_ci_u32 s9, s9, _ZN7rocprim17ROCPRIM_400000_NS16block_radix_sortIbLj32ELj4ElLj1ELj1ELj0ELNS0_26block_radix_rank_algorithmE1ELNS0_18block_padding_hintE2ELNS0_4arch9wavefront6targetE0EE19radix_bits_per_passE@rel32@hi+24
	s_wait_loadcnt_dscnt 0x0
	s_load_b32 s8, s[8:9], 0x0
	; wave barrier
	global_inv scope:SCOPE_SE
	s_load_b32 s7, s[18:19], 0xc
	v_and_b32_e32 v16, v37, v16
	v_and_b32_e32 v17, 1, v17
	;; [unrolled: 1-line block ×3, first 2 shown]
	s_delay_alu instid0(VALU_DEP_2)
	v_cndmask_b32_e64 v16, v16, v17, s5
	s_wait_kmcnt 0x0
	s_min_u32 s8, s8, 8
	s_wait_alu 0xfffe
	s_lshl_b32 s8, -1, s8
	v_cndmask_b32_e64 v16, v16, v18, s4
	v_and_b32_e32 v15, 0xffff, v15
	ds_bpermute_b32 v18, v58, v13 offset:32
	s_wait_alu 0xfffe
	s_not_b32 s9, s8
	s_lshr_b32 s8, s7, 16
	ds_bpermute_b32 v35, v58, v15
	s_wait_alu 0xfffe
	v_mad_u32_u24 v0, v0, s8, v34
	s_and_b32 s8, s7, 0xffff
	s_wait_dscnt 0x1
	v_and_b32_e32 v18, 1, v18
	s_wait_dscnt 0x0
	v_and_b32_e32 v17, 1, v35
	v_and_b32_e32 v35, 1, v36
	s_delay_alu instid0(VALU_DEP_3) | instskip(NEXT) | instid1(VALU_DEP_3)
	v_lshlrev_b16 v18, 8, v18
	v_cndmask_b32_e32 v16, v16, v17, vcc_lo
	s_delay_alu instid0(VALU_DEP_3) | instskip(NEXT) | instid1(VALU_DEP_2)
	v_lshlrev_b16 v17, 8, v35
	v_and_b32_e32 v19, 1, v16
	s_delay_alu instid0(VALU_DEP_1) | instskip(NEXT) | instid1(VALU_DEP_1)
	v_or_b32_e32 v17, v19, v17
	v_and_b32_e32 v17, 0xffff, v17
	s_delay_alu instid0(VALU_DEP_1) | instskip(SKIP_2) | instid1(VALU_DEP_1)
	v_cndmask_b32_e64 v16, v16, v17, s6
	ds_bpermute_b32 v17, v58, v14 offset:32
	v_and_b32_e32 v19, 0xff, v16
	v_or_b32_e32 v18, v19, v18
	s_delay_alu instid0(VALU_DEP_1) | instskip(NEXT) | instid1(VALU_DEP_1)
	v_and_b32_e32 v18, 0xffff, v18
	v_and_or_b32 v18, 0xffff0000, v16, v18
	s_wait_dscnt 0x0
	v_and_b32_e32 v17, 1, v17
	s_delay_alu instid0(VALU_DEP_2) | instskip(SKIP_3) | instid1(VALU_DEP_1)
	v_cndmask_b32_e64 v16, v16, v18, s5
	ds_bpermute_b32 v18, v58, v15 offset:32
	v_lshlrev_b16 v17, 8, v17
	v_and_b32_e32 v19, 0xff, v16
	v_or_b32_e32 v17, v19, v17
	s_delay_alu instid0(VALU_DEP_1) | instskip(NEXT) | instid1(VALU_DEP_1)
	v_and_b32_e32 v17, 0xffff, v17
	v_and_or_b32 v17, 0xffff0000, v16, v17
	s_wait_dscnt 0x0
	v_and_b32_e32 v18, 1, v18
	s_delay_alu instid0(VALU_DEP_2) | instskip(NEXT) | instid1(VALU_DEP_2)
	v_cndmask_b32_e64 v16, v16, v17, s4
	v_lshlrev_b16 v17, 8, v18
	s_delay_alu instid0(VALU_DEP_2) | instskip(NEXT) | instid1(VALU_DEP_1)
	v_and_b32_e32 v18, 0xff, v16
	v_or_b32_e32 v17, v18, v17
	ds_bpermute_b32 v18, v58, v12 offset:64
	ds_bpermute_b32 v12, v58, v12 offset:96
	v_and_b32_e32 v17, 0xffff, v17
	s_delay_alu instid0(VALU_DEP_1) | instskip(NEXT) | instid1(VALU_DEP_1)
	v_and_or_b32 v17, 0xffff0000, v16, v17
	v_cndmask_b32_e32 v16, v16, v17, vcc_lo
	s_delay_alu instid0(VALU_DEP_1)
	v_lshrrev_b32_e32 v17, 16, v16
	s_wait_dscnt 0x1
	v_and_b32_e32 v18, 1, v18
	s_wait_dscnt 0x0
	v_and_b32_e32 v12, 1, v12
	v_and_b32_e32 v17, 0xffffff00, v17
	s_delay_alu instid0(VALU_DEP_2) | instskip(NEXT) | instid1(VALU_DEP_2)
	v_lshlrev_b16 v12, 8, v12
	v_or_b32_e32 v17, v18, v17
	ds_bpermute_b32 v18, v58, v13 offset:64
	ds_bpermute_b32 v13, v58, v13 offset:96
	v_lshlrev_b32_e32 v17, 16, v17
	s_delay_alu instid0(VALU_DEP_1) | instskip(NEXT) | instid1(VALU_DEP_1)
	v_and_or_b32 v17, 0xffff, v16, v17
	v_cndmask_b32_e64 v16, v16, v17, s6
	s_delay_alu instid0(VALU_DEP_1)
	v_lshrrev_b32_e32 v17, 16, v16
	s_wait_dscnt 0x1
	v_and_b32_e32 v18, 1, v18
	s_wait_dscnt 0x0
	v_and_b32_e32 v13, 1, v13
	v_and_b32_e32 v17, 0xffffff00, v17
	s_delay_alu instid0(VALU_DEP_2) | instskip(NEXT) | instid1(VALU_DEP_2)
	v_lshlrev_b16 v13, 8, v13
	v_or_b32_e32 v17, v18, v17
	ds_bpermute_b32 v18, v58, v14 offset:64
	ds_bpermute_b32 v14, v58, v14 offset:96
	v_lshlrev_b32_e32 v17, 16, v17
	s_delay_alu instid0(VALU_DEP_1) | instskip(NEXT) | instid1(VALU_DEP_1)
	v_and_or_b32 v17, 0xffff, v16, v17
	v_cndmask_b32_e64 v16, v16, v17, s5
	s_delay_alu instid0(VALU_DEP_1) | instskip(SKIP_2) | instid1(VALU_DEP_2)
	v_lshrrev_b32_e32 v17, 16, v16
	s_wait_dscnt 0x1
	v_and_b32_e32 v18, 1, v18
	v_and_b32_e32 v17, 0xffffff00, v17
	s_delay_alu instid0(VALU_DEP_1) | instskip(SKIP_3) | instid1(VALU_DEP_1)
	v_or_b32_e32 v17, v18, v17
	ds_bpermute_b32 v18, v58, v15 offset:64
	ds_bpermute_b32 v15, v58, v15 offset:96
	v_lshlrev_b32_e32 v17, 16, v17
	v_and_or_b32 v17, 0xffff, v16, v17
	s_delay_alu instid0(VALU_DEP_1) | instskip(NEXT) | instid1(VALU_DEP_1)
	v_cndmask_b32_e64 v16, v16, v17, s4
	v_lshrrev_b32_e32 v17, 16, v16
	s_wait_dscnt 0x1
	v_and_b32_e32 v18, 1, v18
	s_delay_alu instid0(VALU_DEP_2) | instskip(NEXT) | instid1(VALU_DEP_1)
	v_and_b32_e32 v17, 0xffffff00, v17
	v_or_b32_e32 v17, v18, v17
	s_delay_alu instid0(VALU_DEP_1) | instskip(NEXT) | instid1(VALU_DEP_1)
	v_lshlrev_b32_e32 v17, 16, v17
	v_and_or_b32 v17, 0xffff, v16, v17
	s_delay_alu instid0(VALU_DEP_1) | instskip(NEXT) | instid1(VALU_DEP_1)
	v_cndmask_b32_e32 v16, v16, v17, vcc_lo
	v_lshrrev_b32_e32 v17, 16, v16
	s_delay_alu instid0(VALU_DEP_1) | instskip(NEXT) | instid1(VALU_DEP_1)
	v_and_b32_e32 v17, 0xff, v17
	v_or_b32_e32 v12, v17, v12
	s_delay_alu instid0(VALU_DEP_1) | instskip(NEXT) | instid1(VALU_DEP_1)
	v_lshlrev_b32_e32 v12, 16, v12
	v_and_or_b32 v12, 0xffff, v16, v12
	s_delay_alu instid0(VALU_DEP_1) | instskip(NEXT) | instid1(VALU_DEP_1)
	v_cndmask_b32_e64 v12, v16, v12, s6
	v_lshrrev_b32_e32 v16, 16, v12
	s_delay_alu instid0(VALU_DEP_1) | instskip(NEXT) | instid1(VALU_DEP_1)
	v_and_b32_e32 v16, 0xff, v16
	v_or_b32_e32 v13, v16, v13
	s_delay_alu instid0(VALU_DEP_1) | instskip(NEXT) | instid1(VALU_DEP_1)
	v_lshlrev_b32_e32 v13, 16, v13
	v_and_or_b32 v13, 0xffff, v12, v13
	s_delay_alu instid0(VALU_DEP_1) | instskip(SKIP_1) | instid1(VALU_DEP_2)
	v_cndmask_b32_e64 v12, v12, v13, s5
	v_and_b32_e32 v13, 1, v14
	v_lshrrev_b32_e32 v14, 16, v12
	s_delay_alu instid0(VALU_DEP_2) | instskip(NEXT) | instid1(VALU_DEP_2)
	v_lshlrev_b16 v13, 8, v13
	v_and_b32_e32 v14, 0xff, v14
	s_delay_alu instid0(VALU_DEP_1) | instskip(NEXT) | instid1(VALU_DEP_1)
	v_or_b32_e32 v13, v14, v13
	v_lshlrev_b32_e32 v13, 16, v13
	s_delay_alu instid0(VALU_DEP_1) | instskip(NEXT) | instid1(VALU_DEP_1)
	v_and_or_b32 v13, 0xffff, v12, v13
	v_cndmask_b32_e64 v35, v12, v13, s4
	s_wait_dscnt 0x0
	v_and_b32_e32 v12, 1, v15
	s_delay_alu instid0(VALU_DEP_2) | instskip(NEXT) | instid1(VALU_DEP_2)
	v_lshrrev_b32_e32 v13, 16, v35
	v_lshlrev_b16 v12, 8, v12
	s_delay_alu instid0(VALU_DEP_2) | instskip(NEXT) | instid1(VALU_DEP_1)
	v_and_b32_e32 v13, 0xff, v13
	v_or_b32_e32 v16, v13, v12
	s_delay_alu instid0(VALU_DEP_1) | instskip(NEXT) | instid1(VALU_DEP_1)
	v_lshlrev_b32_e32 v16, 16, v16
	v_and_or_b32 v40, 0xffff, v35, v16
	s_delay_alu instid0(VALU_DEP_1)
	v_cndmask_b32_e32 v45, v35, v40, vcc_lo
	ds_bpermute_b32 v12, v58, v3
	ds_bpermute_b32 v41, v58, v5
	;; [unrolled: 1-line block ×3, first 2 shown]
	ds_bpermute_b32 v47, v58, v5 offset:32
	v_and_b32_e32 v35, s9, v45
	ds_bpermute_b32 v48, v58, v6 offset:32
	ds_bpermute_b32 v54, v58, v5 offset:64
	;; [unrolled: 1-line block ×4, first 2 shown]
	v_and_b32_e32 v59, 0xff, v35
	ds_bpermute_b32 v57, v58, v6 offset:96
	ds_bpermute_b32 v18, v58, v7
	ds_bpermute_b32 v19, v58, v8
	ds_bpermute_b32 v14, v58, v1
	v_add_co_u32 v51, s11, v59, -1
	s_wait_alu 0xf1ff
	v_cndmask_b32_e64 v50, 0, 1, s11
	ds_bpermute_b32 v15, v58, v2
	ds_bpermute_b32 v13, v58, v4
	ds_bpermute_b32 v38, v58, v7 offset:32
	s_wait_dscnt 0xe
	s_wait_alu 0xfffe
	v_mad_co_u64_u32 v[5:6], null, v0, s8, v[11:12]
	v_cmp_ne_u32_e64 s7, 0, v50
	ds_bpermute_b32 v39, v58, v8 offset:32
	ds_bpermute_b32 v36, v58, v1 offset:32
	;; [unrolled: 1-line block ×4, first 2 shown]
	s_wait_alu 0xf1ff
	v_xor_b32_e32 v0, s7, v51
	ds_bpermute_b32 v17, v58, v4 offset:32
	ds_bpermute_b32 v46, v58, v7 offset:64
	;; [unrolled: 1-line block ×13, first 2 shown]
	v_and_b32_e32 v1, exec_lo, v0
	v_lshrrev_b32_e32 v2, 3, v5
	v_mov_b32_e32 v3, 0
	ds_store_2addr_b32 v32, v3, v3 offset0:1 offset1:2
	ds_store_2addr_b32 v32, v3, v3 offset0:3 offset1:4
	ds_store_2addr_b32 v32, v3, v3 offset0:5 offset1:6
	ds_store_2addr_b32 v32, v3, v3 offset0:7 offset1:8
	v_mbcnt_lo_u32_b32 v58, v1, 0
	v_and_b32_e32 v0, 0x1ffffffc, v2
	v_cmp_ne_u32_e64 s8, 0, v1
	; wave barrier
	s_wait_loadcnt_dscnt 0x0
	global_inv scope:SCOPE_SE
	v_cmp_eq_u32_e64 s7, 0, v58
	v_lshl_add_u32 v60, v59, 2, v0
	; wave barrier
	s_and_b32 s8, s8, s7
	s_wait_alu 0xfffe
	s_and_saveexec_b32 s7, s8
; %bb.34:
	v_bcnt_u32_b32 v1, v1, 0
	ds_store_b32 v60, v1 offset:4
; %bb.35:
	s_wait_alu 0xfffe
	s_or_b32 exec_lo, exec_lo, s7
	v_lshrrev_b32_e32 v59, 8, v45
	; wave barrier
	s_delay_alu instid0(VALU_DEP_1) | instskip(NEXT) | instid1(VALU_DEP_1)
	v_and_b32_e32 v1, s9, v59
	v_and_b32_e32 v1, 0xff, v1
	s_delay_alu instid0(VALU_DEP_1) | instskip(SKIP_3) | instid1(VALU_DEP_2)
	v_add_co_u32 v2, s7, v1, -1
	s_wait_alu 0xf1ff
	v_cndmask_b32_e64 v3, 0, 1, s7
	v_lshl_add_u32 v63, v1, 2, v0
	v_cmp_ne_u32_e64 s7, 0, v3
	ds_load_b32 v61, v63 offset:4
	; wave barrier
	s_wait_alu 0xf1ff
	v_xor_b32_e32 v1, s7, v2
	s_delay_alu instid0(VALU_DEP_1) | instskip(NEXT) | instid1(VALU_DEP_1)
	v_and_b32_e32 v1, exec_lo, v1
	v_mbcnt_lo_u32_b32 v62, v1, 0
	v_cmp_ne_u32_e64 s8, 0, v1
	s_delay_alu instid0(VALU_DEP_2)
	v_cmp_eq_u32_e64 s7, 0, v62
	s_and_b32 s8, s8, s7
	s_wait_alu 0xfffe
	s_and_saveexec_b32 s7, s8
	s_cbranch_execz .LBB268_37
; %bb.36:
	s_wait_dscnt 0x0
	v_bcnt_u32_b32 v1, v1, v61
	ds_store_b32 v63, v1 offset:4
.LBB268_37:
	s_wait_alu 0xfffe
	s_or_b32 exec_lo, exec_lo, s7
	v_lshrrev_b32_e32 v64, 16, v45
	; wave barrier
	s_delay_alu instid0(VALU_DEP_1) | instskip(NEXT) | instid1(VALU_DEP_1)
	v_and_b32_e32 v1, s9, v64
	v_and_b32_e32 v1, 0xff, v1
	s_delay_alu instid0(VALU_DEP_1) | instskip(SKIP_3) | instid1(VALU_DEP_2)
	v_add_co_u32 v2, s7, v1, -1
	s_wait_alu 0xf1ff
	v_cndmask_b32_e64 v3, 0, 1, s7
	v_lshl_add_u32 v67, v1, 2, v0
	v_cmp_ne_u32_e64 s7, 0, v3
	ds_load_b32 v65, v67 offset:4
	; wave barrier
	s_wait_alu 0xf1ff
	v_xor_b32_e32 v1, s7, v2
	s_delay_alu instid0(VALU_DEP_1) | instskip(NEXT) | instid1(VALU_DEP_1)
	v_and_b32_e32 v1, exec_lo, v1
	v_mbcnt_lo_u32_b32 v66, v1, 0
	v_cmp_ne_u32_e64 s8, 0, v1
	s_delay_alu instid0(VALU_DEP_2)
	v_cmp_eq_u32_e64 s7, 0, v66
	s_and_b32 s8, s8, s7
	s_wait_alu 0xfffe
	s_and_saveexec_b32 s7, s8
	s_cbranch_execz .LBB268_39
; %bb.38:
	s_wait_dscnt 0x0
	v_bcnt_u32_b32 v1, v1, v65
	ds_store_b32 v67, v1 offset:4
.LBB268_39:
	s_wait_alu 0xfffe
	s_or_b32 exec_lo, exec_lo, s7
	v_lshrrev_b32_e32 v68, 24, v45
	; wave barrier
	s_delay_alu instid0(VALU_DEP_1) | instskip(NEXT) | instid1(VALU_DEP_1)
	v_and_b32_e32 v1, s9, v68
	v_add_co_u32 v2, s7, v1, -1
	s_wait_alu 0xf1ff
	v_cndmask_b32_e64 v3, 0, 1, s7
	v_lshl_add_u32 v71, v1, 2, v0
	s_delay_alu instid0(VALU_DEP_2) | instskip(SKIP_3) | instid1(VALU_DEP_1)
	v_cmp_ne_u32_e64 s7, 0, v3
	ds_load_b32 v69, v71 offset:4
	; wave barrier
	s_wait_alu 0xf1ff
	v_xor_b32_e32 v0, s7, v2
	v_and_b32_e32 v0, exec_lo, v0
	s_delay_alu instid0(VALU_DEP_1) | instskip(SKIP_1) | instid1(VALU_DEP_2)
	v_mbcnt_lo_u32_b32 v70, v0, 0
	v_cmp_ne_u32_e64 s8, 0, v0
	v_cmp_eq_u32_e64 s7, 0, v70
	s_and_b32 s8, s8, s7
	s_wait_alu 0xfffe
	s_and_saveexec_b32 s7, s8
	s_cbranch_execz .LBB268_41
; %bb.40:
	s_wait_dscnt 0x0
	v_bcnt_u32_b32 v0, v0, v69
	ds_store_b32 v71, v0 offset:4
.LBB268_41:
	s_wait_alu 0xfffe
	s_or_b32 exec_lo, exec_lo, s7
	; wave barrier
	; wave barrier
	s_wait_loadcnt_dscnt 0x0
	global_inv scope:SCOPE_SE
	ds_load_2addr_b32 v[6:7], v32 offset0:1 offset1:2
	ds_load_2addr_b32 v[4:5], v32 offset0:3 offset1:4
	;; [unrolled: 1-line block ×4, first 2 shown]
	s_mov_b32 s8, exec_lo
	s_wait_dscnt 0x3
	v_add_nc_u32_e32 v72, v7, v6
	s_wait_dscnt 0x2
	s_delay_alu instid0(VALU_DEP_1) | instskip(SKIP_1) | instid1(VALU_DEP_1)
	v_add3_u32 v72, v72, v4, v5
	s_wait_dscnt 0x1
	v_add3_u32 v72, v72, v2, v3
	s_wait_dscnt 0x0
	s_delay_alu instid0(VALU_DEP_1) | instskip(SKIP_1) | instid1(VALU_DEP_2)
	v_add3_u32 v1, v72, v0, v1
	v_and_b32_e32 v72, 15, v33
	v_mov_b32_dpp v73, v1 row_shr:1 row_mask:0xf bank_mask:0xf
	s_delay_alu instid0(VALU_DEP_2) | instskip(SKIP_1) | instid1(VALU_DEP_1)
	v_cmp_ne_u32_e64 s7, 0, v72
	s_wait_alu 0xf1ff
	v_cndmask_b32_e64 v73, 0, v73, s7
	v_cmp_lt_u32_e64 s7, 1, v72
	s_delay_alu instid0(VALU_DEP_2) | instskip(NEXT) | instid1(VALU_DEP_1)
	v_add_nc_u32_e32 v1, v73, v1
	v_mov_b32_dpp v73, v1 row_shr:2 row_mask:0xf bank_mask:0xf
	s_wait_alu 0xf1ff
	s_delay_alu instid0(VALU_DEP_1) | instskip(SKIP_1) | instid1(VALU_DEP_2)
	v_cndmask_b32_e64 v73, 0, v73, s7
	v_cmp_lt_u32_e64 s7, 3, v72
	v_add_nc_u32_e32 v1, v1, v73
	s_delay_alu instid0(VALU_DEP_1) | instskip(SKIP_1) | instid1(VALU_DEP_1)
	v_mov_b32_dpp v73, v1 row_shr:4 row_mask:0xf bank_mask:0xf
	s_wait_alu 0xf1ff
	v_cndmask_b32_e64 v73, 0, v73, s7
	v_cmp_lt_u32_e64 s7, 7, v72
	s_delay_alu instid0(VALU_DEP_2) | instskip(NEXT) | instid1(VALU_DEP_1)
	v_add_nc_u32_e32 v1, v1, v73
	v_mov_b32_dpp v73, v1 row_shr:8 row_mask:0xf bank_mask:0xf
	s_wait_alu 0xf1ff
	s_delay_alu instid0(VALU_DEP_1) | instskip(SKIP_1) | instid1(VALU_DEP_2)
	v_cndmask_b32_e64 v72, 0, v73, s7
	v_bfe_i32 v73, v33, 4, 1
	v_add_nc_u32_e32 v1, v1, v72
	ds_swizzle_b32 v72, v1 offset:swizzle(BROADCAST,32,15)
	s_wait_dscnt 0x0
	v_and_b32_e32 v72, v73, v72
	s_delay_alu instid0(VALU_DEP_1)
	v_add_nc_u32_e32 v1, v1, v72
	v_cmpx_eq_u32_e32 31, v11
; %bb.42:
	v_mov_b32_e32 v72, 0
	ds_store_b32 v72, v1
; %bb.43:
	s_wait_alu 0xfffe
	s_or_b32 exec_lo, exec_lo, s8
	v_sub_co_u32 v72, s8, v33, 1
	; wave barrier
	s_wait_loadcnt_dscnt 0x0
	global_inv scope:SCOPE_SE
	v_cmp_gt_i32_e64 s7, 0, v72
	s_wait_alu 0xf1ff
	s_delay_alu instid0(VALU_DEP_1) | instskip(SKIP_2) | instid1(VALU_DEP_3)
	v_cndmask_b32_e64 v33, v72, v33, s7
	v_cmp_eq_u32_e64 s7, 0, v11
	v_cndmask_b32_e64 v11, 0, v54, s6
	v_lshlrev_b32_e32 v33, 2, v33
	s_or_b32 s7, s7, s8
	ds_bpermute_b32 v1, v33, v1
	v_cndmask_b32_e64 v33, 0, v56, s6
	s_wait_dscnt 0x0
	s_wait_alu 0xfffe
	v_cndmask_b32_e64 v1, v1, 0, s7
	s_delay_alu instid0(VALU_DEP_1) | instskip(NEXT) | instid1(VALU_DEP_1)
	v_add_nc_u32_e32 v6, v1, v6
	v_add_nc_u32_e32 v7, v6, v7
	s_delay_alu instid0(VALU_DEP_1) | instskip(NEXT) | instid1(VALU_DEP_1)
	v_add_nc_u32_e32 v4, v7, v4
	v_add_nc_u32_e32 v5, v4, v5
	;; [unrolled: 3-line block ×3, first 2 shown]
	s_delay_alu instid0(VALU_DEP_1)
	v_add_nc_u32_e32 v0, v3, v0
	ds_store_2addr_b32 v32, v1, v6 offset0:1 offset1:2
	ds_store_2addr_b32 v32, v7, v4 offset0:3 offset1:4
	;; [unrolled: 1-line block ×4, first 2 shown]
	; wave barrier
	s_wait_loadcnt_dscnt 0x0
	global_inv scope:SCOPE_SE
	ds_load_b32 v0, v60 offset:4
	ds_load_b32 v1, v63 offset:4
	;; [unrolled: 1-line block ×4, first 2 shown]
	v_cndmask_b32_e64 v5, 0, v42, s6
	v_cndmask_b32_e64 v6, 0, v47, s6
	;; [unrolled: 1-line block ×3, first 2 shown]
	; wave barrier
	s_wait_loadcnt_dscnt 0x0
	global_inv scope:SCOPE_SE
	v_cndmask_b32_e64 v4, 0, v41, s6
	v_cndmask_b32_e64 v41, 0, v57, s6
	;; [unrolled: 1-line block ×3, first 2 shown]
	v_add_nc_u32_e32 v42, v0, v58
	v_add3_u32 v47, v62, v61, v1
	v_add3_u32 v48, v66, v65, v2
	;; [unrolled: 1-line block ×3, first 2 shown]
	ds_store_b8 v42, v45
	ds_store_b8 v47, v59
	;; [unrolled: 1-line block ×4, first 2 shown]
	; wave barrier
	s_wait_loadcnt_dscnt 0x0
	global_inv scope:SCOPE_SE
	ds_load_b32 v31, v31
	v_cndmask_b32_e64 v0, v5, v19, s5
	v_cndmask_b32_e64 v1, v4, v18, s5
	;; [unrolled: 1-line block ×13, first 2 shown]
	v_dual_cndmask_b32 v1, v0, v13 :: v_dual_cndmask_b32 v0, v11, v12
	v_cndmask_b32_e64 v4, v32, v49, s5
	s_delay_alu instid0(VALU_DEP_4)
	v_cndmask_b32_e32 v3, v2, v17, vcc_lo
	v_cndmask_b32_e32 v2, v14, v16, vcc_lo
	v_cndmask_b32_e64 v15, v5, v43, s4
	s_wait_dscnt 0x0
	v_lshrrev_b32_e32 v7, 16, v31
	v_and_b32_e32 v11, 0xffffff00, v31
	v_xor_b32_e32 v12, 1, v31
	v_cndmask_b32_e64 v4, v4, v44, s4
	s_wait_loadcnt 0x0
	v_and_b32_e32 v13, 0xffffff00, v7
	v_xor_b32_e32 v7, 1, v7
	v_and_b32_e32 v12, 0xff, v12
	v_dual_cndmask_b32 v5, v4, v40 :: v_dual_cndmask_b32 v4, v15, v35
	v_lshlrev_b32_e32 v15, 3, v54
	v_xor_b32_e32 v13, 0x100, v13
	v_dual_cndmask_b32 v7, v6, v34 :: v_dual_and_b32 v14, 0xff, v7
	v_cndmask_b32_e32 v6, v18, v8, vcc_lo
	v_xor_b32_e32 v11, 0x100, v11
	v_lshlrev_b32_e32 v8, 3, v42
	; wave barrier
	global_inv scope:SCOPE_SE
	v_or_b32_e32 v11, v12, v11
	v_or_b32_e32 v12, v14, v13
	v_lshlrev_b32_e32 v14, 3, v48
	v_lshlrev_b32_e32 v13, 3, v47
	ds_store_b64 v8, v[0:1]
	ds_store_b64 v13, v[2:3]
	v_and_b32_e32 v11, 0xffff, v11
	v_lshlrev_b32_e32 v12, 16, v12
	ds_store_b64 v14, v[4:5]
	ds_store_b64 v15, v[6:7]
	; wave barrier
	s_wait_loadcnt_dscnt 0x0
	global_inv scope:SCOPE_SE
	v_or_b32_e32 v12, v11, v12
.LBB268_44:
	ds_load_b128 v[0:3], v10
	ds_load_b128 v[4:7], v10 offset:16
	; wave barrier
	s_wait_loadcnt_dscnt 0x0
	global_inv scope:SCOPE_SE
	ds_store_b32 v25, v12
	; wave barrier
	s_wait_loadcnt_dscnt 0x0
	global_inv scope:SCOPE_SE
	ds_load_u8 v13, v22 offset:32
	ds_load_u8 v12, v23 offset:64
	;; [unrolled: 1-line block ×3, first 2 shown]
	v_add_co_u32 v10, s4, s14, v20
	s_wait_alu 0xf1ff
	v_add_co_ci_u32_e64 v11, null, s15, 0, s4
	s_and_saveexec_b32 s4, s0
	s_cbranch_execnz .LBB268_55
; %bb.45:
	s_wait_alu 0xfffe
	s_or_b32 exec_lo, exec_lo, s4
	s_and_saveexec_b32 s4, s3
	s_cbranch_execnz .LBB268_56
.LBB268_46:
	s_wait_alu 0xfffe
	s_or_b32 exec_lo, exec_lo, s4
	s_and_saveexec_b32 s4, s1
	s_cbranch_execnz .LBB268_57
.LBB268_47:
	s_wait_alu 0xfffe
	s_or_b32 exec_lo, exec_lo, s4
	s_and_saveexec_b32 s4, s2
	s_cbranch_execz .LBB268_49
.LBB268_48:
	s_mul_i32 s5, s10, 0x60
	s_wait_alu 0xfffe
	v_add_co_u32 v10, vcc_lo, v10, s5
	s_wait_alu 0xfffd
	v_add_co_ci_u32_e64 v11, null, 0, v11, vcc_lo
	s_wait_dscnt 0x0
	global_store_b8 v[10:11], v8, off
.LBB268_49:
	s_wait_alu 0xfffe
	s_or_b32 exec_lo, exec_lo, s4
	s_wait_storecnt 0x0
	; wave barrier
	s_wait_loadcnt_dscnt 0x0
	global_inv scope:SCOPE_SE
	ds_store_2addr_b64 v30, v[0:1], v[2:3] offset1:1
	ds_store_2addr_b64 v30, v[4:5], v[6:7] offset0:2 offset1:3
	; wave barrier
	s_wait_loadcnt_dscnt 0x0
	global_inv scope:SCOPE_SE
	ds_load_b64 v[6:7], v27 offset:256
	ds_load_b64 v[4:5], v28 offset:512
	;; [unrolled: 1-line block ×3, first 2 shown]
	v_mov_b32_e32 v10, 0
	s_delay_alu instid0(VALU_DEP_1) | instskip(NEXT) | instid1(VALU_DEP_1)
	v_lshlrev_b64_e32 v[2:3], 3, v[9:10]
	v_add_co_u32 v2, vcc_lo, s16, v2
	s_wait_alu 0xfffd
	s_delay_alu instid0(VALU_DEP_2)
	v_add_co_ci_u32_e64 v3, null, s17, v3, vcc_lo
	s_and_saveexec_b32 s4, s0
	s_cbranch_execnz .LBB268_58
; %bb.50:
	s_wait_alu 0xfffe
	s_or_b32 exec_lo, exec_lo, s4
	s_and_saveexec_b32 s0, s3
	s_cbranch_execnz .LBB268_59
.LBB268_51:
	s_or_b32 exec_lo, exec_lo, s0
	s_and_saveexec_b32 s0, s1
	s_cbranch_execnz .LBB268_60
.LBB268_52:
	s_or_b32 exec_lo, exec_lo, s0
	s_and_saveexec_b32 s0, s2
	s_cbranch_execz .LBB268_54
.LBB268_53:
	s_mul_i32 s0, s12, 0x60
	s_mov_b32 s1, 0
	s_delay_alu instid0(SALU_CYCLE_1) | instskip(NEXT) | instid1(SALU_CYCLE_1)
	s_lshl_b64 s[0:1], s[0:1], 3
	v_add_co_u32 v2, vcc_lo, v2, s0
	s_wait_alu 0xfffd
	v_add_co_ci_u32_e64 v3, null, s1, v3, vcc_lo
	s_wait_dscnt 0x0
	global_store_b64 v[2:3], v[0:1], off
.LBB268_54:
	s_endpgm
.LBB268_55:
	ds_load_u8 v14, v21
	s_wait_dscnt 0x0
	global_store_b8 v[10:11], v14, off
	s_wait_alu 0xfffe
	s_or_b32 exec_lo, exec_lo, s4
	s_and_saveexec_b32 s4, s3
	s_cbranch_execz .LBB268_46
.LBB268_56:
	s_lshl_b32 s5, s10, 5
	s_wait_alu 0xfffe
	v_add_co_u32 v14, vcc_lo, v10, s5
	s_wait_alu 0xfffd
	v_add_co_ci_u32_e64 v15, null, 0, v11, vcc_lo
	s_wait_dscnt 0x2
	global_store_b8 v[14:15], v13, off
	s_or_b32 exec_lo, exec_lo, s4
	s_and_saveexec_b32 s4, s1
	s_cbranch_execz .LBB268_47
.LBB268_57:
	s_lshl_b32 s5, s10, 6
	s_wait_dscnt 0x2
	s_wait_alu 0xfffe
	v_add_co_u32 v13, vcc_lo, v10, s5
	s_wait_alu 0xfffd
	v_add_co_ci_u32_e64 v14, null, 0, v11, vcc_lo
	s_wait_dscnt 0x1
	global_store_b8 v[13:14], v12, off
	s_or_b32 exec_lo, exec_lo, s4
	s_and_saveexec_b32 s4, s2
	s_cbranch_execnz .LBB268_48
	s_branch .LBB268_49
.LBB268_58:
	ds_load_b64 v[8:9], v26
	s_wait_dscnt 0x0
	global_store_b64 v[2:3], v[8:9], off
	s_wait_alu 0xfffe
	s_or_b32 exec_lo, exec_lo, s4
	s_and_saveexec_b32 s0, s3
	s_cbranch_execz .LBB268_51
.LBB268_59:
	s_lshl_b32 s4, s12, 5
	s_mov_b32 s5, 0
	s_wait_alu 0xfffe
	s_lshl_b64 s[4:5], s[4:5], 3
	s_wait_alu 0xfffe
	v_add_co_u32 v8, vcc_lo, v2, s4
	s_wait_alu 0xfffd
	v_add_co_ci_u32_e64 v9, null, s5, v3, vcc_lo
	s_wait_dscnt 0x2
	global_store_b64 v[8:9], v[6:7], off
	s_or_b32 exec_lo, exec_lo, s0
	s_and_saveexec_b32 s0, s1
	s_cbranch_execz .LBB268_52
.LBB268_60:
	s_lshl_b32 s4, s12, 6
	s_mov_b32 s5, 0
	s_wait_alu 0xfffe
	s_lshl_b64 s[4:5], s[4:5], 3
	s_wait_dscnt 0x2
	s_wait_alu 0xfffe
	v_add_co_u32 v6, vcc_lo, v2, s4
	s_wait_alu 0xfffd
	v_add_co_ci_u32_e64 v7, null, s5, v3, vcc_lo
	s_wait_dscnt 0x1
	global_store_b64 v[6:7], v[4:5], off
	s_or_b32 exec_lo, exec_lo, s0
	s_and_saveexec_b32 s0, s2
	s_cbranch_execnz .LBB268_53
	s_branch .LBB268_54
	.section	.rodata,"a",@progbits
	.p2align	6, 0x0
	.amdhsa_kernel _ZN2at6native18radixSortKVInPlaceILi2ELin1ELi32ELi4EbljEEvNS_4cuda6detail10TensorInfoIT3_T5_EES6_S6_S6_NS4_IT4_S6_EES6_b
		.amdhsa_group_segment_fixed_size 1056
		.amdhsa_private_segment_fixed_size 0
		.amdhsa_kernarg_size 712
		.amdhsa_user_sgpr_count 2
		.amdhsa_user_sgpr_dispatch_ptr 0
		.amdhsa_user_sgpr_queue_ptr 0
		.amdhsa_user_sgpr_kernarg_segment_ptr 1
		.amdhsa_user_sgpr_dispatch_id 0
		.amdhsa_user_sgpr_private_segment_size 0
		.amdhsa_wavefront_size32 1
		.amdhsa_uses_dynamic_stack 0
		.amdhsa_enable_private_segment 0
		.amdhsa_system_sgpr_workgroup_id_x 1
		.amdhsa_system_sgpr_workgroup_id_y 1
		.amdhsa_system_sgpr_workgroup_id_z 1
		.amdhsa_system_sgpr_workgroup_info 0
		.amdhsa_system_vgpr_workitem_id 2
		.amdhsa_next_free_vgpr 88
		.amdhsa_next_free_sgpr 24
		.amdhsa_reserve_vcc 1
		.amdhsa_float_round_mode_32 0
		.amdhsa_float_round_mode_16_64 0
		.amdhsa_float_denorm_mode_32 3
		.amdhsa_float_denorm_mode_16_64 3
		.amdhsa_fp16_overflow 0
		.amdhsa_workgroup_processor_mode 1
		.amdhsa_memory_ordered 1
		.amdhsa_forward_progress 1
		.amdhsa_inst_pref_size 66
		.amdhsa_round_robin_scheduling 0
		.amdhsa_exception_fp_ieee_invalid_op 0
		.amdhsa_exception_fp_denorm_src 0
		.amdhsa_exception_fp_ieee_div_zero 0
		.amdhsa_exception_fp_ieee_overflow 0
		.amdhsa_exception_fp_ieee_underflow 0
		.amdhsa_exception_fp_ieee_inexact 0
		.amdhsa_exception_int_div_zero 0
	.end_amdhsa_kernel
	.section	.text._ZN2at6native18radixSortKVInPlaceILi2ELin1ELi32ELi4EbljEEvNS_4cuda6detail10TensorInfoIT3_T5_EES6_S6_S6_NS4_IT4_S6_EES6_b,"axG",@progbits,_ZN2at6native18radixSortKVInPlaceILi2ELin1ELi32ELi4EbljEEvNS_4cuda6detail10TensorInfoIT3_T5_EES6_S6_S6_NS4_IT4_S6_EES6_b,comdat
.Lfunc_end268:
	.size	_ZN2at6native18radixSortKVInPlaceILi2ELin1ELi32ELi4EbljEEvNS_4cuda6detail10TensorInfoIT3_T5_EES6_S6_S6_NS4_IT4_S6_EES6_b, .Lfunc_end268-_ZN2at6native18radixSortKVInPlaceILi2ELin1ELi32ELi4EbljEEvNS_4cuda6detail10TensorInfoIT3_T5_EES6_S6_S6_NS4_IT4_S6_EES6_b
                                        ; -- End function
	.set _ZN2at6native18radixSortKVInPlaceILi2ELin1ELi32ELi4EbljEEvNS_4cuda6detail10TensorInfoIT3_T5_EES6_S6_S6_NS4_IT4_S6_EES6_b.num_vgpr, 88
	.set _ZN2at6native18radixSortKVInPlaceILi2ELin1ELi32ELi4EbljEEvNS_4cuda6detail10TensorInfoIT3_T5_EES6_S6_S6_NS4_IT4_S6_EES6_b.num_agpr, 0
	.set _ZN2at6native18radixSortKVInPlaceILi2ELin1ELi32ELi4EbljEEvNS_4cuda6detail10TensorInfoIT3_T5_EES6_S6_S6_NS4_IT4_S6_EES6_b.numbered_sgpr, 24
	.set _ZN2at6native18radixSortKVInPlaceILi2ELin1ELi32ELi4EbljEEvNS_4cuda6detail10TensorInfoIT3_T5_EES6_S6_S6_NS4_IT4_S6_EES6_b.num_named_barrier, 0
	.set _ZN2at6native18radixSortKVInPlaceILi2ELin1ELi32ELi4EbljEEvNS_4cuda6detail10TensorInfoIT3_T5_EES6_S6_S6_NS4_IT4_S6_EES6_b.private_seg_size, 0
	.set _ZN2at6native18radixSortKVInPlaceILi2ELin1ELi32ELi4EbljEEvNS_4cuda6detail10TensorInfoIT3_T5_EES6_S6_S6_NS4_IT4_S6_EES6_b.uses_vcc, 1
	.set _ZN2at6native18radixSortKVInPlaceILi2ELin1ELi32ELi4EbljEEvNS_4cuda6detail10TensorInfoIT3_T5_EES6_S6_S6_NS4_IT4_S6_EES6_b.uses_flat_scratch, 0
	.set _ZN2at6native18radixSortKVInPlaceILi2ELin1ELi32ELi4EbljEEvNS_4cuda6detail10TensorInfoIT3_T5_EES6_S6_S6_NS4_IT4_S6_EES6_b.has_dyn_sized_stack, 0
	.set _ZN2at6native18radixSortKVInPlaceILi2ELin1ELi32ELi4EbljEEvNS_4cuda6detail10TensorInfoIT3_T5_EES6_S6_S6_NS4_IT4_S6_EES6_b.has_recursion, 0
	.set _ZN2at6native18radixSortKVInPlaceILi2ELin1ELi32ELi4EbljEEvNS_4cuda6detail10TensorInfoIT3_T5_EES6_S6_S6_NS4_IT4_S6_EES6_b.has_indirect_call, 0
	.section	.AMDGPU.csdata,"",@progbits
; Kernel info:
; codeLenInByte = 8388
; TotalNumSgprs: 26
; NumVgprs: 88
; ScratchSize: 0
; MemoryBound: 0
; FloatMode: 240
; IeeeMode: 1
; LDSByteSize: 1056 bytes/workgroup (compile time only)
; SGPRBlocks: 0
; VGPRBlocks: 10
; NumSGPRsForWavesPerEU: 26
; NumVGPRsForWavesPerEU: 88
; Occupancy: 16
; WaveLimiterHint : 1
; COMPUTE_PGM_RSRC2:SCRATCH_EN: 0
; COMPUTE_PGM_RSRC2:USER_SGPR: 2
; COMPUTE_PGM_RSRC2:TRAP_HANDLER: 0
; COMPUTE_PGM_RSRC2:TGID_X_EN: 1
; COMPUTE_PGM_RSRC2:TGID_Y_EN: 1
; COMPUTE_PGM_RSRC2:TGID_Z_EN: 1
; COMPUTE_PGM_RSRC2:TIDIG_COMP_CNT: 2
	.section	.text._ZN2at6native18radixSortKVInPlaceILi2ELin1ELi16ELi2EbljEEvNS_4cuda6detail10TensorInfoIT3_T5_EES6_S6_S6_NS4_IT4_S6_EES6_b,"axG",@progbits,_ZN2at6native18radixSortKVInPlaceILi2ELin1ELi16ELi2EbljEEvNS_4cuda6detail10TensorInfoIT3_T5_EES6_S6_S6_NS4_IT4_S6_EES6_b,comdat
	.protected	_ZN2at6native18radixSortKVInPlaceILi2ELin1ELi16ELi2EbljEEvNS_4cuda6detail10TensorInfoIT3_T5_EES6_S6_S6_NS4_IT4_S6_EES6_b ; -- Begin function _ZN2at6native18radixSortKVInPlaceILi2ELin1ELi16ELi2EbljEEvNS_4cuda6detail10TensorInfoIT3_T5_EES6_S6_S6_NS4_IT4_S6_EES6_b
	.globl	_ZN2at6native18radixSortKVInPlaceILi2ELin1ELi16ELi2EbljEEvNS_4cuda6detail10TensorInfoIT3_T5_EES6_S6_S6_NS4_IT4_S6_EES6_b
	.p2align	8
	.type	_ZN2at6native18radixSortKVInPlaceILi2ELin1ELi16ELi2EbljEEvNS_4cuda6detail10TensorInfoIT3_T5_EES6_S6_S6_NS4_IT4_S6_EES6_b,@function
_ZN2at6native18radixSortKVInPlaceILi2ELin1ELi16ELi2EbljEEvNS_4cuda6detail10TensorInfoIT3_T5_EES6_S6_S6_NS4_IT4_S6_EES6_b: ; @_ZN2at6native18radixSortKVInPlaceILi2ELin1ELi16ELi2EbljEEvNS_4cuda6detail10TensorInfoIT3_T5_EES6_S6_S6_NS4_IT4_S6_EES6_b
; %bb.0:
	s_clause 0x1
	s_load_b64 s[2:3], s[0:1], 0x1c8
	s_load_b96 s[8:10], s[0:1], 0xd8
	s_lshr_b32 s4, ttmp7, 16
	s_wait_kmcnt 0x0
	s_mul_i32 s3, s3, s4
	s_and_b32 s4, ttmp7, 0xffff
	s_delay_alu instid0(SALU_CYCLE_1) | instskip(NEXT) | instid1(SALU_CYCLE_1)
	s_add_co_i32 s3, s3, s4
	s_mul_i32 s2, s3, s2
	s_delay_alu instid0(SALU_CYCLE_1) | instskip(NEXT) | instid1(SALU_CYCLE_1)
	s_add_co_i32 s6, s2, ttmp9
	s_cmp_ge_u32 s6, s8
	s_cbranch_scc1 .LBB269_74
; %bb.1:
	s_clause 0x2
	s_load_b32 s8, s[0:1], 0xc
	s_load_b64 s[14:15], s[0:1], 0x6c
	s_load_b32 s11, s[0:1], 0x1b8
	s_mov_b32 s7, 0
	s_add_nc_u64 s[4:5], s[0:1], 0xe8
	s_mov_b32 s13, s7
	s_wait_kmcnt 0x0
	s_cvt_f32_u32 s2, s8
	s_sub_co_i32 s3, 0, s8
	s_delay_alu instid0(SALU_CYCLE_2) | instskip(NEXT) | instid1(TRANS32_DEP_1)
	v_rcp_iflag_f32_e32 v1, s2
	v_readfirstlane_b32 s2, v1
	s_mul_f32 s2, s2, 0x4f7ffffe
	s_wait_alu 0xfffe
	s_delay_alu instid0(SALU_CYCLE_2) | instskip(SKIP_1) | instid1(SALU_CYCLE_2)
	s_cvt_u32_f32 s2, s2
	s_wait_alu 0xfffe
	s_mul_i32 s3, s3, s2
	s_wait_alu 0xfffe
	s_mul_hi_u32 s3, s2, s3
	s_wait_alu 0xfffe
	s_add_co_i32 s12, s2, s3
	s_cmp_lt_i32 s11, 2
	s_mov_b32 s2, s6
	s_mov_b32 s3, s7
	s_cbranch_scc1 .LBB269_4
; %bb.2:
	s_add_co_i32 s2, s11, -1
	s_mov_b32 s3, 0
	s_add_co_i32 s11, s11, 1
	s_wait_alu 0xfffe
	s_lshl_b64 s[16:17], s[2:3], 2
	s_mov_b32 s2, s6
	s_add_nc_u64 s[16:17], s[4:5], s[16:17]
	s_delay_alu instid0(SALU_CYCLE_1)
	s_add_nc_u64 s[16:17], s[16:17], 8
.LBB269_3:                              ; =>This Inner Loop Header: Depth=1
	s_clause 0x1
	s_load_b32 s18, s[16:17], 0x0
	s_load_b32 s19, s[16:17], 0x64
	s_mov_b32 s22, s2
	s_add_nc_u64 s[16:17], s[16:17], -4
	s_wait_kmcnt 0x0
	s_cvt_f32_u32 s20, s18
	s_sub_co_i32 s21, 0, s18
	s_wait_alu 0xfffe
	s_delay_alu instid0(SALU_CYCLE_1) | instskip(NEXT) | instid1(TRANS32_DEP_1)
	v_rcp_iflag_f32_e32 v1, s20
	v_readfirstlane_b32 s20, v1
	s_mul_f32 s20, s20, 0x4f7ffffe
	s_wait_alu 0xfffe
	s_delay_alu instid0(SALU_CYCLE_2) | instskip(SKIP_1) | instid1(SALU_CYCLE_2)
	s_cvt_u32_f32 s20, s20
	s_wait_alu 0xfffe
	s_mul_i32 s21, s21, s20
	s_wait_alu 0xfffe
	s_mul_hi_u32 s21, s20, s21
	s_wait_alu 0xfffe
	s_add_co_i32 s20, s20, s21
	s_wait_alu 0xfffe
	s_mul_hi_u32 s2, s2, s20
	s_wait_alu 0xfffe
	s_mul_i32 s20, s2, s18
	s_add_co_i32 s21, s2, 1
	s_wait_alu 0xfffe
	s_sub_co_i32 s20, s22, s20
	s_wait_alu 0xfffe
	s_sub_co_i32 s23, s20, s18
	s_cmp_ge_u32 s20, s18
	s_cselect_b32 s2, s21, s2
	s_cselect_b32 s20, s23, s20
	s_wait_alu 0xfffe
	s_add_co_i32 s21, s2, 1
	s_cmp_ge_u32 s20, s18
	s_wait_alu 0xfffe
	s_cselect_b32 s2, s21, s2
	s_add_co_i32 s11, s11, -1
	s_wait_alu 0xfffe
	s_mul_i32 s18, s2, s18
	s_delay_alu instid0(SALU_CYCLE_1) | instskip(NEXT) | instid1(SALU_CYCLE_1)
	s_sub_co_i32 s18, s22, s18
	s_mul_i32 s18, s19, s18
	s_delay_alu instid0(SALU_CYCLE_1)
	s_add_co_i32 s3, s18, s3
	s_cmp_gt_u32 s11, 2
	s_cbranch_scc1 .LBB269_3
.LBB269_4:
	s_mul_u64 s[18:19], s[6:7], s[12:13]
	s_clause 0x1
	s_load_b64 s[16:17], s[0:1], 0x0
	s_load_b64 s[12:13], s[0:1], 0x1c0
	s_mul_i32 s7, s19, s8
	s_add_co_i32 s1, s19, 1
	s_sub_co_i32 s0, s6, s7
	v_mul_lo_u32 v20, s10, v0
	s_sub_co_i32 s7, s0, s8
	s_cmp_ge_u32 s0, s8
	s_cselect_b32 s1, s1, s19
	s_cselect_b32 s0, s7, s0
	s_add_co_i32 s7, s1, 1
	s_cmp_ge_u32 s0, s8
	s_cselect_b32 s0, s7, s1
	s_delay_alu instid0(SALU_CYCLE_1) | instskip(SKIP_2) | instid1(SALU_CYCLE_1)
	s_mul_i32 s1, s0, s8
	s_mul_i32 s0, s0, s14
	s_sub_co_i32 s1, s6, s1
	s_mul_i32 s1, s1, s15
	s_mov_b32 s15, 0
	s_add_co_i32 s14, s0, s1
	s_wait_kmcnt 0x0
	s_bitcmp1_b32 s13, 0
	s_add_nc_u64 s[14:15], s[16:17], s[14:15]
	s_cselect_b32 s0, -1, 0
	s_delay_alu instid0(SALU_CYCLE_1) | instskip(SKIP_3) | instid1(VALU_DEP_2)
	s_xor_b32 s6, s0, -1
	v_cmp_gt_u32_e64 s0, s9, v0
	v_cndmask_b32_e64 v2, 0, 1, s6
	v_cndmask_b32_e64 v1, 0, 1, s6
	v_lshlrev_b32_e32 v3, 8, v2
	s_delay_alu instid0(VALU_DEP_1) | instskip(NEXT) | instid1(VALU_DEP_1)
	v_or_b32_e32 v2, v2, v3
	v_and_b32_e32 v2, 0x101, v2
	s_and_saveexec_b32 s1, s0
	s_cbranch_execz .LBB269_6
; %bb.5:
	global_load_u8 v1, v20, s[14:15]
	v_and_b32_e32 v2, 0x100, v2
	s_wait_loadcnt 0x0
	s_delay_alu instid0(VALU_DEP_1) | instskip(NEXT) | instid1(VALU_DEP_1)
	v_or_b32_e32 v2, v1, v2
	v_and_b32_e32 v2, 0xffff, v2
.LBB269_6:
	s_or_b32 exec_lo, exec_lo, s1
	s_clause 0x1
	s_load_b32 s7, s[4:5], 0x6c
	s_load_b64 s[4:5], s[4:5], 0x0
	v_or_b32_e32 v3, 16, v0
	s_delay_alu instid0(VALU_DEP_1)
	v_cmp_gt_u32_e64 s1, s9, v3
	s_and_saveexec_b32 s8, s1
	s_cbranch_execz .LBB269_8
; %bb.7:
	v_mul_lo_u32 v4, s10, v3
	global_load_u8 v4, v4, s[14:15]
	s_wait_loadcnt 0x0
	v_perm_b32 v2, v2, v4, 0xc0c0004
.LBB269_8:
	s_wait_alu 0xfffe
	s_or_b32 exec_lo, exec_lo, s8
	v_dual_mov_b32 v18, 0 :: v_dual_lshlrev_b32 v21, 1, v0
	s_delay_alu instid0(VALU_DEP_2)
	v_lshrrev_b16 v2, 8, v2
	s_wait_kmcnt 0x0
	s_mul_i32 s2, s7, s2
	ds_store_b8 v0, v1
	ds_store_b8 v0, v2 offset:16
	s_wait_dscnt 0x0
	; wave barrier
	global_inv scope:SCOPE_SE
	ds_load_u16 v24, v21
	v_mul_lo_u32 v17, s12, v0
	s_wait_alu 0xfffe
	s_add_co_i32 s2, s2, s3
	s_mov_b32 s3, 0
	v_mov_b32_e32 v1, 0
	v_dual_mov_b32 v2, 0 :: v_dual_mov_b32 v19, v18
	s_wait_alu 0xfffe
	s_lshl_b64 s[2:3], s[2:3], 3
	s_wait_loadcnt_dscnt 0x0
	s_wait_alu 0xfffe
	s_add_nc_u64 s[16:17], s[4:5], s[2:3]
	; wave barrier
	global_inv scope:SCOPE_SE
	s_and_saveexec_b32 s2, s0
	s_cbranch_execz .LBB269_10
; %bb.9:
	v_lshlrev_b64_e32 v[1:2], 3, v[17:18]
	v_mov_b32_e32 v19, v18
	s_delay_alu instid0(VALU_DEP_2) | instskip(NEXT) | instid1(VALU_DEP_1)
	v_add_co_u32 v1, vcc_lo, s16, v1
	v_add_co_ci_u32_e64 v2, null, s17, v2, vcc_lo
	global_load_b64 v[1:2], v[1:2], off
.LBB269_10:
	s_wait_alu 0xfffe
	s_or_b32 exec_lo, exec_lo, s2
	s_and_saveexec_b32 s2, s1
	s_cbranch_execz .LBB269_12
; %bb.11:
	v_mul_lo_u32 v3, s12, v3
	v_mov_b32_e32 v4, 0
	s_delay_alu instid0(VALU_DEP_1) | instskip(NEXT) | instid1(VALU_DEP_1)
	v_lshlrev_b64_e32 v[3:4], 3, v[3:4]
	v_add_co_u32 v3, vcc_lo, s16, v3
	s_wait_alu 0xfffd
	s_delay_alu instid0(VALU_DEP_2)
	v_add_co_ci_u32_e64 v4, null, s17, v4, vcc_lo
	global_load_b64 v[18:19], v[3:4], off
.LBB269_12:
	s_wait_alu 0xfffe
	s_or_b32 exec_lo, exec_lo, s2
	v_lshlrev_b32_e32 v22, 3, v0
	v_lshlrev_b32_e32 v23, 3, v21
	v_cmp_lt_u32_e64 s2, 0x7f, v0
	v_cmp_gt_u32_e64 s3, 0x80, v0
	s_and_b32 vcc_lo, exec_lo, s6
	s_wait_loadcnt 0x0
	ds_store_2addr_b64 v22, v[1:2], v[18:19] offset1:16
	s_wait_dscnt 0x0
	; wave barrier
	global_inv scope:SCOPE_SE
	ds_load_2addr_b64 v[1:4], v23 offset1:1
	v_lshrrev_b16 v19, 8, v24
	v_lshlrev_b32_e32 v18, 5, v0
	; wave barrier
	s_wait_loadcnt_dscnt 0x0
	global_inv scope:SCOPE_SE
	s_wait_alu 0xfffe
	s_cbranch_vccz .LBB269_39
; %bb.13:
	s_getpc_b64 s[4:5]
	s_sext_i32_i16 s5, s5
	s_add_co_u32 s4, s4, _ZN7rocprim17ROCPRIM_400000_NS16block_radix_sortIbLj16ELj2ElLj1ELj1ELj0ELNS0_26block_radix_rank_algorithmE1ELNS0_18block_padding_hintE2ELNS0_4arch9wavefront6targetE0EE19radix_bits_per_passE@rel32@lo+8
	s_add_co_ci_u32 s5, s5, _ZN7rocprim17ROCPRIM_400000_NS16block_radix_sortIbLj16ELj2ElLj1ELj1ELj0ELNS0_26block_radix_rank_algorithmE1ELNS0_18block_padding_hintE2ELNS0_4arch9wavefront6targetE0EE19radix_bits_per_passE@rel32@hi+16
	v_mad_i32_i24 v26, 0xffffffe2, v0, v18
	s_load_b32 s4, s[4:5], 0x0
	s_delay_alu instid0(VALU_DEP_1)
	v_mad_u32_u24 v25, v0, 14, v26
	s_and_saveexec_b32 s5, s3
	s_cbranch_execz .LBB269_22
; %bb.14:
	s_delay_alu instid0(VALU_DEP_1)
	v_mad_i32_i24 v5, v0, -12, v25
	v_mov_b32_e32 v6, 0
	v_cmp_gt_u32_e32 vcc_lo, 0x70, v0
	ds_store_b32 v5, v6
	s_and_b32 exec_lo, exec_lo, vcc_lo
	s_cbranch_execz .LBB269_22
; %bb.15:
	v_mul_i32_i24_e32 v5, -12, v0
	v_cmp_gt_u32_e32 vcc_lo, 0x60, v0
	s_delay_alu instid0(VALU_DEP_2)
	v_add_nc_u32_e32 v5, v25, v5
	ds_store_b32 v5, v6 offset:64
	s_and_b32 exec_lo, exec_lo, vcc_lo
	s_cbranch_execz .LBB269_22
; %bb.16:
	v_mov_b32_e32 v6, 0
	v_cmp_gt_u32_e32 vcc_lo, 0x50, v0
	ds_store_b32 v5, v6 offset:128
	s_and_b32 exec_lo, exec_lo, vcc_lo
	s_cbranch_execz .LBB269_22
; %bb.17:
	v_cmp_gt_u32_e32 vcc_lo, 64, v0
	ds_store_b32 v5, v6 offset:192
	s_and_b32 exec_lo, exec_lo, vcc_lo
	s_cbranch_execz .LBB269_22
; %bb.18:
	v_mov_b32_e32 v6, 0
	v_cmp_gt_u32_e32 vcc_lo, 48, v0
	ds_store_b32 v5, v6 offset:256
	s_and_b32 exec_lo, exec_lo, vcc_lo
	s_cbranch_execz .LBB269_22
; %bb.19:
	v_cmp_gt_u32_e32 vcc_lo, 32, v0
	ds_store_b32 v5, v6 offset:320
	s_and_b32 exec_lo, exec_lo, vcc_lo
	s_cbranch_execz .LBB269_22
; %bb.20:
	v_mov_b32_e32 v6, 0
	v_cmp_gt_u32_e32 vcc_lo, 16, v0
	ds_store_b32 v5, v6 offset:384
	s_and_b32 exec_lo, exec_lo, vcc_lo
; %bb.21:
	ds_store_b32 v5, v6 offset:448
.LBB269_22:
	s_or_b32 exec_lo, exec_lo, s5
	s_wait_kmcnt 0x0
	s_min_u32 s3, s4, 8
	v_lshlrev_b32_e32 v27, 1, v21
	s_wait_alu 0xfffe
	s_lshl_b32 s3, -1, s3
	v_cmp_eq_u32_e64 s4, 15, v0
	s_wait_alu 0xfffe
	s_not_b32 s3, s3
	s_wait_alu 0xfffe
	v_and_b32_e32 v5, s3, v24
	s_delay_alu instid0(VALU_DEP_1) | instskip(NEXT) | instid1(VALU_DEP_1)
	v_and_b32_e32 v5, 0xff, v5
	v_lshl_or_b32 v14, v5, 6, v27
	v_and_b32_e32 v5, 0xffff, v19
	ds_load_u16 v13, v14
	v_and_b32_e32 v5, s3, v5
	s_delay_alu instid0(VALU_DEP_1)
	v_lshl_or_b32 v15, v5, 6, v27
	s_wait_dscnt 0x0
	v_add_nc_u16 v6, v13, 1
	ds_store_b16 v14, v6
	ds_load_u16 v16, v15
	s_wait_dscnt 0x0
	v_add_nc_u16 v5, v16, 1
	ds_store_b16 v15, v5
	; wave barrier
	s_wait_loadcnt_dscnt 0x0
	global_inv scope:SCOPE_SE
	ds_load_b128 v[9:12], v18
	ds_load_b128 v[5:8], v18 offset:16
	s_wait_dscnt 0x1
	v_add_nc_u32_e32 v28, v10, v9
	s_delay_alu instid0(VALU_DEP_1) | instskip(SKIP_1) | instid1(VALU_DEP_1)
	v_add3_u32 v28, v28, v11, v12
	s_wait_dscnt 0x0
	v_add3_u32 v29, v28, v5, v6
	v_mbcnt_lo_u32_b32 v28, -1, 0
	s_delay_alu instid0(VALU_DEP_2) | instskip(NEXT) | instid1(VALU_DEP_2)
	v_add3_u32 v8, v29, v7, v8
	v_and_b32_e32 v29, 15, v28
	s_delay_alu instid0(VALU_DEP_2) | instskip(NEXT) | instid1(VALU_DEP_2)
	v_mov_b32_dpp v30, v8 row_shr:1 row_mask:0xf bank_mask:0xf
	v_cmp_eq_u32_e32 vcc_lo, 0, v29
	v_cmp_lt_u32_e64 s3, 1, v29
	v_cmp_lt_u32_e64 s5, 3, v29
	;; [unrolled: 1-line block ×3, first 2 shown]
	s_wait_alu 0xfffd
	v_cndmask_b32_e64 v30, v30, 0, vcc_lo
	s_delay_alu instid0(VALU_DEP_1) | instskip(NEXT) | instid1(VALU_DEP_1)
	v_add_nc_u32_e32 v8, v30, v8
	v_mov_b32_dpp v30, v8 row_shr:2 row_mask:0xf bank_mask:0xf
	s_wait_alu 0xf1ff
	s_delay_alu instid0(VALU_DEP_1) | instskip(NEXT) | instid1(VALU_DEP_1)
	v_cndmask_b32_e64 v30, 0, v30, s3
	v_add_nc_u32_e32 v8, v8, v30
	s_delay_alu instid0(VALU_DEP_1) | instskip(NEXT) | instid1(VALU_DEP_1)
	v_mov_b32_dpp v30, v8 row_shr:4 row_mask:0xf bank_mask:0xf
	v_cndmask_b32_e64 v30, 0, v30, s5
	s_delay_alu instid0(VALU_DEP_1) | instskip(NEXT) | instid1(VALU_DEP_1)
	v_add_nc_u32_e32 v8, v8, v30
	v_mov_b32_dpp v30, v8 row_shr:8 row_mask:0xf bank_mask:0xf
	s_delay_alu instid0(VALU_DEP_1) | instskip(NEXT) | instid1(VALU_DEP_1)
	v_cndmask_b32_e64 v29, 0, v30, s6
	v_add_nc_u32_e32 v8, v8, v29
	s_and_saveexec_b32 s7, s4
; %bb.23:
	v_mov_b32_e32 v29, 0
	ds_store_b32 v29, v8 offset:512
; %bb.24:
	s_wait_alu 0xfffe
	s_or_b32 exec_lo, exec_lo, s7
	v_sub_co_u32 v29, s8, v28, 1
	v_and_b32_e32 v30, 16, v28
	; wave barrier
	s_wait_loadcnt_dscnt 0x0
	global_inv scope:SCOPE_SE
	v_cmp_lt_i32_e64 s7, v29, v30
	s_wait_alu 0xf1ff
	s_delay_alu instid0(VALU_DEP_1) | instskip(NEXT) | instid1(VALU_DEP_1)
	v_cndmask_b32_e64 v28, v29, v28, s7
	v_dual_mov_b32 v29, 0 :: v_dual_lshlrev_b32 v28, 2, v28
	ds_load_b32 v29, v29 offset:512
	ds_bpermute_b32 v8, v28, v8
	s_wait_dscnt 0x0
	v_cndmask_b32_e64 v8, v8, 0, s8
	s_delay_alu instid0(VALU_DEP_1) | instskip(NEXT) | instid1(VALU_DEP_1)
	v_lshl_add_u32 v8, v29, 16, v8
	v_add_nc_u32_e32 v9, v8, v9
	s_delay_alu instid0(VALU_DEP_1) | instskip(NEXT) | instid1(VALU_DEP_1)
	v_add_nc_u32_e32 v10, v9, v10
	v_add_nc_u32_e32 v11, v10, v11
	s_delay_alu instid0(VALU_DEP_1) | instskip(NEXT) | instid1(VALU_DEP_1)
	v_add_nc_u32_e32 v29, v11, v12
	;; [unrolled: 3-line block ×3, first 2 shown]
	v_add_nc_u32_e32 v32, v31, v7
	v_and_b32_e32 v7, 0xffff, v13
	ds_store_b128 v18, v[8:11]
	ds_store_b128 v18, v[29:32] offset:16
	; wave barrier
	s_wait_loadcnt_dscnt 0x0
	global_inv scope:SCOPE_SE
	ds_load_u16 v5, v14
	ds_load_u16 v6, v15
	v_and_b32_e32 v8, 0xffff, v16
	; wave barrier
	s_wait_loadcnt_dscnt 0x0
	global_inv scope:SCOPE_SE
                                        ; implicit-def: $vgpr30
	v_add_nc_u32_e32 v5, v5, v7
	v_add_nc_u32_e32 v6, v6, v8
	ds_store_b8 v5, v24
	ds_store_b8 v6, v19
	v_lshlrev_b32_e32 v5, 3, v5
	v_lshlrev_b32_e32 v6, 3, v6
	; wave barrier
	s_wait_loadcnt_dscnt 0x0
	global_inv scope:SCOPE_SE
	ds_load_u16 v29, v26
	; wave barrier
	s_wait_loadcnt_dscnt 0x0
	global_inv scope:SCOPE_SE
	ds_store_b64 v5, v[1:2]
	ds_store_b64 v6, v[3:4]
	; wave barrier
	s_wait_loadcnt_dscnt 0x0
	global_inv scope:SCOPE_SE
	ds_load_b128 v[5:8], v25
	; wave barrier
	s_wait_loadcnt_dscnt 0x0
	global_inv scope:SCOPE_SE
	s_and_saveexec_b32 s7, s2
	s_wait_alu 0xfffe
	s_xor_b32 s2, exec_lo, s7
; %bb.25:
	ds_load_u16 v30, v27
; %bb.26:
	s_wait_alu 0xfffe
	s_and_not1_saveexec_b32 s7, s2
	s_cbranch_execz .LBB269_36
; %bb.27:
	s_wait_dscnt 0x0
	v_dual_mov_b32 v30, 0 :: v_dual_lshlrev_b32 v9, 2, v0
	s_mov_b32 s9, exec_lo
	ds_store_b32 v9, v30
	v_cmpx_gt_u32_e32 0x70, v0
	s_cbranch_execz .LBB269_35
; %bb.28:
	v_mov_b32_e32 v10, 0
	v_cmp_gt_u32_e64 s2, 0x60, v0
	ds_store_b32 v9, v10 offset:64
	s_and_b32 exec_lo, exec_lo, s2
	s_cbranch_execz .LBB269_35
; %bb.29:
	v_cmp_gt_u32_e64 s2, 0x50, v0
	ds_store_b32 v9, v10 offset:128
	s_and_b32 exec_lo, exec_lo, s2
	s_cbranch_execz .LBB269_35
; %bb.30:
	v_mov_b32_e32 v10, 0
	v_cmp_gt_u32_e64 s2, 64, v0
	ds_store_b32 v9, v10 offset:192
	s_and_b32 exec_lo, exec_lo, s2
	s_cbranch_execz .LBB269_35
; %bb.31:
	v_cmp_gt_u32_e64 s2, 48, v0
	ds_store_b32 v9, v10 offset:256
	s_and_b32 exec_lo, exec_lo, s2
	;; [unrolled: 11-line block ×3, first 2 shown]
; %bb.34:
	v_mov_b32_e32 v10, 0
	ds_store_b32 v9, v10 offset:448
.LBB269_35:
	s_wait_alu 0xfffe
	s_or_b32 exec_lo, exec_lo, s9
.LBB269_36:
	s_wait_alu 0xfffe
	s_or_b32 exec_lo, exec_lo, s7
	s_wait_dscnt 0x0
	v_add_nc_u16 v9, v30, 2
	s_mov_b32 s2, 0
	ds_store_b16 v27, v9
	; wave barrier
	s_wait_loadcnt_dscnt 0x0
	global_inv scope:SCOPE_SE
	ds_load_b128 v[13:16], v18
	ds_load_b128 v[9:12], v18 offset:16
	s_wait_dscnt 0x1
	v_add_nc_u32_e32 v31, v14, v13
	s_delay_alu instid0(VALU_DEP_1) | instskip(SKIP_1) | instid1(VALU_DEP_1)
	v_add3_u32 v31, v31, v15, v16
	s_wait_dscnt 0x0
	v_add3_u32 v31, v31, v9, v10
	s_delay_alu instid0(VALU_DEP_1) | instskip(NEXT) | instid1(VALU_DEP_1)
	v_add3_u32 v12, v31, v11, v12
	v_mov_b32_dpp v31, v12 row_shr:1 row_mask:0xf bank_mask:0xf
	s_delay_alu instid0(VALU_DEP_1) | instskip(NEXT) | instid1(VALU_DEP_1)
	v_cndmask_b32_e64 v31, v31, 0, vcc_lo
	v_add_nc_u32_e32 v12, v31, v12
	s_delay_alu instid0(VALU_DEP_1) | instskip(NEXT) | instid1(VALU_DEP_1)
	v_mov_b32_dpp v31, v12 row_shr:2 row_mask:0xf bank_mask:0xf
	v_cndmask_b32_e64 v31, 0, v31, s3
	s_delay_alu instid0(VALU_DEP_1) | instskip(NEXT) | instid1(VALU_DEP_1)
	v_add_nc_u32_e32 v12, v12, v31
	v_mov_b32_dpp v31, v12 row_shr:4 row_mask:0xf bank_mask:0xf
	s_delay_alu instid0(VALU_DEP_1) | instskip(NEXT) | instid1(VALU_DEP_1)
	v_cndmask_b32_e64 v31, 0, v31, s5
	v_add_nc_u32_e32 v12, v12, v31
	s_delay_alu instid0(VALU_DEP_1) | instskip(NEXT) | instid1(VALU_DEP_1)
	v_mov_b32_dpp v31, v12 row_shr:8 row_mask:0xf bank_mask:0xf
	v_cndmask_b32_e64 v31, 0, v31, s6
	s_delay_alu instid0(VALU_DEP_1)
	v_add_nc_u32_e32 v12, v12, v31
	s_and_saveexec_b32 s3, s4
; %bb.37:
	v_mov_b32_e32 v31, 0
	ds_store_b32 v31, v12 offset:512
; %bb.38:
	s_wait_alu 0xfffe
	s_or_b32 exec_lo, exec_lo, s3
	ds_bpermute_b32 v12, v28, v12
	v_mov_b32_e32 v28, 0
	; wave barrier
	s_wait_loadcnt_dscnt 0x0
	global_inv scope:SCOPE_SE
	ds_load_b32 v28, v28 offset:512
	v_cndmask_b32_e64 v12, v12, 0, s8
	s_wait_dscnt 0x0
	s_delay_alu instid0(VALU_DEP_1) | instskip(NEXT) | instid1(VALU_DEP_1)
	v_lshl_add_u32 v12, v28, 16, v12
	v_add_nc_u32_e32 v13, v12, v13
	s_delay_alu instid0(VALU_DEP_1) | instskip(NEXT) | instid1(VALU_DEP_1)
	v_add_nc_u32_e32 v14, v13, v14
	v_add_nc_u32_e32 v15, v14, v15
	s_delay_alu instid0(VALU_DEP_1) | instskip(NEXT) | instid1(VALU_DEP_1)
	v_add_nc_u32_e32 v31, v15, v16
	v_add_nc_u32_e32 v32, v31, v9
	s_delay_alu instid0(VALU_DEP_1) | instskip(SKIP_1) | instid1(VALU_DEP_2)
	v_add_nc_u32_e32 v33, v32, v10
	v_add_nc_u16 v10, v30, 1
	v_add_nc_u32_e32 v34, v33, v11
	v_and_b32_e32 v11, 0xffff, v30
	s_delay_alu instid0(VALU_DEP_3)
	v_and_b32_e32 v10, 0xffff, v10
	ds_store_b128 v18, v[12:15]
	ds_store_b128 v18, v[31:34] offset:16
	; wave barrier
	s_wait_loadcnt_dscnt 0x0
	global_inv scope:SCOPE_SE
	ds_load_u16 v9, v27
	v_lshrrev_b16 v12, 8, v29
	; wave barrier
	s_wait_loadcnt_dscnt 0x0
	global_inv scope:SCOPE_SE
	v_add_nc_u32_e32 v11, v9, v11
	v_add_nc_u32_e32 v9, v9, v10
	ds_store_b8 v11, v29
	ds_store_b8 v9, v12
	v_lshlrev_b32_e32 v10, 3, v11
	v_lshlrev_b32_e32 v11, 3, v9
	; wave barrier
	s_wait_loadcnt_dscnt 0x0
	global_inv scope:SCOPE_SE
	ds_load_u16 v9, v26
	; wave barrier
	s_wait_loadcnt_dscnt 0x0
	global_inv scope:SCOPE_SE
	ds_store_b64 v10, v[5:6]
	ds_store_b64 v11, v[7:8]
	; wave barrier
	s_wait_loadcnt_dscnt 0x0
	global_inv scope:SCOPE_SE
	ds_load_b128 v[5:8], v25
	s_and_b32 vcc_lo, exec_lo, s2
	s_wait_alu 0xfffe
	s_cbranch_vccnz .LBB269_40
	s_branch .LBB269_66
.LBB269_39:
                                        ; implicit-def: $vgpr7_vgpr8
                                        ; implicit-def: $vgpr9
	s_cbranch_execz .LBB269_66
.LBB269_40:
	s_getpc_b64 s[2:3]
	s_wait_alu 0xfffe
	s_sext_i32_i16 s3, s3
	s_add_co_u32 s2, s2, _ZN7rocprim17ROCPRIM_400000_NS16block_radix_sortIbLj16ELj2ElLj1ELj1ELj0ELNS0_26block_radix_rank_algorithmE1ELNS0_18block_padding_hintE2ELNS0_4arch9wavefront6targetE0EE19radix_bits_per_passE@rel32@lo+12
	s_wait_alu 0xfffe
	s_add_co_ci_u32 s3, s3, _ZN7rocprim17ROCPRIM_400000_NS16block_radix_sortIbLj16ELj2ElLj1ELj1ELj0ELNS0_26block_radix_rank_algorithmE1ELNS0_18block_padding_hintE2ELNS0_4arch9wavefront6targetE0EE19radix_bits_per_passE@rel32@hi+24
	v_mad_i32_i24 v14, 0xffffffe2, v0, v18
	s_load_b32 s3, s[2:3], 0x0
	s_mov_b32 s4, exec_lo
	v_cmp_lt_u32_e32 vcc_lo, 0x7f, v0
	s_delay_alu instid0(VALU_DEP_2)
	v_mad_u32_u24 v13, v0, 14, v14
	v_cmpx_gt_u32_e32 0x80, v0
	s_cbranch_execz .LBB269_49
; %bb.41:
	s_wait_dscnt 0x0
	s_delay_alu instid0(VALU_DEP_2)
	v_mad_i32_i24 v5, v0, -12, v13
	v_mov_b32_e32 v6, 0
	v_cmp_gt_u32_e64 s2, 0x70, v0
	ds_store_b32 v5, v6
	s_and_b32 exec_lo, exec_lo, s2
	s_cbranch_execz .LBB269_49
; %bb.42:
	v_mul_i32_i24_e32 v5, -12, v0
	v_cmp_gt_u32_e64 s2, 0x60, v0
	s_delay_alu instid0(VALU_DEP_2)
	v_add_nc_u32_e32 v5, v13, v5
	ds_store_b32 v5, v6 offset:64
	s_and_b32 exec_lo, exec_lo, s2
	s_cbranch_execz .LBB269_49
; %bb.43:
	v_mov_b32_e32 v6, 0
	v_cmp_gt_u32_e64 s2, 0x50, v0
	ds_store_b32 v5, v6 offset:128
	s_and_b32 exec_lo, exec_lo, s2
	s_cbranch_execz .LBB269_49
; %bb.44:
	v_cmp_gt_u32_e64 s2, 64, v0
	ds_store_b32 v5, v6 offset:192
	s_and_b32 exec_lo, exec_lo, s2
	s_cbranch_execz .LBB269_49
; %bb.45:
	v_mov_b32_e32 v6, 0
	v_cmp_gt_u32_e64 s2, 48, v0
	ds_store_b32 v5, v6 offset:256
	s_and_b32 exec_lo, exec_lo, s2
	s_cbranch_execz .LBB269_49
; %bb.46:
	v_cmp_gt_u32_e64 s2, 32, v0
	ds_store_b32 v5, v6 offset:320
	s_and_b32 exec_lo, exec_lo, s2
	s_cbranch_execz .LBB269_49
; %bb.47:
	v_mov_b32_e32 v6, 0
	v_cmp_gt_u32_e64 s2, 16, v0
	ds_store_b32 v5, v6 offset:384
	s_and_b32 exec_lo, exec_lo, s2
; %bb.48:
	ds_store_b32 v5, v6 offset:448
.LBB269_49:
	s_wait_alu 0xfffe
	s_or_b32 exec_lo, exec_lo, s4
	s_wait_kmcnt 0x0
	s_min_u32 s2, s3, 8
	s_wait_dscnt 0x0
	v_and_b32_e32 v5, 1, v24
	s_wait_alu 0xfffe
	s_lshl_b32 s2, -1, s2
	v_lshlrev_b32_e32 v15, 1, v21
	s_wait_alu 0xfffe
	s_not_b32 s2, s2
	v_cmp_eq_u32_e64 s5, 15, v0
	v_cmp_eq_u32_e64 s7, 1, v5
	s_wait_alu 0xfffe
	s_lshl_b32 s2, s2, 5
	s_wait_alu 0xfffe
	s_and_b32 s2, s2, 32
	s_wait_alu 0xfffe
	v_cndmask_b32_e64 v5, s2, 0, s7
	s_delay_alu instid0(VALU_DEP_1) | instskip(SKIP_4) | instid1(VALU_DEP_1)
	v_lshl_or_b32 v25, v5, 1, v15
	v_and_b32_e32 v5, 1, v19
	ds_load_u16 v24, v25
	v_cmp_eq_u32_e64 s8, 1, v5
	s_wait_alu 0xf1ff
	v_cndmask_b32_e64 v5, s2, 0, s8
	s_delay_alu instid0(VALU_DEP_1)
	v_lshl_or_b32 v19, v5, 1, v15
	s_wait_dscnt 0x0
	v_add_nc_u16 v6, v24, 1
	ds_store_b16 v25, v6
	ds_load_u16 v26, v19
	s_wait_dscnt 0x0
	v_add_nc_u16 v5, v26, 1
	ds_store_b16 v19, v5
	; wave barrier
	s_wait_loadcnt_dscnt 0x0
	global_inv scope:SCOPE_SE
	ds_load_b128 v[9:12], v18
	ds_load_b128 v[5:8], v18 offset:16
	s_wait_dscnt 0x1
	v_add_nc_u32_e32 v16, v10, v9
	s_delay_alu instid0(VALU_DEP_1) | instskip(SKIP_1) | instid1(VALU_DEP_1)
	v_add3_u32 v16, v16, v11, v12
	s_wait_dscnt 0x0
	v_add3_u32 v27, v16, v5, v6
	v_mbcnt_lo_u32_b32 v16, -1, 0
	s_delay_alu instid0(VALU_DEP_2) | instskip(NEXT) | instid1(VALU_DEP_2)
	v_add3_u32 v8, v27, v7, v8
	v_and_b32_e32 v27, 15, v16
	s_delay_alu instid0(VALU_DEP_2) | instskip(NEXT) | instid1(VALU_DEP_2)
	v_mov_b32_dpp v28, v8 row_shr:1 row_mask:0xf bank_mask:0xf
	v_cmp_eq_u32_e64 s2, 0, v27
	v_cmp_lt_u32_e64 s3, 1, v27
	v_cmp_lt_u32_e64 s4, 3, v27
	;; [unrolled: 1-line block ×3, first 2 shown]
	s_wait_alu 0xf1ff
	v_cndmask_b32_e64 v28, v28, 0, s2
	s_delay_alu instid0(VALU_DEP_1) | instskip(NEXT) | instid1(VALU_DEP_1)
	v_add_nc_u32_e32 v8, v28, v8
	v_mov_b32_dpp v28, v8 row_shr:2 row_mask:0xf bank_mask:0xf
	s_delay_alu instid0(VALU_DEP_1) | instskip(NEXT) | instid1(VALU_DEP_1)
	v_cndmask_b32_e64 v28, 0, v28, s3
	v_add_nc_u32_e32 v8, v8, v28
	s_delay_alu instid0(VALU_DEP_1) | instskip(NEXT) | instid1(VALU_DEP_1)
	v_mov_b32_dpp v28, v8 row_shr:4 row_mask:0xf bank_mask:0xf
	v_cndmask_b32_e64 v28, 0, v28, s4
	s_delay_alu instid0(VALU_DEP_1) | instskip(NEXT) | instid1(VALU_DEP_1)
	v_add_nc_u32_e32 v8, v8, v28
	v_mov_b32_dpp v28, v8 row_shr:8 row_mask:0xf bank_mask:0xf
	s_delay_alu instid0(VALU_DEP_1) | instskip(NEXT) | instid1(VALU_DEP_1)
	v_cndmask_b32_e64 v27, 0, v28, s6
	v_add_nc_u32_e32 v8, v8, v27
	s_and_saveexec_b32 s9, s5
; %bb.50:
	v_mov_b32_e32 v27, 0
	ds_store_b32 v27, v8 offset:512
; %bb.51:
	s_wait_alu 0xfffe
	s_or_b32 exec_lo, exec_lo, s9
	v_sub_co_u32 v27, s11, v16, 1
	v_and_b32_e32 v28, 16, v16
	; wave barrier
	s_wait_loadcnt_dscnt 0x0
	global_inv scope:SCOPE_SE
	s_xor_b32 s7, s7, -1
	v_cmp_lt_i32_e64 s9, v27, v28
	s_wait_alu 0xf1ff
	s_delay_alu instid0(VALU_DEP_1) | instskip(NEXT) | instid1(VALU_DEP_1)
	v_cndmask_b32_e64 v16, v27, v16, s9
	v_dual_mov_b32 v27, 0 :: v_dual_lshlrev_b32 v16, 2, v16
	ds_load_b32 v27, v27 offset:512
	ds_bpermute_b32 v8, v16, v8
	s_wait_dscnt 0x0
	v_cndmask_b32_e64 v8, v8, 0, s11
	s_delay_alu instid0(VALU_DEP_1) | instskip(NEXT) | instid1(VALU_DEP_1)
	v_lshl_add_u32 v8, v27, 16, v8
	v_add_nc_u32_e32 v9, v8, v9
	s_delay_alu instid0(VALU_DEP_1) | instskip(NEXT) | instid1(VALU_DEP_1)
	v_add_nc_u32_e32 v10, v9, v10
	v_add_nc_u32_e32 v11, v10, v11
	s_delay_alu instid0(VALU_DEP_1) | instskip(NEXT) | instid1(VALU_DEP_1)
	v_add_nc_u32_e32 v27, v11, v12
	;; [unrolled: 3-line block ×3, first 2 shown]
	v_add_nc_u32_e32 v30, v29, v7
	v_and_b32_e32 v7, 0xffff, v24
	ds_store_b128 v18, v[8:11]
	ds_store_b128 v18, v[27:30] offset:16
	; wave barrier
	s_wait_loadcnt_dscnt 0x0
	global_inv scope:SCOPE_SE
	ds_load_u16 v5, v25
	ds_load_u16 v6, v19
	v_and_b32_e32 v8, 0xffff, v26
	s_wait_alu 0xfffe
	v_cndmask_b32_e64 v9, 0, 1, s7
	s_xor_b32 s7, s8, -1
	s_wait_loadcnt_dscnt 0x0
	s_wait_alu 0xfffe
	v_cndmask_b32_e64 v10, 0, 1, s7
	; wave barrier
	global_inv scope:SCOPE_SE
                                        ; implicit-def: $vgpr24
	v_add_nc_u32_e32 v5, v5, v7
	v_add_nc_u32_e32 v6, v6, v8
	ds_store_b8 v5, v9
	ds_store_b8 v6, v10
	v_lshlrev_b32_e32 v5, 3, v5
	v_lshlrev_b32_e32 v6, 3, v6
	; wave barrier
	s_wait_loadcnt_dscnt 0x0
	global_inv scope:SCOPE_SE
	ds_load_u16 v19, v14
	; wave barrier
	s_wait_loadcnt_dscnt 0x0
	global_inv scope:SCOPE_SE
	ds_store_b64 v5, v[1:2]
	ds_store_b64 v6, v[3:4]
	; wave barrier
	s_wait_loadcnt_dscnt 0x0
	global_inv scope:SCOPE_SE
	ds_load_b128 v[1:4], v13
	; wave barrier
	s_wait_loadcnt_dscnt 0x0
	global_inv scope:SCOPE_SE
	s_and_saveexec_b32 s7, vcc_lo
	s_wait_alu 0xfffe
	s_xor_b32 s7, exec_lo, s7
; %bb.52:
	ds_load_u16 v24, v15
; %bb.53:
	s_wait_alu 0xfffe
	s_and_not1_saveexec_b32 s7, s7
	s_cbranch_execz .LBB269_63
; %bb.54:
	s_wait_dscnt 0x0
	v_dual_mov_b32 v24, 0 :: v_dual_lshlrev_b32 v5, 2, v0
	s_mov_b32 s8, exec_lo
	ds_store_b32 v5, v24
	v_cmpx_gt_u32_e32 0x70, v0
	s_cbranch_execz .LBB269_62
; %bb.55:
	v_mov_b32_e32 v6, 0
	v_cmp_gt_u32_e32 vcc_lo, 0x60, v0
	ds_store_b32 v5, v6 offset:64
	s_and_b32 exec_lo, exec_lo, vcc_lo
	s_cbranch_execz .LBB269_62
; %bb.56:
	v_cmp_gt_u32_e32 vcc_lo, 0x50, v0
	ds_store_b32 v5, v6 offset:128
	s_and_b32 exec_lo, exec_lo, vcc_lo
	s_cbranch_execz .LBB269_62
; %bb.57:
	v_mov_b32_e32 v6, 0
	v_cmp_gt_u32_e32 vcc_lo, 64, v0
	ds_store_b32 v5, v6 offset:192
	s_and_b32 exec_lo, exec_lo, vcc_lo
	s_cbranch_execz .LBB269_62
; %bb.58:
	v_cmp_gt_u32_e32 vcc_lo, 48, v0
	ds_store_b32 v5, v6 offset:256
	s_and_b32 exec_lo, exec_lo, vcc_lo
	;; [unrolled: 11-line block ×3, first 2 shown]
; %bb.61:
	v_mov_b32_e32 v6, 0
	ds_store_b32 v5, v6 offset:448
.LBB269_62:
	s_wait_alu 0xfffe
	s_or_b32 exec_lo, exec_lo, s8
.LBB269_63:
	s_wait_alu 0xfffe
	s_or_b32 exec_lo, exec_lo, s7
	s_wait_dscnt 0x0
	v_add_nc_u16 v5, v24, 2
	ds_store_b16 v15, v5
	; wave barrier
	s_wait_loadcnt_dscnt 0x0
	global_inv scope:SCOPE_SE
	ds_load_b128 v[9:12], v18
	ds_load_b128 v[5:8], v18 offset:16
	s_wait_dscnt 0x1
	v_add_nc_u32_e32 v25, v10, v9
	s_delay_alu instid0(VALU_DEP_1) | instskip(SKIP_1) | instid1(VALU_DEP_1)
	v_add3_u32 v25, v25, v11, v12
	s_wait_dscnt 0x0
	v_add3_u32 v25, v25, v5, v6
	s_delay_alu instid0(VALU_DEP_1) | instskip(NEXT) | instid1(VALU_DEP_1)
	v_add3_u32 v8, v25, v7, v8
	v_mov_b32_dpp v25, v8 row_shr:1 row_mask:0xf bank_mask:0xf
	s_delay_alu instid0(VALU_DEP_1) | instskip(NEXT) | instid1(VALU_DEP_1)
	v_cndmask_b32_e64 v25, v25, 0, s2
	v_add_nc_u32_e32 v8, v25, v8
	s_delay_alu instid0(VALU_DEP_1) | instskip(NEXT) | instid1(VALU_DEP_1)
	v_mov_b32_dpp v25, v8 row_shr:2 row_mask:0xf bank_mask:0xf
	v_cndmask_b32_e64 v25, 0, v25, s3
	s_delay_alu instid0(VALU_DEP_1) | instskip(NEXT) | instid1(VALU_DEP_1)
	v_add_nc_u32_e32 v8, v8, v25
	v_mov_b32_dpp v25, v8 row_shr:4 row_mask:0xf bank_mask:0xf
	s_delay_alu instid0(VALU_DEP_1) | instskip(NEXT) | instid1(VALU_DEP_1)
	v_cndmask_b32_e64 v25, 0, v25, s4
	v_add_nc_u32_e32 v8, v8, v25
	s_delay_alu instid0(VALU_DEP_1) | instskip(NEXT) | instid1(VALU_DEP_1)
	v_mov_b32_dpp v25, v8 row_shr:8 row_mask:0xf bank_mask:0xf
	v_cndmask_b32_e64 v25, 0, v25, s6
	s_delay_alu instid0(VALU_DEP_1)
	v_add_nc_u32_e32 v8, v8, v25
	s_and_saveexec_b32 s2, s5
; %bb.64:
	v_mov_b32_e32 v25, 0
	ds_store_b32 v25, v8 offset:512
; %bb.65:
	s_wait_alu 0xfffe
	s_or_b32 exec_lo, exec_lo, s2
	ds_bpermute_b32 v8, v16, v8
	v_mov_b32_e32 v16, 0
	; wave barrier
	s_wait_loadcnt_dscnt 0x0
	global_inv scope:SCOPE_SE
	ds_load_b32 v16, v16 offset:512
	v_cndmask_b32_e64 v8, v8, 0, s11
	s_wait_dscnt 0x0
	s_delay_alu instid0(VALU_DEP_1) | instskip(NEXT) | instid1(VALU_DEP_1)
	v_lshl_add_u32 v8, v16, 16, v8
	v_add_nc_u32_e32 v9, v8, v9
	s_delay_alu instid0(VALU_DEP_1) | instskip(NEXT) | instid1(VALU_DEP_1)
	v_add_nc_u32_e32 v10, v9, v10
	v_add_nc_u32_e32 v11, v10, v11
	s_delay_alu instid0(VALU_DEP_1) | instskip(NEXT) | instid1(VALU_DEP_1)
	v_add_nc_u32_e32 v25, v11, v12
	v_add_nc_u32_e32 v26, v25, v5
	s_delay_alu instid0(VALU_DEP_1) | instskip(SKIP_1) | instid1(VALU_DEP_2)
	v_add_nc_u32_e32 v27, v26, v6
	v_add_nc_u16 v6, v24, 1
	v_add_nc_u32_e32 v28, v27, v7
	v_and_b32_e32 v7, 0xffff, v24
	s_delay_alu instid0(VALU_DEP_3)
	v_and_b32_e32 v6, 0xffff, v6
	ds_store_b128 v18, v[8:11]
	ds_store_b128 v18, v[25:28] offset:16
	; wave barrier
	s_wait_loadcnt_dscnt 0x0
	global_inv scope:SCOPE_SE
	ds_load_u16 v5, v15
	v_lshrrev_b16 v8, 8, v19
	; wave barrier
	s_wait_loadcnt_dscnt 0x0
	global_inv scope:SCOPE_SE
	v_add_nc_u32_e32 v7, v5, v7
	v_add_nc_u32_e32 v5, v5, v6
	ds_store_b8 v7, v19
	ds_store_b8 v5, v8
	; wave barrier
	s_wait_loadcnt_dscnt 0x0
	global_inv scope:SCOPE_SE
	ds_load_u16 v9, v14
	v_lshlrev_b32_e32 v6, 3, v7
	v_lshlrev_b32_e32 v5, 3, v5
	; wave barrier
	s_wait_loadcnt_dscnt 0x0
	global_inv scope:SCOPE_SE
	ds_store_b64 v6, v[1:2]
	ds_store_b64 v5, v[3:4]
	; wave barrier
	s_wait_loadcnt_dscnt 0x0
	global_inv scope:SCOPE_SE
	ds_load_b128 v[5:8], v13
	v_and_b32_e32 v1, 0xffffff00, v9
	v_xor_b32_e32 v2, 1, v9
	s_delay_alu instid0(VALU_DEP_2) | instskip(NEXT) | instid1(VALU_DEP_2)
	v_xor_b32_e32 v1, 0x100, v1
	v_and_b32_e32 v2, 0xff, v2
	s_delay_alu instid0(VALU_DEP_1) | instskip(NEXT) | instid1(VALU_DEP_1)
	v_or_b32_e32 v1, v2, v1
	v_and_b32_e32 v9, 0xffff, v1
.LBB269_66:
	; wave barrier
	s_wait_loadcnt_dscnt 0x0
	global_inv scope:SCOPE_SE
	ds_store_b16 v21, v9
	; wave barrier
	s_wait_loadcnt_dscnt 0x0
	global_inv scope:SCOPE_SE
	ds_load_u8 v3, v0 offset:16
	v_add_co_u32 v1, s2, s14, v20
	s_wait_alu 0xf1ff
	v_add_co_ci_u32_e64 v2, null, s15, 0, s2
	s_and_saveexec_b32 s2, s0
	s_cbranch_execz .LBB269_68
; %bb.67:
	ds_load_u8 v0, v0
	s_wait_dscnt 0x0
	global_store_b8 v[1:2], v0, off
.LBB269_68:
	s_wait_alu 0xfffe
	s_or_b32 exec_lo, exec_lo, s2
	s_and_saveexec_b32 s2, s1
	s_cbranch_execz .LBB269_70
; %bb.69:
	s_lshl_b32 s3, s10, 4
	s_wait_alu 0xfffe
	v_add_co_u32 v0, vcc_lo, v1, s3
	s_wait_alu 0xfffd
	v_add_co_ci_u32_e64 v1, null, 0, v2, vcc_lo
	s_wait_dscnt 0x0
	global_store_b8 v[0:1], v3, off
.LBB269_70:
	s_wait_alu 0xfffe
	s_or_b32 exec_lo, exec_lo, s2
	s_wait_storecnt 0x0
	; wave barrier
	s_wait_loadcnt_dscnt 0x0
	global_inv scope:SCOPE_SE
	ds_store_2addr_b64 v23, v[5:6], v[7:8] offset1:1
	; wave barrier
	s_wait_loadcnt_dscnt 0x0
	global_inv scope:SCOPE_SE
	ds_load_b64 v[0:1], v22 offset:128
	v_mov_b32_e32 v18, 0
	s_delay_alu instid0(VALU_DEP_1) | instskip(NEXT) | instid1(VALU_DEP_1)
	v_lshlrev_b64_e32 v[2:3], 3, v[17:18]
	v_add_co_u32 v2, vcc_lo, s16, v2
	s_wait_alu 0xfffd
	s_delay_alu instid0(VALU_DEP_2)
	v_add_co_ci_u32_e64 v3, null, s17, v3, vcc_lo
	s_and_saveexec_b32 s2, s0
	s_cbranch_execz .LBB269_72
; %bb.71:
	ds_load_b64 v[4:5], v22
	s_wait_dscnt 0x0
	global_store_b64 v[2:3], v[4:5], off
.LBB269_72:
	s_wait_alu 0xfffe
	s_or_b32 exec_lo, exec_lo, s2
	s_and_saveexec_b32 s0, s1
	s_cbranch_execz .LBB269_74
; %bb.73:
	s_lshl_b32 s0, s12, 4
	s_mov_b32 s1, 0
	s_delay_alu instid0(SALU_CYCLE_1) | instskip(NEXT) | instid1(SALU_CYCLE_1)
	s_lshl_b64 s[0:1], s[0:1], 3
	v_add_co_u32 v2, vcc_lo, v2, s0
	s_wait_alu 0xfffd
	v_add_co_ci_u32_e64 v3, null, s1, v3, vcc_lo
	s_wait_dscnt 0x0
	global_store_b64 v[2:3], v[0:1], off
.LBB269_74:
	s_endpgm
	.section	.rodata,"a",@progbits
	.p2align	6, 0x0
	.amdhsa_kernel _ZN2at6native18radixSortKVInPlaceILi2ELin1ELi16ELi2EbljEEvNS_4cuda6detail10TensorInfoIT3_T5_EES6_S6_S6_NS4_IT4_S6_EES6_b
		.amdhsa_group_segment_fixed_size 528
		.amdhsa_private_segment_fixed_size 0
		.amdhsa_kernarg_size 712
		.amdhsa_user_sgpr_count 2
		.amdhsa_user_sgpr_dispatch_ptr 0
		.amdhsa_user_sgpr_queue_ptr 0
		.amdhsa_user_sgpr_kernarg_segment_ptr 1
		.amdhsa_user_sgpr_dispatch_id 0
		.amdhsa_user_sgpr_private_segment_size 0
		.amdhsa_wavefront_size32 1
		.amdhsa_uses_dynamic_stack 0
		.amdhsa_enable_private_segment 0
		.amdhsa_system_sgpr_workgroup_id_x 1
		.amdhsa_system_sgpr_workgroup_id_y 1
		.amdhsa_system_sgpr_workgroup_id_z 1
		.amdhsa_system_sgpr_workgroup_info 0
		.amdhsa_system_vgpr_workitem_id 0
		.amdhsa_next_free_vgpr 35
		.amdhsa_next_free_sgpr 24
		.amdhsa_reserve_vcc 1
		.amdhsa_float_round_mode_32 0
		.amdhsa_float_round_mode_16_64 0
		.amdhsa_float_denorm_mode_32 3
		.amdhsa_float_denorm_mode_16_64 3
		.amdhsa_fp16_overflow 0
		.amdhsa_workgroup_processor_mode 1
		.amdhsa_memory_ordered 1
		.amdhsa_forward_progress 1
		.amdhsa_inst_pref_size 41
		.amdhsa_round_robin_scheduling 0
		.amdhsa_exception_fp_ieee_invalid_op 0
		.amdhsa_exception_fp_denorm_src 0
		.amdhsa_exception_fp_ieee_div_zero 0
		.amdhsa_exception_fp_ieee_overflow 0
		.amdhsa_exception_fp_ieee_underflow 0
		.amdhsa_exception_fp_ieee_inexact 0
		.amdhsa_exception_int_div_zero 0
	.end_amdhsa_kernel
	.section	.text._ZN2at6native18radixSortKVInPlaceILi2ELin1ELi16ELi2EbljEEvNS_4cuda6detail10TensorInfoIT3_T5_EES6_S6_S6_NS4_IT4_S6_EES6_b,"axG",@progbits,_ZN2at6native18radixSortKVInPlaceILi2ELin1ELi16ELi2EbljEEvNS_4cuda6detail10TensorInfoIT3_T5_EES6_S6_S6_NS4_IT4_S6_EES6_b,comdat
.Lfunc_end269:
	.size	_ZN2at6native18radixSortKVInPlaceILi2ELin1ELi16ELi2EbljEEvNS_4cuda6detail10TensorInfoIT3_T5_EES6_S6_S6_NS4_IT4_S6_EES6_b, .Lfunc_end269-_ZN2at6native18radixSortKVInPlaceILi2ELin1ELi16ELi2EbljEEvNS_4cuda6detail10TensorInfoIT3_T5_EES6_S6_S6_NS4_IT4_S6_EES6_b
                                        ; -- End function
	.set _ZN2at6native18radixSortKVInPlaceILi2ELin1ELi16ELi2EbljEEvNS_4cuda6detail10TensorInfoIT3_T5_EES6_S6_S6_NS4_IT4_S6_EES6_b.num_vgpr, 35
	.set _ZN2at6native18radixSortKVInPlaceILi2ELin1ELi16ELi2EbljEEvNS_4cuda6detail10TensorInfoIT3_T5_EES6_S6_S6_NS4_IT4_S6_EES6_b.num_agpr, 0
	.set _ZN2at6native18radixSortKVInPlaceILi2ELin1ELi16ELi2EbljEEvNS_4cuda6detail10TensorInfoIT3_T5_EES6_S6_S6_NS4_IT4_S6_EES6_b.numbered_sgpr, 24
	.set _ZN2at6native18radixSortKVInPlaceILi2ELin1ELi16ELi2EbljEEvNS_4cuda6detail10TensorInfoIT3_T5_EES6_S6_S6_NS4_IT4_S6_EES6_b.num_named_barrier, 0
	.set _ZN2at6native18radixSortKVInPlaceILi2ELin1ELi16ELi2EbljEEvNS_4cuda6detail10TensorInfoIT3_T5_EES6_S6_S6_NS4_IT4_S6_EES6_b.private_seg_size, 0
	.set _ZN2at6native18radixSortKVInPlaceILi2ELin1ELi16ELi2EbljEEvNS_4cuda6detail10TensorInfoIT3_T5_EES6_S6_S6_NS4_IT4_S6_EES6_b.uses_vcc, 1
	.set _ZN2at6native18radixSortKVInPlaceILi2ELin1ELi16ELi2EbljEEvNS_4cuda6detail10TensorInfoIT3_T5_EES6_S6_S6_NS4_IT4_S6_EES6_b.uses_flat_scratch, 0
	.set _ZN2at6native18radixSortKVInPlaceILi2ELin1ELi16ELi2EbljEEvNS_4cuda6detail10TensorInfoIT3_T5_EES6_S6_S6_NS4_IT4_S6_EES6_b.has_dyn_sized_stack, 0
	.set _ZN2at6native18radixSortKVInPlaceILi2ELin1ELi16ELi2EbljEEvNS_4cuda6detail10TensorInfoIT3_T5_EES6_S6_S6_NS4_IT4_S6_EES6_b.has_recursion, 0
	.set _ZN2at6native18radixSortKVInPlaceILi2ELin1ELi16ELi2EbljEEvNS_4cuda6detail10TensorInfoIT3_T5_EES6_S6_S6_NS4_IT4_S6_EES6_b.has_indirect_call, 0
	.section	.AMDGPU.csdata,"",@progbits
; Kernel info:
; codeLenInByte = 5240
; TotalNumSgprs: 26
; NumVgprs: 35
; ScratchSize: 0
; MemoryBound: 0
; FloatMode: 240
; IeeeMode: 1
; LDSByteSize: 528 bytes/workgroup (compile time only)
; SGPRBlocks: 0
; VGPRBlocks: 4
; NumSGPRsForWavesPerEU: 26
; NumVGPRsForWavesPerEU: 35
; Occupancy: 16
; WaveLimiterHint : 1
; COMPUTE_PGM_RSRC2:SCRATCH_EN: 0
; COMPUTE_PGM_RSRC2:USER_SGPR: 2
; COMPUTE_PGM_RSRC2:TRAP_HANDLER: 0
; COMPUTE_PGM_RSRC2:TGID_X_EN: 1
; COMPUTE_PGM_RSRC2:TGID_Y_EN: 1
; COMPUTE_PGM_RSRC2:TGID_Z_EN: 1
; COMPUTE_PGM_RSRC2:TIDIG_COMP_CNT: 0
	.section	.text._ZN2at6native18radixSortKVInPlaceILin1ELin1ELi512ELi8EbljEEvNS_4cuda6detail10TensorInfoIT3_T5_EES6_S6_S6_NS4_IT4_S6_EES6_b,"axG",@progbits,_ZN2at6native18radixSortKVInPlaceILin1ELin1ELi512ELi8EbljEEvNS_4cuda6detail10TensorInfoIT3_T5_EES6_S6_S6_NS4_IT4_S6_EES6_b,comdat
	.protected	_ZN2at6native18radixSortKVInPlaceILin1ELin1ELi512ELi8EbljEEvNS_4cuda6detail10TensorInfoIT3_T5_EES6_S6_S6_NS4_IT4_S6_EES6_b ; -- Begin function _ZN2at6native18radixSortKVInPlaceILin1ELin1ELi512ELi8EbljEEvNS_4cuda6detail10TensorInfoIT3_T5_EES6_S6_S6_NS4_IT4_S6_EES6_b
	.globl	_ZN2at6native18radixSortKVInPlaceILin1ELin1ELi512ELi8EbljEEvNS_4cuda6detail10TensorInfoIT3_T5_EES6_S6_S6_NS4_IT4_S6_EES6_b
	.p2align	8
	.type	_ZN2at6native18radixSortKVInPlaceILin1ELin1ELi512ELi8EbljEEvNS_4cuda6detail10TensorInfoIT3_T5_EES6_S6_S6_NS4_IT4_S6_EES6_b,@function
_ZN2at6native18radixSortKVInPlaceILin1ELin1ELi512ELi8EbljEEvNS_4cuda6detail10TensorInfoIT3_T5_EES6_S6_S6_NS4_IT4_S6_EES6_b: ; @_ZN2at6native18radixSortKVInPlaceILin1ELin1ELi512ELi8EbljEEvNS_4cuda6detail10TensorInfoIT3_T5_EES6_S6_S6_NS4_IT4_S6_EES6_b
; %bb.0:
	s_clause 0x1
	s_load_b64 s[2:3], s[0:1], 0x1c8
	s_load_b96 s[12:14], s[0:1], 0xd8
	s_lshr_b32 s4, ttmp7, 16
	s_wait_kmcnt 0x0
	s_mul_i32 s3, s3, s4
	s_and_b32 s4, ttmp7, 0xffff
	s_delay_alu instid0(SALU_CYCLE_1) | instskip(NEXT) | instid1(SALU_CYCLE_1)
	s_add_co_i32 s3, s3, s4
	s_mul_i32 s2, s3, s2
	s_delay_alu instid0(SALU_CYCLE_1) | instskip(NEXT) | instid1(SALU_CYCLE_1)
	s_add_co_i32 s22, s2, ttmp9
	s_cmp_ge_u32 s22, s12
	s_cbranch_scc1 .LBB270_105
; %bb.1:
	s_load_b32 s4, s[0:1], 0xd0
	s_mov_b32 s3, 0
	s_mov_b32 s2, s22
	s_wait_kmcnt 0x0
	s_cmp_lt_i32 s4, 2
	s_cbranch_scc1 .LBB270_4
; %bb.2:
	s_add_co_i32 s2, s4, -1
	s_delay_alu instid0(SALU_CYCLE_1)
	s_lshl_b64 s[6:7], s[2:3], 2
	s_mov_b32 s2, s22
	s_add_nc_u64 s[8:9], s[0:1], s[6:7]
	s_add_co_i32 s6, s4, 1
	s_add_nc_u64 s[4:5], s[8:9], 8
.LBB270_3:                              ; =>This Inner Loop Header: Depth=1
	s_clause 0x1
	s_load_b32 s7, s[4:5], 0x0
	s_load_b32 s8, s[4:5], 0x64
	s_mov_b32 s11, s2
	s_add_nc_u64 s[4:5], s[4:5], -4
	s_wait_kmcnt 0x0
	s_cvt_f32_u32 s9, s7
	s_sub_co_i32 s10, 0, s7
	s_wait_alu 0xfffe
	s_delay_alu instid0(SALU_CYCLE_1) | instskip(NEXT) | instid1(TRANS32_DEP_1)
	v_rcp_iflag_f32_e32 v1, s9
	v_readfirstlane_b32 s9, v1
	s_mul_f32 s9, s9, 0x4f7ffffe
	s_wait_alu 0xfffe
	s_delay_alu instid0(SALU_CYCLE_2) | instskip(SKIP_1) | instid1(SALU_CYCLE_2)
	s_cvt_u32_f32 s9, s9
	s_wait_alu 0xfffe
	s_mul_i32 s10, s10, s9
	s_delay_alu instid0(SALU_CYCLE_1) | instskip(NEXT) | instid1(SALU_CYCLE_1)
	s_mul_hi_u32 s10, s9, s10
	s_add_co_i32 s9, s9, s10
	s_wait_alu 0xfffe
	s_mul_hi_u32 s2, s2, s9
	s_delay_alu instid0(SALU_CYCLE_1)
	s_mul_i32 s9, s2, s7
	s_add_co_i32 s10, s2, 1
	s_wait_alu 0xfffe
	s_sub_co_i32 s9, s11, s9
	s_wait_alu 0xfffe
	s_sub_co_i32 s12, s9, s7
	s_cmp_ge_u32 s9, s7
	s_cselect_b32 s2, s10, s2
	s_cselect_b32 s9, s12, s9
	s_add_co_i32 s10, s2, 1
	s_wait_alu 0xfffe
	s_cmp_ge_u32 s9, s7
	s_cselect_b32 s2, s10, s2
	s_add_co_i32 s6, s6, -1
	s_mul_i32 s7, s2, s7
	s_delay_alu instid0(SALU_CYCLE_1) | instskip(NEXT) | instid1(SALU_CYCLE_1)
	s_sub_co_i32 s7, s11, s7
	s_mul_i32 s7, s8, s7
	s_delay_alu instid0(SALU_CYCLE_1)
	s_add_co_i32 s3, s7, s3
	s_cmp_gt_u32 s6, 2
	s_cbranch_scc1 .LBB270_3
.LBB270_4:
	s_load_b32 s4, s[0:1], 0x1b8
	s_add_nc_u64 s[20:21], s[0:1], 0x1c8
	s_mov_b32 s9, 0
	s_wait_kmcnt 0x0
	s_cmp_lt_i32 s4, 2
	s_cbranch_scc1 .LBB270_7
; %bb.5:
	s_add_co_i32 s8, s4, -1
	s_wait_alu 0xfffe
	s_lshl_b64 s[6:7], s[8:9], 2
	s_delay_alu instid0(SALU_CYCLE_1)
	s_add_nc_u64 s[10:11], s[0:1], s[6:7]
	s_add_co_i32 s6, s4, 1
	s_add_nc_u64 s[4:5], s[10:11], 0xf0
.LBB270_6:                              ; =>This Inner Loop Header: Depth=1
	s_clause 0x1
	s_load_b32 s7, s[4:5], 0x0
	s_load_b32 s8, s[4:5], 0x64
	s_mov_b32 s12, s22
	s_add_nc_u64 s[4:5], s[4:5], -4
	s_wait_kmcnt 0x0
	s_cvt_f32_u32 s10, s7
	s_sub_co_i32 s11, 0, s7
	s_wait_alu 0xfffe
	s_delay_alu instid0(SALU_CYCLE_1) | instskip(NEXT) | instid1(TRANS32_DEP_1)
	v_rcp_iflag_f32_e32 v1, s10
	v_readfirstlane_b32 s10, v1
	s_mul_f32 s10, s10, 0x4f7ffffe
	s_wait_alu 0xfffe
	s_delay_alu instid0(SALU_CYCLE_2) | instskip(SKIP_1) | instid1(SALU_CYCLE_2)
	s_cvt_u32_f32 s10, s10
	s_wait_alu 0xfffe
	s_mul_i32 s11, s11, s10
	s_wait_alu 0xfffe
	s_mul_hi_u32 s11, s10, s11
	s_wait_alu 0xfffe
	s_add_co_i32 s10, s10, s11
	s_wait_alu 0xfffe
	s_mul_hi_u32 s10, s22, s10
	s_wait_alu 0xfffe
	s_mul_i32 s11, s10, s7
	s_add_co_i32 s15, s10, 1
	s_wait_alu 0xfffe
	s_sub_co_i32 s11, s22, s11
	s_wait_alu 0xfffe
	s_sub_co_i32 s16, s11, s7
	s_cmp_ge_u32 s11, s7
	s_cselect_b32 s10, s15, s10
	s_cselect_b32 s11, s16, s11
	s_wait_alu 0xfffe
	s_add_co_i32 s15, s10, 1
	s_cmp_ge_u32 s11, s7
	s_cselect_b32 s22, s15, s10
	s_add_co_i32 s6, s6, -1
	s_mul_i32 s7, s22, s7
	s_delay_alu instid0(SALU_CYCLE_1) | instskip(NEXT) | instid1(SALU_CYCLE_1)
	s_sub_co_i32 s7, s12, s7
	s_mul_i32 s7, s8, s7
	s_delay_alu instid0(SALU_CYCLE_1)
	s_add_co_i32 s9, s7, s9
	s_cmp_gt_u32 s6, 2
	s_cbranch_scc1 .LBB270_6
.LBB270_7:
	s_clause 0x1
	s_load_b32 s4, s[0:1], 0x6c
	s_load_b64 s[16:17], s[0:1], 0x1c0
	v_and_b32_e32 v44, 0x3ff, v0
	s_mov_b32 s7, 0
	s_delay_alu instid0(VALU_DEP_1)
	v_mul_lo_u32 v47, s14, v44
	s_wait_kmcnt 0x0
	s_mul_i32 s2, s4, s2
	s_load_b64 s[4:5], s[0:1], 0x0
	s_add_co_i32 s6, s2, s3
	s_bitcmp1_b32 s17, 0
	s_cselect_b32 s2, -1, 0
	s_delay_alu instid0(SALU_CYCLE_1) | instskip(SKIP_4) | instid1(VALU_DEP_2)
	s_xor_b32 s15, s2, -1
	v_cmp_gt_u32_e64 s2, s13, v44
	s_wait_alu 0xfffe
	v_cndmask_b32_e64 v1, 0, 1, s15
	v_cndmask_b32_e64 v3, 0, 1, s15
	v_lshlrev_b32_e32 v2, 8, v1
	s_delay_alu instid0(VALU_DEP_1) | instskip(SKIP_2) | instid1(VALU_DEP_1)
	v_or_b32_e32 v1, v1, v2
	s_wait_kmcnt 0x0
	s_add_nc_u64 s[18:19], s[4:5], s[6:7]
	v_and_b32_e32 v2, 0x101, v1
	v_lshlrev_b32_e32 v1, 16, v1
	s_delay_alu instid0(VALU_DEP_1) | instskip(NEXT) | instid1(VALU_DEP_1)
	v_or_b32_e32 v1, v2, v1
	v_mov_b32_e32 v2, v1
	s_and_saveexec_b32 s3, s2
	s_cbranch_execz .LBB270_9
; %bb.8:
	global_load_u8 v3, v47, s[18:19]
	v_mov_b32_e32 v5, v1
	s_wait_loadcnt 0x0
	v_perm_b32 v4, v3, v1, 0x3020104
	s_delay_alu instid0(VALU_DEP_1)
	v_dual_mov_b32 v1, v4 :: v_dual_mov_b32 v2, v5
.LBB270_9:
	s_or_b32 exec_lo, exec_lo, s3
	v_add_nc_u32_e32 v28, 0x200, v44
	s_delay_alu instid0(VALU_DEP_1)
	v_cmp_gt_u32_e64 s3, s13, v28
	s_and_saveexec_b32 s4, s3
	s_cbranch_execz .LBB270_11
; %bb.10:
	v_mul_lo_u32 v4, s14, v28
	global_load_u8 v4, v4, s[18:19]
	s_wait_loadcnt 0x0
	v_perm_b32 v1, v1, v4, 0x7060004
.LBB270_11:
	s_or_b32 exec_lo, exec_lo, s4
	v_or_b32_e32 v24, 0x400, v44
	s_delay_alu instid0(VALU_DEP_1)
	v_cmp_gt_u32_e64 s4, s13, v24
	s_and_saveexec_b32 s5, s4
	s_cbranch_execz .LBB270_13
; %bb.12:
	v_mul_lo_u32 v4, s14, v24
	global_load_u8 v4, v4, s[18:19]
	s_wait_loadcnt 0x0
	v_perm_b32 v4, v4, v1, 0xc0c0304
	s_delay_alu instid0(VALU_DEP_1) | instskip(NEXT) | instid1(VALU_DEP_1)
	v_lshlrev_b32_e32 v4, 16, v4
	v_and_or_b32 v1, 0xffff, v1, v4
.LBB270_13:
	s_or_b32 exec_lo, exec_lo, s5
	v_add_nc_u32_e32 v21, 0x600, v44
	s_delay_alu instid0(VALU_DEP_1)
	v_cmp_gt_u32_e64 s5, s13, v21
	s_and_saveexec_b32 s6, s5
	s_cbranch_execz .LBB270_15
; %bb.14:
	v_mul_lo_u32 v4, s14, v21
	global_load_u8 v4, v4, s[18:19]
	s_wait_loadcnt 0x0
	v_perm_b32 v4, v1, v4, 0xc0c0006
	s_delay_alu instid0(VALU_DEP_1) | instskip(NEXT) | instid1(VALU_DEP_1)
	v_lshlrev_b32_e32 v4, 16, v4
	v_and_or_b32 v1, 0xffff, v1, v4
.LBB270_15:
	s_or_b32 exec_lo, exec_lo, s6
	v_or_b32_e32 v19, 0x800, v44
	s_delay_alu instid0(VALU_DEP_1)
	v_cmp_gt_u32_e64 s6, s13, v19
	s_and_saveexec_b32 s7, s6
	s_cbranch_execz .LBB270_17
; %bb.16:
	v_mul_lo_u32 v4, s14, v19
	global_load_u8 v4, v4, s[18:19]
	s_wait_loadcnt 0x0
	v_perm_b32 v2, v4, v2, 0x3020104
.LBB270_17:
	s_or_b32 exec_lo, exec_lo, s7
	v_add_nc_u32_e32 v17, 0xa00, v44
	s_delay_alu instid0(VALU_DEP_1)
	v_cmp_gt_u32_e64 s7, s13, v17
	s_and_saveexec_b32 s8, s7
	s_cbranch_execz .LBB270_19
; %bb.18:
	v_mul_lo_u32 v4, s14, v17
	global_load_u8 v4, v4, s[18:19]
	s_wait_loadcnt 0x0
	v_perm_b32 v2, v2, v4, 0x7060004
.LBB270_19:
	s_wait_alu 0xfffe
	s_or_b32 exec_lo, exec_lo, s8
	v_or_b32_e32 v16, 0xc00, v44
	s_delay_alu instid0(VALU_DEP_1)
	v_cmp_gt_u32_e64 s8, s13, v16
	s_and_saveexec_b32 s10, s8
	s_cbranch_execz .LBB270_21
; %bb.20:
	v_mul_lo_u32 v4, s14, v16
	global_load_u8 v4, v4, s[18:19]
	s_wait_loadcnt 0x0
	v_perm_b32 v2, v2, v4, 0x7000504
.LBB270_21:
	s_wait_alu 0xfffe
	s_or_b32 exec_lo, exec_lo, s10
	s_clause 0x1
	s_load_b32 s12, s[0:1], 0x154
	s_load_b64 s[10:11], s[0:1], 0xe8
	v_add_nc_u32_e32 v15, 0xe00, v44
	s_delay_alu instid0(VALU_DEP_1)
	v_cmp_gt_u32_e64 s0, s13, v15
	s_and_saveexec_b32 s1, s0
	s_cbranch_execz .LBB270_23
; %bb.22:
	v_mul_lo_u32 v4, s14, v15
	global_load_u8 v4, v4, s[18:19]
	s_wait_loadcnt 0x0
	v_perm_b32 v2, v2, v4, 0x60504
.LBB270_23:
	s_or_b32 exec_lo, exec_lo, s1
	v_lshrrev_b32_e32 v65, 5, v44
	v_lshrrev_b32_e32 v18, 5, v28
	v_lshrrev_b32_e32 v23, 5, v19
	v_lshrrev_b32_e32 v20, 5, v24
	v_lshrrev_b32_e32 v26, 5, v16
	s_delay_alu instid0(VALU_DEP_4) | instskip(SKIP_4) | instid1(VALU_DEP_4)
	v_dual_mov_b32 v42, 0 :: v_dual_and_b32 v5, 60, v18
	v_and_b32_e32 v4, 28, v65
	v_and_b32_e32 v7, 0x5c, v23
	v_lshrrev_b32_e32 v22, 5, v21
	v_lshrrev_b32_e32 v29, 2, v44
	v_dual_mov_b32 v43, v42 :: v_dual_add_nc_u32 v48, v4, v44
	v_dual_mov_b32 v11, v42 :: v_dual_and_b32 v4, 60, v20
	v_mov_b32_e32 v12, v42
	v_add_nc_u32_e32 v52, v7, v44
	v_and_b32_e32 v7, 0x7c, v26
	s_delay_alu instid0(VALU_DEP_4)
	v_add_nc_u32_e32 v50, v4, v44
	v_and_b32_e32 v4, 0x7c, v22
	v_lshrrev_b32_e32 v25, 5, v17
	v_lshrrev_b32_e32 v27, 5, v15
	v_dual_mov_b32 v13, 0 :: v_dual_add_nc_u32 v54, v7, v44
	v_lshlrev_b32_e32 v61, 3, v44
	v_and_b32_e32 v7, 0xfc, v29
	v_add_nc_u32_e32 v51, v4, v44
	v_and_b32_e32 v4, 0x7c, v25
	v_and_b32_e32 v9, 0xfc, v27
	v_lshrrev_b32_e32 v6, 8, v1
	v_add_nc_u32_e32 v56, v7, v61
	v_dual_mov_b32 v10, v42 :: v_dual_add_nc_u32 v49, v5, v44
	v_lshrrev_b32_e32 v5, 24, v1
	v_lshrrev_b32_e32 v8, 8, v2
	v_dual_mov_b32 v14, 0 :: v_dual_add_nc_u32 v53, v4, v44
	v_lshrrev_b32_e32 v4, 24, v2
	v_add_nc_u32_e32 v55, v9, v44
	v_mov_b32_e32 v9, v42
	v_mov_b32_e32 v7, v42
	ds_store_b8 v48, v3
	ds_store_b8 v49, v6 offset:512
	ds_store_b8_d16_hi v50, v1 offset:1024
	ds_store_b8 v51, v5 offset:1536
	ds_store_b8 v52, v2 offset:2048
	;; [unrolled: 1-line block ×3, first 2 shown]
	ds_store_b8_d16_hi v54, v2 offset:3072
	ds_store_b8 v55, v4 offset:3584
	s_wait_dscnt 0x0
	s_barrier_signal -1
	s_barrier_wait -1
	global_inv scope:SCOPE_SE
	ds_load_2addr_b32 v[45:46], v56 offset1:1
	s_wait_kmcnt 0x0
	s_mul_i32 s1, s12, s22
	v_mul_lo_u32 v41, s16, v44
	s_mov_b32 s13, 0
	s_add_co_i32 s12, s1, s9
	v_dual_mov_b32 v1, v42 :: v_dual_mov_b32 v2, v42
	v_dual_mov_b32 v3, v42 :: v_dual_mov_b32 v4, v42
	;; [unrolled: 1-line block ×3, first 2 shown]
	v_mov_b32_e32 v8, v42
	s_wait_alu 0xfffe
	s_lshl_b64 s[12:13], s[12:13], 3
	s_wait_loadcnt_dscnt 0x0
	s_wait_alu 0xfffe
	s_add_nc_u64 s[12:13], s[10:11], s[12:13]
	s_barrier_signal -1
	s_barrier_wait -1
	global_inv scope:SCOPE_SE
	s_and_saveexec_b32 s1, s2
	s_cbranch_execnz .LBB270_56
; %bb.24:
	s_or_b32 exec_lo, exec_lo, s1
	s_and_saveexec_b32 s1, s3
	s_cbranch_execnz .LBB270_57
.LBB270_25:
	s_or_b32 exec_lo, exec_lo, s1
	s_and_saveexec_b32 s1, s4
	s_cbranch_execnz .LBB270_58
.LBB270_26:
	s_or_b32 exec_lo, exec_lo, s1
	s_and_saveexec_b32 s1, s5
	s_cbranch_execnz .LBB270_59
.LBB270_27:
	s_or_b32 exec_lo, exec_lo, s1
	s_and_saveexec_b32 s1, s6
	s_cbranch_execnz .LBB270_60
.LBB270_28:
	s_or_b32 exec_lo, exec_lo, s1
	s_and_saveexec_b32 s1, s7
	s_cbranch_execnz .LBB270_61
.LBB270_29:
	s_or_b32 exec_lo, exec_lo, s1
	s_and_saveexec_b32 s1, s8
	s_cbranch_execnz .LBB270_62
.LBB270_30:
	s_or_b32 exec_lo, exec_lo, s1
	s_and_saveexec_b32 s1, s0
	s_cbranch_execz .LBB270_32
.LBB270_31:
	v_mul_lo_u32 v7, s16, v15
	v_mov_b32_e32 v8, 0
	s_delay_alu instid0(VALU_DEP_1) | instskip(SKIP_1) | instid1(VALU_DEP_1)
	v_lshlrev_b64_e32 v[7:8], 3, v[7:8]
	s_wait_alu 0xfffe
	v_add_co_u32 v7, vcc_lo, s12, v7
	s_wait_alu 0xfffd
	s_delay_alu instid0(VALU_DEP_2)
	v_add_co_ci_u32_e64 v8, null, s13, v8, vcc_lo
	global_load_b64 v[7:8], v[7:8], off
.LBB270_32:
	s_or_b32 exec_lo, exec_lo, s1
	v_lshl_add_u32 v57, v65, 3, v61
	v_lshl_add_u32 v58, v18, 3, v61
	v_lshl_add_u32 v59, v20, 3, v61
	v_lshl_add_u32 v60, v22, 3, v61
	v_lshl_add_u32 v62, v26, 3, v61
	s_wait_loadcnt 0x0
	ds_store_b64 v57, v[13:14]
	ds_store_b64 v58, v[42:43] offset:4096
	ds_store_b64 v59, v[9:10] offset:8192
	;; [unrolled: 1-line block ×3, first 2 shown]
	v_lshlrev_b32_e32 v9, 3, v61
	v_lshl_add_u32 v42, v23, 3, v61
	v_lshl_add_u32 v43, v25, 3, v61
	;; [unrolled: 1-line block ×3, first 2 shown]
	ds_store_b64 v42, v[1:2] offset:16384
	ds_store_b64 v43, v[3:4] offset:20480
	;; [unrolled: 1-line block ×4, first 2 shown]
	v_lshl_add_u32 v64, v29, 3, v9
	s_wait_dscnt 0x0
	s_barrier_signal -1
	s_barrier_wait -1
	global_inv scope:SCOPE_SE
	ds_load_2addr_b64 v[13:16], v64 offset1:1
	ds_load_2addr_b64 v[9:12], v64 offset0:2 offset1:3
	ds_load_2addr_b64 v[5:8], v64 offset0:4 offset1:5
	;; [unrolled: 1-line block ×3, first 2 shown]
	v_bfe_u32 v69, v0, 10, 10
	v_bfe_u32 v70, v0, 20, 10
	v_mbcnt_lo_u32_b32 v67, -1, 0
	v_and_b32_e32 v68, 0x3e0, v44
	v_lshlrev_b32_e32 v66, 2, v61
	s_and_b32 vcc_lo, exec_lo, s15
	s_wait_loadcnt_dscnt 0x0
	s_barrier_signal -1
	s_barrier_wait -1
	global_inv scope:SCOPE_SE
	s_wait_alu 0xfffe
	s_cbranch_vccz .LBB270_63
; %bb.33:
	s_getpc_b64 s[10:11]
	s_wait_alu 0xfffe
	s_sext_i32_i16 s11, s11
	s_add_co_u32 s10, s10, _ZN7rocprim17ROCPRIM_400000_NS16block_radix_sortIbLj512ELj8ElLj1ELj1ELj0ELNS0_26block_radix_rank_algorithmE1ELNS0_18block_padding_hintE2ELNS0_4arch9wavefront6targetE0EE19radix_bits_per_passE@rel32@lo+12
	s_wait_alu 0xfffe
	s_add_co_ci_u32 s11, s11, _ZN7rocprim17ROCPRIM_400000_NS16block_radix_sortIbLj512ELj8ElLj1ELj1ELj0ELNS0_26block_radix_rank_algorithmE1ELNS0_18block_padding_hintE2ELNS0_4arch9wavefront6targetE0EE19radix_bits_per_passE@rel32@hi+24
	v_or_b32_e32 v17, v67, v68
	s_load_b32 s1, s[10:11], 0x0
	s_mov_b32 s24, 0
	v_and_or_b32 v19, 0x1f00, v61, v67
	s_mov_b32 s25, s24
	s_mov_b32 s26, s24
	;; [unrolled: 1-line block ×3, first 2 shown]
	v_lshlrev_b32_e32 v18, 3, v17
	ds_store_b64 v18, v[45:46]
	; wave barrier
	ds_load_u8 v0, v19
	ds_load_u8 v71, v19 offset:32
	ds_load_u8 v72, v19 offset:64
	;; [unrolled: 1-line block ×7, first 2 shown]
	v_mad_u32_u24 v17, v17, 56, v18
	v_mad_u32_u24 v18, v19, 7, v19
	s_wait_loadcnt_dscnt 0x0
	s_barrier_signal -1
	s_barrier_wait -1
	global_inv scope:SCOPE_SE
	ds_store_b128 v17, v[13:16]
	ds_store_b128 v17, v[9:12] offset:16
	ds_store_b128 v17, v[5:8] offset:32
	ds_store_b128 v17, v[1:4] offset:48
	; wave barrier
	ds_load_2addr_b64 v[29:32], v18 offset1:32
	ds_load_2addr_b64 v[25:28], v18 offset0:64 offset1:96
	ds_load_2addr_b64 v[21:24], v18 offset0:128 offset1:160
	;; [unrolled: 1-line block ×3, first 2 shown]
	s_wait_loadcnt_dscnt 0x0
	s_barrier_signal -1
	s_barrier_wait -1
	global_inv scope:SCOPE_SE
	s_load_b32 s10, s[20:21], 0xc
	s_wait_kmcnt 0x0
	s_min_u32 s1, s1, 8
	s_delay_alu instid0(SALU_CYCLE_1) | instskip(NEXT) | instid1(SALU_CYCLE_1)
	s_lshl_b32 s1, -1, s1
	s_not_b32 s9, s1
	s_wait_alu 0xfffe
	v_and_b32_e32 v33, s9, v0
	s_delay_alu instid0(VALU_DEP_1) | instskip(NEXT) | instid1(VALU_DEP_1)
	v_and_b32_e32 v39, 1, v33
	v_add_co_u32 v35, s11, v39, -1
	s_wait_alu 0xf1ff
	v_cndmask_b32_e64 v33, 0, 1, s11
	s_lshr_b32 s1, s10, 16
	s_delay_alu instid0(SALU_CYCLE_1) | instskip(SKIP_1) | instid1(VALU_DEP_2)
	v_mad_u32_u24 v34, v70, s1, v69
	s_and_b32 s1, s10, 0xffff
	v_cmp_ne_u32_e32 vcc_lo, 0, v33
	s_wait_alu 0xfffe
	s_delay_alu instid0(VALU_DEP_2) | instskip(SKIP_4) | instid1(VALU_DEP_3)
	v_mad_co_u64_u32 v[33:34], null, v34, s1, v[44:45]
	s_wait_alu 0xfffd
	v_xor_b32_e32 v34, vcc_lo, v35
	v_dual_mov_b32 v38, s27 :: v_dual_mov_b32 v35, s24
	v_dual_mov_b32 v37, s26 :: v_dual_mov_b32 v36, s25
	v_and_b32_e32 v34, exec_lo, v34
	v_lshrrev_b32_e32 v33, 3, v33
	ds_store_b128 v66, v[35:38] offset:64
	ds_store_b128 v66, v[35:38] offset:80
	v_mbcnt_lo_u32_b32 v78, v34, 0
	v_lshlrev_b32_e32 v35, 6, v39
	v_and_b32_e32 v33, 0x1ffffffc, v33
	v_cmp_ne_u32_e64 s1, 0, v34
	s_wait_loadcnt_dscnt 0x0
	v_cmp_eq_u32_e32 vcc_lo, 0, v78
	s_barrier_signal -1
	v_add_nc_u32_e32 v81, v33, v35
	s_barrier_wait -1
	global_inv scope:SCOPE_SE
	s_and_b32 s10, s1, vcc_lo
	; wave barrier
	s_wait_alu 0xfffe
	s_and_saveexec_b32 s1, s10
; %bb.34:
	v_bcnt_u32_b32 v34, v34, 0
	ds_store_b32 v81, v34 offset:64
; %bb.35:
	s_wait_alu 0xfffe
	s_or_b32 exec_lo, exec_lo, s1
	v_and_b32_e32 v34, s9, v71
	; wave barrier
	s_delay_alu instid0(VALU_DEP_1) | instskip(NEXT) | instid1(VALU_DEP_1)
	v_and_b32_e32 v34, 0xff, v34
	v_add_co_u32 v35, s1, v34, -1
	s_wait_alu 0xf1ff
	v_cndmask_b32_e64 v36, 0, 1, s1
	v_lshlrev_b32_e32 v34, 6, v34
	s_delay_alu instid0(VALU_DEP_2) | instskip(NEXT) | instid1(VALU_DEP_2)
	v_cmp_ne_u32_e32 vcc_lo, 0, v36
	v_add_nc_u32_e32 v84, v33, v34
	s_wait_alu 0xfffd
	v_xor_b32_e32 v34, vcc_lo, v35
	ds_load_b32 v79, v84 offset:64
	; wave barrier
	v_and_b32_e32 v34, exec_lo, v34
	s_delay_alu instid0(VALU_DEP_1) | instskip(SKIP_1) | instid1(VALU_DEP_2)
	v_mbcnt_lo_u32_b32 v80, v34, 0
	v_cmp_ne_u32_e64 s1, 0, v34
	v_cmp_eq_u32_e32 vcc_lo, 0, v80
	s_and_b32 s10, s1, vcc_lo
	s_wait_alu 0xfffe
	s_and_saveexec_b32 s1, s10
	s_cbranch_execz .LBB270_37
; %bb.36:
	s_wait_dscnt 0x0
	v_bcnt_u32_b32 v34, v34, v79
	ds_store_b32 v84, v34 offset:64
.LBB270_37:
	s_wait_alu 0xfffe
	s_or_b32 exec_lo, exec_lo, s1
	v_and_b32_e32 v34, s9, v72
	; wave barrier
	s_delay_alu instid0(VALU_DEP_1) | instskip(NEXT) | instid1(VALU_DEP_1)
	v_and_b32_e32 v34, 0xff, v34
	v_add_co_u32 v35, s1, v34, -1
	s_wait_alu 0xf1ff
	v_cndmask_b32_e64 v36, 0, 1, s1
	v_lshlrev_b32_e32 v34, 6, v34
	s_delay_alu instid0(VALU_DEP_2) | instskip(NEXT) | instid1(VALU_DEP_2)
	v_cmp_ne_u32_e32 vcc_lo, 0, v36
	v_add_nc_u32_e32 v87, v33, v34
	s_wait_alu 0xfffd
	v_xor_b32_e32 v34, vcc_lo, v35
	ds_load_b32 v82, v87 offset:64
	; wave barrier
	v_and_b32_e32 v34, exec_lo, v34
	s_delay_alu instid0(VALU_DEP_1) | instskip(SKIP_1) | instid1(VALU_DEP_2)
	v_mbcnt_lo_u32_b32 v83, v34, 0
	v_cmp_ne_u32_e64 s1, 0, v34
	v_cmp_eq_u32_e32 vcc_lo, 0, v83
	s_and_b32 s10, s1, vcc_lo
	s_wait_alu 0xfffe
	s_and_saveexec_b32 s1, s10
	s_cbranch_execz .LBB270_39
; %bb.38:
	s_wait_dscnt 0x0
	v_bcnt_u32_b32 v34, v34, v82
	ds_store_b32 v87, v34 offset:64
.LBB270_39:
	;; [unrolled: 31-line block ×7, first 2 shown]
	s_wait_alu 0xfffe
	s_or_b32 exec_lo, exec_lo, s1
	; wave barrier
	s_wait_loadcnt_dscnt 0x0
	s_barrier_signal -1
	s_barrier_wait -1
	global_inv scope:SCOPE_SE
	ds_load_b128 v[37:40], v66 offset:64
	ds_load_b128 v[33:36], v66 offset:80
	v_min_u32_e32 v103, 0x1e0, v68
	s_mov_b32 s15, exec_lo
	s_wait_dscnt 0x1
	v_add_nc_u32_e32 v101, v38, v37
	s_delay_alu instid0(VALU_DEP_1) | instskip(SKIP_1) | instid1(VALU_DEP_1)
	v_add3_u32 v101, v101, v39, v40
	s_wait_dscnt 0x0
	v_add3_u32 v101, v101, v33, v34
	s_delay_alu instid0(VALU_DEP_1) | instskip(SKIP_1) | instid1(VALU_DEP_2)
	v_add3_u32 v36, v101, v35, v36
	v_and_b32_e32 v101, 15, v67
	v_mov_b32_dpp v102, v36 row_shr:1 row_mask:0xf bank_mask:0xf
	s_delay_alu instid0(VALU_DEP_2)
	v_cmp_eq_u32_e32 vcc_lo, 0, v101
	v_cmp_lt_u32_e64 s1, 1, v101
	v_cmp_lt_u32_e64 s9, 3, v101
	;; [unrolled: 1-line block ×3, first 2 shown]
	s_wait_alu 0xfffd
	v_cndmask_b32_e64 v102, v102, 0, vcc_lo
	s_delay_alu instid0(VALU_DEP_1) | instskip(NEXT) | instid1(VALU_DEP_1)
	v_add_nc_u32_e32 v36, v102, v36
	v_mov_b32_dpp v102, v36 row_shr:2 row_mask:0xf bank_mask:0xf
	s_wait_alu 0xf1ff
	s_delay_alu instid0(VALU_DEP_1) | instskip(NEXT) | instid1(VALU_DEP_1)
	v_cndmask_b32_e64 v102, 0, v102, s1
	v_add_nc_u32_e32 v36, v36, v102
	s_delay_alu instid0(VALU_DEP_1) | instskip(NEXT) | instid1(VALU_DEP_1)
	v_mov_b32_dpp v102, v36 row_shr:4 row_mask:0xf bank_mask:0xf
	v_cndmask_b32_e64 v102, 0, v102, s9
	s_delay_alu instid0(VALU_DEP_1) | instskip(NEXT) | instid1(VALU_DEP_1)
	v_add_nc_u32_e32 v36, v36, v102
	v_mov_b32_dpp v102, v36 row_shr:8 row_mask:0xf bank_mask:0xf
	s_delay_alu instid0(VALU_DEP_1) | instskip(SKIP_1) | instid1(VALU_DEP_2)
	v_cndmask_b32_e64 v101, 0, v102, s10
	v_bfe_i32 v102, v67, 4, 1
	v_add_nc_u32_e32 v36, v36, v101
	ds_swizzle_b32 v101, v36 offset:swizzle(BROADCAST,32,15)
	s_wait_dscnt 0x0
	v_and_b32_e32 v101, v102, v101
	v_or_b32_e32 v102, 31, v103
	s_delay_alu instid0(VALU_DEP_2) | instskip(NEXT) | instid1(VALU_DEP_2)
	v_add_nc_u32_e32 v36, v36, v101
	v_cmpx_eq_u32_e64 v44, v102
; %bb.50:
	v_lshlrev_b32_e32 v101, 2, v65
	ds_store_b32 v101, v36
; %bb.51:
	s_wait_alu 0xfffe
	s_or_b32 exec_lo, exec_lo, s15
	s_delay_alu instid0(SALU_CYCLE_1)
	s_mov_b32 s15, exec_lo
	s_wait_loadcnt_dscnt 0x0
	s_barrier_signal -1
	s_barrier_wait -1
	global_inv scope:SCOPE_SE
	v_cmpx_gt_u32_e32 16, v44
	s_cbranch_execz .LBB270_53
; %bb.52:
	v_lshlrev_b32_e32 v101, 2, v44
	ds_load_b32 v102, v101
	s_wait_dscnt 0x0
	v_mov_b32_dpp v103, v102 row_shr:1 row_mask:0xf bank_mask:0xf
	s_delay_alu instid0(VALU_DEP_1) | instskip(NEXT) | instid1(VALU_DEP_1)
	v_cndmask_b32_e64 v103, v103, 0, vcc_lo
	v_add_nc_u32_e32 v102, v103, v102
	s_delay_alu instid0(VALU_DEP_1) | instskip(NEXT) | instid1(VALU_DEP_1)
	v_mov_b32_dpp v103, v102 row_shr:2 row_mask:0xf bank_mask:0xf
	v_cndmask_b32_e64 v103, 0, v103, s1
	s_delay_alu instid0(VALU_DEP_1) | instskip(NEXT) | instid1(VALU_DEP_1)
	v_add_nc_u32_e32 v102, v102, v103
	v_mov_b32_dpp v103, v102 row_shr:4 row_mask:0xf bank_mask:0xf
	s_delay_alu instid0(VALU_DEP_1) | instskip(NEXT) | instid1(VALU_DEP_1)
	v_cndmask_b32_e64 v103, 0, v103, s9
	v_add_nc_u32_e32 v102, v102, v103
	s_delay_alu instid0(VALU_DEP_1) | instskip(NEXT) | instid1(VALU_DEP_1)
	v_mov_b32_dpp v103, v102 row_shr:8 row_mask:0xf bank_mask:0xf
	v_cndmask_b32_e64 v103, 0, v103, s10
	s_delay_alu instid0(VALU_DEP_1)
	v_add_nc_u32_e32 v102, v102, v103
	ds_store_b32 v101, v102
.LBB270_53:
	s_wait_alu 0xfffe
	s_or_b32 exec_lo, exec_lo, s15
	v_mov_b32_e32 v101, 0
	s_mov_b32 s1, exec_lo
	s_wait_loadcnt_dscnt 0x0
	s_barrier_signal -1
	s_barrier_wait -1
	global_inv scope:SCOPE_SE
	v_cmpx_lt_u32_e32 31, v44
; %bb.54:
	v_lshl_add_u32 v101, v65, 2, -4
	ds_load_b32 v101, v101
; %bb.55:
	s_wait_alu 0xfffe
	s_or_b32 exec_lo, exec_lo, s1
	v_sub_co_u32 v102, vcc_lo, v67, 1
	s_wait_dscnt 0x0
	v_add_nc_u32_e32 v36, v101, v36
	s_delay_alu instid0(VALU_DEP_2) | instskip(SKIP_1) | instid1(VALU_DEP_1)
	v_cmp_gt_i32_e64 s1, 0, v102
	s_wait_alu 0xf1ff
	v_cndmask_b32_e64 v102, v102, v67, s1
	s_delay_alu instid0(VALU_DEP_1)
	v_lshlrev_b32_e32 v102, 2, v102
	ds_bpermute_b32 v36, v102, v36
	s_wait_dscnt 0x0
	s_wait_alu 0xfffd
	v_cndmask_b32_e32 v36, v36, v101, vcc_lo
	v_cmp_ne_u32_e32 vcc_lo, 0, v44
	s_wait_alu 0xfffd
	s_delay_alu instid0(VALU_DEP_2) | instskip(NEXT) | instid1(VALU_DEP_1)
	v_cndmask_b32_e32 v36, 0, v36, vcc_lo
	v_add_nc_u32_e32 v37, v36, v37
	s_delay_alu instid0(VALU_DEP_1) | instskip(NEXT) | instid1(VALU_DEP_1)
	v_add_nc_u32_e32 v38, v37, v38
	v_add_nc_u32_e32 v39, v38, v39
	s_delay_alu instid0(VALU_DEP_1) | instskip(NEXT) | instid1(VALU_DEP_1)
	v_add_nc_u32_e32 v101, v39, v40
	;; [unrolled: 3-line block ×3, first 2 shown]
	v_add_nc_u32_e32 v104, v103, v35
	ds_store_b128 v66, v[36:39] offset:64
	ds_store_b128 v66, v[101:104] offset:80
	s_wait_loadcnt_dscnt 0x0
	s_barrier_signal -1
	s_barrier_wait -1
	global_inv scope:SCOPE_SE
	ds_load_b32 v33, v81 offset:64
	ds_load_b32 v34, v84 offset:64
	;; [unrolled: 1-line block ×8, first 2 shown]
	v_mad_u32_u24 v81, v44, 56, v61
	s_wait_loadcnt_dscnt 0x0
	s_barrier_signal -1
	s_barrier_wait -1
	global_inv scope:SCOPE_SE
	v_add_nc_u32_e32 v78, v33, v78
	v_add3_u32 v79, v80, v79, v34
	v_add3_u32 v35, v83, v82, v35
	;; [unrolled: 1-line block ×7, first 2 shown]
	ds_store_b8 v78, v0
	ds_store_b8 v79, v71
	;; [unrolled: 1-line block ×8, first 2 shown]
	v_lshlrev_b32_e32 v0, 3, v78
	v_lshlrev_b32_e32 v71, 3, v79
	;; [unrolled: 1-line block ×5, first 2 shown]
	s_wait_loadcnt_dscnt 0x0
	s_barrier_signal -1
	s_barrier_wait -1
	global_inv scope:SCOPE_SE
	ds_load_b64 v[33:34], v61
	s_wait_loadcnt_dscnt 0x0
	s_barrier_signal -1
	s_barrier_wait -1
	global_inv scope:SCOPE_SE
	v_lshlrev_b32_e32 v38, 3, v38
	v_lshlrev_b32_e32 v39, 3, v39
	;; [unrolled: 1-line block ×3, first 2 shown]
	ds_store_b64 v0, v[29:30]
	ds_store_b64 v71, v[31:32]
	;; [unrolled: 1-line block ×8, first 2 shown]
	s_wait_loadcnt_dscnt 0x0
	s_barrier_signal -1
	s_barrier_wait -1
	global_inv scope:SCOPE_SE
	ds_load_b128 v[29:32], v81
	ds_load_b128 v[25:28], v81 offset:16
	ds_load_b128 v[21:24], v81 offset:32
	;; [unrolled: 1-line block ×3, first 2 shown]
	s_branch .LBB270_87
.LBB270_56:
	v_lshlrev_b64_e32 v[1:2], 3, v[41:42]
	v_dual_mov_b32 v43, v42 :: v_dual_mov_b32 v10, v42
	v_dual_mov_b32 v9, v42 :: v_dual_mov_b32 v12, v42
	v_mov_b32_e32 v11, v42
	s_wait_alu 0xfffe
	s_delay_alu instid0(VALU_DEP_4) | instskip(NEXT) | instid1(VALU_DEP_1)
	v_add_co_u32 v1, vcc_lo, s12, v1
	v_add_co_ci_u32_e64 v2, null, s13, v2, vcc_lo
	v_dual_mov_b32 v3, v42 :: v_dual_mov_b32 v6, v42
	v_dual_mov_b32 v5, v42 :: v_dual_mov_b32 v8, v42
	global_load_b64 v[13:14], v[1:2], off
	v_dual_mov_b32 v1, v42 :: v_dual_mov_b32 v4, v42
	v_dual_mov_b32 v2, v42 :: v_dual_mov_b32 v7, v42
	s_or_b32 exec_lo, exec_lo, s1
	s_and_saveexec_b32 s1, s3
	s_cbranch_execz .LBB270_25
.LBB270_57:
	v_mul_lo_u32 v30, s16, v28
	v_mov_b32_e32 v31, 0
	s_delay_alu instid0(VALU_DEP_1) | instskip(SKIP_1) | instid1(VALU_DEP_1)
	v_lshlrev_b64_e32 v[30:31], 3, v[30:31]
	s_wait_alu 0xfffe
	v_add_co_u32 v30, vcc_lo, s12, v30
	s_wait_alu 0xfffd
	s_delay_alu instid0(VALU_DEP_2)
	v_add_co_ci_u32_e64 v31, null, s13, v31, vcc_lo
	global_load_b64 v[42:43], v[30:31], off
	s_or_b32 exec_lo, exec_lo, s1
	s_and_saveexec_b32 s1, s4
	s_cbranch_execz .LBB270_26
.LBB270_58:
	v_mul_lo_u32 v9, s16, v24
	v_mov_b32_e32 v10, 0
	s_delay_alu instid0(VALU_DEP_1) | instskip(SKIP_1) | instid1(VALU_DEP_1)
	v_lshlrev_b64_e32 v[9:10], 3, v[9:10]
	s_wait_alu 0xfffe
	v_add_co_u32 v9, vcc_lo, s12, v9
	s_wait_alu 0xfffd
	s_delay_alu instid0(VALU_DEP_2)
	v_add_co_ci_u32_e64 v10, null, s13, v10, vcc_lo
	global_load_b64 v[9:10], v[9:10], off
	s_or_b32 exec_lo, exec_lo, s1
	s_and_saveexec_b32 s1, s5
	s_cbranch_execz .LBB270_27
.LBB270_59:
	v_mul_lo_u32 v11, s16, v21
	v_mov_b32_e32 v12, 0
	s_delay_alu instid0(VALU_DEP_1) | instskip(SKIP_1) | instid1(VALU_DEP_1)
	v_lshlrev_b64_e32 v[11:12], 3, v[11:12]
	s_wait_alu 0xfffe
	v_add_co_u32 v11, vcc_lo, s12, v11
	s_wait_alu 0xfffd
	s_delay_alu instid0(VALU_DEP_2)
	v_add_co_ci_u32_e64 v12, null, s13, v12, vcc_lo
	global_load_b64 v[11:12], v[11:12], off
	s_or_b32 exec_lo, exec_lo, s1
	s_and_saveexec_b32 s1, s6
	s_cbranch_execz .LBB270_28
.LBB270_60:
	v_mul_lo_u32 v1, s16, v19
	v_mov_b32_e32 v2, 0
	s_delay_alu instid0(VALU_DEP_1) | instskip(SKIP_1) | instid1(VALU_DEP_1)
	v_lshlrev_b64_e32 v[1:2], 3, v[1:2]
	s_wait_alu 0xfffe
	v_add_co_u32 v1, vcc_lo, s12, v1
	s_wait_alu 0xfffd
	s_delay_alu instid0(VALU_DEP_2)
	v_add_co_ci_u32_e64 v2, null, s13, v2, vcc_lo
	global_load_b64 v[1:2], v[1:2], off
	s_or_b32 exec_lo, exec_lo, s1
	s_and_saveexec_b32 s1, s7
	s_cbranch_execz .LBB270_29
.LBB270_61:
	v_mul_lo_u32 v3, s16, v17
	v_mov_b32_e32 v4, 0
	s_delay_alu instid0(VALU_DEP_1) | instskip(SKIP_1) | instid1(VALU_DEP_1)
	v_lshlrev_b64_e32 v[3:4], 3, v[3:4]
	s_wait_alu 0xfffe
	v_add_co_u32 v3, vcc_lo, s12, v3
	s_wait_alu 0xfffd
	s_delay_alu instid0(VALU_DEP_2)
	v_add_co_ci_u32_e64 v4, null, s13, v4, vcc_lo
	global_load_b64 v[3:4], v[3:4], off
	s_or_b32 exec_lo, exec_lo, s1
	s_and_saveexec_b32 s1, s8
	s_cbranch_execz .LBB270_30
.LBB270_62:
	v_mul_lo_u32 v5, s16, v16
	v_mov_b32_e32 v6, 0
	s_delay_alu instid0(VALU_DEP_1) | instskip(SKIP_1) | instid1(VALU_DEP_1)
	v_lshlrev_b64_e32 v[5:6], 3, v[5:6]
	s_wait_alu 0xfffe
	v_add_co_u32 v5, vcc_lo, s12, v5
	s_wait_alu 0xfffd
	s_delay_alu instid0(VALU_DEP_2)
	v_add_co_ci_u32_e64 v6, null, s13, v6, vcc_lo
	global_load_b64 v[5:6], v[5:6], off
	s_or_b32 exec_lo, exec_lo, s1
	s_and_saveexec_b32 s1, s0
	s_cbranch_execnz .LBB270_31
	s_branch .LBB270_32
.LBB270_63:
                                        ; implicit-def: $vgpr19_vgpr20
                                        ; implicit-def: $vgpr23_vgpr24
                                        ; implicit-def: $vgpr27_vgpr28
                                        ; implicit-def: $vgpr31_vgpr32
                                        ; implicit-def: $vgpr34
	s_cbranch_execz .LBB270_87
; %bb.64:
	v_lshrrev_b16 v0, 8, v45
	s_wait_dscnt 0x0
	v_lshrrev_b32_e32 v17, 24, v45
	v_lshrrev_b32_e32 v18, 16, v45
	;; [unrolled: 1-line block ×3, first 2 shown]
	v_lshrrev_b16 v21, 8, v46
	v_and_b32_e32 v0, 1, v0
	v_and_b32_e32 v17, 1, v17
	;; [unrolled: 1-line block ×3, first 2 shown]
	v_lshrrev_b32_e32 v20, 16, v46
	v_and_b32_e32 v19, 1, v19
	v_cmp_eq_u32_e32 vcc_lo, 1, v0
	v_cmp_ne_u32_e64 s1, 1, v17
	v_and_b32_e32 v0, 1, v18
	v_and_b32_e32 v18, 1, v21
	;; [unrolled: 1-line block ×4, first 2 shown]
	v_cndmask_b32_e64 v17, 0, 1, s1
	s_xor_b32 s1, vcc_lo, -1
	v_cmp_ne_u32_e32 vcc_lo, 1, v0
	s_wait_alu 0xfffe
	v_cndmask_b32_e64 v21, 0, 1, s1
	v_cmp_ne_u32_e64 s1, 1, v22
	v_lshlrev_b16 v17, 8, v17
	s_wait_alu 0xfffd
	v_cndmask_b32_e64 v0, 0, 1, vcc_lo
	v_cmp_eq_u32_e32 vcc_lo, 1, v18
	s_wait_alu 0xf1ff
	v_cndmask_b32_e64 v18, 0, 1, s1
	v_cmp_ne_u32_e64 s1, 1, v19
	v_lshlrev_b16 v21, 8, v21
	v_or_b32_e32 v0, v0, v17
	s_wait_alu 0xf1ff
	s_delay_alu instid0(VALU_DEP_3)
	v_cndmask_b32_e64 v19, 0, 1, s1
	s_xor_b32 s1, vcc_lo, -1
	v_cmp_ne_u32_e32 vcc_lo, 1, v20
	s_wait_alu 0xfffe
	v_cndmask_b32_e64 v22, 0, 1, s1
	v_or_b32_e32 v17, v18, v21
	v_lshlrev_b16 v19, 8, v19
	s_getpc_b64 s[10:11]
	s_wait_alu 0xfffe
	s_sext_i32_i16 s11, s11
	s_add_co_u32 s10, s10, _ZN7rocprim17ROCPRIM_400000_NS16block_radix_sortIbLj512ELj8ElLj1ELj1ELj0ELNS0_26block_radix_rank_algorithmE1ELNS0_18block_padding_hintE2ELNS0_4arch9wavefront6targetE0EE19radix_bits_per_passE@rel32@lo+12
	s_wait_alu 0xfffe
	s_add_co_ci_u32 s11, s11, _ZN7rocprim17ROCPRIM_400000_NS16block_radix_sortIbLj512ELj8ElLj1ELj1ELj0ELNS0_26block_radix_rank_algorithmE1ELNS0_18block_padding_hintE2ELNS0_4arch9wavefront6targetE0EE19radix_bits_per_passE@rel32@hi+24
	s_wait_alu 0xfffd
	v_cndmask_b32_e64 v20, 0, 1, vcc_lo
	v_cmp_ne_u32_e32 vcc_lo, 1, v23
	v_lshlrev_b16 v22, 8, v22
	s_load_b32 s1, s[10:11], 0x0
	v_lshlrev_b32_e32 v0, 16, v0
	v_or_b32_e32 v18, v20, v19
	v_cndmask_b32_e64 v23, 0, 1, vcc_lo
	v_or_b32_e32 v20, v67, v68
	v_and_b32_e32 v17, 0xffff, v17
	s_delay_alu instid0(VALU_DEP_4) | instskip(NEXT) | instid1(VALU_DEP_4)
	v_lshlrev_b32_e32 v18, 16, v18
	v_or_b32_e32 v19, v23, v22
	s_delay_alu instid0(VALU_DEP_4) | instskip(NEXT) | instid1(VALU_DEP_4)
	v_lshlrev_b32_e32 v21, 3, v20
	v_or_b32_e32 v17, v17, v0
	v_and_or_b32 v0, 0x1f00, v61, v67
	s_delay_alu instid0(VALU_DEP_4) | instskip(NEXT) | instid1(VALU_DEP_1)
	v_and_b32_e32 v19, 0xffff, v19
	v_or_b32_e32 v18, v19, v18
	s_wait_kmcnt 0x0
	s_min_u32 s1, s1, 8
	s_wait_alu 0xfffe
	s_lshl_b32 s1, -1, s1
	ds_store_b64 v21, v[17:18]
	; wave barrier
	ds_load_u8 v24, v0
	ds_load_u8 v25, v0 offset:32
	ds_load_u8 v26, v0 offset:64
	;; [unrolled: 1-line block ×7, first 2 shown]
	v_mad_u32_u24 v17, v20, 56, v21
	v_mad_u32_u24 v0, v0, 7, v0
	s_wait_loadcnt_dscnt 0x0
	s_barrier_signal -1
	s_barrier_wait -1
	global_inv scope:SCOPE_SE
	ds_store_b128 v17, v[13:16]
	ds_store_b128 v17, v[9:12] offset:16
	ds_store_b128 v17, v[5:8] offset:32
	ds_store_b128 v17, v[1:4] offset:48
	; wave barrier
	ds_load_2addr_b64 v[12:15], v0 offset1:32
	ds_load_2addr_b64 v[8:11], v0 offset0:64 offset1:96
	ds_load_2addr_b64 v[4:7], v0 offset0:128 offset1:160
	;; [unrolled: 1-line block ×3, first 2 shown]
	s_wait_loadcnt_dscnt 0x0
	s_barrier_signal -1
	s_barrier_wait -1
	global_inv scope:SCOPE_SE
	s_load_b32 s10, s[20:21], 0xc
	s_not_b32 s9, s1
	s_mov_b32 s20, 0
	s_wait_alu 0xfffe
	v_and_b32_e32 v16, s9, v24
	s_mov_b32 s21, s20
	s_mov_b32 s22, s20
	;; [unrolled: 1-line block ×3, first 2 shown]
	s_delay_alu instid0(VALU_DEP_1) | instskip(NEXT) | instid1(VALU_DEP_1)
	v_and_b32_e32 v22, 1, v16
	v_add_co_u32 v18, s11, v22, -1
	s_wait_alu 0xf1ff
	v_cndmask_b32_e64 v16, 0, 1, s11
	s_wait_kmcnt 0x0
	s_lshr_b32 s1, s10, 16
	s_delay_alu instid0(VALU_DEP_1) | instskip(SKIP_4) | instid1(VALU_DEP_1)
	v_cmp_ne_u32_e32 vcc_lo, 0, v16
	s_wait_alu 0xfffe
	v_mad_u32_u24 v17, v70, s1, v69
	s_and_b32 s1, s10, 0xffff
	s_wait_alu 0xfffe
	v_mad_co_u64_u32 v[16:17], null, v17, s1, v[44:45]
	s_wait_alu 0xfffd
	v_xor_b32_e32 v17, vcc_lo, v18
	v_dual_mov_b32 v18, s20 :: v_dual_mov_b32 v19, s21
	v_dual_mov_b32 v20, s22 :: v_dual_mov_b32 v21, s23
	s_delay_alu instid0(VALU_DEP_3)
	v_and_b32_e32 v17, exec_lo, v17
	v_lshrrev_b32_e32 v16, 3, v16
	ds_store_b128 v66, v[18:21] offset:64
	ds_store_b128 v66, v[18:21] offset:80
	v_mbcnt_lo_u32_b32 v32, v17, 0
	v_and_b32_e32 v16, 0x1ffffffc, v16
	v_lshlrev_b32_e32 v18, 6, v22
	v_cmp_ne_u32_e64 s1, 0, v17
	s_wait_loadcnt_dscnt 0x0
	v_cmp_eq_u32_e32 vcc_lo, 0, v32
	s_barrier_signal -1
	v_add_nc_u32_e32 v35, v16, v18
	s_barrier_wait -1
	global_inv scope:SCOPE_SE
	s_and_b32 s10, s1, vcc_lo
	; wave barrier
	s_wait_alu 0xfffe
	s_and_saveexec_b32 s1, s10
; %bb.65:
	v_bcnt_u32_b32 v17, v17, 0
	ds_store_b32 v35, v17 offset:64
; %bb.66:
	s_wait_alu 0xfffe
	s_or_b32 exec_lo, exec_lo, s1
	v_and_b32_e32 v17, s9, v25
	; wave barrier
	s_delay_alu instid0(VALU_DEP_1) | instskip(NEXT) | instid1(VALU_DEP_1)
	v_and_b32_e32 v17, 0xff, v17
	v_add_co_u32 v18, s1, v17, -1
	s_wait_alu 0xf1ff
	v_cndmask_b32_e64 v19, 0, 1, s1
	v_lshlrev_b32_e32 v17, 6, v17
	s_delay_alu instid0(VALU_DEP_2) | instskip(NEXT) | instid1(VALU_DEP_2)
	v_cmp_ne_u32_e32 vcc_lo, 0, v19
	v_add_nc_u32_e32 v37, v16, v17
	s_wait_alu 0xfffd
	v_xor_b32_e32 v17, vcc_lo, v18
	ds_load_b32 v33, v37 offset:64
	; wave barrier
	v_and_b32_e32 v17, exec_lo, v17
	s_delay_alu instid0(VALU_DEP_1) | instskip(SKIP_1) | instid1(VALU_DEP_2)
	v_mbcnt_lo_u32_b32 v34, v17, 0
	v_cmp_ne_u32_e64 s1, 0, v17
	v_cmp_eq_u32_e32 vcc_lo, 0, v34
	s_and_b32 s10, s1, vcc_lo
	s_wait_alu 0xfffe
	s_and_saveexec_b32 s1, s10
	s_cbranch_execz .LBB270_68
; %bb.67:
	s_wait_dscnt 0x0
	v_bcnt_u32_b32 v17, v17, v33
	ds_store_b32 v37, v17 offset:64
.LBB270_68:
	s_wait_alu 0xfffe
	s_or_b32 exec_lo, exec_lo, s1
	v_and_b32_e32 v17, s9, v26
	; wave barrier
	s_delay_alu instid0(VALU_DEP_1) | instskip(NEXT) | instid1(VALU_DEP_1)
	v_and_b32_e32 v17, 0xff, v17
	v_add_co_u32 v18, s1, v17, -1
	s_wait_alu 0xf1ff
	v_cndmask_b32_e64 v19, 0, 1, s1
	v_lshlrev_b32_e32 v17, 6, v17
	s_delay_alu instid0(VALU_DEP_2) | instskip(NEXT) | instid1(VALU_DEP_2)
	v_cmp_ne_u32_e32 vcc_lo, 0, v19
	v_add_nc_u32_e32 v39, v16, v17
	s_wait_alu 0xfffd
	v_xor_b32_e32 v17, vcc_lo, v18
	ds_load_b32 v36, v39 offset:64
	; wave barrier
	v_and_b32_e32 v17, exec_lo, v17
	s_delay_alu instid0(VALU_DEP_1) | instskip(SKIP_1) | instid1(VALU_DEP_2)
	v_mbcnt_lo_u32_b32 v38, v17, 0
	v_cmp_ne_u32_e64 s1, 0, v17
	v_cmp_eq_u32_e32 vcc_lo, 0, v38
	s_and_b32 s10, s1, vcc_lo
	s_wait_alu 0xfffe
	s_and_saveexec_b32 s1, s10
	s_cbranch_execz .LBB270_70
; %bb.69:
	s_wait_dscnt 0x0
	v_bcnt_u32_b32 v17, v17, v36
	ds_store_b32 v39, v17 offset:64
.LBB270_70:
	;; [unrolled: 31-line block ×7, first 2 shown]
	s_wait_alu 0xfffe
	s_or_b32 exec_lo, exec_lo, s1
	; wave barrier
	s_wait_loadcnt_dscnt 0x0
	s_barrier_signal -1
	s_barrier_wait -1
	global_inv scope:SCOPE_SE
	ds_load_b128 v[20:23], v66 offset:64
	ds_load_b128 v[16:19], v66 offset:80
	v_min_u32_e32 v68, 0x1e0, v68
	s_mov_b32 s15, exec_lo
	s_delay_alu instid0(VALU_DEP_1) | instskip(SKIP_2) | instid1(VALU_DEP_1)
	v_or_b32_e32 v68, 31, v68
	s_wait_dscnt 0x1
	v_add_nc_u32_e32 v81, v21, v20
	v_add3_u32 v81, v81, v22, v23
	s_wait_dscnt 0x0
	s_delay_alu instid0(VALU_DEP_1) | instskip(NEXT) | instid1(VALU_DEP_1)
	v_add3_u32 v81, v81, v16, v17
	v_add3_u32 v19, v81, v18, v19
	v_and_b32_e32 v81, 15, v67
	s_delay_alu instid0(VALU_DEP_2) | instskip(NEXT) | instid1(VALU_DEP_2)
	v_mov_b32_dpp v82, v19 row_shr:1 row_mask:0xf bank_mask:0xf
	v_cmp_eq_u32_e32 vcc_lo, 0, v81
	v_cmp_lt_u32_e64 s1, 1, v81
	v_cmp_lt_u32_e64 s9, 3, v81
	;; [unrolled: 1-line block ×3, first 2 shown]
	s_wait_alu 0xfffd
	v_cndmask_b32_e64 v82, v82, 0, vcc_lo
	s_delay_alu instid0(VALU_DEP_1) | instskip(NEXT) | instid1(VALU_DEP_1)
	v_add_nc_u32_e32 v19, v82, v19
	v_mov_b32_dpp v82, v19 row_shr:2 row_mask:0xf bank_mask:0xf
	s_wait_alu 0xf1ff
	s_delay_alu instid0(VALU_DEP_1) | instskip(NEXT) | instid1(VALU_DEP_1)
	v_cndmask_b32_e64 v82, 0, v82, s1
	v_add_nc_u32_e32 v19, v19, v82
	s_delay_alu instid0(VALU_DEP_1) | instskip(NEXT) | instid1(VALU_DEP_1)
	v_mov_b32_dpp v82, v19 row_shr:4 row_mask:0xf bank_mask:0xf
	v_cndmask_b32_e64 v82, 0, v82, s9
	s_delay_alu instid0(VALU_DEP_1) | instskip(NEXT) | instid1(VALU_DEP_1)
	v_add_nc_u32_e32 v19, v19, v82
	v_mov_b32_dpp v82, v19 row_shr:8 row_mask:0xf bank_mask:0xf
	s_delay_alu instid0(VALU_DEP_1) | instskip(SKIP_1) | instid1(VALU_DEP_2)
	v_cndmask_b32_e64 v81, 0, v82, s10
	v_bfe_i32 v82, v67, 4, 1
	v_add_nc_u32_e32 v19, v19, v81
	ds_swizzle_b32 v81, v19 offset:swizzle(BROADCAST,32,15)
	s_wait_dscnt 0x0
	v_and_b32_e32 v81, v82, v81
	s_delay_alu instid0(VALU_DEP_1)
	v_add_nc_u32_e32 v19, v19, v81
	v_cmpx_eq_u32_e64 v44, v68
; %bb.81:
	v_lshlrev_b32_e32 v68, 2, v65
	ds_store_b32 v68, v19
; %bb.82:
	s_wait_alu 0xfffe
	s_or_b32 exec_lo, exec_lo, s15
	s_delay_alu instid0(SALU_CYCLE_1)
	s_mov_b32 s15, exec_lo
	s_wait_loadcnt_dscnt 0x0
	s_barrier_signal -1
	s_barrier_wait -1
	global_inv scope:SCOPE_SE
	v_cmpx_gt_u32_e32 16, v44
	s_cbranch_execz .LBB270_84
; %bb.83:
	v_lshlrev_b32_e32 v68, 2, v44
	ds_load_b32 v81, v68
	s_wait_dscnt 0x0
	v_mov_b32_dpp v82, v81 row_shr:1 row_mask:0xf bank_mask:0xf
	s_delay_alu instid0(VALU_DEP_1) | instskip(NEXT) | instid1(VALU_DEP_1)
	v_cndmask_b32_e64 v82, v82, 0, vcc_lo
	v_add_nc_u32_e32 v81, v82, v81
	s_delay_alu instid0(VALU_DEP_1) | instskip(NEXT) | instid1(VALU_DEP_1)
	v_mov_b32_dpp v82, v81 row_shr:2 row_mask:0xf bank_mask:0xf
	v_cndmask_b32_e64 v82, 0, v82, s1
	s_delay_alu instid0(VALU_DEP_1) | instskip(NEXT) | instid1(VALU_DEP_1)
	v_add_nc_u32_e32 v81, v81, v82
	v_mov_b32_dpp v82, v81 row_shr:4 row_mask:0xf bank_mask:0xf
	s_delay_alu instid0(VALU_DEP_1) | instskip(NEXT) | instid1(VALU_DEP_1)
	v_cndmask_b32_e64 v82, 0, v82, s9
	v_add_nc_u32_e32 v81, v81, v82
	s_delay_alu instid0(VALU_DEP_1) | instskip(NEXT) | instid1(VALU_DEP_1)
	v_mov_b32_dpp v82, v81 row_shr:8 row_mask:0xf bank_mask:0xf
	v_cndmask_b32_e64 v82, 0, v82, s10
	s_delay_alu instid0(VALU_DEP_1)
	v_add_nc_u32_e32 v81, v81, v82
	ds_store_b32 v68, v81
.LBB270_84:
	s_wait_alu 0xfffe
	s_or_b32 exec_lo, exec_lo, s15
	v_mov_b32_e32 v68, 0
	s_mov_b32 s1, exec_lo
	s_wait_loadcnt_dscnt 0x0
	s_barrier_signal -1
	s_barrier_wait -1
	global_inv scope:SCOPE_SE
	v_cmpx_lt_u32_e32 31, v44
; %bb.85:
	v_lshl_add_u32 v65, v65, 2, -4
	ds_load_b32 v68, v65
; %bb.86:
	s_wait_alu 0xfffe
	s_or_b32 exec_lo, exec_lo, s1
	v_sub_co_u32 v65, vcc_lo, v67, 1
	s_wait_dscnt 0x0
	v_add_nc_u32_e32 v19, v68, v19
	s_delay_alu instid0(VALU_DEP_2) | instskip(SKIP_1) | instid1(VALU_DEP_1)
	v_cmp_gt_i32_e64 s1, 0, v65
	s_wait_alu 0xf1ff
	v_cndmask_b32_e64 v65, v65, v67, s1
	s_delay_alu instid0(VALU_DEP_1)
	v_lshlrev_b32_e32 v65, 2, v65
	ds_bpermute_b32 v19, v65, v19
	s_wait_dscnt 0x0
	s_wait_alu 0xfffd
	v_cndmask_b32_e32 v19, v19, v68, vcc_lo
	v_cmp_ne_u32_e32 vcc_lo, 0, v44
	s_wait_alu 0xfffd
	s_delay_alu instid0(VALU_DEP_2) | instskip(NEXT) | instid1(VALU_DEP_1)
	v_cndmask_b32_e32 v19, 0, v19, vcc_lo
	v_add_nc_u32_e32 v20, v19, v20
	s_delay_alu instid0(VALU_DEP_1) | instskip(NEXT) | instid1(VALU_DEP_1)
	v_add_nc_u32_e32 v21, v20, v21
	v_add_nc_u32_e32 v22, v21, v22
	s_delay_alu instid0(VALU_DEP_1) | instskip(NEXT) | instid1(VALU_DEP_1)
	v_add_nc_u32_e32 v81, v22, v23
	v_add_nc_u32_e32 v82, v81, v16
	s_delay_alu instid0(VALU_DEP_1) | instskip(NEXT) | instid1(VALU_DEP_1)
	v_add_nc_u32_e32 v83, v82, v17
	v_add_nc_u32_e32 v84, v83, v18
	ds_store_b128 v66, v[19:22] offset:64
	ds_store_b128 v66, v[81:84] offset:80
	s_wait_loadcnt_dscnt 0x0
	s_barrier_signal -1
	s_barrier_wait -1
	global_inv scope:SCOPE_SE
	ds_load_b32 v16, v35 offset:64
	ds_load_b32 v17, v37 offset:64
	;; [unrolled: 1-line block ×8, first 2 shown]
	s_wait_loadcnt_dscnt 0x0
	s_barrier_signal -1
	s_barrier_wait -1
	global_inv scope:SCOPE_SE
	v_mad_u32_u24 v35, v44, 56, v61
	v_add_nc_u32_e32 v16, v16, v32
	v_add3_u32 v17, v34, v33, v17
	v_add3_u32 v18, v38, v36, v18
	;; [unrolled: 1-line block ×7, first 2 shown]
	ds_store_b8 v16, v24
	ds_store_b8 v17, v25
	;; [unrolled: 1-line block ×8, first 2 shown]
	s_wait_loadcnt_dscnt 0x0
	s_barrier_signal -1
	s_barrier_wait -1
	global_inv scope:SCOPE_SE
	ds_load_b64 v[33:34], v61
	v_lshlrev_b32_e32 v16, 3, v16
	v_lshlrev_b32_e32 v17, 3, v17
	;; [unrolled: 1-line block ×8, first 2 shown]
	s_wait_loadcnt_dscnt 0x0
	s_barrier_signal -1
	s_barrier_wait -1
	global_inv scope:SCOPE_SE
	ds_store_b64 v16, v[12:13]
	ds_store_b64 v17, v[14:15]
	;; [unrolled: 1-line block ×8, first 2 shown]
	s_wait_loadcnt_dscnt 0x0
	s_barrier_signal -1
	s_barrier_wait -1
	global_inv scope:SCOPE_SE
	ds_load_b128 v[29:32], v35
	ds_load_b128 v[25:28], v35 offset:16
	ds_load_b128 v[21:24], v35 offset:32
	;; [unrolled: 1-line block ×3, first 2 shown]
	v_lshrrev_b32_e32 v0, 16, v33
	v_lshrrev_b32_e32 v3, 16, v34
	v_and_b32_e32 v1, 0xffffff00, v33
	v_xor_b32_e32 v2, 1, v33
	v_and_b32_e32 v4, 0xffffff00, v34
	v_xor_b32_e32 v5, 1, v34
	;; [unrolled: 2-line block ×4, first 2 shown]
	v_xor_b32_e32 v1, 0x100, v1
	v_and_b32_e32 v2, 0xff, v2
	v_xor_b32_e32 v4, 0x100, v4
	v_and_b32_e32 v5, 0xff, v5
	;; [unrolled: 2-line block ×4, first 2 shown]
	v_or_b32_e32 v1, v2, v1
	v_or_b32_e32 v2, v5, v4
	v_or_b32_e32 v0, v0, v6
	s_delay_alu instid0(VALU_DEP_4) | instskip(NEXT) | instid1(VALU_DEP_4)
	v_or_b32_e32 v3, v3, v7
	v_and_b32_e32 v1, 0xffff, v1
	s_delay_alu instid0(VALU_DEP_4) | instskip(NEXT) | instid1(VALU_DEP_4)
	v_and_b32_e32 v2, 0xffff, v2
	v_lshlrev_b32_e32 v0, 16, v0
	s_delay_alu instid0(VALU_DEP_4) | instskip(NEXT) | instid1(VALU_DEP_2)
	v_lshlrev_b32_e32 v3, 16, v3
	v_or_b32_e32 v33, v1, v0
	s_delay_alu instid0(VALU_DEP_2)
	v_or_b32_e32 v34, v2, v3
.LBB270_87:
	s_wait_loadcnt_dscnt 0x0
	s_barrier_signal -1
	s_barrier_wait -1
	global_inv scope:SCOPE_SE
	ds_store_2addr_b32 v56, v33, v34 offset1:1
	s_wait_loadcnt_dscnt 0x0
	s_barrier_signal -1
	s_barrier_wait -1
	global_inv scope:SCOPE_SE
	ds_load_u8 v8, v49 offset:512
	ds_load_u8 v7, v50 offset:1024
	;; [unrolled: 1-line block ×7, first 2 shown]
	v_add_co_u32 v0, s1, s18, v47
	s_wait_alu 0xf1ff
	v_add_co_ci_u32_e64 v1, null, s19, 0, s1
	s_and_saveexec_b32 s1, s2
	s_cbranch_execnz .LBB270_106
; %bb.88:
	s_wait_alu 0xfffe
	s_or_b32 exec_lo, exec_lo, s1
	s_and_saveexec_b32 s1, s3
	s_cbranch_execnz .LBB270_107
.LBB270_89:
	s_wait_alu 0xfffe
	s_or_b32 exec_lo, exec_lo, s1
	s_and_saveexec_b32 s1, s4
	s_cbranch_execnz .LBB270_108
.LBB270_90:
	s_wait_alu 0xfffe
	s_or_b32 exec_lo, exec_lo, s1
	s_and_saveexec_b32 s1, s5
	s_cbranch_execnz .LBB270_109
.LBB270_91:
	s_wait_alu 0xfffe
	s_or_b32 exec_lo, exec_lo, s1
	s_and_saveexec_b32 s1, s6
	s_cbranch_execnz .LBB270_110
.LBB270_92:
	s_wait_alu 0xfffe
	s_or_b32 exec_lo, exec_lo, s1
	s_and_saveexec_b32 s1, s7
	s_cbranch_execnz .LBB270_111
.LBB270_93:
	s_wait_alu 0xfffe
	s_or_b32 exec_lo, exec_lo, s1
	s_and_saveexec_b32 s1, s8
	s_cbranch_execnz .LBB270_112
.LBB270_94:
	s_wait_alu 0xfffe
	s_or_b32 exec_lo, exec_lo, s1
	s_and_saveexec_b32 s1, s0
	s_cbranch_execz .LBB270_96
.LBB270_95:
	s_mul_i32 s9, s14, 0xe00
	s_wait_alu 0xfffe
	v_add_co_u32 v0, vcc_lo, v0, s9
	s_wait_alu 0xfffd
	v_add_co_ci_u32_e64 v1, null, 0, v1, vcc_lo
	s_wait_dscnt 0x0
	global_store_b8 v[0:1], v2, off
.LBB270_96:
	s_wait_alu 0xfffe
	s_or_b32 exec_lo, exec_lo, s1
	s_wait_storecnt 0x0
	s_wait_loadcnt_dscnt 0x0
	s_barrier_signal -1
	s_barrier_wait -1
	global_inv scope:SCOPE_SE
	ds_store_2addr_b64 v64, v[29:30], v[31:32] offset1:1
	ds_store_2addr_b64 v64, v[25:26], v[27:28] offset0:2 offset1:3
	ds_store_2addr_b64 v64, v[21:22], v[23:24] offset0:4 offset1:5
	;; [unrolled: 1-line block ×3, first 2 shown]
	s_wait_loadcnt_dscnt 0x0
	s_barrier_signal -1
	s_barrier_wait -1
	global_inv scope:SCOPE_SE
	ds_load_b64 v[14:15], v58 offset:4096
	ds_load_b64 v[12:13], v59 offset:8192
	;; [unrolled: 1-line block ×7, first 2 shown]
	v_mov_b32_e32 v42, 0
	s_delay_alu instid0(VALU_DEP_1) | instskip(NEXT) | instid1(VALU_DEP_1)
	v_lshlrev_b64_e32 v[2:3], 3, v[41:42]
	v_add_co_u32 v2, vcc_lo, s12, v2
	s_wait_alu 0xfffd
	s_delay_alu instid0(VALU_DEP_2)
	v_add_co_ci_u32_e64 v3, null, s13, v3, vcc_lo
	s_and_saveexec_b32 s1, s2
	s_cbranch_execnz .LBB270_113
; %bb.97:
	s_wait_alu 0xfffe
	s_or_b32 exec_lo, exec_lo, s1
	s_and_saveexec_b32 s1, s3
	s_cbranch_execnz .LBB270_114
.LBB270_98:
	s_wait_alu 0xfffe
	s_or_b32 exec_lo, exec_lo, s1
	s_and_saveexec_b32 s1, s4
	s_cbranch_execnz .LBB270_115
.LBB270_99:
	s_wait_alu 0xfffe
	s_or_b32 exec_lo, exec_lo, s1
	s_and_saveexec_b32 s1, s5
	s_cbranch_execnz .LBB270_116
.LBB270_100:
	s_wait_alu 0xfffe
	s_or_b32 exec_lo, exec_lo, s1
	s_and_saveexec_b32 s1, s6
	s_cbranch_execnz .LBB270_117
.LBB270_101:
	s_wait_alu 0xfffe
	s_or_b32 exec_lo, exec_lo, s1
	s_and_saveexec_b32 s1, s7
	s_cbranch_execnz .LBB270_118
.LBB270_102:
	s_wait_alu 0xfffe
	s_or_b32 exec_lo, exec_lo, s1
	s_and_saveexec_b32 s1, s8
	s_cbranch_execnz .LBB270_119
.LBB270_103:
	s_wait_alu 0xfffe
	s_or_b32 exec_lo, exec_lo, s1
	s_and_saveexec_b32 s1, s0
	s_cbranch_execz .LBB270_105
.LBB270_104:
	s_mul_i32 s0, s16, 0xe00
	s_mov_b32 s1, 0
	s_wait_alu 0xfffe
	s_lshl_b64 s[0:1], s[0:1], 3
	s_wait_alu 0xfffe
	v_add_co_u32 v2, vcc_lo, v2, s0
	s_wait_alu 0xfffd
	v_add_co_ci_u32_e64 v3, null, s1, v3, vcc_lo
	s_wait_dscnt 0x0
	global_store_b64 v[2:3], v[0:1], off
.LBB270_105:
	s_nop 0
	s_sendmsg sendmsg(MSG_DEALLOC_VGPRS)
	s_endpgm
.LBB270_106:
	ds_load_u8 v9, v48
	s_wait_dscnt 0x0
	global_store_b8 v[0:1], v9, off
	s_wait_alu 0xfffe
	s_or_b32 exec_lo, exec_lo, s1
	s_and_saveexec_b32 s1, s3
	s_cbranch_execz .LBB270_89
.LBB270_107:
	s_lshl_b32 s9, s14, 9
	s_wait_alu 0xfffe
	v_add_co_u32 v9, vcc_lo, v0, s9
	s_wait_alu 0xfffd
	v_add_co_ci_u32_e64 v10, null, 0, v1, vcc_lo
	s_wait_dscnt 0x6
	global_store_b8 v[9:10], v8, off
	s_or_b32 exec_lo, exec_lo, s1
	s_and_saveexec_b32 s1, s4
	s_cbranch_execz .LBB270_90
.LBB270_108:
	s_lshl_b32 s9, s14, 10
	s_wait_dscnt 0x6
	s_wait_alu 0xfffe
	v_add_co_u32 v8, vcc_lo, v0, s9
	s_wait_alu 0xfffd
	v_add_co_ci_u32_e64 v9, null, 0, v1, vcc_lo
	s_wait_dscnt 0x5
	global_store_b8 v[8:9], v7, off
	s_or_b32 exec_lo, exec_lo, s1
	s_and_saveexec_b32 s1, s5
	s_cbranch_execz .LBB270_91
.LBB270_109:
	s_mul_i32 s9, s14, 0x600
	s_wait_dscnt 0x5
	s_wait_alu 0xfffe
	v_add_co_u32 v7, vcc_lo, v0, s9
	s_wait_alu 0xfffd
	v_add_co_ci_u32_e64 v8, null, 0, v1, vcc_lo
	s_wait_dscnt 0x4
	global_store_b8 v[7:8], v6, off
	s_or_b32 exec_lo, exec_lo, s1
	s_and_saveexec_b32 s1, s6
	s_cbranch_execz .LBB270_92
.LBB270_110:
	s_lshl_b32 s9, s14, 11
	s_wait_dscnt 0x4
	s_wait_alu 0xfffe
	v_add_co_u32 v6, vcc_lo, v0, s9
	s_wait_alu 0xfffd
	v_add_co_ci_u32_e64 v7, null, 0, v1, vcc_lo
	s_wait_dscnt 0x3
	global_store_b8 v[6:7], v5, off
	s_or_b32 exec_lo, exec_lo, s1
	s_and_saveexec_b32 s1, s7
	s_cbranch_execz .LBB270_93
.LBB270_111:
	s_mul_i32 s9, s14, 0xa00
	s_wait_dscnt 0x3
	s_wait_alu 0xfffe
	v_add_co_u32 v5, vcc_lo, v0, s9
	s_wait_alu 0xfffd
	v_add_co_ci_u32_e64 v6, null, 0, v1, vcc_lo
	s_wait_dscnt 0x2
	global_store_b8 v[5:6], v4, off
	s_or_b32 exec_lo, exec_lo, s1
	s_and_saveexec_b32 s1, s8
	s_cbranch_execz .LBB270_94
.LBB270_112:
	s_mul_i32 s9, s14, 0xc00
	s_wait_dscnt 0x2
	s_wait_alu 0xfffe
	v_add_co_u32 v4, vcc_lo, v0, s9
	s_wait_alu 0xfffd
	v_add_co_ci_u32_e64 v5, null, 0, v1, vcc_lo
	s_wait_dscnt 0x1
	global_store_b8 v[4:5], v3, off
	s_or_b32 exec_lo, exec_lo, s1
	s_and_saveexec_b32 s1, s0
	s_cbranch_execnz .LBB270_95
	s_branch .LBB270_96
.LBB270_113:
	ds_load_b64 v[16:17], v57
	s_wait_dscnt 0x0
	global_store_b64 v[2:3], v[16:17], off
	s_wait_alu 0xfffe
	s_or_b32 exec_lo, exec_lo, s1
	s_and_saveexec_b32 s1, s3
	s_cbranch_execz .LBB270_98
.LBB270_114:
	s_lshl_b32 s2, s16, 9
	s_mov_b32 s3, 0
	s_delay_alu instid0(SALU_CYCLE_1) | instskip(NEXT) | instid1(SALU_CYCLE_1)
	s_lshl_b64 s[2:3], s[2:3], 3
	v_add_co_u32 v16, vcc_lo, v2, s2
	s_wait_alu 0xfffd
	v_add_co_ci_u32_e64 v17, null, s3, v3, vcc_lo
	s_wait_dscnt 0x6
	global_store_b64 v[16:17], v[14:15], off
	s_wait_alu 0xfffe
	s_or_b32 exec_lo, exec_lo, s1
	s_and_saveexec_b32 s1, s4
	s_cbranch_execz .LBB270_99
.LBB270_115:
	s_lshl_b32 s2, s16, 10
	s_mov_b32 s3, 0
	s_wait_alu 0xfffe
	s_lshl_b64 s[2:3], s[2:3], 3
	s_wait_dscnt 0x6
	s_wait_alu 0xfffe
	v_add_co_u32 v14, vcc_lo, v2, s2
	s_wait_alu 0xfffd
	v_add_co_ci_u32_e64 v15, null, s3, v3, vcc_lo
	s_wait_dscnt 0x5
	global_store_b64 v[14:15], v[12:13], off
	s_or_b32 exec_lo, exec_lo, s1
	s_and_saveexec_b32 s1, s5
	s_cbranch_execz .LBB270_100
.LBB270_116:
	s_mul_i32 s2, s16, 0x600
	s_mov_b32 s3, 0
	s_wait_alu 0xfffe
	s_lshl_b64 s[2:3], s[2:3], 3
	s_wait_dscnt 0x5
	s_wait_alu 0xfffe
	v_add_co_u32 v12, vcc_lo, v2, s2
	s_wait_alu 0xfffd
	v_add_co_ci_u32_e64 v13, null, s3, v3, vcc_lo
	s_wait_dscnt 0x4
	global_store_b64 v[12:13], v[10:11], off
	s_or_b32 exec_lo, exec_lo, s1
	s_and_saveexec_b32 s1, s6
	s_cbranch_execz .LBB270_101
.LBB270_117:
	s_lshl_b32 s2, s16, 11
	s_mov_b32 s3, 0
	s_wait_alu 0xfffe
	s_lshl_b64 s[2:3], s[2:3], 3
	s_wait_dscnt 0x4
	s_wait_alu 0xfffe
	v_add_co_u32 v10, vcc_lo, v2, s2
	s_wait_alu 0xfffd
	v_add_co_ci_u32_e64 v11, null, s3, v3, vcc_lo
	s_wait_dscnt 0x3
	global_store_b64 v[10:11], v[8:9], off
	s_or_b32 exec_lo, exec_lo, s1
	s_and_saveexec_b32 s1, s7
	s_cbranch_execz .LBB270_102
.LBB270_118:
	s_mul_i32 s2, s16, 0xa00
	s_mov_b32 s3, 0
	s_wait_alu 0xfffe
	s_lshl_b64 s[2:3], s[2:3], 3
	s_wait_dscnt 0x3
	s_wait_alu 0xfffe
	v_add_co_u32 v8, vcc_lo, v2, s2
	s_wait_alu 0xfffd
	v_add_co_ci_u32_e64 v9, null, s3, v3, vcc_lo
	s_wait_dscnt 0x2
	global_store_b64 v[8:9], v[6:7], off
	s_or_b32 exec_lo, exec_lo, s1
	s_and_saveexec_b32 s1, s8
	s_cbranch_execz .LBB270_103
.LBB270_119:
	s_mul_i32 s2, s16, 0xc00
	s_mov_b32 s3, 0
	s_wait_alu 0xfffe
	s_lshl_b64 s[2:3], s[2:3], 3
	s_wait_dscnt 0x2
	s_wait_alu 0xfffe
	v_add_co_u32 v6, vcc_lo, v2, s2
	s_wait_alu 0xfffd
	v_add_co_ci_u32_e64 v7, null, s3, v3, vcc_lo
	s_wait_dscnt 0x1
	global_store_b64 v[6:7], v[4:5], off
	s_or_b32 exec_lo, exec_lo, s1
	s_and_saveexec_b32 s1, s0
	s_cbranch_execnz .LBB270_104
	s_branch .LBB270_105
	.section	.rodata,"a",@progbits
	.p2align	6, 0x0
	.amdhsa_kernel _ZN2at6native18radixSortKVInPlaceILin1ELin1ELi512ELi8EbljEEvNS_4cuda6detail10TensorInfoIT3_T5_EES6_S6_S6_NS4_IT4_S6_EES6_b
		.amdhsa_group_segment_fixed_size 33792
		.amdhsa_private_segment_fixed_size 0
		.amdhsa_kernarg_size 712
		.amdhsa_user_sgpr_count 2
		.amdhsa_user_sgpr_dispatch_ptr 0
		.amdhsa_user_sgpr_queue_ptr 0
		.amdhsa_user_sgpr_kernarg_segment_ptr 1
		.amdhsa_user_sgpr_dispatch_id 0
		.amdhsa_user_sgpr_private_segment_size 0
		.amdhsa_wavefront_size32 1
		.amdhsa_uses_dynamic_stack 0
		.amdhsa_enable_private_segment 0
		.amdhsa_system_sgpr_workgroup_id_x 1
		.amdhsa_system_sgpr_workgroup_id_y 1
		.amdhsa_system_sgpr_workgroup_id_z 1
		.amdhsa_system_sgpr_workgroup_info 0
		.amdhsa_system_vgpr_workitem_id 2
		.amdhsa_next_free_vgpr 105
		.amdhsa_next_free_sgpr 28
		.amdhsa_reserve_vcc 1
		.amdhsa_float_round_mode_32 0
		.amdhsa_float_round_mode_16_64 0
		.amdhsa_float_denorm_mode_32 3
		.amdhsa_float_denorm_mode_16_64 3
		.amdhsa_fp16_overflow 0
		.amdhsa_workgroup_processor_mode 1
		.amdhsa_memory_ordered 1
		.amdhsa_forward_progress 1
		.amdhsa_inst_pref_size 79
		.amdhsa_round_robin_scheduling 0
		.amdhsa_exception_fp_ieee_invalid_op 0
		.amdhsa_exception_fp_denorm_src 0
		.amdhsa_exception_fp_ieee_div_zero 0
		.amdhsa_exception_fp_ieee_overflow 0
		.amdhsa_exception_fp_ieee_underflow 0
		.amdhsa_exception_fp_ieee_inexact 0
		.amdhsa_exception_int_div_zero 0
	.end_amdhsa_kernel
	.section	.text._ZN2at6native18radixSortKVInPlaceILin1ELin1ELi512ELi8EbljEEvNS_4cuda6detail10TensorInfoIT3_T5_EES6_S6_S6_NS4_IT4_S6_EES6_b,"axG",@progbits,_ZN2at6native18radixSortKVInPlaceILin1ELin1ELi512ELi8EbljEEvNS_4cuda6detail10TensorInfoIT3_T5_EES6_S6_S6_NS4_IT4_S6_EES6_b,comdat
.Lfunc_end270:
	.size	_ZN2at6native18radixSortKVInPlaceILin1ELin1ELi512ELi8EbljEEvNS_4cuda6detail10TensorInfoIT3_T5_EES6_S6_S6_NS4_IT4_S6_EES6_b, .Lfunc_end270-_ZN2at6native18radixSortKVInPlaceILin1ELin1ELi512ELi8EbljEEvNS_4cuda6detail10TensorInfoIT3_T5_EES6_S6_S6_NS4_IT4_S6_EES6_b
                                        ; -- End function
	.set _ZN2at6native18radixSortKVInPlaceILin1ELin1ELi512ELi8EbljEEvNS_4cuda6detail10TensorInfoIT3_T5_EES6_S6_S6_NS4_IT4_S6_EES6_b.num_vgpr, 105
	.set _ZN2at6native18radixSortKVInPlaceILin1ELin1ELi512ELi8EbljEEvNS_4cuda6detail10TensorInfoIT3_T5_EES6_S6_S6_NS4_IT4_S6_EES6_b.num_agpr, 0
	.set _ZN2at6native18radixSortKVInPlaceILin1ELin1ELi512ELi8EbljEEvNS_4cuda6detail10TensorInfoIT3_T5_EES6_S6_S6_NS4_IT4_S6_EES6_b.numbered_sgpr, 28
	.set _ZN2at6native18radixSortKVInPlaceILin1ELin1ELi512ELi8EbljEEvNS_4cuda6detail10TensorInfoIT3_T5_EES6_S6_S6_NS4_IT4_S6_EES6_b.num_named_barrier, 0
	.set _ZN2at6native18radixSortKVInPlaceILin1ELin1ELi512ELi8EbljEEvNS_4cuda6detail10TensorInfoIT3_T5_EES6_S6_S6_NS4_IT4_S6_EES6_b.private_seg_size, 0
	.set _ZN2at6native18radixSortKVInPlaceILin1ELin1ELi512ELi8EbljEEvNS_4cuda6detail10TensorInfoIT3_T5_EES6_S6_S6_NS4_IT4_S6_EES6_b.uses_vcc, 1
	.set _ZN2at6native18radixSortKVInPlaceILin1ELin1ELi512ELi8EbljEEvNS_4cuda6detail10TensorInfoIT3_T5_EES6_S6_S6_NS4_IT4_S6_EES6_b.uses_flat_scratch, 0
	.set _ZN2at6native18radixSortKVInPlaceILin1ELin1ELi512ELi8EbljEEvNS_4cuda6detail10TensorInfoIT3_T5_EES6_S6_S6_NS4_IT4_S6_EES6_b.has_dyn_sized_stack, 0
	.set _ZN2at6native18radixSortKVInPlaceILin1ELin1ELi512ELi8EbljEEvNS_4cuda6detail10TensorInfoIT3_T5_EES6_S6_S6_NS4_IT4_S6_EES6_b.has_recursion, 0
	.set _ZN2at6native18radixSortKVInPlaceILin1ELin1ELi512ELi8EbljEEvNS_4cuda6detail10TensorInfoIT3_T5_EES6_S6_S6_NS4_IT4_S6_EES6_b.has_indirect_call, 0
	.section	.AMDGPU.csdata,"",@progbits
; Kernel info:
; codeLenInByte = 10044
; TotalNumSgprs: 30
; NumVgprs: 105
; ScratchSize: 0
; MemoryBound: 0
; FloatMode: 240
; IeeeMode: 1
; LDSByteSize: 33792 bytes/workgroup (compile time only)
; SGPRBlocks: 0
; VGPRBlocks: 13
; NumSGPRsForWavesPerEU: 30
; NumVGPRsForWavesPerEU: 105
; Occupancy: 12
; WaveLimiterHint : 1
; COMPUTE_PGM_RSRC2:SCRATCH_EN: 0
; COMPUTE_PGM_RSRC2:USER_SGPR: 2
; COMPUTE_PGM_RSRC2:TRAP_HANDLER: 0
; COMPUTE_PGM_RSRC2:TGID_X_EN: 1
; COMPUTE_PGM_RSRC2:TGID_Y_EN: 1
; COMPUTE_PGM_RSRC2:TGID_Z_EN: 1
; COMPUTE_PGM_RSRC2:TIDIG_COMP_CNT: 2
	.section	.text._ZN2at6native18radixSortKVInPlaceILin1ELin1ELi256ELi8EbljEEvNS_4cuda6detail10TensorInfoIT3_T5_EES6_S6_S6_NS4_IT4_S6_EES6_b,"axG",@progbits,_ZN2at6native18radixSortKVInPlaceILin1ELin1ELi256ELi8EbljEEvNS_4cuda6detail10TensorInfoIT3_T5_EES6_S6_S6_NS4_IT4_S6_EES6_b,comdat
	.protected	_ZN2at6native18radixSortKVInPlaceILin1ELin1ELi256ELi8EbljEEvNS_4cuda6detail10TensorInfoIT3_T5_EES6_S6_S6_NS4_IT4_S6_EES6_b ; -- Begin function _ZN2at6native18radixSortKVInPlaceILin1ELin1ELi256ELi8EbljEEvNS_4cuda6detail10TensorInfoIT3_T5_EES6_S6_S6_NS4_IT4_S6_EES6_b
	.globl	_ZN2at6native18radixSortKVInPlaceILin1ELin1ELi256ELi8EbljEEvNS_4cuda6detail10TensorInfoIT3_T5_EES6_S6_S6_NS4_IT4_S6_EES6_b
	.p2align	8
	.type	_ZN2at6native18radixSortKVInPlaceILin1ELin1ELi256ELi8EbljEEvNS_4cuda6detail10TensorInfoIT3_T5_EES6_S6_S6_NS4_IT4_S6_EES6_b,@function
_ZN2at6native18radixSortKVInPlaceILin1ELin1ELi256ELi8EbljEEvNS_4cuda6detail10TensorInfoIT3_T5_EES6_S6_S6_NS4_IT4_S6_EES6_b: ; @_ZN2at6native18radixSortKVInPlaceILin1ELin1ELi256ELi8EbljEEvNS_4cuda6detail10TensorInfoIT3_T5_EES6_S6_S6_NS4_IT4_S6_EES6_b
; %bb.0:
	s_clause 0x1
	s_load_b64 s[2:3], s[0:1], 0x1c8
	s_load_b96 s[8:10], s[0:1], 0xd8
	s_lshr_b32 s4, ttmp7, 16
	s_wait_kmcnt 0x0
	s_mul_i32 s3, s3, s4
	s_and_b32 s4, ttmp7, 0xffff
	s_delay_alu instid0(SALU_CYCLE_1) | instskip(NEXT) | instid1(SALU_CYCLE_1)
	s_add_co_i32 s3, s3, s4
	s_mul_i32 s2, s3, s2
	s_delay_alu instid0(SALU_CYCLE_1) | instskip(NEXT) | instid1(SALU_CYCLE_1)
	s_add_co_i32 s22, s2, ttmp9
	s_cmp_ge_u32 s22, s8
	s_cbranch_scc1 .LBB271_105
; %bb.1:
	s_load_b32 s4, s[0:1], 0xd0
	s_mov_b32 s3, 0
	s_mov_b32 s2, s22
	s_wait_kmcnt 0x0
	s_cmp_lt_i32 s4, 2
	s_cbranch_scc1 .LBB271_4
; %bb.2:
	s_add_co_i32 s2, s4, -1
	s_delay_alu instid0(SALU_CYCLE_1)
	s_lshl_b64 s[6:7], s[2:3], 2
	s_mov_b32 s2, s22
	s_add_nc_u64 s[12:13], s[0:1], s[6:7]
	s_add_co_i32 s6, s4, 1
	s_add_nc_u64 s[4:5], s[12:13], 8
.LBB271_3:                              ; =>This Inner Loop Header: Depth=1
	s_clause 0x1
	s_load_b32 s7, s[4:5], 0x0
	s_load_b32 s8, s[4:5], 0x64
	s_mov_b32 s13, s2
	s_add_nc_u64 s[4:5], s[4:5], -4
	s_wait_kmcnt 0x0
	s_cvt_f32_u32 s11, s7
	s_sub_co_i32 s12, 0, s7
	s_wait_alu 0xfffe
	s_delay_alu instid0(SALU_CYCLE_1) | instskip(NEXT) | instid1(TRANS32_DEP_1)
	v_rcp_iflag_f32_e32 v1, s11
	v_readfirstlane_b32 s11, v1
	s_mul_f32 s11, s11, 0x4f7ffffe
	s_wait_alu 0xfffe
	s_delay_alu instid0(SALU_CYCLE_2) | instskip(SKIP_1) | instid1(SALU_CYCLE_2)
	s_cvt_u32_f32 s11, s11
	s_wait_alu 0xfffe
	s_mul_i32 s12, s12, s11
	s_delay_alu instid0(SALU_CYCLE_1) | instskip(NEXT) | instid1(SALU_CYCLE_1)
	s_mul_hi_u32 s12, s11, s12
	s_add_co_i32 s11, s11, s12
	s_wait_alu 0xfffe
	s_mul_hi_u32 s2, s2, s11
	s_delay_alu instid0(SALU_CYCLE_1)
	s_mul_i32 s11, s2, s7
	s_add_co_i32 s12, s2, 1
	s_wait_alu 0xfffe
	s_sub_co_i32 s11, s13, s11
	s_wait_alu 0xfffe
	s_sub_co_i32 s14, s11, s7
	s_cmp_ge_u32 s11, s7
	s_cselect_b32 s2, s12, s2
	s_cselect_b32 s11, s14, s11
	s_add_co_i32 s12, s2, 1
	s_wait_alu 0xfffe
	s_cmp_ge_u32 s11, s7
	s_cselect_b32 s2, s12, s2
	s_add_co_i32 s6, s6, -1
	s_mul_i32 s7, s2, s7
	s_delay_alu instid0(SALU_CYCLE_1) | instskip(NEXT) | instid1(SALU_CYCLE_1)
	s_sub_co_i32 s7, s13, s7
	s_mul_i32 s7, s8, s7
	s_delay_alu instid0(SALU_CYCLE_1)
	s_add_co_i32 s3, s7, s3
	s_cmp_gt_u32 s6, 2
	s_cbranch_scc1 .LBB271_3
.LBB271_4:
	s_load_b32 s4, s[0:1], 0x1b8
	s_add_nc_u64 s[18:19], s[0:1], 0x1c8
	s_mov_b32 s17, 0
	s_wait_kmcnt 0x0
	s_cmp_lt_i32 s4, 2
	s_cbranch_scc1 .LBB271_7
; %bb.5:
	s_add_co_i32 s16, s4, -1
	s_delay_alu instid0(SALU_CYCLE_1) | instskip(NEXT) | instid1(SALU_CYCLE_1)
	s_lshl_b64 s[6:7], s[16:17], 2
	s_add_nc_u64 s[12:13], s[0:1], s[6:7]
	s_add_co_i32 s6, s4, 1
	s_add_nc_u64 s[4:5], s[12:13], 0xf0
.LBB271_6:                              ; =>This Inner Loop Header: Depth=1
	s_clause 0x1
	s_load_b32 s7, s[4:5], 0x0
	s_load_b32 s8, s[4:5], 0x64
	s_mov_b32 s13, s22
	s_add_nc_u64 s[4:5], s[4:5], -4
	s_wait_kmcnt 0x0
	s_cvt_f32_u32 s11, s7
	s_sub_co_i32 s12, 0, s7
	s_wait_alu 0xfffe
	s_delay_alu instid0(SALU_CYCLE_1) | instskip(NEXT) | instid1(TRANS32_DEP_1)
	v_rcp_iflag_f32_e32 v1, s11
	v_readfirstlane_b32 s11, v1
	s_mul_f32 s11, s11, 0x4f7ffffe
	s_wait_alu 0xfffe
	s_delay_alu instid0(SALU_CYCLE_2) | instskip(SKIP_1) | instid1(SALU_CYCLE_2)
	s_cvt_u32_f32 s11, s11
	s_wait_alu 0xfffe
	s_mul_i32 s12, s12, s11
	s_delay_alu instid0(SALU_CYCLE_1) | instskip(NEXT) | instid1(SALU_CYCLE_1)
	s_mul_hi_u32 s12, s11, s12
	s_add_co_i32 s11, s11, s12
	s_wait_alu 0xfffe
	s_mul_hi_u32 s11, s22, s11
	s_wait_alu 0xfffe
	s_mul_i32 s12, s11, s7
	s_add_co_i32 s14, s11, 1
	s_sub_co_i32 s12, s22, s12
	s_delay_alu instid0(SALU_CYCLE_1)
	s_sub_co_i32 s15, s12, s7
	s_cmp_ge_u32 s12, s7
	s_cselect_b32 s11, s14, s11
	s_cselect_b32 s12, s15, s12
	s_wait_alu 0xfffe
	s_add_co_i32 s14, s11, 1
	s_cmp_ge_u32 s12, s7
	s_cselect_b32 s22, s14, s11
	s_add_co_i32 s6, s6, -1
	s_mul_i32 s7, s22, s7
	s_delay_alu instid0(SALU_CYCLE_1) | instskip(NEXT) | instid1(SALU_CYCLE_1)
	s_sub_co_i32 s7, s13, s7
	s_mul_i32 s7, s8, s7
	s_delay_alu instid0(SALU_CYCLE_1)
	s_add_co_i32 s17, s7, s17
	s_cmp_gt_u32 s6, 2
	s_cbranch_scc1 .LBB271_6
.LBB271_7:
	s_clause 0x1
	s_load_b32 s4, s[0:1], 0x6c
	s_load_b64 s[12:13], s[0:1], 0x1c0
	v_and_b32_e32 v44, 0x3ff, v0
	s_mov_b32 s7, 0
	s_delay_alu instid0(VALU_DEP_1)
	v_mul_lo_u32 v47, s10, v44
	s_wait_kmcnt 0x0
	s_mul_i32 s2, s4, s2
	s_load_b64 s[4:5], s[0:1], 0x0
	s_add_co_i32 s6, s2, s3
	s_bitcmp1_b32 s13, 0
	s_cselect_b32 s2, -1, 0
	s_delay_alu instid0(SALU_CYCLE_1) | instskip(SKIP_4) | instid1(VALU_DEP_2)
	s_xor_b32 s11, s2, -1
	v_cmp_gt_u32_e64 s2, s9, v44
	s_wait_alu 0xfffe
	v_cndmask_b32_e64 v1, 0, 1, s11
	v_cndmask_b32_e64 v3, 0, 1, s11
	v_lshlrev_b32_e32 v2, 8, v1
	s_delay_alu instid0(VALU_DEP_1) | instskip(SKIP_2) | instid1(VALU_DEP_1)
	v_or_b32_e32 v1, v1, v2
	s_wait_kmcnt 0x0
	s_add_nc_u64 s[14:15], s[4:5], s[6:7]
	v_and_b32_e32 v2, 0x101, v1
	v_lshlrev_b32_e32 v1, 16, v1
	s_delay_alu instid0(VALU_DEP_1) | instskip(NEXT) | instid1(VALU_DEP_1)
	v_or_b32_e32 v1, v2, v1
	v_mov_b32_e32 v2, v1
	s_and_saveexec_b32 s3, s2
	s_cbranch_execz .LBB271_9
; %bb.8:
	global_load_u8 v3, v47, s[14:15]
	v_mov_b32_e32 v5, v1
	s_wait_loadcnt 0x0
	v_perm_b32 v4, v3, v1, 0x3020104
	s_delay_alu instid0(VALU_DEP_1)
	v_dual_mov_b32 v1, v4 :: v_dual_mov_b32 v2, v5
.LBB271_9:
	s_or_b32 exec_lo, exec_lo, s3
	v_add_nc_u32_e32 v28, 0x100, v44
	s_delay_alu instid0(VALU_DEP_1)
	v_cmp_gt_u32_e64 s3, s9, v28
	s_and_saveexec_b32 s4, s3
	s_cbranch_execz .LBB271_11
; %bb.10:
	v_mul_lo_u32 v4, s10, v28
	global_load_u8 v4, v4, s[14:15]
	s_wait_loadcnt 0x0
	v_perm_b32 v1, v1, v4, 0x7060004
.LBB271_11:
	s_or_b32 exec_lo, exec_lo, s4
	v_add_nc_u32_e32 v24, 0x200, v44
	s_delay_alu instid0(VALU_DEP_1)
	v_cmp_gt_u32_e64 s4, s9, v24
	s_and_saveexec_b32 s5, s4
	s_cbranch_execz .LBB271_13
; %bb.12:
	v_mul_lo_u32 v4, s10, v24
	global_load_u8 v4, v4, s[14:15]
	s_wait_loadcnt 0x0
	v_perm_b32 v4, v4, v1, 0xc0c0304
	s_delay_alu instid0(VALU_DEP_1) | instskip(NEXT) | instid1(VALU_DEP_1)
	v_lshlrev_b32_e32 v4, 16, v4
	v_and_or_b32 v1, 0xffff, v1, v4
.LBB271_13:
	s_or_b32 exec_lo, exec_lo, s5
	v_add_nc_u32_e32 v21, 0x300, v44
	s_delay_alu instid0(VALU_DEP_1)
	v_cmp_gt_u32_e64 s5, s9, v21
	s_and_saveexec_b32 s6, s5
	s_cbranch_execz .LBB271_15
; %bb.14:
	v_mul_lo_u32 v4, s10, v21
	global_load_u8 v4, v4, s[14:15]
	s_wait_loadcnt 0x0
	v_perm_b32 v4, v1, v4, 0xc0c0006
	s_delay_alu instid0(VALU_DEP_1) | instskip(NEXT) | instid1(VALU_DEP_1)
	v_lshlrev_b32_e32 v4, 16, v4
	v_and_or_b32 v1, 0xffff, v1, v4
.LBB271_15:
	s_or_b32 exec_lo, exec_lo, s6
	v_or_b32_e32 v19, 0x400, v44
	s_delay_alu instid0(VALU_DEP_1)
	v_cmp_gt_u32_e64 s6, s9, v19
	s_and_saveexec_b32 s7, s6
	s_cbranch_execz .LBB271_17
; %bb.16:
	v_mul_lo_u32 v4, s10, v19
	global_load_u8 v4, v4, s[14:15]
	s_wait_loadcnt 0x0
	v_perm_b32 v2, v4, v2, 0x3020104
.LBB271_17:
	s_or_b32 exec_lo, exec_lo, s7
	v_add_nc_u32_e32 v17, 0x500, v44
	s_delay_alu instid0(VALU_DEP_1)
	v_cmp_gt_u32_e64 s7, s9, v17
	s_and_saveexec_b32 s8, s7
	s_cbranch_execz .LBB271_19
; %bb.18:
	v_mul_lo_u32 v4, s10, v17
	global_load_u8 v4, v4, s[14:15]
	s_wait_loadcnt 0x0
	v_perm_b32 v2, v2, v4, 0x7060004
.LBB271_19:
	s_wait_alu 0xfffe
	s_or_b32 exec_lo, exec_lo, s8
	v_add_nc_u32_e32 v16, 0x600, v44
	s_delay_alu instid0(VALU_DEP_1)
	v_cmp_gt_u32_e64 s8, s9, v16
	s_and_saveexec_b32 s13, s8
	s_cbranch_execz .LBB271_21
; %bb.20:
	v_mul_lo_u32 v4, s10, v16
	global_load_u8 v4, v4, s[14:15]
	s_wait_loadcnt 0x0
	v_perm_b32 v2, v2, v4, 0x7000504
.LBB271_21:
	s_or_b32 exec_lo, exec_lo, s13
	s_clause 0x1
	s_load_b32 s13, s[0:1], 0x154
	s_load_b64 s[20:21], s[0:1], 0xe8
	v_add_nc_u32_e32 v15, 0x700, v44
	s_delay_alu instid0(VALU_DEP_1)
	v_cmp_gt_u32_e64 s0, s9, v15
	s_and_saveexec_b32 s1, s0
	s_cbranch_execz .LBB271_23
; %bb.22:
	v_mul_lo_u32 v4, s10, v15
	global_load_u8 v4, v4, s[14:15]
	s_wait_loadcnt 0x0
	v_perm_b32 v2, v2, v4, 0x60504
.LBB271_23:
	s_or_b32 exec_lo, exec_lo, s1
	v_lshrrev_b32_e32 v65, 5, v44
	v_lshrrev_b32_e32 v18, 5, v28
	;; [unrolled: 1-line block ×5, first 2 shown]
	s_delay_alu instid0(VALU_DEP_4) | instskip(SKIP_4) | instid1(VALU_DEP_4)
	v_dual_mov_b32 v42, 0 :: v_dual_and_b32 v5, 60, v18
	v_and_b32_e32 v4, 28, v65
	v_and_b32_e32 v7, 60, v23
	v_lshrrev_b32_e32 v22, 5, v21
	v_lshrrev_b32_e32 v29, 2, v44
	v_dual_mov_b32 v43, v42 :: v_dual_add_nc_u32 v48, v4, v44
	v_dual_mov_b32 v11, v42 :: v_dual_and_b32 v4, 60, v20
	v_mov_b32_e32 v12, v42
	v_add_nc_u32_e32 v52, v7, v44
	v_and_b32_e32 v7, 0x7c, v26
	s_delay_alu instid0(VALU_DEP_4)
	v_add_nc_u32_e32 v50, v4, v44
	v_and_b32_e32 v4, 60, v22
	v_lshrrev_b32_e32 v25, 5, v17
	v_lshrrev_b32_e32 v27, 5, v15
	v_dual_mov_b32 v13, 0 :: v_dual_add_nc_u32 v54, v7, v44
	v_lshlrev_b32_e32 v61, 3, v44
	v_and_b32_e32 v7, 0xfc, v29
	v_add_nc_u32_e32 v51, v4, v44
	v_and_b32_e32 v4, 0x7c, v25
	v_and_b32_e32 v9, 0x7c, v27
	v_lshrrev_b32_e32 v6, 8, v1
	v_add_nc_u32_e32 v56, v7, v61
	v_dual_mov_b32 v10, v42 :: v_dual_add_nc_u32 v49, v5, v44
	v_lshrrev_b32_e32 v5, 24, v1
	v_lshrrev_b32_e32 v8, 8, v2
	v_dual_mov_b32 v14, 0 :: v_dual_add_nc_u32 v53, v4, v44
	v_lshrrev_b32_e32 v4, 24, v2
	v_add_nc_u32_e32 v55, v9, v44
	v_mov_b32_e32 v9, v42
	v_mov_b32_e32 v7, v42
	ds_store_b8 v48, v3
	ds_store_b8 v49, v6 offset:256
	ds_store_b8_d16_hi v50, v1 offset:512
	ds_store_b8 v51, v5 offset:768
	ds_store_b8 v52, v2 offset:1024
	;; [unrolled: 1-line block ×3, first 2 shown]
	ds_store_b8_d16_hi v54, v2 offset:1536
	ds_store_b8 v55, v4 offset:1792
	s_wait_dscnt 0x0
	s_barrier_signal -1
	s_barrier_wait -1
	global_inv scope:SCOPE_SE
	ds_load_2addr_b32 v[45:46], v56 offset1:1
	s_wait_kmcnt 0x0
	s_mul_i32 s1, s13, s22
	v_mul_lo_u32 v41, s12, v44
	s_mov_b32 s23, 0
	s_add_co_i32 s22, s1, s17
	v_dual_mov_b32 v1, v42 :: v_dual_mov_b32 v2, v42
	v_dual_mov_b32 v3, v42 :: v_dual_mov_b32 v4, v42
	;; [unrolled: 1-line block ×3, first 2 shown]
	v_mov_b32_e32 v8, v42
	s_lshl_b64 s[16:17], s[22:23], 3
	s_wait_loadcnt_dscnt 0x0
	s_add_nc_u64 s[16:17], s[20:21], s[16:17]
	s_barrier_signal -1
	s_barrier_wait -1
	global_inv scope:SCOPE_SE
	s_and_saveexec_b32 s1, s2
	s_cbranch_execnz .LBB271_56
; %bb.24:
	s_or_b32 exec_lo, exec_lo, s1
	s_and_saveexec_b32 s1, s3
	s_cbranch_execnz .LBB271_57
.LBB271_25:
	s_or_b32 exec_lo, exec_lo, s1
	s_and_saveexec_b32 s1, s4
	s_cbranch_execnz .LBB271_58
.LBB271_26:
	s_or_b32 exec_lo, exec_lo, s1
	s_and_saveexec_b32 s1, s5
	s_cbranch_execnz .LBB271_59
.LBB271_27:
	s_or_b32 exec_lo, exec_lo, s1
	s_and_saveexec_b32 s1, s6
	s_cbranch_execnz .LBB271_60
.LBB271_28:
	s_or_b32 exec_lo, exec_lo, s1
	s_and_saveexec_b32 s1, s7
	s_cbranch_execnz .LBB271_61
.LBB271_29:
	s_or_b32 exec_lo, exec_lo, s1
	s_and_saveexec_b32 s1, s8
	s_cbranch_execnz .LBB271_62
.LBB271_30:
	s_or_b32 exec_lo, exec_lo, s1
	s_and_saveexec_b32 s1, s0
	s_cbranch_execz .LBB271_32
.LBB271_31:
	v_mul_lo_u32 v7, s12, v15
	v_mov_b32_e32 v8, 0
	s_delay_alu instid0(VALU_DEP_1) | instskip(NEXT) | instid1(VALU_DEP_1)
	v_lshlrev_b64_e32 v[7:8], 3, v[7:8]
	v_add_co_u32 v7, vcc_lo, s16, v7
	s_wait_alu 0xfffd
	s_delay_alu instid0(VALU_DEP_2)
	v_add_co_ci_u32_e64 v8, null, s17, v8, vcc_lo
	global_load_b64 v[7:8], v[7:8], off
.LBB271_32:
	s_or_b32 exec_lo, exec_lo, s1
	v_lshl_add_u32 v57, v65, 3, v61
	v_lshl_add_u32 v58, v18, 3, v61
	;; [unrolled: 1-line block ×5, first 2 shown]
	s_wait_loadcnt 0x0
	ds_store_b64 v57, v[13:14]
	ds_store_b64 v58, v[42:43] offset:2048
	ds_store_b64 v59, v[9:10] offset:4096
	;; [unrolled: 1-line block ×3, first 2 shown]
	v_lshlrev_b32_e32 v9, 3, v61
	v_lshl_add_u32 v42, v23, 3, v61
	v_lshl_add_u32 v43, v25, 3, v61
	;; [unrolled: 1-line block ×3, first 2 shown]
	ds_store_b64 v42, v[1:2] offset:8192
	ds_store_b64 v43, v[3:4] offset:10240
	;; [unrolled: 1-line block ×4, first 2 shown]
	v_lshl_add_u32 v64, v29, 3, v9
	s_wait_dscnt 0x0
	s_barrier_signal -1
	s_barrier_wait -1
	global_inv scope:SCOPE_SE
	ds_load_2addr_b64 v[13:16], v64 offset1:1
	ds_load_2addr_b64 v[9:12], v64 offset0:2 offset1:3
	ds_load_2addr_b64 v[5:8], v64 offset0:4 offset1:5
	;; [unrolled: 1-line block ×3, first 2 shown]
	v_bfe_u32 v69, v0, 10, 10
	v_bfe_u32 v70, v0, 20, 10
	v_mbcnt_lo_u32_b32 v67, -1, 0
	v_and_b32_e32 v68, 0x3e0, v44
	v_lshlrev_b32_e32 v66, 2, v61
	s_and_b32 vcc_lo, exec_lo, s11
	s_wait_loadcnt_dscnt 0x0
	s_barrier_signal -1
	s_barrier_wait -1
	global_inv scope:SCOPE_SE
	s_wait_alu 0xfffe
	s_cbranch_vccz .LBB271_63
; %bb.33:
	s_getpc_b64 s[20:21]
	s_sext_i32_i16 s21, s21
	s_add_co_u32 s20, s20, _ZN7rocprim17ROCPRIM_400000_NS16block_radix_sortIbLj256ELj8ElLj1ELj1ELj0ELNS0_26block_radix_rank_algorithmE1ELNS0_18block_padding_hintE2ELNS0_4arch9wavefront6targetE0EE19radix_bits_per_passE@rel32@lo+8
	s_add_co_ci_u32 s21, s21, _ZN7rocprim17ROCPRIM_400000_NS16block_radix_sortIbLj256ELj8ElLj1ELj1ELj0ELNS0_26block_radix_rank_algorithmE1ELNS0_18block_padding_hintE2ELNS0_4arch9wavefront6targetE0EE19radix_bits_per_passE@rel32@hi+16
	v_or_b32_e32 v17, v67, v68
	s_load_b32 s1, s[20:21], 0x0
	s_mov_b32 s20, 0
	v_and_or_b32 v19, 0x1f00, v61, v67
	s_mov_b32 s21, s20
	s_mov_b32 s22, s20
	;; [unrolled: 1-line block ×3, first 2 shown]
	v_lshlrev_b32_e32 v18, 3, v17
	ds_store_b64 v18, v[45:46]
	; wave barrier
	ds_load_u8 v0, v19
	ds_load_u8 v71, v19 offset:32
	ds_load_u8 v72, v19 offset:64
	;; [unrolled: 1-line block ×7, first 2 shown]
	v_mad_u32_u24 v17, v17, 56, v18
	v_mad_u32_u24 v18, v19, 7, v19
	s_wait_loadcnt_dscnt 0x0
	s_barrier_signal -1
	s_barrier_wait -1
	global_inv scope:SCOPE_SE
	ds_store_b128 v17, v[13:16]
	ds_store_b128 v17, v[9:12] offset:16
	ds_store_b128 v17, v[5:8] offset:32
	;; [unrolled: 1-line block ×3, first 2 shown]
	; wave barrier
	ds_load_2addr_b64 v[29:32], v18 offset1:32
	ds_load_2addr_b64 v[25:28], v18 offset0:64 offset1:96
	ds_load_2addr_b64 v[21:24], v18 offset0:128 offset1:160
	;; [unrolled: 1-line block ×3, first 2 shown]
	s_wait_loadcnt_dscnt 0x0
	s_barrier_signal -1
	s_barrier_wait -1
	global_inv scope:SCOPE_SE
	s_load_b32 s11, s[18:19], 0xc
	s_wait_kmcnt 0x0
	s_min_u32 s1, s1, 8
	s_delay_alu instid0(SALU_CYCLE_1) | instskip(NEXT) | instid1(SALU_CYCLE_1)
	s_lshl_b32 s1, -1, s1
	s_not_b32 s9, s1
	s_wait_alu 0xfffe
	v_and_b32_e32 v33, s9, v0
	s_delay_alu instid0(VALU_DEP_1) | instskip(NEXT) | instid1(VALU_DEP_1)
	v_and_b32_e32 v39, 1, v33
	v_add_co_u32 v35, s13, v39, -1
	s_wait_alu 0xf1ff
	v_cndmask_b32_e64 v33, 0, 1, s13
	s_lshr_b32 s1, s11, 16
	s_delay_alu instid0(SALU_CYCLE_1) | instskip(SKIP_1) | instid1(VALU_DEP_2)
	v_mad_u32_u24 v34, v70, s1, v69
	s_and_b32 s1, s11, 0xffff
	v_cmp_ne_u32_e32 vcc_lo, 0, v33
	s_wait_alu 0xfffe
	s_delay_alu instid0(VALU_DEP_2) | instskip(SKIP_4) | instid1(VALU_DEP_3)
	v_mad_co_u64_u32 v[33:34], null, v34, s1, v[44:45]
	s_wait_alu 0xfffd
	v_xor_b32_e32 v34, vcc_lo, v35
	v_dual_mov_b32 v38, s23 :: v_dual_mov_b32 v35, s20
	v_dual_mov_b32 v37, s22 :: v_dual_mov_b32 v36, s21
	v_and_b32_e32 v34, exec_lo, v34
	v_lshrrev_b32_e32 v33, 3, v33
	ds_store_b128 v66, v[35:38] offset:32
	ds_store_b128 v66, v[35:38] offset:48
	v_mbcnt_lo_u32_b32 v78, v34, 0
	v_lshlrev_b32_e32 v35, 5, v39
	v_and_b32_e32 v33, 0x1ffffffc, v33
	v_cmp_ne_u32_e64 s1, 0, v34
	s_wait_loadcnt_dscnt 0x0
	v_cmp_eq_u32_e32 vcc_lo, 0, v78
	s_barrier_signal -1
	v_add_nc_u32_e32 v81, v33, v35
	s_barrier_wait -1
	global_inv scope:SCOPE_SE
	s_and_b32 s11, s1, vcc_lo
	; wave barrier
	s_wait_alu 0xfffe
	s_and_saveexec_b32 s1, s11
; %bb.34:
	v_bcnt_u32_b32 v34, v34, 0
	ds_store_b32 v81, v34 offset:32
; %bb.35:
	s_wait_alu 0xfffe
	s_or_b32 exec_lo, exec_lo, s1
	v_and_b32_e32 v34, s9, v71
	; wave barrier
	s_delay_alu instid0(VALU_DEP_1) | instskip(NEXT) | instid1(VALU_DEP_1)
	v_and_b32_e32 v34, 0xff, v34
	v_add_co_u32 v35, s1, v34, -1
	s_wait_alu 0xf1ff
	v_cndmask_b32_e64 v36, 0, 1, s1
	v_lshlrev_b32_e32 v34, 5, v34
	s_delay_alu instid0(VALU_DEP_2) | instskip(NEXT) | instid1(VALU_DEP_2)
	v_cmp_ne_u32_e32 vcc_lo, 0, v36
	v_add_nc_u32_e32 v84, v33, v34
	s_wait_alu 0xfffd
	v_xor_b32_e32 v34, vcc_lo, v35
	ds_load_b32 v79, v84 offset:32
	; wave barrier
	v_and_b32_e32 v34, exec_lo, v34
	s_delay_alu instid0(VALU_DEP_1) | instskip(SKIP_1) | instid1(VALU_DEP_2)
	v_mbcnt_lo_u32_b32 v80, v34, 0
	v_cmp_ne_u32_e64 s1, 0, v34
	v_cmp_eq_u32_e32 vcc_lo, 0, v80
	s_and_b32 s11, s1, vcc_lo
	s_wait_alu 0xfffe
	s_and_saveexec_b32 s1, s11
	s_cbranch_execz .LBB271_37
; %bb.36:
	s_wait_dscnt 0x0
	v_bcnt_u32_b32 v34, v34, v79
	ds_store_b32 v84, v34 offset:32
.LBB271_37:
	s_wait_alu 0xfffe
	s_or_b32 exec_lo, exec_lo, s1
	v_and_b32_e32 v34, s9, v72
	; wave barrier
	s_delay_alu instid0(VALU_DEP_1) | instskip(NEXT) | instid1(VALU_DEP_1)
	v_and_b32_e32 v34, 0xff, v34
	v_add_co_u32 v35, s1, v34, -1
	s_wait_alu 0xf1ff
	v_cndmask_b32_e64 v36, 0, 1, s1
	v_lshlrev_b32_e32 v34, 5, v34
	s_delay_alu instid0(VALU_DEP_2) | instskip(NEXT) | instid1(VALU_DEP_2)
	v_cmp_ne_u32_e32 vcc_lo, 0, v36
	v_add_nc_u32_e32 v87, v33, v34
	s_wait_alu 0xfffd
	v_xor_b32_e32 v34, vcc_lo, v35
	ds_load_b32 v82, v87 offset:32
	; wave barrier
	v_and_b32_e32 v34, exec_lo, v34
	s_delay_alu instid0(VALU_DEP_1) | instskip(SKIP_1) | instid1(VALU_DEP_2)
	v_mbcnt_lo_u32_b32 v83, v34, 0
	v_cmp_ne_u32_e64 s1, 0, v34
	v_cmp_eq_u32_e32 vcc_lo, 0, v83
	s_and_b32 s11, s1, vcc_lo
	s_wait_alu 0xfffe
	s_and_saveexec_b32 s1, s11
	s_cbranch_execz .LBB271_39
; %bb.38:
	s_wait_dscnt 0x0
	v_bcnt_u32_b32 v34, v34, v82
	ds_store_b32 v87, v34 offset:32
.LBB271_39:
	s_wait_alu 0xfffe
	s_or_b32 exec_lo, exec_lo, s1
	v_and_b32_e32 v34, s9, v73
	; wave barrier
	s_delay_alu instid0(VALU_DEP_1) | instskip(NEXT) | instid1(VALU_DEP_1)
	v_and_b32_e32 v34, 0xff, v34
	v_add_co_u32 v35, s1, v34, -1
	s_wait_alu 0xf1ff
	v_cndmask_b32_e64 v36, 0, 1, s1
	v_lshlrev_b32_e32 v34, 5, v34
	s_delay_alu instid0(VALU_DEP_2) | instskip(NEXT) | instid1(VALU_DEP_2)
	v_cmp_ne_u32_e32 vcc_lo, 0, v36
	v_add_nc_u32_e32 v90, v33, v34
	s_wait_alu 0xfffd
	v_xor_b32_e32 v34, vcc_lo, v35
	ds_load_b32 v85, v90 offset:32
	; wave barrier
	v_and_b32_e32 v34, exec_lo, v34
	s_delay_alu instid0(VALU_DEP_1) | instskip(SKIP_1) | instid1(VALU_DEP_2)
	v_mbcnt_lo_u32_b32 v86, v34, 0
	v_cmp_ne_u32_e64 s1, 0, v34
	v_cmp_eq_u32_e32 vcc_lo, 0, v86
	s_and_b32 s11, s1, vcc_lo
	s_wait_alu 0xfffe
	s_and_saveexec_b32 s1, s11
	s_cbranch_execz .LBB271_41
; %bb.40:
	s_wait_dscnt 0x0
	v_bcnt_u32_b32 v34, v34, v85
	ds_store_b32 v90, v34 offset:32
.LBB271_41:
	s_wait_alu 0xfffe
	s_or_b32 exec_lo, exec_lo, s1
	v_and_b32_e32 v34, s9, v74
	; wave barrier
	s_delay_alu instid0(VALU_DEP_1) | instskip(NEXT) | instid1(VALU_DEP_1)
	v_and_b32_e32 v34, 0xff, v34
	v_add_co_u32 v35, s1, v34, -1
	s_wait_alu 0xf1ff
	v_cndmask_b32_e64 v36, 0, 1, s1
	v_lshlrev_b32_e32 v34, 5, v34
	s_delay_alu instid0(VALU_DEP_2) | instskip(NEXT) | instid1(VALU_DEP_2)
	v_cmp_ne_u32_e32 vcc_lo, 0, v36
	v_add_nc_u32_e32 v93, v33, v34
	s_wait_alu 0xfffd
	v_xor_b32_e32 v34, vcc_lo, v35
	ds_load_b32 v88, v93 offset:32
	; wave barrier
	v_and_b32_e32 v34, exec_lo, v34
	s_delay_alu instid0(VALU_DEP_1) | instskip(SKIP_1) | instid1(VALU_DEP_2)
	v_mbcnt_lo_u32_b32 v89, v34, 0
	v_cmp_ne_u32_e64 s1, 0, v34
	v_cmp_eq_u32_e32 vcc_lo, 0, v89
	s_and_b32 s11, s1, vcc_lo
	s_wait_alu 0xfffe
	s_and_saveexec_b32 s1, s11
	s_cbranch_execz .LBB271_43
; %bb.42:
	s_wait_dscnt 0x0
	v_bcnt_u32_b32 v34, v34, v88
	ds_store_b32 v93, v34 offset:32
.LBB271_43:
	s_wait_alu 0xfffe
	s_or_b32 exec_lo, exec_lo, s1
	v_and_b32_e32 v34, s9, v75
	; wave barrier
	s_delay_alu instid0(VALU_DEP_1) | instskip(NEXT) | instid1(VALU_DEP_1)
	v_and_b32_e32 v34, 0xff, v34
	v_add_co_u32 v35, s1, v34, -1
	s_wait_alu 0xf1ff
	v_cndmask_b32_e64 v36, 0, 1, s1
	v_lshlrev_b32_e32 v34, 5, v34
	s_delay_alu instid0(VALU_DEP_2) | instskip(NEXT) | instid1(VALU_DEP_2)
	v_cmp_ne_u32_e32 vcc_lo, 0, v36
	v_add_nc_u32_e32 v96, v33, v34
	s_wait_alu 0xfffd
	v_xor_b32_e32 v34, vcc_lo, v35
	ds_load_b32 v91, v96 offset:32
	; wave barrier
	v_and_b32_e32 v34, exec_lo, v34
	s_delay_alu instid0(VALU_DEP_1) | instskip(SKIP_1) | instid1(VALU_DEP_2)
	v_mbcnt_lo_u32_b32 v92, v34, 0
	v_cmp_ne_u32_e64 s1, 0, v34
	v_cmp_eq_u32_e32 vcc_lo, 0, v92
	s_and_b32 s11, s1, vcc_lo
	s_wait_alu 0xfffe
	s_and_saveexec_b32 s1, s11
	s_cbranch_execz .LBB271_45
; %bb.44:
	s_wait_dscnt 0x0
	v_bcnt_u32_b32 v34, v34, v91
	ds_store_b32 v96, v34 offset:32
.LBB271_45:
	s_wait_alu 0xfffe
	s_or_b32 exec_lo, exec_lo, s1
	v_and_b32_e32 v34, s9, v76
	; wave barrier
	s_delay_alu instid0(VALU_DEP_1) | instskip(NEXT) | instid1(VALU_DEP_1)
	v_and_b32_e32 v34, 0xff, v34
	v_add_co_u32 v35, s1, v34, -1
	s_wait_alu 0xf1ff
	v_cndmask_b32_e64 v36, 0, 1, s1
	v_lshlrev_b32_e32 v34, 5, v34
	s_delay_alu instid0(VALU_DEP_2) | instskip(NEXT) | instid1(VALU_DEP_2)
	v_cmp_ne_u32_e32 vcc_lo, 0, v36
	v_add_nc_u32_e32 v99, v33, v34
	s_wait_alu 0xfffd
	v_xor_b32_e32 v34, vcc_lo, v35
	ds_load_b32 v94, v99 offset:32
	; wave barrier
	v_and_b32_e32 v34, exec_lo, v34
	s_delay_alu instid0(VALU_DEP_1) | instskip(SKIP_1) | instid1(VALU_DEP_2)
	v_mbcnt_lo_u32_b32 v95, v34, 0
	v_cmp_ne_u32_e64 s1, 0, v34
	v_cmp_eq_u32_e32 vcc_lo, 0, v95
	s_and_b32 s11, s1, vcc_lo
	s_wait_alu 0xfffe
	s_and_saveexec_b32 s1, s11
	s_cbranch_execz .LBB271_47
; %bb.46:
	s_wait_dscnt 0x0
	v_bcnt_u32_b32 v34, v34, v94
	ds_store_b32 v99, v34 offset:32
.LBB271_47:
	s_wait_alu 0xfffe
	s_or_b32 exec_lo, exec_lo, s1
	v_and_b32_e32 v34, s9, v77
	; wave barrier
	s_delay_alu instid0(VALU_DEP_1) | instskip(NEXT) | instid1(VALU_DEP_1)
	v_and_b32_e32 v34, 0xff, v34
	v_add_co_u32 v35, s1, v34, -1
	s_wait_alu 0xf1ff
	v_cndmask_b32_e64 v36, 0, 1, s1
	v_lshlrev_b32_e32 v34, 5, v34
	s_delay_alu instid0(VALU_DEP_2) | instskip(NEXT) | instid1(VALU_DEP_2)
	v_cmp_ne_u32_e32 vcc_lo, 0, v36
	v_add_nc_u32_e32 v100, v33, v34
	s_wait_alu 0xfffd
	v_xor_b32_e32 v33, vcc_lo, v35
	ds_load_b32 v97, v100 offset:32
	; wave barrier
	v_and_b32_e32 v33, exec_lo, v33
	s_delay_alu instid0(VALU_DEP_1) | instskip(SKIP_1) | instid1(VALU_DEP_2)
	v_mbcnt_lo_u32_b32 v98, v33, 0
	v_cmp_ne_u32_e64 s1, 0, v33
	v_cmp_eq_u32_e32 vcc_lo, 0, v98
	s_and_b32 s9, s1, vcc_lo
	s_wait_alu 0xfffe
	s_and_saveexec_b32 s1, s9
	s_cbranch_execz .LBB271_49
; %bb.48:
	s_wait_dscnt 0x0
	v_bcnt_u32_b32 v33, v33, v97
	ds_store_b32 v100, v33 offset:32
.LBB271_49:
	s_wait_alu 0xfffe
	s_or_b32 exec_lo, exec_lo, s1
	; wave barrier
	s_wait_loadcnt_dscnt 0x0
	s_barrier_signal -1
	s_barrier_wait -1
	global_inv scope:SCOPE_SE
	ds_load_b128 v[37:40], v66 offset:32
	ds_load_b128 v[33:36], v66 offset:48
	v_min_u32_e32 v103, 0xe0, v68
	s_mov_b32 s1, exec_lo
	s_wait_dscnt 0x1
	v_add_nc_u32_e32 v101, v38, v37
	s_delay_alu instid0(VALU_DEP_1) | instskip(SKIP_1) | instid1(VALU_DEP_1)
	v_add3_u32 v101, v101, v39, v40
	s_wait_dscnt 0x0
	v_add3_u32 v101, v101, v33, v34
	s_delay_alu instid0(VALU_DEP_1) | instskip(SKIP_1) | instid1(VALU_DEP_2)
	v_add3_u32 v36, v101, v35, v36
	v_and_b32_e32 v101, 15, v67
	v_mov_b32_dpp v102, v36 row_shr:1 row_mask:0xf bank_mask:0xf
	s_delay_alu instid0(VALU_DEP_2) | instskip(SKIP_1) | instid1(VALU_DEP_2)
	v_cmp_ne_u32_e32 vcc_lo, 0, v101
	s_wait_alu 0xfffd
	v_cndmask_b32_e32 v102, 0, v102, vcc_lo
	v_cmp_lt_u32_e32 vcc_lo, 1, v101
	s_delay_alu instid0(VALU_DEP_2) | instskip(NEXT) | instid1(VALU_DEP_1)
	v_add_nc_u32_e32 v36, v102, v36
	v_mov_b32_dpp v102, v36 row_shr:2 row_mask:0xf bank_mask:0xf
	s_wait_alu 0xfffd
	s_delay_alu instid0(VALU_DEP_1) | instskip(SKIP_1) | instid1(VALU_DEP_2)
	v_cndmask_b32_e32 v102, 0, v102, vcc_lo
	v_cmp_lt_u32_e32 vcc_lo, 3, v101
	v_add_nc_u32_e32 v36, v36, v102
	s_delay_alu instid0(VALU_DEP_1) | instskip(SKIP_1) | instid1(VALU_DEP_1)
	v_mov_b32_dpp v102, v36 row_shr:4 row_mask:0xf bank_mask:0xf
	s_wait_alu 0xfffd
	v_cndmask_b32_e32 v102, 0, v102, vcc_lo
	v_cmp_lt_u32_e32 vcc_lo, 7, v101
	s_delay_alu instid0(VALU_DEP_2) | instskip(NEXT) | instid1(VALU_DEP_1)
	v_add_nc_u32_e32 v36, v36, v102
	v_mov_b32_dpp v102, v36 row_shr:8 row_mask:0xf bank_mask:0xf
	s_wait_alu 0xfffd
	s_delay_alu instid0(VALU_DEP_1) | instskip(SKIP_1) | instid1(VALU_DEP_2)
	v_cndmask_b32_e32 v101, 0, v102, vcc_lo
	v_bfe_i32 v102, v67, 4, 1
	v_add_nc_u32_e32 v36, v36, v101
	ds_swizzle_b32 v101, v36 offset:swizzle(BROADCAST,32,15)
	s_wait_dscnt 0x0
	v_and_b32_e32 v101, v102, v101
	v_or_b32_e32 v102, 31, v103
	s_delay_alu instid0(VALU_DEP_2) | instskip(NEXT) | instid1(VALU_DEP_2)
	v_add_nc_u32_e32 v36, v36, v101
	v_cmpx_eq_u32_e64 v44, v102
; %bb.50:
	v_lshlrev_b32_e32 v101, 2, v65
	ds_store_b32 v101, v36
; %bb.51:
	s_wait_alu 0xfffe
	s_or_b32 exec_lo, exec_lo, s1
	s_delay_alu instid0(SALU_CYCLE_1)
	s_mov_b32 s1, exec_lo
	s_wait_loadcnt_dscnt 0x0
	s_barrier_signal -1
	s_barrier_wait -1
	global_inv scope:SCOPE_SE
	v_cmpx_gt_u32_e32 8, v44
	s_cbranch_execz .LBB271_53
; %bb.52:
	v_lshlrev_b32_e32 v101, 2, v44
	ds_load_b32 v102, v101
	s_wait_dscnt 0x0
	v_mov_b32_dpp v104, v102 row_shr:1 row_mask:0xf bank_mask:0xf
	v_and_b32_e32 v103, 7, v67
	s_delay_alu instid0(VALU_DEP_1) | instskip(SKIP_1) | instid1(VALU_DEP_3)
	v_cmp_ne_u32_e32 vcc_lo, 0, v103
	s_wait_alu 0xfffd
	v_cndmask_b32_e32 v104, 0, v104, vcc_lo
	v_cmp_lt_u32_e32 vcc_lo, 1, v103
	s_delay_alu instid0(VALU_DEP_2) | instskip(NEXT) | instid1(VALU_DEP_1)
	v_add_nc_u32_e32 v102, v104, v102
	v_mov_b32_dpp v104, v102 row_shr:2 row_mask:0xf bank_mask:0xf
	s_wait_alu 0xfffd
	s_delay_alu instid0(VALU_DEP_1) | instskip(SKIP_1) | instid1(VALU_DEP_2)
	v_cndmask_b32_e32 v104, 0, v104, vcc_lo
	v_cmp_lt_u32_e32 vcc_lo, 3, v103
	v_add_nc_u32_e32 v102, v102, v104
	s_delay_alu instid0(VALU_DEP_1) | instskip(SKIP_1) | instid1(VALU_DEP_1)
	v_mov_b32_dpp v104, v102 row_shr:4 row_mask:0xf bank_mask:0xf
	s_wait_alu 0xfffd
	v_cndmask_b32_e32 v103, 0, v104, vcc_lo
	s_delay_alu instid0(VALU_DEP_1)
	v_add_nc_u32_e32 v102, v102, v103
	ds_store_b32 v101, v102
.LBB271_53:
	s_wait_alu 0xfffe
	s_or_b32 exec_lo, exec_lo, s1
	v_mov_b32_e32 v101, 0
	s_mov_b32 s1, exec_lo
	s_wait_loadcnt_dscnt 0x0
	s_barrier_signal -1
	s_barrier_wait -1
	global_inv scope:SCOPE_SE
	v_cmpx_lt_u32_e32 31, v44
; %bb.54:
	v_lshl_add_u32 v101, v65, 2, -4
	ds_load_b32 v101, v101
; %bb.55:
	s_wait_alu 0xfffe
	s_or_b32 exec_lo, exec_lo, s1
	v_sub_co_u32 v102, vcc_lo, v67, 1
	s_wait_dscnt 0x0
	v_add_nc_u32_e32 v36, v101, v36
	s_delay_alu instid0(VALU_DEP_2) | instskip(SKIP_1) | instid1(VALU_DEP_1)
	v_cmp_gt_i32_e64 s1, 0, v102
	s_wait_alu 0xf1ff
	v_cndmask_b32_e64 v102, v102, v67, s1
	s_delay_alu instid0(VALU_DEP_1)
	v_lshlrev_b32_e32 v102, 2, v102
	ds_bpermute_b32 v36, v102, v36
	s_wait_dscnt 0x0
	s_wait_alu 0xfffd
	v_cndmask_b32_e32 v36, v36, v101, vcc_lo
	v_cmp_ne_u32_e32 vcc_lo, 0, v44
	s_wait_alu 0xfffd
	s_delay_alu instid0(VALU_DEP_2) | instskip(NEXT) | instid1(VALU_DEP_1)
	v_cndmask_b32_e32 v36, 0, v36, vcc_lo
	v_add_nc_u32_e32 v37, v36, v37
	s_delay_alu instid0(VALU_DEP_1) | instskip(NEXT) | instid1(VALU_DEP_1)
	v_add_nc_u32_e32 v38, v37, v38
	v_add_nc_u32_e32 v39, v38, v39
	s_delay_alu instid0(VALU_DEP_1) | instskip(NEXT) | instid1(VALU_DEP_1)
	v_add_nc_u32_e32 v101, v39, v40
	;; [unrolled: 3-line block ×3, first 2 shown]
	v_add_nc_u32_e32 v104, v103, v35
	ds_store_b128 v66, v[36:39] offset:32
	ds_store_b128 v66, v[101:104] offset:48
	s_wait_loadcnt_dscnt 0x0
	s_barrier_signal -1
	s_barrier_wait -1
	global_inv scope:SCOPE_SE
	ds_load_b32 v33, v81 offset:32
	ds_load_b32 v34, v84 offset:32
	;; [unrolled: 1-line block ×8, first 2 shown]
	v_mad_u32_u24 v81, v44, 56, v61
	s_wait_loadcnt_dscnt 0x0
	s_barrier_signal -1
	s_barrier_wait -1
	global_inv scope:SCOPE_SE
	v_add_nc_u32_e32 v78, v33, v78
	v_add3_u32 v79, v80, v79, v34
	v_add3_u32 v35, v83, v82, v35
	;; [unrolled: 1-line block ×7, first 2 shown]
	ds_store_b8 v78, v0
	ds_store_b8 v79, v71
	;; [unrolled: 1-line block ×8, first 2 shown]
	v_lshlrev_b32_e32 v0, 3, v78
	v_lshlrev_b32_e32 v71, 3, v79
	;; [unrolled: 1-line block ×5, first 2 shown]
	s_wait_loadcnt_dscnt 0x0
	s_barrier_signal -1
	s_barrier_wait -1
	global_inv scope:SCOPE_SE
	ds_load_b64 v[33:34], v61
	s_wait_loadcnt_dscnt 0x0
	s_barrier_signal -1
	s_barrier_wait -1
	global_inv scope:SCOPE_SE
	v_lshlrev_b32_e32 v38, 3, v38
	v_lshlrev_b32_e32 v39, 3, v39
	;; [unrolled: 1-line block ×3, first 2 shown]
	ds_store_b64 v0, v[29:30]
	ds_store_b64 v71, v[31:32]
	;; [unrolled: 1-line block ×8, first 2 shown]
	s_wait_loadcnt_dscnt 0x0
	s_barrier_signal -1
	s_barrier_wait -1
	global_inv scope:SCOPE_SE
	ds_load_b128 v[29:32], v81
	ds_load_b128 v[25:28], v81 offset:16
	ds_load_b128 v[21:24], v81 offset:32
	;; [unrolled: 1-line block ×3, first 2 shown]
	s_branch .LBB271_87
.LBB271_56:
	v_lshlrev_b64_e32 v[1:2], 3, v[41:42]
	v_dual_mov_b32 v43, v42 :: v_dual_mov_b32 v10, v42
	v_dual_mov_b32 v9, v42 :: v_dual_mov_b32 v12, v42
	v_mov_b32_e32 v11, v42
	s_delay_alu instid0(VALU_DEP_4) | instskip(NEXT) | instid1(VALU_DEP_1)
	v_add_co_u32 v1, vcc_lo, s16, v1
	v_add_co_ci_u32_e64 v2, null, s17, v2, vcc_lo
	v_dual_mov_b32 v3, v42 :: v_dual_mov_b32 v6, v42
	v_dual_mov_b32 v5, v42 :: v_dual_mov_b32 v8, v42
	global_load_b64 v[13:14], v[1:2], off
	v_dual_mov_b32 v1, v42 :: v_dual_mov_b32 v4, v42
	v_dual_mov_b32 v2, v42 :: v_dual_mov_b32 v7, v42
	s_or_b32 exec_lo, exec_lo, s1
	s_and_saveexec_b32 s1, s3
	s_cbranch_execz .LBB271_25
.LBB271_57:
	v_mul_lo_u32 v30, s12, v28
	v_mov_b32_e32 v31, 0
	s_delay_alu instid0(VALU_DEP_1) | instskip(NEXT) | instid1(VALU_DEP_1)
	v_lshlrev_b64_e32 v[30:31], 3, v[30:31]
	v_add_co_u32 v30, vcc_lo, s16, v30
	s_wait_alu 0xfffd
	s_delay_alu instid0(VALU_DEP_2)
	v_add_co_ci_u32_e64 v31, null, s17, v31, vcc_lo
	global_load_b64 v[42:43], v[30:31], off
	s_or_b32 exec_lo, exec_lo, s1
	s_and_saveexec_b32 s1, s4
	s_cbranch_execz .LBB271_26
.LBB271_58:
	v_mul_lo_u32 v9, s12, v24
	v_mov_b32_e32 v10, 0
	s_delay_alu instid0(VALU_DEP_1) | instskip(NEXT) | instid1(VALU_DEP_1)
	v_lshlrev_b64_e32 v[9:10], 3, v[9:10]
	v_add_co_u32 v9, vcc_lo, s16, v9
	s_wait_alu 0xfffd
	s_delay_alu instid0(VALU_DEP_2)
	v_add_co_ci_u32_e64 v10, null, s17, v10, vcc_lo
	global_load_b64 v[9:10], v[9:10], off
	s_or_b32 exec_lo, exec_lo, s1
	s_and_saveexec_b32 s1, s5
	s_cbranch_execz .LBB271_27
.LBB271_59:
	v_mul_lo_u32 v11, s12, v21
	v_mov_b32_e32 v12, 0
	s_delay_alu instid0(VALU_DEP_1) | instskip(NEXT) | instid1(VALU_DEP_1)
	v_lshlrev_b64_e32 v[11:12], 3, v[11:12]
	v_add_co_u32 v11, vcc_lo, s16, v11
	s_wait_alu 0xfffd
	s_delay_alu instid0(VALU_DEP_2)
	v_add_co_ci_u32_e64 v12, null, s17, v12, vcc_lo
	global_load_b64 v[11:12], v[11:12], off
	s_or_b32 exec_lo, exec_lo, s1
	s_and_saveexec_b32 s1, s6
	s_cbranch_execz .LBB271_28
.LBB271_60:
	v_mul_lo_u32 v1, s12, v19
	v_mov_b32_e32 v2, 0
	s_delay_alu instid0(VALU_DEP_1) | instskip(NEXT) | instid1(VALU_DEP_1)
	v_lshlrev_b64_e32 v[1:2], 3, v[1:2]
	v_add_co_u32 v1, vcc_lo, s16, v1
	s_wait_alu 0xfffd
	s_delay_alu instid0(VALU_DEP_2)
	v_add_co_ci_u32_e64 v2, null, s17, v2, vcc_lo
	global_load_b64 v[1:2], v[1:2], off
	s_or_b32 exec_lo, exec_lo, s1
	s_and_saveexec_b32 s1, s7
	s_cbranch_execz .LBB271_29
.LBB271_61:
	v_mul_lo_u32 v3, s12, v17
	v_mov_b32_e32 v4, 0
	s_delay_alu instid0(VALU_DEP_1) | instskip(NEXT) | instid1(VALU_DEP_1)
	v_lshlrev_b64_e32 v[3:4], 3, v[3:4]
	v_add_co_u32 v3, vcc_lo, s16, v3
	s_wait_alu 0xfffd
	s_delay_alu instid0(VALU_DEP_2)
	v_add_co_ci_u32_e64 v4, null, s17, v4, vcc_lo
	global_load_b64 v[3:4], v[3:4], off
	s_or_b32 exec_lo, exec_lo, s1
	s_and_saveexec_b32 s1, s8
	s_cbranch_execz .LBB271_30
.LBB271_62:
	v_mul_lo_u32 v5, s12, v16
	v_mov_b32_e32 v6, 0
	s_delay_alu instid0(VALU_DEP_1) | instskip(NEXT) | instid1(VALU_DEP_1)
	v_lshlrev_b64_e32 v[5:6], 3, v[5:6]
	v_add_co_u32 v5, vcc_lo, s16, v5
	s_wait_alu 0xfffd
	s_delay_alu instid0(VALU_DEP_2)
	v_add_co_ci_u32_e64 v6, null, s17, v6, vcc_lo
	global_load_b64 v[5:6], v[5:6], off
	s_or_b32 exec_lo, exec_lo, s1
	s_and_saveexec_b32 s1, s0
	s_cbranch_execnz .LBB271_31
	s_branch .LBB271_32
.LBB271_63:
                                        ; implicit-def: $vgpr19_vgpr20
                                        ; implicit-def: $vgpr23_vgpr24
                                        ; implicit-def: $vgpr27_vgpr28
                                        ; implicit-def: $vgpr31_vgpr32
                                        ; implicit-def: $vgpr34
	s_cbranch_execz .LBB271_87
; %bb.64:
	v_lshrrev_b16 v0, 8, v45
	s_wait_dscnt 0x0
	v_lshrrev_b32_e32 v17, 24, v45
	v_lshrrev_b32_e32 v18, 16, v45
	;; [unrolled: 1-line block ×3, first 2 shown]
	v_lshrrev_b16 v21, 8, v46
	v_and_b32_e32 v0, 1, v0
	v_and_b32_e32 v17, 1, v17
	;; [unrolled: 1-line block ×3, first 2 shown]
	v_lshrrev_b32_e32 v20, 16, v46
	v_and_b32_e32 v19, 1, v19
	v_cmp_eq_u32_e32 vcc_lo, 1, v0
	v_cmp_ne_u32_e64 s1, 1, v17
	v_and_b32_e32 v0, 1, v18
	v_and_b32_e32 v18, 1, v21
	;; [unrolled: 1-line block ×4, first 2 shown]
	v_cndmask_b32_e64 v17, 0, 1, s1
	s_xor_b32 s1, vcc_lo, -1
	v_cmp_ne_u32_e32 vcc_lo, 1, v0
	s_wait_alu 0xfffe
	v_cndmask_b32_e64 v21, 0, 1, s1
	v_cmp_ne_u32_e64 s1, 1, v22
	v_lshlrev_b16 v17, 8, v17
	s_wait_alu 0xfffd
	v_cndmask_b32_e64 v0, 0, 1, vcc_lo
	v_cmp_eq_u32_e32 vcc_lo, 1, v18
	s_wait_alu 0xf1ff
	v_cndmask_b32_e64 v18, 0, 1, s1
	v_cmp_ne_u32_e64 s1, 1, v19
	v_lshlrev_b16 v21, 8, v21
	v_or_b32_e32 v0, v0, v17
	s_wait_alu 0xf1ff
	s_delay_alu instid0(VALU_DEP_3)
	v_cndmask_b32_e64 v19, 0, 1, s1
	s_xor_b32 s1, vcc_lo, -1
	v_cmp_ne_u32_e32 vcc_lo, 1, v20
	s_wait_alu 0xfffe
	v_cndmask_b32_e64 v22, 0, 1, s1
	v_or_b32_e32 v17, v18, v21
	v_lshlrev_b16 v19, 8, v19
	s_getpc_b64 s[20:21]
	s_sext_i32_i16 s21, s21
	s_add_co_u32 s20, s20, _ZN7rocprim17ROCPRIM_400000_NS16block_radix_sortIbLj256ELj8ElLj1ELj1ELj0ELNS0_26block_radix_rank_algorithmE1ELNS0_18block_padding_hintE2ELNS0_4arch9wavefront6targetE0EE19radix_bits_per_passE@rel32@lo+8
	s_add_co_ci_u32 s21, s21, _ZN7rocprim17ROCPRIM_400000_NS16block_radix_sortIbLj256ELj8ElLj1ELj1ELj0ELNS0_26block_radix_rank_algorithmE1ELNS0_18block_padding_hintE2ELNS0_4arch9wavefront6targetE0EE19radix_bits_per_passE@rel32@hi+16
	s_wait_alu 0xfffd
	v_cndmask_b32_e64 v20, 0, 1, vcc_lo
	v_cmp_ne_u32_e32 vcc_lo, 1, v23
	v_lshlrev_b16 v22, 8, v22
	s_load_b32 s1, s[20:21], 0x0
	v_lshlrev_b32_e32 v0, 16, v0
	v_or_b32_e32 v18, v20, v19
	v_cndmask_b32_e64 v23, 0, 1, vcc_lo
	v_or_b32_e32 v20, v67, v68
	v_and_b32_e32 v17, 0xffff, v17
	s_mov_b32 s20, 0
	v_lshlrev_b32_e32 v18, 16, v18
	v_or_b32_e32 v19, v23, v22
	v_lshlrev_b32_e32 v21, 3, v20
	v_or_b32_e32 v17, v17, v0
	v_and_or_b32 v0, 0x1f00, v61, v67
	s_mov_b32 s21, s20
	v_and_b32_e32 v19, 0xffff, v19
	s_mov_b32 s22, s20
	s_mov_b32 s23, s20
	s_delay_alu instid0(VALU_DEP_1)
	v_or_b32_e32 v18, v19, v18
	s_wait_kmcnt 0x0
	s_min_u32 s1, s1, 8
	s_wait_alu 0xfffe
	s_lshl_b32 s1, -1, s1
	ds_store_b64 v21, v[17:18]
	; wave barrier
	ds_load_u8 v24, v0
	ds_load_u8 v25, v0 offset:32
	ds_load_u8 v26, v0 offset:64
	ds_load_u8 v27, v0 offset:96
	ds_load_u8 v28, v0 offset:128
	ds_load_u8 v29, v0 offset:160
	ds_load_u8 v30, v0 offset:192
	ds_load_u8 v31, v0 offset:224
	v_mad_u32_u24 v17, v20, 56, v21
	v_mad_u32_u24 v0, v0, 7, v0
	s_wait_loadcnt_dscnt 0x0
	s_barrier_signal -1
	s_barrier_wait -1
	global_inv scope:SCOPE_SE
	ds_store_b128 v17, v[13:16]
	ds_store_b128 v17, v[9:12] offset:16
	ds_store_b128 v17, v[5:8] offset:32
	;; [unrolled: 1-line block ×3, first 2 shown]
	; wave barrier
	ds_load_2addr_b64 v[12:15], v0 offset1:32
	ds_load_2addr_b64 v[8:11], v0 offset0:64 offset1:96
	ds_load_2addr_b64 v[4:7], v0 offset0:128 offset1:160
	;; [unrolled: 1-line block ×3, first 2 shown]
	s_wait_loadcnt_dscnt 0x0
	s_barrier_signal -1
	s_barrier_wait -1
	global_inv scope:SCOPE_SE
	s_load_b32 s11, s[18:19], 0xc
	s_not_b32 s9, s1
	s_wait_alu 0xfffe
	v_and_b32_e32 v16, s9, v24
	s_delay_alu instid0(VALU_DEP_1) | instskip(NEXT) | instid1(VALU_DEP_1)
	v_and_b32_e32 v22, 1, v16
	v_add_co_u32 v18, s13, v22, -1
	s_wait_alu 0xf1ff
	v_cndmask_b32_e64 v16, 0, 1, s13
	s_wait_kmcnt 0x0
	s_lshr_b32 s1, s11, 16
	s_delay_alu instid0(VALU_DEP_1) | instskip(SKIP_4) | instid1(VALU_DEP_1)
	v_cmp_ne_u32_e32 vcc_lo, 0, v16
	s_wait_alu 0xfffe
	v_mad_u32_u24 v17, v70, s1, v69
	s_and_b32 s1, s11, 0xffff
	s_wait_alu 0xfffe
	v_mad_co_u64_u32 v[16:17], null, v17, s1, v[44:45]
	s_wait_alu 0xfffd
	v_xor_b32_e32 v17, vcc_lo, v18
	v_dual_mov_b32 v18, s20 :: v_dual_mov_b32 v19, s21
	v_dual_mov_b32 v20, s22 :: v_dual_mov_b32 v21, s23
	s_delay_alu instid0(VALU_DEP_3)
	v_and_b32_e32 v17, exec_lo, v17
	v_lshrrev_b32_e32 v16, 3, v16
	ds_store_b128 v66, v[18:21] offset:32
	ds_store_b128 v66, v[18:21] offset:48
	v_mbcnt_lo_u32_b32 v32, v17, 0
	v_and_b32_e32 v16, 0x1ffffffc, v16
	v_lshlrev_b32_e32 v18, 5, v22
	v_cmp_ne_u32_e64 s1, 0, v17
	s_wait_loadcnt_dscnt 0x0
	v_cmp_eq_u32_e32 vcc_lo, 0, v32
	s_barrier_signal -1
	v_add_nc_u32_e32 v35, v16, v18
	s_barrier_wait -1
	global_inv scope:SCOPE_SE
	s_and_b32 s11, s1, vcc_lo
	; wave barrier
	s_wait_alu 0xfffe
	s_and_saveexec_b32 s1, s11
; %bb.65:
	v_bcnt_u32_b32 v17, v17, 0
	ds_store_b32 v35, v17 offset:32
; %bb.66:
	s_wait_alu 0xfffe
	s_or_b32 exec_lo, exec_lo, s1
	v_and_b32_e32 v17, s9, v25
	; wave barrier
	s_delay_alu instid0(VALU_DEP_1) | instskip(NEXT) | instid1(VALU_DEP_1)
	v_and_b32_e32 v17, 0xff, v17
	v_add_co_u32 v18, s1, v17, -1
	s_wait_alu 0xf1ff
	v_cndmask_b32_e64 v19, 0, 1, s1
	v_lshlrev_b32_e32 v17, 5, v17
	s_delay_alu instid0(VALU_DEP_2) | instskip(NEXT) | instid1(VALU_DEP_2)
	v_cmp_ne_u32_e32 vcc_lo, 0, v19
	v_add_nc_u32_e32 v37, v16, v17
	s_wait_alu 0xfffd
	v_xor_b32_e32 v17, vcc_lo, v18
	ds_load_b32 v33, v37 offset:32
	; wave barrier
	v_and_b32_e32 v17, exec_lo, v17
	s_delay_alu instid0(VALU_DEP_1) | instskip(SKIP_1) | instid1(VALU_DEP_2)
	v_mbcnt_lo_u32_b32 v34, v17, 0
	v_cmp_ne_u32_e64 s1, 0, v17
	v_cmp_eq_u32_e32 vcc_lo, 0, v34
	s_and_b32 s11, s1, vcc_lo
	s_wait_alu 0xfffe
	s_and_saveexec_b32 s1, s11
	s_cbranch_execz .LBB271_68
; %bb.67:
	s_wait_dscnt 0x0
	v_bcnt_u32_b32 v17, v17, v33
	ds_store_b32 v37, v17 offset:32
.LBB271_68:
	s_wait_alu 0xfffe
	s_or_b32 exec_lo, exec_lo, s1
	v_and_b32_e32 v17, s9, v26
	; wave barrier
	s_delay_alu instid0(VALU_DEP_1) | instskip(NEXT) | instid1(VALU_DEP_1)
	v_and_b32_e32 v17, 0xff, v17
	v_add_co_u32 v18, s1, v17, -1
	s_wait_alu 0xf1ff
	v_cndmask_b32_e64 v19, 0, 1, s1
	v_lshlrev_b32_e32 v17, 5, v17
	s_delay_alu instid0(VALU_DEP_2) | instskip(NEXT) | instid1(VALU_DEP_2)
	v_cmp_ne_u32_e32 vcc_lo, 0, v19
	v_add_nc_u32_e32 v39, v16, v17
	s_wait_alu 0xfffd
	v_xor_b32_e32 v17, vcc_lo, v18
	ds_load_b32 v36, v39 offset:32
	; wave barrier
	v_and_b32_e32 v17, exec_lo, v17
	s_delay_alu instid0(VALU_DEP_1) | instskip(SKIP_1) | instid1(VALU_DEP_2)
	v_mbcnt_lo_u32_b32 v38, v17, 0
	v_cmp_ne_u32_e64 s1, 0, v17
	v_cmp_eq_u32_e32 vcc_lo, 0, v38
	s_and_b32 s11, s1, vcc_lo
	s_wait_alu 0xfffe
	s_and_saveexec_b32 s1, s11
	s_cbranch_execz .LBB271_70
; %bb.69:
	s_wait_dscnt 0x0
	v_bcnt_u32_b32 v17, v17, v36
	ds_store_b32 v39, v17 offset:32
.LBB271_70:
	;; [unrolled: 31-line block ×7, first 2 shown]
	s_wait_alu 0xfffe
	s_or_b32 exec_lo, exec_lo, s1
	; wave barrier
	s_wait_loadcnt_dscnt 0x0
	s_barrier_signal -1
	s_barrier_wait -1
	global_inv scope:SCOPE_SE
	ds_load_b128 v[20:23], v66 offset:32
	ds_load_b128 v[16:19], v66 offset:48
	v_min_u32_e32 v68, 0xe0, v68
	s_mov_b32 s1, exec_lo
	s_delay_alu instid0(VALU_DEP_1) | instskip(SKIP_2) | instid1(VALU_DEP_1)
	v_or_b32_e32 v68, 31, v68
	s_wait_dscnt 0x1
	v_add_nc_u32_e32 v81, v21, v20
	v_add3_u32 v81, v81, v22, v23
	s_wait_dscnt 0x0
	s_delay_alu instid0(VALU_DEP_1) | instskip(NEXT) | instid1(VALU_DEP_1)
	v_add3_u32 v81, v81, v16, v17
	v_add3_u32 v19, v81, v18, v19
	v_and_b32_e32 v81, 15, v67
	s_delay_alu instid0(VALU_DEP_2) | instskip(NEXT) | instid1(VALU_DEP_2)
	v_mov_b32_dpp v82, v19 row_shr:1 row_mask:0xf bank_mask:0xf
	v_cmp_ne_u32_e32 vcc_lo, 0, v81
	s_wait_alu 0xfffd
	s_delay_alu instid0(VALU_DEP_2) | instskip(SKIP_1) | instid1(VALU_DEP_2)
	v_cndmask_b32_e32 v82, 0, v82, vcc_lo
	v_cmp_lt_u32_e32 vcc_lo, 1, v81
	v_add_nc_u32_e32 v19, v82, v19
	s_delay_alu instid0(VALU_DEP_1) | instskip(SKIP_1) | instid1(VALU_DEP_1)
	v_mov_b32_dpp v82, v19 row_shr:2 row_mask:0xf bank_mask:0xf
	s_wait_alu 0xfffd
	v_cndmask_b32_e32 v82, 0, v82, vcc_lo
	v_cmp_lt_u32_e32 vcc_lo, 3, v81
	s_delay_alu instid0(VALU_DEP_2) | instskip(NEXT) | instid1(VALU_DEP_1)
	v_add_nc_u32_e32 v19, v19, v82
	v_mov_b32_dpp v82, v19 row_shr:4 row_mask:0xf bank_mask:0xf
	s_wait_alu 0xfffd
	s_delay_alu instid0(VALU_DEP_1) | instskip(SKIP_1) | instid1(VALU_DEP_2)
	v_cndmask_b32_e32 v82, 0, v82, vcc_lo
	v_cmp_lt_u32_e32 vcc_lo, 7, v81
	v_add_nc_u32_e32 v19, v19, v82
	s_delay_alu instid0(VALU_DEP_1) | instskip(SKIP_1) | instid1(VALU_DEP_1)
	v_mov_b32_dpp v82, v19 row_shr:8 row_mask:0xf bank_mask:0xf
	s_wait_alu 0xfffd
	v_cndmask_b32_e32 v81, 0, v82, vcc_lo
	v_bfe_i32 v82, v67, 4, 1
	s_delay_alu instid0(VALU_DEP_2) | instskip(SKIP_3) | instid1(VALU_DEP_1)
	v_add_nc_u32_e32 v19, v19, v81
	ds_swizzle_b32 v81, v19 offset:swizzle(BROADCAST,32,15)
	s_wait_dscnt 0x0
	v_and_b32_e32 v81, v82, v81
	v_add_nc_u32_e32 v19, v19, v81
	v_cmpx_eq_u32_e64 v44, v68
; %bb.81:
	v_lshlrev_b32_e32 v68, 2, v65
	ds_store_b32 v68, v19
; %bb.82:
	s_wait_alu 0xfffe
	s_or_b32 exec_lo, exec_lo, s1
	s_delay_alu instid0(SALU_CYCLE_1)
	s_mov_b32 s1, exec_lo
	s_wait_loadcnt_dscnt 0x0
	s_barrier_signal -1
	s_barrier_wait -1
	global_inv scope:SCOPE_SE
	v_cmpx_gt_u32_e32 8, v44
	s_cbranch_execz .LBB271_84
; %bb.83:
	v_and_b32_e32 v82, 7, v67
	s_delay_alu instid0(VALU_DEP_1)
	v_cmp_ne_u32_e32 vcc_lo, 0, v82
	v_lshlrev_b32_e32 v68, 2, v44
	ds_load_b32 v81, v68
	s_wait_dscnt 0x0
	v_mov_b32_dpp v83, v81 row_shr:1 row_mask:0xf bank_mask:0xf
	s_wait_alu 0xfffd
	s_delay_alu instid0(VALU_DEP_1) | instskip(SKIP_1) | instid1(VALU_DEP_2)
	v_cndmask_b32_e32 v83, 0, v83, vcc_lo
	v_cmp_lt_u32_e32 vcc_lo, 1, v82
	v_add_nc_u32_e32 v81, v83, v81
	s_delay_alu instid0(VALU_DEP_1) | instskip(SKIP_1) | instid1(VALU_DEP_1)
	v_mov_b32_dpp v83, v81 row_shr:2 row_mask:0xf bank_mask:0xf
	s_wait_alu 0xfffd
	v_cndmask_b32_e32 v83, 0, v83, vcc_lo
	v_cmp_lt_u32_e32 vcc_lo, 3, v82
	s_delay_alu instid0(VALU_DEP_2) | instskip(NEXT) | instid1(VALU_DEP_1)
	v_add_nc_u32_e32 v81, v81, v83
	v_mov_b32_dpp v83, v81 row_shr:4 row_mask:0xf bank_mask:0xf
	s_wait_alu 0xfffd
	s_delay_alu instid0(VALU_DEP_1) | instskip(NEXT) | instid1(VALU_DEP_1)
	v_cndmask_b32_e32 v82, 0, v83, vcc_lo
	v_add_nc_u32_e32 v81, v81, v82
	ds_store_b32 v68, v81
.LBB271_84:
	s_wait_alu 0xfffe
	s_or_b32 exec_lo, exec_lo, s1
	v_mov_b32_e32 v68, 0
	s_mov_b32 s1, exec_lo
	s_wait_loadcnt_dscnt 0x0
	s_barrier_signal -1
	s_barrier_wait -1
	global_inv scope:SCOPE_SE
	v_cmpx_lt_u32_e32 31, v44
; %bb.85:
	v_lshl_add_u32 v65, v65, 2, -4
	ds_load_b32 v68, v65
; %bb.86:
	s_wait_alu 0xfffe
	s_or_b32 exec_lo, exec_lo, s1
	v_sub_co_u32 v65, vcc_lo, v67, 1
	s_wait_dscnt 0x0
	v_add_nc_u32_e32 v19, v68, v19
	s_delay_alu instid0(VALU_DEP_2) | instskip(SKIP_1) | instid1(VALU_DEP_1)
	v_cmp_gt_i32_e64 s1, 0, v65
	s_wait_alu 0xf1ff
	v_cndmask_b32_e64 v65, v65, v67, s1
	s_delay_alu instid0(VALU_DEP_1)
	v_lshlrev_b32_e32 v65, 2, v65
	ds_bpermute_b32 v19, v65, v19
	s_wait_dscnt 0x0
	s_wait_alu 0xfffd
	v_cndmask_b32_e32 v19, v19, v68, vcc_lo
	v_cmp_ne_u32_e32 vcc_lo, 0, v44
	s_wait_alu 0xfffd
	s_delay_alu instid0(VALU_DEP_2) | instskip(NEXT) | instid1(VALU_DEP_1)
	v_cndmask_b32_e32 v19, 0, v19, vcc_lo
	v_add_nc_u32_e32 v20, v19, v20
	s_delay_alu instid0(VALU_DEP_1) | instskip(NEXT) | instid1(VALU_DEP_1)
	v_add_nc_u32_e32 v21, v20, v21
	v_add_nc_u32_e32 v22, v21, v22
	s_delay_alu instid0(VALU_DEP_1) | instskip(NEXT) | instid1(VALU_DEP_1)
	v_add_nc_u32_e32 v81, v22, v23
	;; [unrolled: 3-line block ×3, first 2 shown]
	v_add_nc_u32_e32 v84, v83, v18
	ds_store_b128 v66, v[19:22] offset:32
	ds_store_b128 v66, v[81:84] offset:48
	s_wait_loadcnt_dscnt 0x0
	s_barrier_signal -1
	s_barrier_wait -1
	global_inv scope:SCOPE_SE
	ds_load_b32 v16, v35 offset:32
	ds_load_b32 v17, v37 offset:32
	;; [unrolled: 1-line block ×8, first 2 shown]
	s_wait_loadcnt_dscnt 0x0
	s_barrier_signal -1
	s_barrier_wait -1
	global_inv scope:SCOPE_SE
	v_mad_u32_u24 v35, v44, 56, v61
	v_add_nc_u32_e32 v16, v16, v32
	v_add3_u32 v17, v34, v33, v17
	v_add3_u32 v18, v38, v36, v18
	;; [unrolled: 1-line block ×7, first 2 shown]
	ds_store_b8 v16, v24
	ds_store_b8 v17, v25
	;; [unrolled: 1-line block ×8, first 2 shown]
	s_wait_loadcnt_dscnt 0x0
	s_barrier_signal -1
	s_barrier_wait -1
	global_inv scope:SCOPE_SE
	ds_load_b64 v[33:34], v61
	v_lshlrev_b32_e32 v16, 3, v16
	v_lshlrev_b32_e32 v17, 3, v17
	;; [unrolled: 1-line block ×8, first 2 shown]
	s_wait_loadcnt_dscnt 0x0
	s_barrier_signal -1
	s_barrier_wait -1
	global_inv scope:SCOPE_SE
	ds_store_b64 v16, v[12:13]
	ds_store_b64 v17, v[14:15]
	;; [unrolled: 1-line block ×8, first 2 shown]
	s_wait_loadcnt_dscnt 0x0
	s_barrier_signal -1
	s_barrier_wait -1
	global_inv scope:SCOPE_SE
	ds_load_b128 v[29:32], v35
	ds_load_b128 v[25:28], v35 offset:16
	ds_load_b128 v[21:24], v35 offset:32
	;; [unrolled: 1-line block ×3, first 2 shown]
	v_lshrrev_b32_e32 v0, 16, v33
	v_lshrrev_b32_e32 v3, 16, v34
	v_and_b32_e32 v1, 0xffffff00, v33
	v_xor_b32_e32 v2, 1, v33
	v_and_b32_e32 v4, 0xffffff00, v34
	v_xor_b32_e32 v5, 1, v34
	;; [unrolled: 2-line block ×4, first 2 shown]
	v_xor_b32_e32 v1, 0x100, v1
	v_and_b32_e32 v2, 0xff, v2
	v_xor_b32_e32 v4, 0x100, v4
	v_and_b32_e32 v5, 0xff, v5
	;; [unrolled: 2-line block ×4, first 2 shown]
	v_or_b32_e32 v1, v2, v1
	v_or_b32_e32 v2, v5, v4
	;; [unrolled: 1-line block ×3, first 2 shown]
	s_delay_alu instid0(VALU_DEP_4) | instskip(NEXT) | instid1(VALU_DEP_4)
	v_or_b32_e32 v3, v3, v7
	v_and_b32_e32 v1, 0xffff, v1
	s_delay_alu instid0(VALU_DEP_4) | instskip(NEXT) | instid1(VALU_DEP_4)
	v_and_b32_e32 v2, 0xffff, v2
	v_lshlrev_b32_e32 v0, 16, v0
	s_delay_alu instid0(VALU_DEP_4) | instskip(NEXT) | instid1(VALU_DEP_2)
	v_lshlrev_b32_e32 v3, 16, v3
	v_or_b32_e32 v33, v1, v0
	s_delay_alu instid0(VALU_DEP_2)
	v_or_b32_e32 v34, v2, v3
.LBB271_87:
	s_wait_loadcnt_dscnt 0x0
	s_barrier_signal -1
	s_barrier_wait -1
	global_inv scope:SCOPE_SE
	ds_store_2addr_b32 v56, v33, v34 offset1:1
	s_wait_loadcnt_dscnt 0x0
	s_barrier_signal -1
	s_barrier_wait -1
	global_inv scope:SCOPE_SE
	ds_load_u8 v8, v49 offset:256
	ds_load_u8 v7, v50 offset:512
	;; [unrolled: 1-line block ×7, first 2 shown]
	v_add_co_u32 v0, s1, s14, v47
	s_wait_alu 0xf1ff
	v_add_co_ci_u32_e64 v1, null, s15, 0, s1
	s_and_saveexec_b32 s1, s2
	s_cbranch_execnz .LBB271_106
; %bb.88:
	s_wait_alu 0xfffe
	s_or_b32 exec_lo, exec_lo, s1
	s_and_saveexec_b32 s1, s3
	s_cbranch_execnz .LBB271_107
.LBB271_89:
	s_wait_alu 0xfffe
	s_or_b32 exec_lo, exec_lo, s1
	s_and_saveexec_b32 s1, s4
	s_cbranch_execnz .LBB271_108
.LBB271_90:
	s_wait_alu 0xfffe
	s_or_b32 exec_lo, exec_lo, s1
	s_and_saveexec_b32 s1, s5
	s_cbranch_execnz .LBB271_109
.LBB271_91:
	s_wait_alu 0xfffe
	s_or_b32 exec_lo, exec_lo, s1
	s_and_saveexec_b32 s1, s6
	s_cbranch_execnz .LBB271_110
.LBB271_92:
	s_wait_alu 0xfffe
	s_or_b32 exec_lo, exec_lo, s1
	s_and_saveexec_b32 s1, s7
	s_cbranch_execnz .LBB271_111
.LBB271_93:
	s_wait_alu 0xfffe
	s_or_b32 exec_lo, exec_lo, s1
	s_and_saveexec_b32 s1, s8
	s_cbranch_execnz .LBB271_112
.LBB271_94:
	s_wait_alu 0xfffe
	s_or_b32 exec_lo, exec_lo, s1
	s_and_saveexec_b32 s1, s0
	s_cbranch_execz .LBB271_96
.LBB271_95:
	s_mul_i32 s9, s10, 0x700
	s_wait_alu 0xfffe
	v_add_co_u32 v0, vcc_lo, v0, s9
	s_wait_alu 0xfffd
	v_add_co_ci_u32_e64 v1, null, 0, v1, vcc_lo
	s_wait_dscnt 0x0
	global_store_b8 v[0:1], v2, off
.LBB271_96:
	s_wait_alu 0xfffe
	s_or_b32 exec_lo, exec_lo, s1
	s_wait_storecnt 0x0
	s_wait_loadcnt_dscnt 0x0
	s_barrier_signal -1
	s_barrier_wait -1
	global_inv scope:SCOPE_SE
	ds_store_2addr_b64 v64, v[29:30], v[31:32] offset1:1
	ds_store_2addr_b64 v64, v[25:26], v[27:28] offset0:2 offset1:3
	ds_store_2addr_b64 v64, v[21:22], v[23:24] offset0:4 offset1:5
	;; [unrolled: 1-line block ×3, first 2 shown]
	s_wait_loadcnt_dscnt 0x0
	s_barrier_signal -1
	s_barrier_wait -1
	global_inv scope:SCOPE_SE
	ds_load_b64 v[14:15], v58 offset:2048
	ds_load_b64 v[12:13], v59 offset:4096
	;; [unrolled: 1-line block ×7, first 2 shown]
	v_mov_b32_e32 v42, 0
	s_delay_alu instid0(VALU_DEP_1) | instskip(NEXT) | instid1(VALU_DEP_1)
	v_lshlrev_b64_e32 v[2:3], 3, v[41:42]
	v_add_co_u32 v2, vcc_lo, s16, v2
	s_wait_alu 0xfffd
	s_delay_alu instid0(VALU_DEP_2)
	v_add_co_ci_u32_e64 v3, null, s17, v3, vcc_lo
	s_and_saveexec_b32 s1, s2
	s_cbranch_execnz .LBB271_113
; %bb.97:
	s_wait_alu 0xfffe
	s_or_b32 exec_lo, exec_lo, s1
	s_and_saveexec_b32 s1, s3
	s_cbranch_execnz .LBB271_114
.LBB271_98:
	s_wait_alu 0xfffe
	s_or_b32 exec_lo, exec_lo, s1
	s_and_saveexec_b32 s1, s4
	s_cbranch_execnz .LBB271_115
.LBB271_99:
	s_wait_alu 0xfffe
	s_or_b32 exec_lo, exec_lo, s1
	s_and_saveexec_b32 s1, s5
	s_cbranch_execnz .LBB271_116
.LBB271_100:
	s_wait_alu 0xfffe
	s_or_b32 exec_lo, exec_lo, s1
	s_and_saveexec_b32 s1, s6
	s_cbranch_execnz .LBB271_117
.LBB271_101:
	s_wait_alu 0xfffe
	s_or_b32 exec_lo, exec_lo, s1
	s_and_saveexec_b32 s1, s7
	s_cbranch_execnz .LBB271_118
.LBB271_102:
	s_wait_alu 0xfffe
	s_or_b32 exec_lo, exec_lo, s1
	s_and_saveexec_b32 s1, s8
	s_cbranch_execnz .LBB271_119
.LBB271_103:
	s_wait_alu 0xfffe
	s_or_b32 exec_lo, exec_lo, s1
	s_and_saveexec_b32 s1, s0
	s_cbranch_execz .LBB271_105
.LBB271_104:
	s_mul_i32 s0, s12, 0x700
	s_mov_b32 s1, 0
	s_wait_alu 0xfffe
	s_lshl_b64 s[0:1], s[0:1], 3
	s_wait_alu 0xfffe
	v_add_co_u32 v2, vcc_lo, v2, s0
	s_wait_alu 0xfffd
	v_add_co_ci_u32_e64 v3, null, s1, v3, vcc_lo
	s_wait_dscnt 0x0
	global_store_b64 v[2:3], v[0:1], off
.LBB271_105:
	s_nop 0
	s_sendmsg sendmsg(MSG_DEALLOC_VGPRS)
	s_endpgm
.LBB271_106:
	ds_load_u8 v9, v48
	s_wait_dscnt 0x0
	global_store_b8 v[0:1], v9, off
	s_wait_alu 0xfffe
	s_or_b32 exec_lo, exec_lo, s1
	s_and_saveexec_b32 s1, s3
	s_cbranch_execz .LBB271_89
.LBB271_107:
	s_lshl_b32 s9, s10, 8
	s_wait_alu 0xfffe
	v_add_co_u32 v9, vcc_lo, v0, s9
	s_wait_alu 0xfffd
	v_add_co_ci_u32_e64 v10, null, 0, v1, vcc_lo
	s_wait_dscnt 0x6
	global_store_b8 v[9:10], v8, off
	s_or_b32 exec_lo, exec_lo, s1
	s_and_saveexec_b32 s1, s4
	s_cbranch_execz .LBB271_90
.LBB271_108:
	s_lshl_b32 s9, s10, 9
	s_wait_dscnt 0x6
	s_wait_alu 0xfffe
	v_add_co_u32 v8, vcc_lo, v0, s9
	s_wait_alu 0xfffd
	v_add_co_ci_u32_e64 v9, null, 0, v1, vcc_lo
	s_wait_dscnt 0x5
	global_store_b8 v[8:9], v7, off
	s_or_b32 exec_lo, exec_lo, s1
	s_and_saveexec_b32 s1, s5
	s_cbranch_execz .LBB271_91
.LBB271_109:
	s_mul_i32 s9, s10, 0x300
	s_wait_dscnt 0x5
	s_wait_alu 0xfffe
	v_add_co_u32 v7, vcc_lo, v0, s9
	s_wait_alu 0xfffd
	v_add_co_ci_u32_e64 v8, null, 0, v1, vcc_lo
	s_wait_dscnt 0x4
	global_store_b8 v[7:8], v6, off
	s_or_b32 exec_lo, exec_lo, s1
	s_and_saveexec_b32 s1, s6
	s_cbranch_execz .LBB271_92
.LBB271_110:
	s_lshl_b32 s9, s10, 10
	s_wait_dscnt 0x4
	s_wait_alu 0xfffe
	v_add_co_u32 v6, vcc_lo, v0, s9
	s_wait_alu 0xfffd
	v_add_co_ci_u32_e64 v7, null, 0, v1, vcc_lo
	s_wait_dscnt 0x3
	global_store_b8 v[6:7], v5, off
	s_or_b32 exec_lo, exec_lo, s1
	s_and_saveexec_b32 s1, s7
	s_cbranch_execz .LBB271_93
.LBB271_111:
	s_mul_i32 s9, s10, 0x500
	s_wait_dscnt 0x3
	s_wait_alu 0xfffe
	v_add_co_u32 v5, vcc_lo, v0, s9
	s_wait_alu 0xfffd
	v_add_co_ci_u32_e64 v6, null, 0, v1, vcc_lo
	s_wait_dscnt 0x2
	global_store_b8 v[5:6], v4, off
	s_or_b32 exec_lo, exec_lo, s1
	s_and_saveexec_b32 s1, s8
	s_cbranch_execz .LBB271_94
.LBB271_112:
	s_mul_i32 s9, s10, 0x600
	s_wait_dscnt 0x2
	s_wait_alu 0xfffe
	v_add_co_u32 v4, vcc_lo, v0, s9
	s_wait_alu 0xfffd
	v_add_co_ci_u32_e64 v5, null, 0, v1, vcc_lo
	s_wait_dscnt 0x1
	global_store_b8 v[4:5], v3, off
	s_or_b32 exec_lo, exec_lo, s1
	s_and_saveexec_b32 s1, s0
	s_cbranch_execnz .LBB271_95
	s_branch .LBB271_96
.LBB271_113:
	ds_load_b64 v[16:17], v57
	s_wait_dscnt 0x0
	global_store_b64 v[2:3], v[16:17], off
	s_wait_alu 0xfffe
	s_or_b32 exec_lo, exec_lo, s1
	s_and_saveexec_b32 s1, s3
	s_cbranch_execz .LBB271_98
.LBB271_114:
	s_lshl_b32 s2, s12, 8
	s_mov_b32 s3, 0
	s_delay_alu instid0(SALU_CYCLE_1) | instskip(NEXT) | instid1(SALU_CYCLE_1)
	s_lshl_b64 s[2:3], s[2:3], 3
	v_add_co_u32 v16, vcc_lo, v2, s2
	s_wait_alu 0xfffd
	v_add_co_ci_u32_e64 v17, null, s3, v3, vcc_lo
	s_wait_dscnt 0x6
	global_store_b64 v[16:17], v[14:15], off
	s_wait_alu 0xfffe
	s_or_b32 exec_lo, exec_lo, s1
	s_and_saveexec_b32 s1, s4
	s_cbranch_execz .LBB271_99
.LBB271_115:
	s_lshl_b32 s2, s12, 9
	s_mov_b32 s3, 0
	s_wait_alu 0xfffe
	s_lshl_b64 s[2:3], s[2:3], 3
	s_wait_dscnt 0x6
	s_wait_alu 0xfffe
	v_add_co_u32 v14, vcc_lo, v2, s2
	s_wait_alu 0xfffd
	v_add_co_ci_u32_e64 v15, null, s3, v3, vcc_lo
	s_wait_dscnt 0x5
	global_store_b64 v[14:15], v[12:13], off
	s_or_b32 exec_lo, exec_lo, s1
	s_and_saveexec_b32 s1, s5
	s_cbranch_execz .LBB271_100
.LBB271_116:
	s_mul_i32 s2, s12, 0x300
	s_mov_b32 s3, 0
	s_wait_alu 0xfffe
	s_lshl_b64 s[2:3], s[2:3], 3
	s_wait_dscnt 0x5
	s_wait_alu 0xfffe
	v_add_co_u32 v12, vcc_lo, v2, s2
	s_wait_alu 0xfffd
	v_add_co_ci_u32_e64 v13, null, s3, v3, vcc_lo
	s_wait_dscnt 0x4
	global_store_b64 v[12:13], v[10:11], off
	s_or_b32 exec_lo, exec_lo, s1
	s_and_saveexec_b32 s1, s6
	s_cbranch_execz .LBB271_101
.LBB271_117:
	s_lshl_b32 s2, s12, 10
	s_mov_b32 s3, 0
	s_wait_alu 0xfffe
	s_lshl_b64 s[2:3], s[2:3], 3
	s_wait_dscnt 0x4
	s_wait_alu 0xfffe
	v_add_co_u32 v10, vcc_lo, v2, s2
	s_wait_alu 0xfffd
	v_add_co_ci_u32_e64 v11, null, s3, v3, vcc_lo
	s_wait_dscnt 0x3
	global_store_b64 v[10:11], v[8:9], off
	s_or_b32 exec_lo, exec_lo, s1
	s_and_saveexec_b32 s1, s7
	s_cbranch_execz .LBB271_102
.LBB271_118:
	s_mul_i32 s2, s12, 0x500
	s_mov_b32 s3, 0
	s_wait_alu 0xfffe
	s_lshl_b64 s[2:3], s[2:3], 3
	s_wait_dscnt 0x3
	s_wait_alu 0xfffe
	v_add_co_u32 v8, vcc_lo, v2, s2
	s_wait_alu 0xfffd
	v_add_co_ci_u32_e64 v9, null, s3, v3, vcc_lo
	s_wait_dscnt 0x2
	global_store_b64 v[8:9], v[6:7], off
	s_or_b32 exec_lo, exec_lo, s1
	s_and_saveexec_b32 s1, s8
	s_cbranch_execz .LBB271_103
.LBB271_119:
	s_mul_i32 s2, s12, 0x600
	s_mov_b32 s3, 0
	s_wait_alu 0xfffe
	s_lshl_b64 s[2:3], s[2:3], 3
	s_wait_dscnt 0x2
	s_wait_alu 0xfffe
	v_add_co_u32 v6, vcc_lo, v2, s2
	s_wait_alu 0xfffd
	v_add_co_ci_u32_e64 v7, null, s3, v3, vcc_lo
	s_wait_dscnt 0x1
	global_store_b64 v[6:7], v[4:5], off
	s_or_b32 exec_lo, exec_lo, s1
	s_and_saveexec_b32 s1, s0
	s_cbranch_execnz .LBB271_104
	s_branch .LBB271_105
	.section	.rodata,"a",@progbits
	.p2align	6, 0x0
	.amdhsa_kernel _ZN2at6native18radixSortKVInPlaceILin1ELin1ELi256ELi8EbljEEvNS_4cuda6detail10TensorInfoIT3_T5_EES6_S6_S6_NS4_IT4_S6_EES6_b
		.amdhsa_group_segment_fixed_size 16896
		.amdhsa_private_segment_fixed_size 0
		.amdhsa_kernarg_size 712
		.amdhsa_user_sgpr_count 2
		.amdhsa_user_sgpr_dispatch_ptr 0
		.amdhsa_user_sgpr_queue_ptr 0
		.amdhsa_user_sgpr_kernarg_segment_ptr 1
		.amdhsa_user_sgpr_dispatch_id 0
		.amdhsa_user_sgpr_private_segment_size 0
		.amdhsa_wavefront_size32 1
		.amdhsa_uses_dynamic_stack 0
		.amdhsa_enable_private_segment 0
		.amdhsa_system_sgpr_workgroup_id_x 1
		.amdhsa_system_sgpr_workgroup_id_y 1
		.amdhsa_system_sgpr_workgroup_id_z 1
		.amdhsa_system_sgpr_workgroup_info 0
		.amdhsa_system_vgpr_workitem_id 2
		.amdhsa_next_free_vgpr 105
		.amdhsa_next_free_sgpr 24
		.amdhsa_reserve_vcc 1
		.amdhsa_float_round_mode_32 0
		.amdhsa_float_round_mode_16_64 0
		.amdhsa_float_denorm_mode_32 3
		.amdhsa_float_denorm_mode_16_64 3
		.amdhsa_fp16_overflow 0
		.amdhsa_workgroup_processor_mode 1
		.amdhsa_memory_ordered 1
		.amdhsa_forward_progress 1
		.amdhsa_inst_pref_size 78
		.amdhsa_round_robin_scheduling 0
		.amdhsa_exception_fp_ieee_invalid_op 0
		.amdhsa_exception_fp_denorm_src 0
		.amdhsa_exception_fp_ieee_div_zero 0
		.amdhsa_exception_fp_ieee_overflow 0
		.amdhsa_exception_fp_ieee_underflow 0
		.amdhsa_exception_fp_ieee_inexact 0
		.amdhsa_exception_int_div_zero 0
	.end_amdhsa_kernel
	.section	.text._ZN2at6native18radixSortKVInPlaceILin1ELin1ELi256ELi8EbljEEvNS_4cuda6detail10TensorInfoIT3_T5_EES6_S6_S6_NS4_IT4_S6_EES6_b,"axG",@progbits,_ZN2at6native18radixSortKVInPlaceILin1ELin1ELi256ELi8EbljEEvNS_4cuda6detail10TensorInfoIT3_T5_EES6_S6_S6_NS4_IT4_S6_EES6_b,comdat
.Lfunc_end271:
	.size	_ZN2at6native18radixSortKVInPlaceILin1ELin1ELi256ELi8EbljEEvNS_4cuda6detail10TensorInfoIT3_T5_EES6_S6_S6_NS4_IT4_S6_EES6_b, .Lfunc_end271-_ZN2at6native18radixSortKVInPlaceILin1ELin1ELi256ELi8EbljEEvNS_4cuda6detail10TensorInfoIT3_T5_EES6_S6_S6_NS4_IT4_S6_EES6_b
                                        ; -- End function
	.set _ZN2at6native18radixSortKVInPlaceILin1ELin1ELi256ELi8EbljEEvNS_4cuda6detail10TensorInfoIT3_T5_EES6_S6_S6_NS4_IT4_S6_EES6_b.num_vgpr, 105
	.set _ZN2at6native18radixSortKVInPlaceILin1ELin1ELi256ELi8EbljEEvNS_4cuda6detail10TensorInfoIT3_T5_EES6_S6_S6_NS4_IT4_S6_EES6_b.num_agpr, 0
	.set _ZN2at6native18radixSortKVInPlaceILin1ELin1ELi256ELi8EbljEEvNS_4cuda6detail10TensorInfoIT3_T5_EES6_S6_S6_NS4_IT4_S6_EES6_b.numbered_sgpr, 24
	.set _ZN2at6native18radixSortKVInPlaceILin1ELin1ELi256ELi8EbljEEvNS_4cuda6detail10TensorInfoIT3_T5_EES6_S6_S6_NS4_IT4_S6_EES6_b.num_named_barrier, 0
	.set _ZN2at6native18radixSortKVInPlaceILin1ELin1ELi256ELi8EbljEEvNS_4cuda6detail10TensorInfoIT3_T5_EES6_S6_S6_NS4_IT4_S6_EES6_b.private_seg_size, 0
	.set _ZN2at6native18radixSortKVInPlaceILin1ELin1ELi256ELi8EbljEEvNS_4cuda6detail10TensorInfoIT3_T5_EES6_S6_S6_NS4_IT4_S6_EES6_b.uses_vcc, 1
	.set _ZN2at6native18radixSortKVInPlaceILin1ELin1ELi256ELi8EbljEEvNS_4cuda6detail10TensorInfoIT3_T5_EES6_S6_S6_NS4_IT4_S6_EES6_b.uses_flat_scratch, 0
	.set _ZN2at6native18radixSortKVInPlaceILin1ELin1ELi256ELi8EbljEEvNS_4cuda6detail10TensorInfoIT3_T5_EES6_S6_S6_NS4_IT4_S6_EES6_b.has_dyn_sized_stack, 0
	.set _ZN2at6native18radixSortKVInPlaceILin1ELin1ELi256ELi8EbljEEvNS_4cuda6detail10TensorInfoIT3_T5_EES6_S6_S6_NS4_IT4_S6_EES6_b.has_recursion, 0
	.set _ZN2at6native18radixSortKVInPlaceILin1ELin1ELi256ELi8EbljEEvNS_4cuda6detail10TensorInfoIT3_T5_EES6_S6_S6_NS4_IT4_S6_EES6_b.has_indirect_call, 0
	.section	.AMDGPU.csdata,"",@progbits
; Kernel info:
; codeLenInByte = 9900
; TotalNumSgprs: 26
; NumVgprs: 105
; ScratchSize: 0
; MemoryBound: 0
; FloatMode: 240
; IeeeMode: 1
; LDSByteSize: 16896 bytes/workgroup (compile time only)
; SGPRBlocks: 0
; VGPRBlocks: 13
; NumSGPRsForWavesPerEU: 26
; NumVGPRsForWavesPerEU: 105
; Occupancy: 12
; WaveLimiterHint : 1
; COMPUTE_PGM_RSRC2:SCRATCH_EN: 0
; COMPUTE_PGM_RSRC2:USER_SGPR: 2
; COMPUTE_PGM_RSRC2:TRAP_HANDLER: 0
; COMPUTE_PGM_RSRC2:TGID_X_EN: 1
; COMPUTE_PGM_RSRC2:TGID_Y_EN: 1
; COMPUTE_PGM_RSRC2:TGID_Z_EN: 1
; COMPUTE_PGM_RSRC2:TIDIG_COMP_CNT: 2
	.section	.text._ZN2at6native18radixSortKVInPlaceILin1ELin1ELi128ELi8EbljEEvNS_4cuda6detail10TensorInfoIT3_T5_EES6_S6_S6_NS4_IT4_S6_EES6_b,"axG",@progbits,_ZN2at6native18radixSortKVInPlaceILin1ELin1ELi128ELi8EbljEEvNS_4cuda6detail10TensorInfoIT3_T5_EES6_S6_S6_NS4_IT4_S6_EES6_b,comdat
	.protected	_ZN2at6native18radixSortKVInPlaceILin1ELin1ELi128ELi8EbljEEvNS_4cuda6detail10TensorInfoIT3_T5_EES6_S6_S6_NS4_IT4_S6_EES6_b ; -- Begin function _ZN2at6native18radixSortKVInPlaceILin1ELin1ELi128ELi8EbljEEvNS_4cuda6detail10TensorInfoIT3_T5_EES6_S6_S6_NS4_IT4_S6_EES6_b
	.globl	_ZN2at6native18radixSortKVInPlaceILin1ELin1ELi128ELi8EbljEEvNS_4cuda6detail10TensorInfoIT3_T5_EES6_S6_S6_NS4_IT4_S6_EES6_b
	.p2align	8
	.type	_ZN2at6native18radixSortKVInPlaceILin1ELin1ELi128ELi8EbljEEvNS_4cuda6detail10TensorInfoIT3_T5_EES6_S6_S6_NS4_IT4_S6_EES6_b,@function
_ZN2at6native18radixSortKVInPlaceILin1ELin1ELi128ELi8EbljEEvNS_4cuda6detail10TensorInfoIT3_T5_EES6_S6_S6_NS4_IT4_S6_EES6_b: ; @_ZN2at6native18radixSortKVInPlaceILin1ELin1ELi128ELi8EbljEEvNS_4cuda6detail10TensorInfoIT3_T5_EES6_S6_S6_NS4_IT4_S6_EES6_b
; %bb.0:
	s_clause 0x1
	s_load_b64 s[2:3], s[0:1], 0x1c8
	s_load_b96 s[8:10], s[0:1], 0xd8
	s_lshr_b32 s4, ttmp7, 16
	s_wait_kmcnt 0x0
	s_mul_i32 s3, s3, s4
	s_and_b32 s4, ttmp7, 0xffff
	s_delay_alu instid0(SALU_CYCLE_1) | instskip(NEXT) | instid1(SALU_CYCLE_1)
	s_add_co_i32 s3, s3, s4
	s_mul_i32 s2, s3, s2
	s_delay_alu instid0(SALU_CYCLE_1) | instskip(NEXT) | instid1(SALU_CYCLE_1)
	s_add_co_i32 s22, s2, ttmp9
	s_cmp_ge_u32 s22, s8
	s_cbranch_scc1 .LBB272_105
; %bb.1:
	s_load_b32 s4, s[0:1], 0xd0
	s_mov_b32 s3, 0
	s_mov_b32 s2, s22
	s_wait_kmcnt 0x0
	s_cmp_lt_i32 s4, 2
	s_cbranch_scc1 .LBB272_4
; %bb.2:
	s_add_co_i32 s2, s4, -1
	s_delay_alu instid0(SALU_CYCLE_1)
	s_lshl_b64 s[6:7], s[2:3], 2
	s_mov_b32 s2, s22
	s_add_nc_u64 s[12:13], s[0:1], s[6:7]
	s_add_co_i32 s6, s4, 1
	s_add_nc_u64 s[4:5], s[12:13], 8
.LBB272_3:                              ; =>This Inner Loop Header: Depth=1
	s_clause 0x1
	s_load_b32 s7, s[4:5], 0x0
	s_load_b32 s8, s[4:5], 0x64
	s_mov_b32 s13, s2
	s_add_nc_u64 s[4:5], s[4:5], -4
	s_wait_kmcnt 0x0
	s_cvt_f32_u32 s11, s7
	s_sub_co_i32 s12, 0, s7
	s_wait_alu 0xfffe
	s_delay_alu instid0(SALU_CYCLE_1) | instskip(NEXT) | instid1(TRANS32_DEP_1)
	v_rcp_iflag_f32_e32 v1, s11
	v_readfirstlane_b32 s11, v1
	s_mul_f32 s11, s11, 0x4f7ffffe
	s_wait_alu 0xfffe
	s_delay_alu instid0(SALU_CYCLE_2) | instskip(SKIP_1) | instid1(SALU_CYCLE_2)
	s_cvt_u32_f32 s11, s11
	s_wait_alu 0xfffe
	s_mul_i32 s12, s12, s11
	s_delay_alu instid0(SALU_CYCLE_1) | instskip(NEXT) | instid1(SALU_CYCLE_1)
	s_mul_hi_u32 s12, s11, s12
	s_add_co_i32 s11, s11, s12
	s_wait_alu 0xfffe
	s_mul_hi_u32 s2, s2, s11
	s_delay_alu instid0(SALU_CYCLE_1)
	s_mul_i32 s11, s2, s7
	s_add_co_i32 s12, s2, 1
	s_wait_alu 0xfffe
	s_sub_co_i32 s11, s13, s11
	s_wait_alu 0xfffe
	s_sub_co_i32 s14, s11, s7
	s_cmp_ge_u32 s11, s7
	s_cselect_b32 s2, s12, s2
	s_cselect_b32 s11, s14, s11
	s_add_co_i32 s12, s2, 1
	s_wait_alu 0xfffe
	s_cmp_ge_u32 s11, s7
	s_cselect_b32 s2, s12, s2
	s_add_co_i32 s6, s6, -1
	s_mul_i32 s7, s2, s7
	s_delay_alu instid0(SALU_CYCLE_1) | instskip(NEXT) | instid1(SALU_CYCLE_1)
	s_sub_co_i32 s7, s13, s7
	s_mul_i32 s7, s8, s7
	s_delay_alu instid0(SALU_CYCLE_1)
	s_add_co_i32 s3, s7, s3
	s_cmp_gt_u32 s6, 2
	s_cbranch_scc1 .LBB272_3
.LBB272_4:
	s_load_b32 s4, s[0:1], 0x1b8
	s_add_nc_u64 s[18:19], s[0:1], 0x1c8
	s_mov_b32 s17, 0
	s_wait_kmcnt 0x0
	s_cmp_lt_i32 s4, 2
	s_cbranch_scc1 .LBB272_7
; %bb.5:
	s_add_co_i32 s16, s4, -1
	s_delay_alu instid0(SALU_CYCLE_1) | instskip(NEXT) | instid1(SALU_CYCLE_1)
	s_lshl_b64 s[6:7], s[16:17], 2
	s_add_nc_u64 s[12:13], s[0:1], s[6:7]
	s_add_co_i32 s6, s4, 1
	s_add_nc_u64 s[4:5], s[12:13], 0xf0
.LBB272_6:                              ; =>This Inner Loop Header: Depth=1
	s_clause 0x1
	s_load_b32 s7, s[4:5], 0x0
	s_load_b32 s8, s[4:5], 0x64
	s_mov_b32 s13, s22
	s_add_nc_u64 s[4:5], s[4:5], -4
	s_wait_kmcnt 0x0
	s_cvt_f32_u32 s11, s7
	s_sub_co_i32 s12, 0, s7
	s_wait_alu 0xfffe
	s_delay_alu instid0(SALU_CYCLE_1) | instskip(NEXT) | instid1(TRANS32_DEP_1)
	v_rcp_iflag_f32_e32 v1, s11
	v_readfirstlane_b32 s11, v1
	s_mul_f32 s11, s11, 0x4f7ffffe
	s_wait_alu 0xfffe
	s_delay_alu instid0(SALU_CYCLE_2) | instskip(SKIP_1) | instid1(SALU_CYCLE_2)
	s_cvt_u32_f32 s11, s11
	s_wait_alu 0xfffe
	s_mul_i32 s12, s12, s11
	s_delay_alu instid0(SALU_CYCLE_1) | instskip(NEXT) | instid1(SALU_CYCLE_1)
	s_mul_hi_u32 s12, s11, s12
	s_add_co_i32 s11, s11, s12
	s_wait_alu 0xfffe
	s_mul_hi_u32 s11, s22, s11
	s_wait_alu 0xfffe
	s_mul_i32 s12, s11, s7
	s_add_co_i32 s14, s11, 1
	s_sub_co_i32 s12, s22, s12
	s_delay_alu instid0(SALU_CYCLE_1)
	s_sub_co_i32 s15, s12, s7
	s_cmp_ge_u32 s12, s7
	s_cselect_b32 s11, s14, s11
	s_cselect_b32 s12, s15, s12
	s_wait_alu 0xfffe
	s_add_co_i32 s14, s11, 1
	s_cmp_ge_u32 s12, s7
	s_cselect_b32 s22, s14, s11
	s_add_co_i32 s6, s6, -1
	s_mul_i32 s7, s22, s7
	s_delay_alu instid0(SALU_CYCLE_1) | instskip(NEXT) | instid1(SALU_CYCLE_1)
	s_sub_co_i32 s7, s13, s7
	s_mul_i32 s7, s8, s7
	s_delay_alu instid0(SALU_CYCLE_1)
	s_add_co_i32 s17, s7, s17
	s_cmp_gt_u32 s6, 2
	s_cbranch_scc1 .LBB272_6
.LBB272_7:
	s_clause 0x1
	s_load_b32 s4, s[0:1], 0x6c
	s_load_b64 s[12:13], s[0:1], 0x1c0
	v_and_b32_e32 v44, 0x3ff, v0
	s_mov_b32 s7, 0
	s_delay_alu instid0(VALU_DEP_1)
	v_mul_lo_u32 v47, s10, v44
	s_wait_kmcnt 0x0
	s_mul_i32 s2, s4, s2
	s_load_b64 s[4:5], s[0:1], 0x0
	s_add_co_i32 s6, s2, s3
	s_bitcmp1_b32 s13, 0
	s_cselect_b32 s2, -1, 0
	s_delay_alu instid0(SALU_CYCLE_1) | instskip(SKIP_4) | instid1(VALU_DEP_2)
	s_xor_b32 s11, s2, -1
	v_cmp_gt_u32_e64 s2, s9, v44
	s_wait_alu 0xfffe
	v_cndmask_b32_e64 v1, 0, 1, s11
	v_cndmask_b32_e64 v3, 0, 1, s11
	v_lshlrev_b32_e32 v2, 8, v1
	s_delay_alu instid0(VALU_DEP_1) | instskip(SKIP_2) | instid1(VALU_DEP_1)
	v_or_b32_e32 v1, v1, v2
	s_wait_kmcnt 0x0
	s_add_nc_u64 s[14:15], s[4:5], s[6:7]
	v_and_b32_e32 v2, 0x101, v1
	v_lshlrev_b32_e32 v1, 16, v1
	s_delay_alu instid0(VALU_DEP_1) | instskip(NEXT) | instid1(VALU_DEP_1)
	v_or_b32_e32 v1, v2, v1
	v_mov_b32_e32 v2, v1
	s_and_saveexec_b32 s3, s2
	s_cbranch_execz .LBB272_9
; %bb.8:
	global_load_u8 v3, v47, s[14:15]
	v_mov_b32_e32 v5, v1
	s_wait_loadcnt 0x0
	v_perm_b32 v4, v3, v1, 0x3020104
	s_delay_alu instid0(VALU_DEP_1)
	v_dual_mov_b32 v1, v4 :: v_dual_mov_b32 v2, v5
.LBB272_9:
	s_or_b32 exec_lo, exec_lo, s3
	v_add_nc_u32_e32 v28, 0x80, v44
	s_delay_alu instid0(VALU_DEP_1)
	v_cmp_gt_u32_e64 s3, s9, v28
	s_and_saveexec_b32 s4, s3
	s_cbranch_execz .LBB272_11
; %bb.10:
	v_mul_lo_u32 v4, s10, v28
	global_load_u8 v4, v4, s[14:15]
	s_wait_loadcnt 0x0
	v_perm_b32 v1, v1, v4, 0x7060004
.LBB272_11:
	s_or_b32 exec_lo, exec_lo, s4
	v_add_nc_u32_e32 v24, 0x100, v44
	s_delay_alu instid0(VALU_DEP_1)
	v_cmp_gt_u32_e64 s4, s9, v24
	s_and_saveexec_b32 s5, s4
	s_cbranch_execz .LBB272_13
; %bb.12:
	v_mul_lo_u32 v4, s10, v24
	global_load_u8 v4, v4, s[14:15]
	s_wait_loadcnt 0x0
	v_perm_b32 v4, v4, v1, 0xc0c0304
	s_delay_alu instid0(VALU_DEP_1) | instskip(NEXT) | instid1(VALU_DEP_1)
	v_lshlrev_b32_e32 v4, 16, v4
	v_and_or_b32 v1, 0xffff, v1, v4
.LBB272_13:
	s_or_b32 exec_lo, exec_lo, s5
	v_add_nc_u32_e32 v21, 0x180, v44
	s_delay_alu instid0(VALU_DEP_1)
	v_cmp_gt_u32_e64 s5, s9, v21
	s_and_saveexec_b32 s6, s5
	s_cbranch_execz .LBB272_15
; %bb.14:
	v_mul_lo_u32 v4, s10, v21
	global_load_u8 v4, v4, s[14:15]
	s_wait_loadcnt 0x0
	v_perm_b32 v4, v1, v4, 0xc0c0006
	s_delay_alu instid0(VALU_DEP_1) | instskip(NEXT) | instid1(VALU_DEP_1)
	v_lshlrev_b32_e32 v4, 16, v4
	v_and_or_b32 v1, 0xffff, v1, v4
.LBB272_15:
	s_or_b32 exec_lo, exec_lo, s6
	v_add_nc_u32_e32 v19, 0x200, v44
	s_delay_alu instid0(VALU_DEP_1)
	v_cmp_gt_u32_e64 s6, s9, v19
	s_and_saveexec_b32 s7, s6
	s_cbranch_execz .LBB272_17
; %bb.16:
	v_mul_lo_u32 v4, s10, v19
	global_load_u8 v4, v4, s[14:15]
	s_wait_loadcnt 0x0
	v_perm_b32 v2, v4, v2, 0x3020104
.LBB272_17:
	s_or_b32 exec_lo, exec_lo, s7
	v_add_nc_u32_e32 v17, 0x280, v44
	s_delay_alu instid0(VALU_DEP_1)
	v_cmp_gt_u32_e64 s7, s9, v17
	s_and_saveexec_b32 s8, s7
	s_cbranch_execz .LBB272_19
; %bb.18:
	v_mul_lo_u32 v4, s10, v17
	global_load_u8 v4, v4, s[14:15]
	s_wait_loadcnt 0x0
	v_perm_b32 v2, v2, v4, 0x7060004
.LBB272_19:
	s_wait_alu 0xfffe
	s_or_b32 exec_lo, exec_lo, s8
	v_add_nc_u32_e32 v16, 0x300, v44
	s_delay_alu instid0(VALU_DEP_1)
	v_cmp_gt_u32_e64 s8, s9, v16
	s_and_saveexec_b32 s13, s8
	s_cbranch_execz .LBB272_21
; %bb.20:
	v_mul_lo_u32 v4, s10, v16
	global_load_u8 v4, v4, s[14:15]
	s_wait_loadcnt 0x0
	v_perm_b32 v2, v2, v4, 0x7000504
.LBB272_21:
	s_or_b32 exec_lo, exec_lo, s13
	s_clause 0x1
	s_load_b32 s13, s[0:1], 0x154
	s_load_b64 s[20:21], s[0:1], 0xe8
	v_add_nc_u32_e32 v15, 0x380, v44
	s_delay_alu instid0(VALU_DEP_1)
	v_cmp_gt_u32_e64 s0, s9, v15
	s_and_saveexec_b32 s1, s0
	s_cbranch_execz .LBB272_23
; %bb.22:
	v_mul_lo_u32 v4, s10, v15
	global_load_u8 v4, v4, s[14:15]
	s_wait_loadcnt 0x0
	v_perm_b32 v2, v2, v4, 0x60504
.LBB272_23:
	s_or_b32 exec_lo, exec_lo, s1
	v_lshrrev_b32_e32 v65, 5, v44
	v_lshrrev_b32_e32 v18, 5, v28
	;; [unrolled: 1-line block ×5, first 2 shown]
	s_delay_alu instid0(VALU_DEP_4) | instskip(SKIP_4) | instid1(VALU_DEP_4)
	v_dual_mov_b32 v42, 0 :: v_dual_and_b32 v5, 60, v18
	v_and_b32_e32 v4, 28, v65
	v_and_b32_e32 v7, 60, v23
	v_lshrrev_b32_e32 v22, 5, v21
	v_lshrrev_b32_e32 v29, 2, v44
	v_dual_mov_b32 v43, v42 :: v_dual_add_nc_u32 v48, v4, v44
	v_dual_mov_b32 v11, v42 :: v_dual_and_b32 v4, 60, v20
	v_mov_b32_e32 v12, v42
	v_add_nc_u32_e32 v52, v7, v44
	v_and_b32_e32 v7, 60, v26
	s_delay_alu instid0(VALU_DEP_4)
	v_add_nc_u32_e32 v50, v4, v44
	v_and_b32_e32 v4, 60, v22
	v_lshrrev_b32_e32 v25, 5, v17
	v_lshrrev_b32_e32 v27, 5, v15
	v_dual_mov_b32 v13, 0 :: v_dual_add_nc_u32 v54, v7, v44
	v_lshlrev_b32_e32 v61, 3, v44
	v_and_b32_e32 v7, 0xfc, v29
	v_add_nc_u32_e32 v51, v4, v44
	v_and_b32_e32 v4, 60, v25
	v_and_b32_e32 v9, 60, v27
	v_lshrrev_b32_e32 v6, 8, v1
	v_add_nc_u32_e32 v56, v7, v61
	v_dual_mov_b32 v10, v42 :: v_dual_add_nc_u32 v49, v5, v44
	v_lshrrev_b32_e32 v5, 24, v1
	v_lshrrev_b32_e32 v8, 8, v2
	v_dual_mov_b32 v14, 0 :: v_dual_add_nc_u32 v53, v4, v44
	v_lshrrev_b32_e32 v4, 24, v2
	v_add_nc_u32_e32 v55, v9, v44
	v_mov_b32_e32 v9, v42
	v_mov_b32_e32 v7, v42
	ds_store_b8 v48, v3
	ds_store_b8 v49, v6 offset:128
	ds_store_b8_d16_hi v50, v1 offset:256
	ds_store_b8 v51, v5 offset:384
	ds_store_b8 v52, v2 offset:512
	;; [unrolled: 1-line block ×3, first 2 shown]
	ds_store_b8_d16_hi v54, v2 offset:768
	ds_store_b8 v55, v4 offset:896
	s_wait_dscnt 0x0
	s_barrier_signal -1
	s_barrier_wait -1
	global_inv scope:SCOPE_SE
	ds_load_2addr_b32 v[45:46], v56 offset1:1
	s_wait_kmcnt 0x0
	s_mul_i32 s1, s13, s22
	v_mul_lo_u32 v41, s12, v44
	s_mov_b32 s23, 0
	s_add_co_i32 s22, s1, s17
	v_dual_mov_b32 v1, v42 :: v_dual_mov_b32 v2, v42
	v_dual_mov_b32 v3, v42 :: v_dual_mov_b32 v4, v42
	;; [unrolled: 1-line block ×3, first 2 shown]
	v_mov_b32_e32 v8, v42
	s_lshl_b64 s[16:17], s[22:23], 3
	s_wait_loadcnt_dscnt 0x0
	s_add_nc_u64 s[16:17], s[20:21], s[16:17]
	s_barrier_signal -1
	s_barrier_wait -1
	global_inv scope:SCOPE_SE
	s_and_saveexec_b32 s1, s2
	s_cbranch_execnz .LBB272_56
; %bb.24:
	s_or_b32 exec_lo, exec_lo, s1
	s_and_saveexec_b32 s1, s3
	s_cbranch_execnz .LBB272_57
.LBB272_25:
	s_or_b32 exec_lo, exec_lo, s1
	s_and_saveexec_b32 s1, s4
	s_cbranch_execnz .LBB272_58
.LBB272_26:
	s_or_b32 exec_lo, exec_lo, s1
	s_and_saveexec_b32 s1, s5
	s_cbranch_execnz .LBB272_59
.LBB272_27:
	s_or_b32 exec_lo, exec_lo, s1
	s_and_saveexec_b32 s1, s6
	s_cbranch_execnz .LBB272_60
.LBB272_28:
	s_or_b32 exec_lo, exec_lo, s1
	s_and_saveexec_b32 s1, s7
	s_cbranch_execnz .LBB272_61
.LBB272_29:
	s_or_b32 exec_lo, exec_lo, s1
	s_and_saveexec_b32 s1, s8
	s_cbranch_execnz .LBB272_62
.LBB272_30:
	s_or_b32 exec_lo, exec_lo, s1
	s_and_saveexec_b32 s1, s0
	s_cbranch_execz .LBB272_32
.LBB272_31:
	v_mul_lo_u32 v7, s12, v15
	v_mov_b32_e32 v8, 0
	s_delay_alu instid0(VALU_DEP_1) | instskip(NEXT) | instid1(VALU_DEP_1)
	v_lshlrev_b64_e32 v[7:8], 3, v[7:8]
	v_add_co_u32 v7, vcc_lo, s16, v7
	s_wait_alu 0xfffd
	s_delay_alu instid0(VALU_DEP_2)
	v_add_co_ci_u32_e64 v8, null, s17, v8, vcc_lo
	global_load_b64 v[7:8], v[7:8], off
.LBB272_32:
	s_or_b32 exec_lo, exec_lo, s1
	v_lshl_add_u32 v57, v65, 3, v61
	v_lshl_add_u32 v58, v18, 3, v61
	;; [unrolled: 1-line block ×5, first 2 shown]
	s_wait_loadcnt 0x0
	ds_store_b64 v57, v[13:14]
	ds_store_b64 v58, v[42:43] offset:1024
	ds_store_b64 v59, v[9:10] offset:2048
	;; [unrolled: 1-line block ×3, first 2 shown]
	v_lshlrev_b32_e32 v9, 3, v61
	v_lshl_add_u32 v42, v23, 3, v61
	v_lshl_add_u32 v43, v25, 3, v61
	;; [unrolled: 1-line block ×3, first 2 shown]
	ds_store_b64 v42, v[1:2] offset:4096
	ds_store_b64 v43, v[3:4] offset:5120
	;; [unrolled: 1-line block ×4, first 2 shown]
	v_lshl_add_u32 v64, v29, 3, v9
	s_wait_dscnt 0x0
	s_barrier_signal -1
	s_barrier_wait -1
	global_inv scope:SCOPE_SE
	ds_load_2addr_b64 v[13:16], v64 offset1:1
	ds_load_2addr_b64 v[9:12], v64 offset0:2 offset1:3
	ds_load_2addr_b64 v[5:8], v64 offset0:4 offset1:5
	;; [unrolled: 1-line block ×3, first 2 shown]
	v_bfe_u32 v69, v0, 10, 10
	v_bfe_u32 v70, v0, 20, 10
	v_mbcnt_lo_u32_b32 v67, -1, 0
	v_and_b32_e32 v68, 0x3e0, v44
	v_lshlrev_b32_e32 v66, 2, v61
	s_and_b32 vcc_lo, exec_lo, s11
	s_wait_loadcnt_dscnt 0x0
	s_barrier_signal -1
	s_barrier_wait -1
	global_inv scope:SCOPE_SE
	s_wait_alu 0xfffe
	s_cbranch_vccz .LBB272_63
; %bb.33:
	s_getpc_b64 s[20:21]
	s_sext_i32_i16 s21, s21
	s_add_co_u32 s20, s20, _ZN7rocprim17ROCPRIM_400000_NS16block_radix_sortIbLj128ELj8ElLj1ELj1ELj0ELNS0_26block_radix_rank_algorithmE1ELNS0_18block_padding_hintE2ELNS0_4arch9wavefront6targetE0EE19radix_bits_per_passE@rel32@lo+8
	s_add_co_ci_u32 s21, s21, _ZN7rocprim17ROCPRIM_400000_NS16block_radix_sortIbLj128ELj8ElLj1ELj1ELj0ELNS0_26block_radix_rank_algorithmE1ELNS0_18block_padding_hintE2ELNS0_4arch9wavefront6targetE0EE19radix_bits_per_passE@rel32@hi+16
	v_or_b32_e32 v17, v67, v68
	s_load_b32 s1, s[20:21], 0x0
	s_mov_b32 s20, 0
	v_and_or_b32 v19, 0x1f00, v61, v67
	s_mov_b32 s21, s20
	s_mov_b32 s22, s20
	s_mov_b32 s23, s20
	v_lshlrev_b32_e32 v18, 3, v17
	ds_store_b64 v18, v[45:46]
	; wave barrier
	ds_load_u8 v0, v19
	ds_load_u8 v71, v19 offset:32
	ds_load_u8 v72, v19 offset:64
	ds_load_u8 v73, v19 offset:96
	ds_load_u8 v74, v19 offset:128
	ds_load_u8 v75, v19 offset:160
	ds_load_u8 v76, v19 offset:192
	ds_load_u8 v77, v19 offset:224
	v_mad_u32_u24 v17, v17, 56, v18
	v_mad_u32_u24 v18, v19, 7, v19
	s_wait_loadcnt_dscnt 0x0
	s_barrier_signal -1
	s_barrier_wait -1
	global_inv scope:SCOPE_SE
	ds_store_b128 v17, v[13:16]
	ds_store_b128 v17, v[9:12] offset:16
	ds_store_b128 v17, v[5:8] offset:32
	;; [unrolled: 1-line block ×3, first 2 shown]
	; wave barrier
	ds_load_2addr_b64 v[29:32], v18 offset1:32
	ds_load_2addr_b64 v[25:28], v18 offset0:64 offset1:96
	ds_load_2addr_b64 v[21:24], v18 offset0:128 offset1:160
	;; [unrolled: 1-line block ×3, first 2 shown]
	s_wait_loadcnt_dscnt 0x0
	s_barrier_signal -1
	s_barrier_wait -1
	global_inv scope:SCOPE_SE
	s_load_b32 s11, s[18:19], 0xc
	s_wait_kmcnt 0x0
	s_min_u32 s1, s1, 8
	s_delay_alu instid0(SALU_CYCLE_1) | instskip(NEXT) | instid1(SALU_CYCLE_1)
	s_lshl_b32 s1, -1, s1
	s_not_b32 s9, s1
	s_wait_alu 0xfffe
	v_and_b32_e32 v33, s9, v0
	s_delay_alu instid0(VALU_DEP_1) | instskip(NEXT) | instid1(VALU_DEP_1)
	v_and_b32_e32 v39, 1, v33
	v_add_co_u32 v35, s13, v39, -1
	s_wait_alu 0xf1ff
	v_cndmask_b32_e64 v33, 0, 1, s13
	s_lshr_b32 s1, s11, 16
	s_delay_alu instid0(SALU_CYCLE_1) | instskip(SKIP_1) | instid1(VALU_DEP_2)
	v_mad_u32_u24 v34, v70, s1, v69
	s_and_b32 s1, s11, 0xffff
	v_cmp_ne_u32_e32 vcc_lo, 0, v33
	s_wait_alu 0xfffe
	s_delay_alu instid0(VALU_DEP_2) | instskip(SKIP_4) | instid1(VALU_DEP_3)
	v_mad_co_u64_u32 v[33:34], null, v34, s1, v[44:45]
	s_wait_alu 0xfffd
	v_xor_b32_e32 v34, vcc_lo, v35
	v_dual_mov_b32 v38, s23 :: v_dual_mov_b32 v35, s20
	v_dual_mov_b32 v37, s22 :: v_dual_mov_b32 v36, s21
	v_and_b32_e32 v34, exec_lo, v34
	v_lshrrev_b32_e32 v33, 3, v33
	ds_store_b128 v66, v[35:38] offset:16
	ds_store_b128 v66, v[35:38] offset:32
	v_mbcnt_lo_u32_b32 v78, v34, 0
	v_lshlrev_b32_e32 v35, 4, v39
	v_and_b32_e32 v33, 0x1ffffffc, v33
	v_cmp_ne_u32_e64 s1, 0, v34
	s_wait_loadcnt_dscnt 0x0
	v_cmp_eq_u32_e32 vcc_lo, 0, v78
	s_barrier_signal -1
	v_add_nc_u32_e32 v81, v33, v35
	s_barrier_wait -1
	global_inv scope:SCOPE_SE
	s_and_b32 s11, s1, vcc_lo
	; wave barrier
	s_wait_alu 0xfffe
	s_and_saveexec_b32 s1, s11
; %bb.34:
	v_bcnt_u32_b32 v34, v34, 0
	ds_store_b32 v81, v34 offset:16
; %bb.35:
	s_wait_alu 0xfffe
	s_or_b32 exec_lo, exec_lo, s1
	v_and_b32_e32 v34, s9, v71
	; wave barrier
	s_delay_alu instid0(VALU_DEP_1) | instskip(NEXT) | instid1(VALU_DEP_1)
	v_and_b32_e32 v34, 0xff, v34
	v_add_co_u32 v35, s1, v34, -1
	s_wait_alu 0xf1ff
	v_cndmask_b32_e64 v36, 0, 1, s1
	v_lshlrev_b32_e32 v34, 4, v34
	s_delay_alu instid0(VALU_DEP_2) | instskip(NEXT) | instid1(VALU_DEP_2)
	v_cmp_ne_u32_e32 vcc_lo, 0, v36
	v_add_nc_u32_e32 v84, v33, v34
	s_wait_alu 0xfffd
	v_xor_b32_e32 v34, vcc_lo, v35
	ds_load_b32 v79, v84 offset:16
	; wave barrier
	v_and_b32_e32 v34, exec_lo, v34
	s_delay_alu instid0(VALU_DEP_1) | instskip(SKIP_1) | instid1(VALU_DEP_2)
	v_mbcnt_lo_u32_b32 v80, v34, 0
	v_cmp_ne_u32_e64 s1, 0, v34
	v_cmp_eq_u32_e32 vcc_lo, 0, v80
	s_and_b32 s11, s1, vcc_lo
	s_wait_alu 0xfffe
	s_and_saveexec_b32 s1, s11
	s_cbranch_execz .LBB272_37
; %bb.36:
	s_wait_dscnt 0x0
	v_bcnt_u32_b32 v34, v34, v79
	ds_store_b32 v84, v34 offset:16
.LBB272_37:
	s_wait_alu 0xfffe
	s_or_b32 exec_lo, exec_lo, s1
	v_and_b32_e32 v34, s9, v72
	; wave barrier
	s_delay_alu instid0(VALU_DEP_1) | instskip(NEXT) | instid1(VALU_DEP_1)
	v_and_b32_e32 v34, 0xff, v34
	v_add_co_u32 v35, s1, v34, -1
	s_wait_alu 0xf1ff
	v_cndmask_b32_e64 v36, 0, 1, s1
	v_lshlrev_b32_e32 v34, 4, v34
	s_delay_alu instid0(VALU_DEP_2) | instskip(NEXT) | instid1(VALU_DEP_2)
	v_cmp_ne_u32_e32 vcc_lo, 0, v36
	v_add_nc_u32_e32 v87, v33, v34
	s_wait_alu 0xfffd
	v_xor_b32_e32 v34, vcc_lo, v35
	ds_load_b32 v82, v87 offset:16
	; wave barrier
	v_and_b32_e32 v34, exec_lo, v34
	s_delay_alu instid0(VALU_DEP_1) | instskip(SKIP_1) | instid1(VALU_DEP_2)
	v_mbcnt_lo_u32_b32 v83, v34, 0
	v_cmp_ne_u32_e64 s1, 0, v34
	v_cmp_eq_u32_e32 vcc_lo, 0, v83
	s_and_b32 s11, s1, vcc_lo
	s_wait_alu 0xfffe
	s_and_saveexec_b32 s1, s11
	s_cbranch_execz .LBB272_39
; %bb.38:
	s_wait_dscnt 0x0
	v_bcnt_u32_b32 v34, v34, v82
	ds_store_b32 v87, v34 offset:16
.LBB272_39:
	;; [unrolled: 31-line block ×7, first 2 shown]
	s_wait_alu 0xfffe
	s_or_b32 exec_lo, exec_lo, s1
	; wave barrier
	s_wait_loadcnt_dscnt 0x0
	s_barrier_signal -1
	s_barrier_wait -1
	global_inv scope:SCOPE_SE
	ds_load_b128 v[37:40], v66 offset:16
	ds_load_b128 v[33:36], v66 offset:32
	v_min_u32_e32 v103, 0x60, v68
	s_mov_b32 s1, exec_lo
	s_wait_dscnt 0x1
	v_add_nc_u32_e32 v101, v38, v37
	s_delay_alu instid0(VALU_DEP_1) | instskip(SKIP_1) | instid1(VALU_DEP_1)
	v_add3_u32 v101, v101, v39, v40
	s_wait_dscnt 0x0
	v_add3_u32 v101, v101, v33, v34
	s_delay_alu instid0(VALU_DEP_1) | instskip(SKIP_1) | instid1(VALU_DEP_2)
	v_add3_u32 v36, v101, v35, v36
	v_and_b32_e32 v101, 15, v67
	v_mov_b32_dpp v102, v36 row_shr:1 row_mask:0xf bank_mask:0xf
	s_delay_alu instid0(VALU_DEP_2) | instskip(SKIP_1) | instid1(VALU_DEP_2)
	v_cmp_ne_u32_e32 vcc_lo, 0, v101
	s_wait_alu 0xfffd
	v_cndmask_b32_e32 v102, 0, v102, vcc_lo
	v_cmp_lt_u32_e32 vcc_lo, 1, v101
	s_delay_alu instid0(VALU_DEP_2) | instskip(NEXT) | instid1(VALU_DEP_1)
	v_add_nc_u32_e32 v36, v102, v36
	v_mov_b32_dpp v102, v36 row_shr:2 row_mask:0xf bank_mask:0xf
	s_wait_alu 0xfffd
	s_delay_alu instid0(VALU_DEP_1) | instskip(SKIP_1) | instid1(VALU_DEP_2)
	v_cndmask_b32_e32 v102, 0, v102, vcc_lo
	v_cmp_lt_u32_e32 vcc_lo, 3, v101
	v_add_nc_u32_e32 v36, v36, v102
	s_delay_alu instid0(VALU_DEP_1) | instskip(SKIP_1) | instid1(VALU_DEP_1)
	v_mov_b32_dpp v102, v36 row_shr:4 row_mask:0xf bank_mask:0xf
	s_wait_alu 0xfffd
	v_cndmask_b32_e32 v102, 0, v102, vcc_lo
	v_cmp_lt_u32_e32 vcc_lo, 7, v101
	s_delay_alu instid0(VALU_DEP_2) | instskip(NEXT) | instid1(VALU_DEP_1)
	v_add_nc_u32_e32 v36, v36, v102
	v_mov_b32_dpp v102, v36 row_shr:8 row_mask:0xf bank_mask:0xf
	s_wait_alu 0xfffd
	s_delay_alu instid0(VALU_DEP_1) | instskip(SKIP_1) | instid1(VALU_DEP_2)
	v_cndmask_b32_e32 v101, 0, v102, vcc_lo
	v_bfe_i32 v102, v67, 4, 1
	v_add_nc_u32_e32 v36, v36, v101
	ds_swizzle_b32 v101, v36 offset:swizzle(BROADCAST,32,15)
	s_wait_dscnt 0x0
	v_and_b32_e32 v101, v102, v101
	v_or_b32_e32 v102, 31, v103
	s_delay_alu instid0(VALU_DEP_2) | instskip(NEXT) | instid1(VALU_DEP_2)
	v_add_nc_u32_e32 v36, v36, v101
	v_cmpx_eq_u32_e64 v44, v102
; %bb.50:
	v_lshlrev_b32_e32 v101, 2, v65
	ds_store_b32 v101, v36
; %bb.51:
	s_wait_alu 0xfffe
	s_or_b32 exec_lo, exec_lo, s1
	s_delay_alu instid0(SALU_CYCLE_1)
	s_mov_b32 s1, exec_lo
	s_wait_loadcnt_dscnt 0x0
	s_barrier_signal -1
	s_barrier_wait -1
	global_inv scope:SCOPE_SE
	v_cmpx_gt_u32_e32 4, v44
	s_cbranch_execz .LBB272_53
; %bb.52:
	v_lshlrev_b32_e32 v101, 2, v44
	ds_load_b32 v102, v101
	s_wait_dscnt 0x0
	v_mov_b32_dpp v104, v102 row_shr:1 row_mask:0xf bank_mask:0xf
	v_and_b32_e32 v103, 3, v67
	s_delay_alu instid0(VALU_DEP_1) | instskip(SKIP_1) | instid1(VALU_DEP_3)
	v_cmp_ne_u32_e32 vcc_lo, 0, v103
	s_wait_alu 0xfffd
	v_cndmask_b32_e32 v104, 0, v104, vcc_lo
	v_cmp_lt_u32_e32 vcc_lo, 1, v103
	s_delay_alu instid0(VALU_DEP_2) | instskip(NEXT) | instid1(VALU_DEP_1)
	v_add_nc_u32_e32 v102, v104, v102
	v_mov_b32_dpp v104, v102 row_shr:2 row_mask:0xf bank_mask:0xf
	s_wait_alu 0xfffd
	s_delay_alu instid0(VALU_DEP_1) | instskip(NEXT) | instid1(VALU_DEP_1)
	v_cndmask_b32_e32 v103, 0, v104, vcc_lo
	v_add_nc_u32_e32 v102, v102, v103
	ds_store_b32 v101, v102
.LBB272_53:
	s_wait_alu 0xfffe
	s_or_b32 exec_lo, exec_lo, s1
	v_mov_b32_e32 v101, 0
	s_mov_b32 s1, exec_lo
	s_wait_loadcnt_dscnt 0x0
	s_barrier_signal -1
	s_barrier_wait -1
	global_inv scope:SCOPE_SE
	v_cmpx_lt_u32_e32 31, v44
; %bb.54:
	v_lshl_add_u32 v101, v65, 2, -4
	ds_load_b32 v101, v101
; %bb.55:
	s_wait_alu 0xfffe
	s_or_b32 exec_lo, exec_lo, s1
	v_sub_co_u32 v102, vcc_lo, v67, 1
	s_wait_dscnt 0x0
	v_add_nc_u32_e32 v36, v101, v36
	s_delay_alu instid0(VALU_DEP_2) | instskip(SKIP_1) | instid1(VALU_DEP_1)
	v_cmp_gt_i32_e64 s1, 0, v102
	s_wait_alu 0xf1ff
	v_cndmask_b32_e64 v102, v102, v67, s1
	s_delay_alu instid0(VALU_DEP_1)
	v_lshlrev_b32_e32 v102, 2, v102
	ds_bpermute_b32 v36, v102, v36
	s_wait_dscnt 0x0
	s_wait_alu 0xfffd
	v_cndmask_b32_e32 v36, v36, v101, vcc_lo
	v_cmp_ne_u32_e32 vcc_lo, 0, v44
	s_wait_alu 0xfffd
	s_delay_alu instid0(VALU_DEP_2) | instskip(NEXT) | instid1(VALU_DEP_1)
	v_cndmask_b32_e32 v36, 0, v36, vcc_lo
	v_add_nc_u32_e32 v37, v36, v37
	s_delay_alu instid0(VALU_DEP_1) | instskip(NEXT) | instid1(VALU_DEP_1)
	v_add_nc_u32_e32 v38, v37, v38
	v_add_nc_u32_e32 v39, v38, v39
	s_delay_alu instid0(VALU_DEP_1) | instskip(NEXT) | instid1(VALU_DEP_1)
	v_add_nc_u32_e32 v101, v39, v40
	v_add_nc_u32_e32 v102, v101, v33
	s_delay_alu instid0(VALU_DEP_1) | instskip(NEXT) | instid1(VALU_DEP_1)
	v_add_nc_u32_e32 v103, v102, v34
	v_add_nc_u32_e32 v104, v103, v35
	ds_store_b128 v66, v[36:39] offset:16
	ds_store_b128 v66, v[101:104] offset:32
	s_wait_loadcnt_dscnt 0x0
	s_barrier_signal -1
	s_barrier_wait -1
	global_inv scope:SCOPE_SE
	ds_load_b32 v33, v81 offset:16
	ds_load_b32 v34, v84 offset:16
	;; [unrolled: 1-line block ×8, first 2 shown]
	v_mad_u32_u24 v81, v44, 56, v61
	s_wait_loadcnt_dscnt 0x0
	s_barrier_signal -1
	s_barrier_wait -1
	global_inv scope:SCOPE_SE
	v_add_nc_u32_e32 v78, v33, v78
	v_add3_u32 v79, v80, v79, v34
	v_add3_u32 v35, v83, v82, v35
	;; [unrolled: 1-line block ×7, first 2 shown]
	ds_store_b8 v78, v0
	ds_store_b8 v79, v71
	ds_store_b8 v35, v72
	ds_store_b8 v36, v73
	ds_store_b8 v37, v74
	ds_store_b8 v38, v75
	ds_store_b8 v39, v76
	ds_store_b8 v40, v77
	v_lshlrev_b32_e32 v0, 3, v78
	v_lshlrev_b32_e32 v71, 3, v79
	;; [unrolled: 1-line block ×5, first 2 shown]
	s_wait_loadcnt_dscnt 0x0
	s_barrier_signal -1
	s_barrier_wait -1
	global_inv scope:SCOPE_SE
	ds_load_b64 v[33:34], v61
	s_wait_loadcnt_dscnt 0x0
	s_barrier_signal -1
	s_barrier_wait -1
	global_inv scope:SCOPE_SE
	v_lshlrev_b32_e32 v38, 3, v38
	v_lshlrev_b32_e32 v39, 3, v39
	;; [unrolled: 1-line block ×3, first 2 shown]
	ds_store_b64 v0, v[29:30]
	ds_store_b64 v71, v[31:32]
	;; [unrolled: 1-line block ×8, first 2 shown]
	s_wait_loadcnt_dscnt 0x0
	s_barrier_signal -1
	s_barrier_wait -1
	global_inv scope:SCOPE_SE
	ds_load_b128 v[29:32], v81
	ds_load_b128 v[25:28], v81 offset:16
	ds_load_b128 v[21:24], v81 offset:32
	;; [unrolled: 1-line block ×3, first 2 shown]
	s_branch .LBB272_87
.LBB272_56:
	v_lshlrev_b64_e32 v[1:2], 3, v[41:42]
	v_dual_mov_b32 v43, v42 :: v_dual_mov_b32 v10, v42
	v_dual_mov_b32 v9, v42 :: v_dual_mov_b32 v12, v42
	v_mov_b32_e32 v11, v42
	s_delay_alu instid0(VALU_DEP_4) | instskip(NEXT) | instid1(VALU_DEP_1)
	v_add_co_u32 v1, vcc_lo, s16, v1
	v_add_co_ci_u32_e64 v2, null, s17, v2, vcc_lo
	v_dual_mov_b32 v3, v42 :: v_dual_mov_b32 v6, v42
	v_dual_mov_b32 v5, v42 :: v_dual_mov_b32 v8, v42
	global_load_b64 v[13:14], v[1:2], off
	v_dual_mov_b32 v1, v42 :: v_dual_mov_b32 v4, v42
	v_dual_mov_b32 v2, v42 :: v_dual_mov_b32 v7, v42
	s_or_b32 exec_lo, exec_lo, s1
	s_and_saveexec_b32 s1, s3
	s_cbranch_execz .LBB272_25
.LBB272_57:
	v_mul_lo_u32 v30, s12, v28
	v_mov_b32_e32 v31, 0
	s_delay_alu instid0(VALU_DEP_1) | instskip(NEXT) | instid1(VALU_DEP_1)
	v_lshlrev_b64_e32 v[30:31], 3, v[30:31]
	v_add_co_u32 v30, vcc_lo, s16, v30
	s_wait_alu 0xfffd
	s_delay_alu instid0(VALU_DEP_2)
	v_add_co_ci_u32_e64 v31, null, s17, v31, vcc_lo
	global_load_b64 v[42:43], v[30:31], off
	s_or_b32 exec_lo, exec_lo, s1
	s_and_saveexec_b32 s1, s4
	s_cbranch_execz .LBB272_26
.LBB272_58:
	v_mul_lo_u32 v9, s12, v24
	v_mov_b32_e32 v10, 0
	s_delay_alu instid0(VALU_DEP_1) | instskip(NEXT) | instid1(VALU_DEP_1)
	v_lshlrev_b64_e32 v[9:10], 3, v[9:10]
	v_add_co_u32 v9, vcc_lo, s16, v9
	s_wait_alu 0xfffd
	s_delay_alu instid0(VALU_DEP_2)
	v_add_co_ci_u32_e64 v10, null, s17, v10, vcc_lo
	global_load_b64 v[9:10], v[9:10], off
	s_or_b32 exec_lo, exec_lo, s1
	s_and_saveexec_b32 s1, s5
	s_cbranch_execz .LBB272_27
.LBB272_59:
	v_mul_lo_u32 v11, s12, v21
	v_mov_b32_e32 v12, 0
	s_delay_alu instid0(VALU_DEP_1) | instskip(NEXT) | instid1(VALU_DEP_1)
	v_lshlrev_b64_e32 v[11:12], 3, v[11:12]
	v_add_co_u32 v11, vcc_lo, s16, v11
	s_wait_alu 0xfffd
	s_delay_alu instid0(VALU_DEP_2)
	v_add_co_ci_u32_e64 v12, null, s17, v12, vcc_lo
	global_load_b64 v[11:12], v[11:12], off
	s_or_b32 exec_lo, exec_lo, s1
	s_and_saveexec_b32 s1, s6
	s_cbranch_execz .LBB272_28
.LBB272_60:
	v_mul_lo_u32 v1, s12, v19
	v_mov_b32_e32 v2, 0
	s_delay_alu instid0(VALU_DEP_1) | instskip(NEXT) | instid1(VALU_DEP_1)
	v_lshlrev_b64_e32 v[1:2], 3, v[1:2]
	v_add_co_u32 v1, vcc_lo, s16, v1
	s_wait_alu 0xfffd
	s_delay_alu instid0(VALU_DEP_2)
	v_add_co_ci_u32_e64 v2, null, s17, v2, vcc_lo
	global_load_b64 v[1:2], v[1:2], off
	s_or_b32 exec_lo, exec_lo, s1
	s_and_saveexec_b32 s1, s7
	s_cbranch_execz .LBB272_29
.LBB272_61:
	v_mul_lo_u32 v3, s12, v17
	v_mov_b32_e32 v4, 0
	s_delay_alu instid0(VALU_DEP_1) | instskip(NEXT) | instid1(VALU_DEP_1)
	v_lshlrev_b64_e32 v[3:4], 3, v[3:4]
	v_add_co_u32 v3, vcc_lo, s16, v3
	s_wait_alu 0xfffd
	s_delay_alu instid0(VALU_DEP_2)
	v_add_co_ci_u32_e64 v4, null, s17, v4, vcc_lo
	global_load_b64 v[3:4], v[3:4], off
	s_or_b32 exec_lo, exec_lo, s1
	s_and_saveexec_b32 s1, s8
	s_cbranch_execz .LBB272_30
.LBB272_62:
	v_mul_lo_u32 v5, s12, v16
	v_mov_b32_e32 v6, 0
	s_delay_alu instid0(VALU_DEP_1) | instskip(NEXT) | instid1(VALU_DEP_1)
	v_lshlrev_b64_e32 v[5:6], 3, v[5:6]
	v_add_co_u32 v5, vcc_lo, s16, v5
	s_wait_alu 0xfffd
	s_delay_alu instid0(VALU_DEP_2)
	v_add_co_ci_u32_e64 v6, null, s17, v6, vcc_lo
	global_load_b64 v[5:6], v[5:6], off
	s_or_b32 exec_lo, exec_lo, s1
	s_and_saveexec_b32 s1, s0
	s_cbranch_execnz .LBB272_31
	s_branch .LBB272_32
.LBB272_63:
                                        ; implicit-def: $vgpr19_vgpr20
                                        ; implicit-def: $vgpr23_vgpr24
                                        ; implicit-def: $vgpr27_vgpr28
                                        ; implicit-def: $vgpr31_vgpr32
                                        ; implicit-def: $vgpr34
	s_cbranch_execz .LBB272_87
; %bb.64:
	v_lshrrev_b16 v0, 8, v45
	s_wait_dscnt 0x0
	v_lshrrev_b32_e32 v17, 24, v45
	v_lshrrev_b32_e32 v18, 16, v45
	;; [unrolled: 1-line block ×3, first 2 shown]
	v_lshrrev_b16 v21, 8, v46
	v_and_b32_e32 v0, 1, v0
	v_and_b32_e32 v17, 1, v17
	;; [unrolled: 1-line block ×3, first 2 shown]
	v_lshrrev_b32_e32 v20, 16, v46
	v_and_b32_e32 v19, 1, v19
	v_cmp_eq_u32_e32 vcc_lo, 1, v0
	v_cmp_ne_u32_e64 s1, 1, v17
	v_and_b32_e32 v0, 1, v18
	v_and_b32_e32 v18, 1, v21
	;; [unrolled: 1-line block ×4, first 2 shown]
	v_cndmask_b32_e64 v17, 0, 1, s1
	s_xor_b32 s1, vcc_lo, -1
	v_cmp_ne_u32_e32 vcc_lo, 1, v0
	s_wait_alu 0xfffe
	v_cndmask_b32_e64 v21, 0, 1, s1
	v_cmp_ne_u32_e64 s1, 1, v22
	v_lshlrev_b16 v17, 8, v17
	s_wait_alu 0xfffd
	v_cndmask_b32_e64 v0, 0, 1, vcc_lo
	v_cmp_eq_u32_e32 vcc_lo, 1, v18
	s_wait_alu 0xf1ff
	v_cndmask_b32_e64 v18, 0, 1, s1
	v_cmp_ne_u32_e64 s1, 1, v19
	v_lshlrev_b16 v21, 8, v21
	v_or_b32_e32 v0, v0, v17
	s_wait_alu 0xf1ff
	s_delay_alu instid0(VALU_DEP_3)
	v_cndmask_b32_e64 v19, 0, 1, s1
	s_xor_b32 s1, vcc_lo, -1
	v_cmp_ne_u32_e32 vcc_lo, 1, v20
	s_wait_alu 0xfffe
	v_cndmask_b32_e64 v22, 0, 1, s1
	v_or_b32_e32 v17, v18, v21
	v_lshlrev_b16 v19, 8, v19
	s_getpc_b64 s[20:21]
	s_sext_i32_i16 s21, s21
	s_add_co_u32 s20, s20, _ZN7rocprim17ROCPRIM_400000_NS16block_radix_sortIbLj128ELj8ElLj1ELj1ELj0ELNS0_26block_radix_rank_algorithmE1ELNS0_18block_padding_hintE2ELNS0_4arch9wavefront6targetE0EE19radix_bits_per_passE@rel32@lo+8
	s_add_co_ci_u32 s21, s21, _ZN7rocprim17ROCPRIM_400000_NS16block_radix_sortIbLj128ELj8ElLj1ELj1ELj0ELNS0_26block_radix_rank_algorithmE1ELNS0_18block_padding_hintE2ELNS0_4arch9wavefront6targetE0EE19radix_bits_per_passE@rel32@hi+16
	s_wait_alu 0xfffd
	v_cndmask_b32_e64 v20, 0, 1, vcc_lo
	v_cmp_ne_u32_e32 vcc_lo, 1, v23
	v_lshlrev_b16 v22, 8, v22
	s_load_b32 s1, s[20:21], 0x0
	v_lshlrev_b32_e32 v0, 16, v0
	v_or_b32_e32 v18, v20, v19
	v_cndmask_b32_e64 v23, 0, 1, vcc_lo
	v_or_b32_e32 v20, v67, v68
	v_and_b32_e32 v17, 0xffff, v17
	s_mov_b32 s20, 0
	v_lshlrev_b32_e32 v18, 16, v18
	v_or_b32_e32 v19, v23, v22
	v_lshlrev_b32_e32 v21, 3, v20
	v_or_b32_e32 v17, v17, v0
	v_and_or_b32 v0, 0x1f00, v61, v67
	s_mov_b32 s21, s20
	v_and_b32_e32 v19, 0xffff, v19
	s_mov_b32 s22, s20
	s_mov_b32 s23, s20
	s_delay_alu instid0(VALU_DEP_1)
	v_or_b32_e32 v18, v19, v18
	s_wait_kmcnt 0x0
	s_min_u32 s1, s1, 8
	s_wait_alu 0xfffe
	s_lshl_b32 s1, -1, s1
	ds_store_b64 v21, v[17:18]
	; wave barrier
	ds_load_u8 v24, v0
	ds_load_u8 v25, v0 offset:32
	ds_load_u8 v26, v0 offset:64
	;; [unrolled: 1-line block ×7, first 2 shown]
	v_mad_u32_u24 v17, v20, 56, v21
	v_mad_u32_u24 v0, v0, 7, v0
	s_wait_loadcnt_dscnt 0x0
	s_barrier_signal -1
	s_barrier_wait -1
	global_inv scope:SCOPE_SE
	ds_store_b128 v17, v[13:16]
	ds_store_b128 v17, v[9:12] offset:16
	ds_store_b128 v17, v[5:8] offset:32
	;; [unrolled: 1-line block ×3, first 2 shown]
	; wave barrier
	ds_load_2addr_b64 v[12:15], v0 offset1:32
	ds_load_2addr_b64 v[8:11], v0 offset0:64 offset1:96
	ds_load_2addr_b64 v[4:7], v0 offset0:128 offset1:160
	;; [unrolled: 1-line block ×3, first 2 shown]
	s_wait_loadcnt_dscnt 0x0
	s_barrier_signal -1
	s_barrier_wait -1
	global_inv scope:SCOPE_SE
	s_load_b32 s11, s[18:19], 0xc
	s_not_b32 s9, s1
	s_wait_alu 0xfffe
	v_and_b32_e32 v16, s9, v24
	s_delay_alu instid0(VALU_DEP_1) | instskip(NEXT) | instid1(VALU_DEP_1)
	v_and_b32_e32 v22, 1, v16
	v_add_co_u32 v18, s13, v22, -1
	s_wait_alu 0xf1ff
	v_cndmask_b32_e64 v16, 0, 1, s13
	s_wait_kmcnt 0x0
	s_lshr_b32 s1, s11, 16
	s_delay_alu instid0(VALU_DEP_1) | instskip(SKIP_4) | instid1(VALU_DEP_1)
	v_cmp_ne_u32_e32 vcc_lo, 0, v16
	s_wait_alu 0xfffe
	v_mad_u32_u24 v17, v70, s1, v69
	s_and_b32 s1, s11, 0xffff
	s_wait_alu 0xfffe
	v_mad_co_u64_u32 v[16:17], null, v17, s1, v[44:45]
	s_wait_alu 0xfffd
	v_xor_b32_e32 v17, vcc_lo, v18
	v_dual_mov_b32 v18, s20 :: v_dual_mov_b32 v19, s21
	v_dual_mov_b32 v20, s22 :: v_dual_mov_b32 v21, s23
	s_delay_alu instid0(VALU_DEP_3)
	v_and_b32_e32 v17, exec_lo, v17
	v_lshrrev_b32_e32 v16, 3, v16
	ds_store_b128 v66, v[18:21] offset:16
	ds_store_b128 v66, v[18:21] offset:32
	v_mbcnt_lo_u32_b32 v32, v17, 0
	v_and_b32_e32 v16, 0x1ffffffc, v16
	v_lshlrev_b32_e32 v18, 4, v22
	v_cmp_ne_u32_e64 s1, 0, v17
	s_wait_loadcnt_dscnt 0x0
	v_cmp_eq_u32_e32 vcc_lo, 0, v32
	s_barrier_signal -1
	v_add_nc_u32_e32 v35, v16, v18
	s_barrier_wait -1
	global_inv scope:SCOPE_SE
	s_and_b32 s11, s1, vcc_lo
	; wave barrier
	s_wait_alu 0xfffe
	s_and_saveexec_b32 s1, s11
; %bb.65:
	v_bcnt_u32_b32 v17, v17, 0
	ds_store_b32 v35, v17 offset:16
; %bb.66:
	s_wait_alu 0xfffe
	s_or_b32 exec_lo, exec_lo, s1
	v_and_b32_e32 v17, s9, v25
	; wave barrier
	s_delay_alu instid0(VALU_DEP_1) | instskip(NEXT) | instid1(VALU_DEP_1)
	v_and_b32_e32 v17, 0xff, v17
	v_add_co_u32 v18, s1, v17, -1
	s_wait_alu 0xf1ff
	v_cndmask_b32_e64 v19, 0, 1, s1
	v_lshlrev_b32_e32 v17, 4, v17
	s_delay_alu instid0(VALU_DEP_2) | instskip(NEXT) | instid1(VALU_DEP_2)
	v_cmp_ne_u32_e32 vcc_lo, 0, v19
	v_add_nc_u32_e32 v37, v16, v17
	s_wait_alu 0xfffd
	v_xor_b32_e32 v17, vcc_lo, v18
	ds_load_b32 v33, v37 offset:16
	; wave barrier
	v_and_b32_e32 v17, exec_lo, v17
	s_delay_alu instid0(VALU_DEP_1) | instskip(SKIP_1) | instid1(VALU_DEP_2)
	v_mbcnt_lo_u32_b32 v34, v17, 0
	v_cmp_ne_u32_e64 s1, 0, v17
	v_cmp_eq_u32_e32 vcc_lo, 0, v34
	s_and_b32 s11, s1, vcc_lo
	s_wait_alu 0xfffe
	s_and_saveexec_b32 s1, s11
	s_cbranch_execz .LBB272_68
; %bb.67:
	s_wait_dscnt 0x0
	v_bcnt_u32_b32 v17, v17, v33
	ds_store_b32 v37, v17 offset:16
.LBB272_68:
	s_wait_alu 0xfffe
	s_or_b32 exec_lo, exec_lo, s1
	v_and_b32_e32 v17, s9, v26
	; wave barrier
	s_delay_alu instid0(VALU_DEP_1) | instskip(NEXT) | instid1(VALU_DEP_1)
	v_and_b32_e32 v17, 0xff, v17
	v_add_co_u32 v18, s1, v17, -1
	s_wait_alu 0xf1ff
	v_cndmask_b32_e64 v19, 0, 1, s1
	v_lshlrev_b32_e32 v17, 4, v17
	s_delay_alu instid0(VALU_DEP_2) | instskip(NEXT) | instid1(VALU_DEP_2)
	v_cmp_ne_u32_e32 vcc_lo, 0, v19
	v_add_nc_u32_e32 v39, v16, v17
	s_wait_alu 0xfffd
	v_xor_b32_e32 v17, vcc_lo, v18
	ds_load_b32 v36, v39 offset:16
	; wave barrier
	v_and_b32_e32 v17, exec_lo, v17
	s_delay_alu instid0(VALU_DEP_1) | instskip(SKIP_1) | instid1(VALU_DEP_2)
	v_mbcnt_lo_u32_b32 v38, v17, 0
	v_cmp_ne_u32_e64 s1, 0, v17
	v_cmp_eq_u32_e32 vcc_lo, 0, v38
	s_and_b32 s11, s1, vcc_lo
	s_wait_alu 0xfffe
	s_and_saveexec_b32 s1, s11
	s_cbranch_execz .LBB272_70
; %bb.69:
	s_wait_dscnt 0x0
	v_bcnt_u32_b32 v17, v17, v36
	ds_store_b32 v39, v17 offset:16
.LBB272_70:
	;; [unrolled: 31-line block ×7, first 2 shown]
	s_wait_alu 0xfffe
	s_or_b32 exec_lo, exec_lo, s1
	; wave barrier
	s_wait_loadcnt_dscnt 0x0
	s_barrier_signal -1
	s_barrier_wait -1
	global_inv scope:SCOPE_SE
	ds_load_b128 v[20:23], v66 offset:16
	ds_load_b128 v[16:19], v66 offset:32
	v_min_u32_e32 v68, 0x60, v68
	s_mov_b32 s1, exec_lo
	s_delay_alu instid0(VALU_DEP_1) | instskip(SKIP_2) | instid1(VALU_DEP_1)
	v_or_b32_e32 v68, 31, v68
	s_wait_dscnt 0x1
	v_add_nc_u32_e32 v81, v21, v20
	v_add3_u32 v81, v81, v22, v23
	s_wait_dscnt 0x0
	s_delay_alu instid0(VALU_DEP_1) | instskip(NEXT) | instid1(VALU_DEP_1)
	v_add3_u32 v81, v81, v16, v17
	v_add3_u32 v19, v81, v18, v19
	v_and_b32_e32 v81, 15, v67
	s_delay_alu instid0(VALU_DEP_2) | instskip(NEXT) | instid1(VALU_DEP_2)
	v_mov_b32_dpp v82, v19 row_shr:1 row_mask:0xf bank_mask:0xf
	v_cmp_ne_u32_e32 vcc_lo, 0, v81
	s_wait_alu 0xfffd
	s_delay_alu instid0(VALU_DEP_2) | instskip(SKIP_1) | instid1(VALU_DEP_2)
	v_cndmask_b32_e32 v82, 0, v82, vcc_lo
	v_cmp_lt_u32_e32 vcc_lo, 1, v81
	v_add_nc_u32_e32 v19, v82, v19
	s_delay_alu instid0(VALU_DEP_1) | instskip(SKIP_1) | instid1(VALU_DEP_1)
	v_mov_b32_dpp v82, v19 row_shr:2 row_mask:0xf bank_mask:0xf
	s_wait_alu 0xfffd
	v_cndmask_b32_e32 v82, 0, v82, vcc_lo
	v_cmp_lt_u32_e32 vcc_lo, 3, v81
	s_delay_alu instid0(VALU_DEP_2) | instskip(NEXT) | instid1(VALU_DEP_1)
	v_add_nc_u32_e32 v19, v19, v82
	v_mov_b32_dpp v82, v19 row_shr:4 row_mask:0xf bank_mask:0xf
	s_wait_alu 0xfffd
	s_delay_alu instid0(VALU_DEP_1) | instskip(SKIP_1) | instid1(VALU_DEP_2)
	v_cndmask_b32_e32 v82, 0, v82, vcc_lo
	v_cmp_lt_u32_e32 vcc_lo, 7, v81
	v_add_nc_u32_e32 v19, v19, v82
	s_delay_alu instid0(VALU_DEP_1) | instskip(SKIP_1) | instid1(VALU_DEP_1)
	v_mov_b32_dpp v82, v19 row_shr:8 row_mask:0xf bank_mask:0xf
	s_wait_alu 0xfffd
	v_cndmask_b32_e32 v81, 0, v82, vcc_lo
	v_bfe_i32 v82, v67, 4, 1
	s_delay_alu instid0(VALU_DEP_2) | instskip(SKIP_3) | instid1(VALU_DEP_1)
	v_add_nc_u32_e32 v19, v19, v81
	ds_swizzle_b32 v81, v19 offset:swizzle(BROADCAST,32,15)
	s_wait_dscnt 0x0
	v_and_b32_e32 v81, v82, v81
	v_add_nc_u32_e32 v19, v19, v81
	v_cmpx_eq_u32_e64 v44, v68
; %bb.81:
	v_lshlrev_b32_e32 v68, 2, v65
	ds_store_b32 v68, v19
; %bb.82:
	s_wait_alu 0xfffe
	s_or_b32 exec_lo, exec_lo, s1
	s_delay_alu instid0(SALU_CYCLE_1)
	s_mov_b32 s1, exec_lo
	s_wait_loadcnt_dscnt 0x0
	s_barrier_signal -1
	s_barrier_wait -1
	global_inv scope:SCOPE_SE
	v_cmpx_gt_u32_e32 4, v44
	s_cbranch_execz .LBB272_84
; %bb.83:
	v_and_b32_e32 v82, 3, v67
	s_delay_alu instid0(VALU_DEP_1)
	v_cmp_ne_u32_e32 vcc_lo, 0, v82
	v_lshlrev_b32_e32 v68, 2, v44
	ds_load_b32 v81, v68
	s_wait_dscnt 0x0
	v_mov_b32_dpp v83, v81 row_shr:1 row_mask:0xf bank_mask:0xf
	s_wait_alu 0xfffd
	s_delay_alu instid0(VALU_DEP_1) | instskip(SKIP_1) | instid1(VALU_DEP_2)
	v_cndmask_b32_e32 v83, 0, v83, vcc_lo
	v_cmp_lt_u32_e32 vcc_lo, 1, v82
	v_add_nc_u32_e32 v81, v83, v81
	s_delay_alu instid0(VALU_DEP_1) | instskip(SKIP_1) | instid1(VALU_DEP_1)
	v_mov_b32_dpp v83, v81 row_shr:2 row_mask:0xf bank_mask:0xf
	s_wait_alu 0xfffd
	v_cndmask_b32_e32 v82, 0, v83, vcc_lo
	s_delay_alu instid0(VALU_DEP_1)
	v_add_nc_u32_e32 v81, v81, v82
	ds_store_b32 v68, v81
.LBB272_84:
	s_wait_alu 0xfffe
	s_or_b32 exec_lo, exec_lo, s1
	v_mov_b32_e32 v68, 0
	s_mov_b32 s1, exec_lo
	s_wait_loadcnt_dscnt 0x0
	s_barrier_signal -1
	s_barrier_wait -1
	global_inv scope:SCOPE_SE
	v_cmpx_lt_u32_e32 31, v44
; %bb.85:
	v_lshl_add_u32 v65, v65, 2, -4
	ds_load_b32 v68, v65
; %bb.86:
	s_wait_alu 0xfffe
	s_or_b32 exec_lo, exec_lo, s1
	v_sub_co_u32 v65, vcc_lo, v67, 1
	s_wait_dscnt 0x0
	v_add_nc_u32_e32 v19, v68, v19
	s_delay_alu instid0(VALU_DEP_2) | instskip(SKIP_1) | instid1(VALU_DEP_1)
	v_cmp_gt_i32_e64 s1, 0, v65
	s_wait_alu 0xf1ff
	v_cndmask_b32_e64 v65, v65, v67, s1
	s_delay_alu instid0(VALU_DEP_1)
	v_lshlrev_b32_e32 v65, 2, v65
	ds_bpermute_b32 v19, v65, v19
	s_wait_dscnt 0x0
	s_wait_alu 0xfffd
	v_cndmask_b32_e32 v19, v19, v68, vcc_lo
	v_cmp_ne_u32_e32 vcc_lo, 0, v44
	s_wait_alu 0xfffd
	s_delay_alu instid0(VALU_DEP_2) | instskip(NEXT) | instid1(VALU_DEP_1)
	v_cndmask_b32_e32 v19, 0, v19, vcc_lo
	v_add_nc_u32_e32 v20, v19, v20
	s_delay_alu instid0(VALU_DEP_1) | instskip(NEXT) | instid1(VALU_DEP_1)
	v_add_nc_u32_e32 v21, v20, v21
	v_add_nc_u32_e32 v22, v21, v22
	s_delay_alu instid0(VALU_DEP_1) | instskip(NEXT) | instid1(VALU_DEP_1)
	v_add_nc_u32_e32 v81, v22, v23
	;; [unrolled: 3-line block ×3, first 2 shown]
	v_add_nc_u32_e32 v84, v83, v18
	ds_store_b128 v66, v[19:22] offset:16
	ds_store_b128 v66, v[81:84] offset:32
	s_wait_loadcnt_dscnt 0x0
	s_barrier_signal -1
	s_barrier_wait -1
	global_inv scope:SCOPE_SE
	ds_load_b32 v16, v35 offset:16
	ds_load_b32 v17, v37 offset:16
	;; [unrolled: 1-line block ×8, first 2 shown]
	s_wait_loadcnt_dscnt 0x0
	s_barrier_signal -1
	s_barrier_wait -1
	global_inv scope:SCOPE_SE
	v_mad_u32_u24 v35, v44, 56, v61
	v_add_nc_u32_e32 v16, v16, v32
	v_add3_u32 v17, v34, v33, v17
	v_add3_u32 v18, v38, v36, v18
	;; [unrolled: 1-line block ×7, first 2 shown]
	ds_store_b8 v16, v24
	ds_store_b8 v17, v25
	;; [unrolled: 1-line block ×8, first 2 shown]
	s_wait_loadcnt_dscnt 0x0
	s_barrier_signal -1
	s_barrier_wait -1
	global_inv scope:SCOPE_SE
	ds_load_b64 v[33:34], v61
	v_lshlrev_b32_e32 v16, 3, v16
	v_lshlrev_b32_e32 v17, 3, v17
	;; [unrolled: 1-line block ×8, first 2 shown]
	s_wait_loadcnt_dscnt 0x0
	s_barrier_signal -1
	s_barrier_wait -1
	global_inv scope:SCOPE_SE
	ds_store_b64 v16, v[12:13]
	ds_store_b64 v17, v[14:15]
	;; [unrolled: 1-line block ×8, first 2 shown]
	s_wait_loadcnt_dscnt 0x0
	s_barrier_signal -1
	s_barrier_wait -1
	global_inv scope:SCOPE_SE
	ds_load_b128 v[29:32], v35
	ds_load_b128 v[25:28], v35 offset:16
	ds_load_b128 v[21:24], v35 offset:32
	;; [unrolled: 1-line block ×3, first 2 shown]
	v_lshrrev_b32_e32 v0, 16, v33
	v_lshrrev_b32_e32 v3, 16, v34
	v_and_b32_e32 v1, 0xffffff00, v33
	v_xor_b32_e32 v2, 1, v33
	v_and_b32_e32 v4, 0xffffff00, v34
	v_xor_b32_e32 v5, 1, v34
	;; [unrolled: 2-line block ×4, first 2 shown]
	v_xor_b32_e32 v1, 0x100, v1
	v_and_b32_e32 v2, 0xff, v2
	v_xor_b32_e32 v4, 0x100, v4
	v_and_b32_e32 v5, 0xff, v5
	;; [unrolled: 2-line block ×4, first 2 shown]
	v_or_b32_e32 v1, v2, v1
	v_or_b32_e32 v2, v5, v4
	;; [unrolled: 1-line block ×3, first 2 shown]
	s_delay_alu instid0(VALU_DEP_4) | instskip(NEXT) | instid1(VALU_DEP_4)
	v_or_b32_e32 v3, v3, v7
	v_and_b32_e32 v1, 0xffff, v1
	s_delay_alu instid0(VALU_DEP_4) | instskip(NEXT) | instid1(VALU_DEP_4)
	v_and_b32_e32 v2, 0xffff, v2
	v_lshlrev_b32_e32 v0, 16, v0
	s_delay_alu instid0(VALU_DEP_4) | instskip(NEXT) | instid1(VALU_DEP_2)
	v_lshlrev_b32_e32 v3, 16, v3
	v_or_b32_e32 v33, v1, v0
	s_delay_alu instid0(VALU_DEP_2)
	v_or_b32_e32 v34, v2, v3
.LBB272_87:
	s_wait_loadcnt_dscnt 0x0
	s_barrier_signal -1
	s_barrier_wait -1
	global_inv scope:SCOPE_SE
	ds_store_2addr_b32 v56, v33, v34 offset1:1
	s_wait_loadcnt_dscnt 0x0
	s_barrier_signal -1
	s_barrier_wait -1
	global_inv scope:SCOPE_SE
	ds_load_u8 v8, v49 offset:128
	ds_load_u8 v7, v50 offset:256
	;; [unrolled: 1-line block ×7, first 2 shown]
	v_add_co_u32 v0, s1, s14, v47
	s_wait_alu 0xf1ff
	v_add_co_ci_u32_e64 v1, null, s15, 0, s1
	s_and_saveexec_b32 s1, s2
	s_cbranch_execnz .LBB272_106
; %bb.88:
	s_wait_alu 0xfffe
	s_or_b32 exec_lo, exec_lo, s1
	s_and_saveexec_b32 s1, s3
	s_cbranch_execnz .LBB272_107
.LBB272_89:
	s_wait_alu 0xfffe
	s_or_b32 exec_lo, exec_lo, s1
	s_and_saveexec_b32 s1, s4
	s_cbranch_execnz .LBB272_108
.LBB272_90:
	s_wait_alu 0xfffe
	s_or_b32 exec_lo, exec_lo, s1
	s_and_saveexec_b32 s1, s5
	s_cbranch_execnz .LBB272_109
.LBB272_91:
	s_wait_alu 0xfffe
	s_or_b32 exec_lo, exec_lo, s1
	s_and_saveexec_b32 s1, s6
	s_cbranch_execnz .LBB272_110
.LBB272_92:
	s_wait_alu 0xfffe
	s_or_b32 exec_lo, exec_lo, s1
	s_and_saveexec_b32 s1, s7
	s_cbranch_execnz .LBB272_111
.LBB272_93:
	s_wait_alu 0xfffe
	s_or_b32 exec_lo, exec_lo, s1
	s_and_saveexec_b32 s1, s8
	s_cbranch_execnz .LBB272_112
.LBB272_94:
	s_wait_alu 0xfffe
	s_or_b32 exec_lo, exec_lo, s1
	s_and_saveexec_b32 s1, s0
	s_cbranch_execz .LBB272_96
.LBB272_95:
	s_mul_i32 s9, s10, 0x380
	s_wait_alu 0xfffe
	v_add_co_u32 v0, vcc_lo, v0, s9
	s_wait_alu 0xfffd
	v_add_co_ci_u32_e64 v1, null, 0, v1, vcc_lo
	s_wait_dscnt 0x0
	global_store_b8 v[0:1], v2, off
.LBB272_96:
	s_wait_alu 0xfffe
	s_or_b32 exec_lo, exec_lo, s1
	s_wait_storecnt 0x0
	s_wait_loadcnt_dscnt 0x0
	s_barrier_signal -1
	s_barrier_wait -1
	global_inv scope:SCOPE_SE
	ds_store_2addr_b64 v64, v[29:30], v[31:32] offset1:1
	ds_store_2addr_b64 v64, v[25:26], v[27:28] offset0:2 offset1:3
	ds_store_2addr_b64 v64, v[21:22], v[23:24] offset0:4 offset1:5
	;; [unrolled: 1-line block ×3, first 2 shown]
	s_wait_loadcnt_dscnt 0x0
	s_barrier_signal -1
	s_barrier_wait -1
	global_inv scope:SCOPE_SE
	ds_load_b64 v[14:15], v58 offset:1024
	ds_load_b64 v[12:13], v59 offset:2048
	;; [unrolled: 1-line block ×7, first 2 shown]
	v_mov_b32_e32 v42, 0
	s_delay_alu instid0(VALU_DEP_1) | instskip(NEXT) | instid1(VALU_DEP_1)
	v_lshlrev_b64_e32 v[2:3], 3, v[41:42]
	v_add_co_u32 v2, vcc_lo, s16, v2
	s_wait_alu 0xfffd
	s_delay_alu instid0(VALU_DEP_2)
	v_add_co_ci_u32_e64 v3, null, s17, v3, vcc_lo
	s_and_saveexec_b32 s1, s2
	s_cbranch_execnz .LBB272_113
; %bb.97:
	s_wait_alu 0xfffe
	s_or_b32 exec_lo, exec_lo, s1
	s_and_saveexec_b32 s1, s3
	s_cbranch_execnz .LBB272_114
.LBB272_98:
	s_wait_alu 0xfffe
	s_or_b32 exec_lo, exec_lo, s1
	s_and_saveexec_b32 s1, s4
	s_cbranch_execnz .LBB272_115
.LBB272_99:
	s_wait_alu 0xfffe
	s_or_b32 exec_lo, exec_lo, s1
	s_and_saveexec_b32 s1, s5
	s_cbranch_execnz .LBB272_116
.LBB272_100:
	s_wait_alu 0xfffe
	s_or_b32 exec_lo, exec_lo, s1
	s_and_saveexec_b32 s1, s6
	s_cbranch_execnz .LBB272_117
.LBB272_101:
	s_wait_alu 0xfffe
	s_or_b32 exec_lo, exec_lo, s1
	s_and_saveexec_b32 s1, s7
	s_cbranch_execnz .LBB272_118
.LBB272_102:
	s_wait_alu 0xfffe
	s_or_b32 exec_lo, exec_lo, s1
	s_and_saveexec_b32 s1, s8
	s_cbranch_execnz .LBB272_119
.LBB272_103:
	s_wait_alu 0xfffe
	s_or_b32 exec_lo, exec_lo, s1
	s_and_saveexec_b32 s1, s0
	s_cbranch_execz .LBB272_105
.LBB272_104:
	s_mul_i32 s0, s12, 0x380
	s_mov_b32 s1, 0
	s_wait_alu 0xfffe
	s_lshl_b64 s[0:1], s[0:1], 3
	s_wait_alu 0xfffe
	v_add_co_u32 v2, vcc_lo, v2, s0
	s_wait_alu 0xfffd
	v_add_co_ci_u32_e64 v3, null, s1, v3, vcc_lo
	s_wait_dscnt 0x0
	global_store_b64 v[2:3], v[0:1], off
.LBB272_105:
	s_nop 0
	s_sendmsg sendmsg(MSG_DEALLOC_VGPRS)
	s_endpgm
.LBB272_106:
	ds_load_u8 v9, v48
	s_wait_dscnt 0x0
	global_store_b8 v[0:1], v9, off
	s_wait_alu 0xfffe
	s_or_b32 exec_lo, exec_lo, s1
	s_and_saveexec_b32 s1, s3
	s_cbranch_execz .LBB272_89
.LBB272_107:
	s_lshl_b32 s9, s10, 7
	s_wait_alu 0xfffe
	v_add_co_u32 v9, vcc_lo, v0, s9
	s_wait_alu 0xfffd
	v_add_co_ci_u32_e64 v10, null, 0, v1, vcc_lo
	s_wait_dscnt 0x6
	global_store_b8 v[9:10], v8, off
	s_or_b32 exec_lo, exec_lo, s1
	s_and_saveexec_b32 s1, s4
	s_cbranch_execz .LBB272_90
.LBB272_108:
	s_lshl_b32 s9, s10, 8
	s_wait_dscnt 0x6
	s_wait_alu 0xfffe
	v_add_co_u32 v8, vcc_lo, v0, s9
	s_wait_alu 0xfffd
	v_add_co_ci_u32_e64 v9, null, 0, v1, vcc_lo
	s_wait_dscnt 0x5
	global_store_b8 v[8:9], v7, off
	s_or_b32 exec_lo, exec_lo, s1
	s_and_saveexec_b32 s1, s5
	s_cbranch_execz .LBB272_91
.LBB272_109:
	s_mul_i32 s9, s10, 0x180
	s_wait_dscnt 0x5
	s_wait_alu 0xfffe
	v_add_co_u32 v7, vcc_lo, v0, s9
	s_wait_alu 0xfffd
	v_add_co_ci_u32_e64 v8, null, 0, v1, vcc_lo
	s_wait_dscnt 0x4
	global_store_b8 v[7:8], v6, off
	s_or_b32 exec_lo, exec_lo, s1
	s_and_saveexec_b32 s1, s6
	s_cbranch_execz .LBB272_92
.LBB272_110:
	s_lshl_b32 s9, s10, 9
	s_wait_dscnt 0x4
	s_wait_alu 0xfffe
	v_add_co_u32 v6, vcc_lo, v0, s9
	s_wait_alu 0xfffd
	v_add_co_ci_u32_e64 v7, null, 0, v1, vcc_lo
	s_wait_dscnt 0x3
	global_store_b8 v[6:7], v5, off
	s_or_b32 exec_lo, exec_lo, s1
	s_and_saveexec_b32 s1, s7
	s_cbranch_execz .LBB272_93
.LBB272_111:
	s_mul_i32 s9, s10, 0x280
	s_wait_dscnt 0x3
	s_wait_alu 0xfffe
	v_add_co_u32 v5, vcc_lo, v0, s9
	s_wait_alu 0xfffd
	v_add_co_ci_u32_e64 v6, null, 0, v1, vcc_lo
	s_wait_dscnt 0x2
	global_store_b8 v[5:6], v4, off
	s_or_b32 exec_lo, exec_lo, s1
	s_and_saveexec_b32 s1, s8
	s_cbranch_execz .LBB272_94
.LBB272_112:
	s_mul_i32 s9, s10, 0x300
	s_wait_dscnt 0x2
	s_wait_alu 0xfffe
	v_add_co_u32 v4, vcc_lo, v0, s9
	s_wait_alu 0xfffd
	v_add_co_ci_u32_e64 v5, null, 0, v1, vcc_lo
	s_wait_dscnt 0x1
	global_store_b8 v[4:5], v3, off
	s_or_b32 exec_lo, exec_lo, s1
	s_and_saveexec_b32 s1, s0
	s_cbranch_execnz .LBB272_95
	s_branch .LBB272_96
.LBB272_113:
	ds_load_b64 v[16:17], v57
	s_wait_dscnt 0x0
	global_store_b64 v[2:3], v[16:17], off
	s_wait_alu 0xfffe
	s_or_b32 exec_lo, exec_lo, s1
	s_and_saveexec_b32 s1, s3
	s_cbranch_execz .LBB272_98
.LBB272_114:
	s_lshl_b32 s2, s12, 7
	s_mov_b32 s3, 0
	s_delay_alu instid0(SALU_CYCLE_1) | instskip(NEXT) | instid1(SALU_CYCLE_1)
	s_lshl_b64 s[2:3], s[2:3], 3
	v_add_co_u32 v16, vcc_lo, v2, s2
	s_wait_alu 0xfffd
	v_add_co_ci_u32_e64 v17, null, s3, v3, vcc_lo
	s_wait_dscnt 0x6
	global_store_b64 v[16:17], v[14:15], off
	s_wait_alu 0xfffe
	s_or_b32 exec_lo, exec_lo, s1
	s_and_saveexec_b32 s1, s4
	s_cbranch_execz .LBB272_99
.LBB272_115:
	s_lshl_b32 s2, s12, 8
	s_mov_b32 s3, 0
	s_wait_alu 0xfffe
	s_lshl_b64 s[2:3], s[2:3], 3
	s_wait_dscnt 0x6
	s_wait_alu 0xfffe
	v_add_co_u32 v14, vcc_lo, v2, s2
	s_wait_alu 0xfffd
	v_add_co_ci_u32_e64 v15, null, s3, v3, vcc_lo
	s_wait_dscnt 0x5
	global_store_b64 v[14:15], v[12:13], off
	s_or_b32 exec_lo, exec_lo, s1
	s_and_saveexec_b32 s1, s5
	s_cbranch_execz .LBB272_100
.LBB272_116:
	s_mul_i32 s2, s12, 0x180
	s_mov_b32 s3, 0
	s_wait_alu 0xfffe
	s_lshl_b64 s[2:3], s[2:3], 3
	s_wait_dscnt 0x5
	s_wait_alu 0xfffe
	v_add_co_u32 v12, vcc_lo, v2, s2
	s_wait_alu 0xfffd
	v_add_co_ci_u32_e64 v13, null, s3, v3, vcc_lo
	s_wait_dscnt 0x4
	global_store_b64 v[12:13], v[10:11], off
	s_or_b32 exec_lo, exec_lo, s1
	s_and_saveexec_b32 s1, s6
	s_cbranch_execz .LBB272_101
.LBB272_117:
	s_lshl_b32 s2, s12, 9
	s_mov_b32 s3, 0
	s_wait_alu 0xfffe
	s_lshl_b64 s[2:3], s[2:3], 3
	s_wait_dscnt 0x4
	s_wait_alu 0xfffe
	v_add_co_u32 v10, vcc_lo, v2, s2
	s_wait_alu 0xfffd
	v_add_co_ci_u32_e64 v11, null, s3, v3, vcc_lo
	s_wait_dscnt 0x3
	global_store_b64 v[10:11], v[8:9], off
	s_or_b32 exec_lo, exec_lo, s1
	s_and_saveexec_b32 s1, s7
	s_cbranch_execz .LBB272_102
.LBB272_118:
	s_mul_i32 s2, s12, 0x280
	s_mov_b32 s3, 0
	s_wait_alu 0xfffe
	s_lshl_b64 s[2:3], s[2:3], 3
	s_wait_dscnt 0x3
	s_wait_alu 0xfffe
	v_add_co_u32 v8, vcc_lo, v2, s2
	s_wait_alu 0xfffd
	v_add_co_ci_u32_e64 v9, null, s3, v3, vcc_lo
	s_wait_dscnt 0x2
	global_store_b64 v[8:9], v[6:7], off
	s_or_b32 exec_lo, exec_lo, s1
	s_and_saveexec_b32 s1, s8
	s_cbranch_execz .LBB272_103
.LBB272_119:
	s_mul_i32 s2, s12, 0x300
	s_mov_b32 s3, 0
	s_wait_alu 0xfffe
	s_lshl_b64 s[2:3], s[2:3], 3
	s_wait_dscnt 0x2
	s_wait_alu 0xfffe
	v_add_co_u32 v6, vcc_lo, v2, s2
	s_wait_alu 0xfffd
	v_add_co_ci_u32_e64 v7, null, s3, v3, vcc_lo
	s_wait_dscnt 0x1
	global_store_b64 v[6:7], v[4:5], off
	s_or_b32 exec_lo, exec_lo, s1
	s_and_saveexec_b32 s1, s0
	s_cbranch_execnz .LBB272_104
	s_branch .LBB272_105
	.section	.rodata,"a",@progbits
	.p2align	6, 0x0
	.amdhsa_kernel _ZN2at6native18radixSortKVInPlaceILin1ELin1ELi128ELi8EbljEEvNS_4cuda6detail10TensorInfoIT3_T5_EES6_S6_S6_NS4_IT4_S6_EES6_b
		.amdhsa_group_segment_fixed_size 8448
		.amdhsa_private_segment_fixed_size 0
		.amdhsa_kernarg_size 712
		.amdhsa_user_sgpr_count 2
		.amdhsa_user_sgpr_dispatch_ptr 0
		.amdhsa_user_sgpr_queue_ptr 0
		.amdhsa_user_sgpr_kernarg_segment_ptr 1
		.amdhsa_user_sgpr_dispatch_id 0
		.amdhsa_user_sgpr_private_segment_size 0
		.amdhsa_wavefront_size32 1
		.amdhsa_uses_dynamic_stack 0
		.amdhsa_enable_private_segment 0
		.amdhsa_system_sgpr_workgroup_id_x 1
		.amdhsa_system_sgpr_workgroup_id_y 1
		.amdhsa_system_sgpr_workgroup_id_z 1
		.amdhsa_system_sgpr_workgroup_info 0
		.amdhsa_system_vgpr_workitem_id 2
		.amdhsa_next_free_vgpr 105
		.amdhsa_next_free_sgpr 24
		.amdhsa_reserve_vcc 1
		.amdhsa_float_round_mode_32 0
		.amdhsa_float_round_mode_16_64 0
		.amdhsa_float_denorm_mode_32 3
		.amdhsa_float_denorm_mode_16_64 3
		.amdhsa_fp16_overflow 0
		.amdhsa_workgroup_processor_mode 1
		.amdhsa_memory_ordered 1
		.amdhsa_forward_progress 1
		.amdhsa_inst_pref_size 77
		.amdhsa_round_robin_scheduling 0
		.amdhsa_exception_fp_ieee_invalid_op 0
		.amdhsa_exception_fp_denorm_src 0
		.amdhsa_exception_fp_ieee_div_zero 0
		.amdhsa_exception_fp_ieee_overflow 0
		.amdhsa_exception_fp_ieee_underflow 0
		.amdhsa_exception_fp_ieee_inexact 0
		.amdhsa_exception_int_div_zero 0
	.end_amdhsa_kernel
	.section	.text._ZN2at6native18radixSortKVInPlaceILin1ELin1ELi128ELi8EbljEEvNS_4cuda6detail10TensorInfoIT3_T5_EES6_S6_S6_NS4_IT4_S6_EES6_b,"axG",@progbits,_ZN2at6native18radixSortKVInPlaceILin1ELin1ELi128ELi8EbljEEvNS_4cuda6detail10TensorInfoIT3_T5_EES6_S6_S6_NS4_IT4_S6_EES6_b,comdat
.Lfunc_end272:
	.size	_ZN2at6native18radixSortKVInPlaceILin1ELin1ELi128ELi8EbljEEvNS_4cuda6detail10TensorInfoIT3_T5_EES6_S6_S6_NS4_IT4_S6_EES6_b, .Lfunc_end272-_ZN2at6native18radixSortKVInPlaceILin1ELin1ELi128ELi8EbljEEvNS_4cuda6detail10TensorInfoIT3_T5_EES6_S6_S6_NS4_IT4_S6_EES6_b
                                        ; -- End function
	.set _ZN2at6native18radixSortKVInPlaceILin1ELin1ELi128ELi8EbljEEvNS_4cuda6detail10TensorInfoIT3_T5_EES6_S6_S6_NS4_IT4_S6_EES6_b.num_vgpr, 105
	.set _ZN2at6native18radixSortKVInPlaceILin1ELin1ELi128ELi8EbljEEvNS_4cuda6detail10TensorInfoIT3_T5_EES6_S6_S6_NS4_IT4_S6_EES6_b.num_agpr, 0
	.set _ZN2at6native18radixSortKVInPlaceILin1ELin1ELi128ELi8EbljEEvNS_4cuda6detail10TensorInfoIT3_T5_EES6_S6_S6_NS4_IT4_S6_EES6_b.numbered_sgpr, 24
	.set _ZN2at6native18radixSortKVInPlaceILin1ELin1ELi128ELi8EbljEEvNS_4cuda6detail10TensorInfoIT3_T5_EES6_S6_S6_NS4_IT4_S6_EES6_b.num_named_barrier, 0
	.set _ZN2at6native18radixSortKVInPlaceILin1ELin1ELi128ELi8EbljEEvNS_4cuda6detail10TensorInfoIT3_T5_EES6_S6_S6_NS4_IT4_S6_EES6_b.private_seg_size, 0
	.set _ZN2at6native18radixSortKVInPlaceILin1ELin1ELi128ELi8EbljEEvNS_4cuda6detail10TensorInfoIT3_T5_EES6_S6_S6_NS4_IT4_S6_EES6_b.uses_vcc, 1
	.set _ZN2at6native18radixSortKVInPlaceILin1ELin1ELi128ELi8EbljEEvNS_4cuda6detail10TensorInfoIT3_T5_EES6_S6_S6_NS4_IT4_S6_EES6_b.uses_flat_scratch, 0
	.set _ZN2at6native18radixSortKVInPlaceILin1ELin1ELi128ELi8EbljEEvNS_4cuda6detail10TensorInfoIT3_T5_EES6_S6_S6_NS4_IT4_S6_EES6_b.has_dyn_sized_stack, 0
	.set _ZN2at6native18radixSortKVInPlaceILin1ELin1ELi128ELi8EbljEEvNS_4cuda6detail10TensorInfoIT3_T5_EES6_S6_S6_NS4_IT4_S6_EES6_b.has_recursion, 0
	.set _ZN2at6native18radixSortKVInPlaceILin1ELin1ELi128ELi8EbljEEvNS_4cuda6detail10TensorInfoIT3_T5_EES6_S6_S6_NS4_IT4_S6_EES6_b.has_indirect_call, 0
	.section	.AMDGPU.csdata,"",@progbits
; Kernel info:
; codeLenInByte = 9828
; TotalNumSgprs: 26
; NumVgprs: 105
; ScratchSize: 0
; MemoryBound: 0
; FloatMode: 240
; IeeeMode: 1
; LDSByteSize: 8448 bytes/workgroup (compile time only)
; SGPRBlocks: 0
; VGPRBlocks: 13
; NumSGPRsForWavesPerEU: 26
; NumVGPRsForWavesPerEU: 105
; Occupancy: 12
; WaveLimiterHint : 1
; COMPUTE_PGM_RSRC2:SCRATCH_EN: 0
; COMPUTE_PGM_RSRC2:USER_SGPR: 2
; COMPUTE_PGM_RSRC2:TRAP_HANDLER: 0
; COMPUTE_PGM_RSRC2:TGID_X_EN: 1
; COMPUTE_PGM_RSRC2:TGID_Y_EN: 1
; COMPUTE_PGM_RSRC2:TGID_Z_EN: 1
; COMPUTE_PGM_RSRC2:TIDIG_COMP_CNT: 2
	.section	.text._ZN2at6native18radixSortKVInPlaceILin1ELin1ELi32ELi4EbljEEvNS_4cuda6detail10TensorInfoIT3_T5_EES6_S6_S6_NS4_IT4_S6_EES6_b,"axG",@progbits,_ZN2at6native18radixSortKVInPlaceILin1ELin1ELi32ELi4EbljEEvNS_4cuda6detail10TensorInfoIT3_T5_EES6_S6_S6_NS4_IT4_S6_EES6_b,comdat
	.protected	_ZN2at6native18radixSortKVInPlaceILin1ELin1ELi32ELi4EbljEEvNS_4cuda6detail10TensorInfoIT3_T5_EES6_S6_S6_NS4_IT4_S6_EES6_b ; -- Begin function _ZN2at6native18radixSortKVInPlaceILin1ELin1ELi32ELi4EbljEEvNS_4cuda6detail10TensorInfoIT3_T5_EES6_S6_S6_NS4_IT4_S6_EES6_b
	.globl	_ZN2at6native18radixSortKVInPlaceILin1ELin1ELi32ELi4EbljEEvNS_4cuda6detail10TensorInfoIT3_T5_EES6_S6_S6_NS4_IT4_S6_EES6_b
	.p2align	8
	.type	_ZN2at6native18radixSortKVInPlaceILin1ELin1ELi32ELi4EbljEEvNS_4cuda6detail10TensorInfoIT3_T5_EES6_S6_S6_NS4_IT4_S6_EES6_b,@function
_ZN2at6native18radixSortKVInPlaceILin1ELin1ELi32ELi4EbljEEvNS_4cuda6detail10TensorInfoIT3_T5_EES6_S6_S6_NS4_IT4_S6_EES6_b: ; @_ZN2at6native18radixSortKVInPlaceILin1ELin1ELi32ELi4EbljEEvNS_4cuda6detail10TensorInfoIT3_T5_EES6_S6_S6_NS4_IT4_S6_EES6_b
; %bb.0:
	s_clause 0x1
	s_load_b64 s[2:3], s[0:1], 0x1c8
	s_load_b96 s[8:10], s[0:1], 0xd8
	s_lshr_b32 s4, ttmp7, 16
	s_wait_kmcnt 0x0
	s_mul_i32 s3, s3, s4
	s_and_b32 s4, ttmp7, 0xffff
	s_delay_alu instid0(SALU_CYCLE_1) | instskip(NEXT) | instid1(SALU_CYCLE_1)
	s_add_co_i32 s3, s3, s4
	s_mul_i32 s2, s3, s2
	s_delay_alu instid0(SALU_CYCLE_1) | instskip(NEXT) | instid1(SALU_CYCLE_1)
	s_add_co_i32 s11, s2, ttmp9
	s_cmp_ge_u32 s11, s8
	s_cbranch_scc1 .LBB273_57
; %bb.1:
	s_load_b32 s4, s[0:1], 0xd0
	s_mov_b32 s3, 0
	s_mov_b32 s2, s11
	s_wait_kmcnt 0x0
	s_cmp_lt_i32 s4, 2
	s_cbranch_scc1 .LBB273_4
; %bb.2:
	s_add_co_i32 s2, s4, -1
	s_delay_alu instid0(SALU_CYCLE_1)
	s_lshl_b64 s[6:7], s[2:3], 2
	s_mov_b32 s2, s11
	s_add_nc_u64 s[12:13], s[0:1], s[6:7]
	s_add_co_i32 s6, s4, 1
	s_add_nc_u64 s[4:5], s[12:13], 8
.LBB273_3:                              ; =>This Inner Loop Header: Depth=1
	s_clause 0x1
	s_load_b32 s7, s[4:5], 0x0
	s_load_b32 s8, s[4:5], 0x64
	s_mov_b32 s14, s2
	s_add_nc_u64 s[4:5], s[4:5], -4
	s_wait_kmcnt 0x0
	s_cvt_f32_u32 s12, s7
	s_sub_co_i32 s13, 0, s7
	s_wait_alu 0xfffe
	s_delay_alu instid0(SALU_CYCLE_1) | instskip(NEXT) | instid1(TRANS32_DEP_1)
	v_rcp_iflag_f32_e32 v1, s12
	v_readfirstlane_b32 s12, v1
	s_mul_f32 s12, s12, 0x4f7ffffe
	s_wait_alu 0xfffe
	s_delay_alu instid0(SALU_CYCLE_2) | instskip(SKIP_1) | instid1(SALU_CYCLE_2)
	s_cvt_u32_f32 s12, s12
	s_wait_alu 0xfffe
	s_mul_i32 s13, s13, s12
	s_wait_alu 0xfffe
	s_mul_hi_u32 s13, s12, s13
	s_wait_alu 0xfffe
	s_add_co_i32 s12, s12, s13
	s_wait_alu 0xfffe
	s_mul_hi_u32 s2, s2, s12
	s_delay_alu instid0(SALU_CYCLE_1)
	s_mul_i32 s12, s2, s7
	s_add_co_i32 s13, s2, 1
	s_wait_alu 0xfffe
	s_sub_co_i32 s12, s14, s12
	s_wait_alu 0xfffe
	s_sub_co_i32 s15, s12, s7
	s_cmp_ge_u32 s12, s7
	s_cselect_b32 s2, s13, s2
	s_cselect_b32 s12, s15, s12
	s_add_co_i32 s13, s2, 1
	s_wait_alu 0xfffe
	s_cmp_ge_u32 s12, s7
	s_cselect_b32 s2, s13, s2
	s_add_co_i32 s6, s6, -1
	s_mul_i32 s7, s2, s7
	s_delay_alu instid0(SALU_CYCLE_1) | instskip(NEXT) | instid1(SALU_CYCLE_1)
	s_sub_co_i32 s7, s14, s7
	s_mul_i32 s7, s8, s7
	s_delay_alu instid0(SALU_CYCLE_1)
	s_add_co_i32 s3, s7, s3
	s_cmp_gt_u32 s6, 2
	s_cbranch_scc1 .LBB273_3
.LBB273_4:
	s_load_b32 s6, s[0:1], 0x1b8
	s_add_nc_u64 s[18:19], s[0:1], 0x1c8
	s_mov_b32 s5, 0
	s_wait_kmcnt 0x0
	s_cmp_lt_i32 s6, 2
	s_cbranch_scc1 .LBB273_7
; %bb.5:
	s_add_co_i32 s4, s6, -1
	s_delay_alu instid0(SALU_CYCLE_1)
	s_lshl_b64 s[12:13], s[4:5], 2
	s_add_co_i32 s4, s6, 1
	s_wait_alu 0xfffe
	s_add_nc_u64 s[12:13], s[0:1], s[12:13]
	s_wait_alu 0xfffe
	s_add_nc_u64 s[6:7], s[12:13], 0xf0
.LBB273_6:                              ; =>This Inner Loop Header: Depth=1
	s_clause 0x1
	s_load_b32 s8, s[6:7], 0x0
	s_load_b32 s12, s[6:7], 0x64
	s_mov_b32 s15, s11
	s_add_nc_u64 s[6:7], s[6:7], -4
	s_wait_kmcnt 0x0
	s_cvt_f32_u32 s13, s8
	s_sub_co_i32 s14, 0, s8
	s_wait_alu 0xfffe
	s_delay_alu instid0(SALU_CYCLE_1) | instskip(NEXT) | instid1(TRANS32_DEP_1)
	v_rcp_iflag_f32_e32 v1, s13
	v_readfirstlane_b32 s13, v1
	s_mul_f32 s13, s13, 0x4f7ffffe
	s_wait_alu 0xfffe
	s_delay_alu instid0(SALU_CYCLE_2) | instskip(SKIP_1) | instid1(SALU_CYCLE_2)
	s_cvt_u32_f32 s13, s13
	s_wait_alu 0xfffe
	s_mul_i32 s14, s14, s13
	s_delay_alu instid0(SALU_CYCLE_1) | instskip(NEXT) | instid1(SALU_CYCLE_1)
	s_mul_hi_u32 s14, s13, s14
	s_add_co_i32 s13, s13, s14
	s_wait_alu 0xfffe
	s_mul_hi_u32 s11, s11, s13
	s_delay_alu instid0(SALU_CYCLE_1)
	s_mul_i32 s13, s11, s8
	s_add_co_i32 s14, s11, 1
	s_wait_alu 0xfffe
	s_sub_co_i32 s13, s15, s13
	s_wait_alu 0xfffe
	s_sub_co_i32 s16, s13, s8
	s_cmp_ge_u32 s13, s8
	s_cselect_b32 s11, s14, s11
	s_cselect_b32 s13, s16, s13
	s_add_co_i32 s14, s11, 1
	s_wait_alu 0xfffe
	s_cmp_ge_u32 s13, s8
	s_cselect_b32 s11, s14, s11
	s_add_co_i32 s4, s4, -1
	s_mul_i32 s8, s11, s8
	s_delay_alu instid0(SALU_CYCLE_1) | instskip(NEXT) | instid1(SALU_CYCLE_1)
	s_sub_co_i32 s8, s15, s8
	s_mul_i32 s8, s12, s8
	s_delay_alu instid0(SALU_CYCLE_1)
	s_add_co_i32 s5, s8, s5
	s_cmp_gt_u32 s4, 2
	s_cbranch_scc1 .LBB273_6
.LBB273_7:
	s_clause 0x2
	s_load_b32 s4, s[0:1], 0x6c
	s_load_b64 s[12:13], s[0:1], 0x1c0
	s_load_b64 s[6:7], s[0:1], 0x0
	v_and_b32_e32 v11, 0x3ff, v0
	s_mov_b32 s15, 0
	s_delay_alu instid0(VALU_DEP_1) | instskip(SKIP_2) | instid1(SALU_CYCLE_1)
	v_mul_lo_u32 v20, s10, v11
	s_wait_kmcnt 0x0
	s_mul_i32 s2, s4, s2
	s_add_co_i32 s14, s2, s3
	s_bitcmp1_b32 s13, 0
	s_add_nc_u64 s[14:15], s[6:7], s[14:15]
	s_cselect_b32 s2, -1, 0
	s_delay_alu instid0(SALU_CYCLE_1) | instskip(SKIP_3) | instid1(VALU_DEP_2)
	s_xor_b32 s8, s2, -1
	v_cmp_gt_u32_e64 s2, s9, v11
	v_cndmask_b32_e64 v2, 0, 1, s8
	v_cndmask_b32_e64 v1, 0, 1, s8
	v_lshlrev_b32_e32 v3, 8, v2
	s_delay_alu instid0(VALU_DEP_1) | instskip(NEXT) | instid1(VALU_DEP_1)
	v_or_b32_e32 v2, v2, v3
	v_and_b32_e32 v3, 0x101, v2
	v_lshlrev_b32_e32 v2, 16, v2
	s_delay_alu instid0(VALU_DEP_1)
	v_or_b32_e32 v2, v3, v2
	s_and_saveexec_b32 s3, s2
	s_cbranch_execz .LBB273_9
; %bb.8:
	global_load_u8 v1, v20, s[14:15]
	s_wait_loadcnt 0x0
	v_perm_b32 v2, v1, v2, 0x3020104
.LBB273_9:
	s_or_b32 exec_lo, exec_lo, s3
	v_add_nc_u32_e32 v5, 32, v11
	s_delay_alu instid0(VALU_DEP_1)
	v_cmp_gt_u32_e64 s4, s9, v5
	s_and_saveexec_b32 s3, s4
	s_cbranch_execz .LBB273_11
; %bb.10:
	v_mul_lo_u32 v3, s10, v5
	global_load_u8 v3, v3, s[14:15]
	s_wait_loadcnt 0x0
	v_perm_b32 v2, v2, v3, 0x7060004
.LBB273_11:
	s_or_b32 exec_lo, exec_lo, s3
	v_add_nc_u32_e32 v16, 64, v11
	s_delay_alu instid0(VALU_DEP_1)
	v_cmp_gt_u32_e64 s3, s9, v16
	s_and_saveexec_b32 s6, s3
	s_cbranch_execz .LBB273_13
; %bb.12:
	v_mul_lo_u32 v3, s10, v16
	global_load_u8 v3, v3, s[14:15]
	s_wait_loadcnt 0x0
	v_perm_b32 v2, v2, v3, 0x7000504
.LBB273_13:
	s_or_b32 exec_lo, exec_lo, s6
	s_clause 0x1
	s_load_b32 s13, s[0:1], 0x154
	s_load_b64 s[6:7], s[0:1], 0xe8
	v_add_nc_u32_e32 v14, 0x60, v11
	s_delay_alu instid0(VALU_DEP_1)
	v_cmp_gt_u32_e64 s0, s9, v14
	s_and_saveexec_b32 s1, s0
	s_cbranch_execz .LBB273_15
; %bb.14:
	v_mul_lo_u32 v3, s10, v14
	global_load_u8 v3, v3, s[14:15]
	s_wait_loadcnt 0x0
	v_perm_b32 v2, v2, v3, 0x60504
.LBB273_15:
	s_or_b32 exec_lo, exec_lo, s1
	v_lshrrev_b32_e32 v13, 5, v5
	v_lshrrev_b32_e32 v12, 5, v11
	;; [unrolled: 1-line block ×5, first 2 shown]
	v_and_b32_e32 v6, 60, v13
	v_and_b32_e32 v4, 28, v12
	;; [unrolled: 1-line block ×3, first 2 shown]
	v_lshlrev_b32_e32 v31, 2, v11
	v_lshrrev_b32_e32 v3, 8, v2
	v_add_nc_u32_e32 v22, v6, v11
	v_and_b32_e32 v6, 0x7c, v18
	v_add_nc_u32_e32 v21, v4, v11
	v_and_b32_e32 v4, 60, v17
	v_add_nc_u32_e32 v23, v7, v11
	v_lshrrev_b32_e32 v7, 24, v2
	v_add_nc_u32_e32 v25, v6, v31
	ds_store_b8 v21, v1
	ds_store_b8 v22, v3 offset:32
	v_add_nc_u32_e32 v24, v4, v11
	ds_store_b8_d16_hi v23, v2 offset:64
	ds_store_b8 v24, v7 offset:96
	s_wait_dscnt 0x0
	; wave barrier
	global_inv scope:SCOPE_SE
	ds_load_b32 v35, v25
	s_wait_kmcnt 0x0
	s_mul_i32 s1, s13, s11
	v_mul_lo_u32 v9, s12, v11
	s_add_co_i32 s16, s1, s5
	s_mov_b32 s17, 0
	v_mov_b32_e32 v1, 0
	v_dual_mov_b32 v3, 0 :: v_dual_mov_b32 v2, 0
	v_mov_b32_e32 v4, 0
	s_lshl_b64 s[16:17], s[16:17], 3
	s_wait_loadcnt_dscnt 0x0
	s_add_nc_u64 s[16:17], s[6:7], s[16:17]
	; wave barrier
	global_inv scope:SCOPE_SE
	s_and_saveexec_b32 s1, s2
	s_cbranch_execz .LBB273_17
; %bb.16:
	v_mov_b32_e32 v10, 0
	s_delay_alu instid0(VALU_DEP_1) | instskip(NEXT) | instid1(VALU_DEP_1)
	v_lshlrev_b64_e32 v[3:4], 3, v[9:10]
	v_add_co_u32 v3, vcc_lo, s16, v3
	s_delay_alu instid0(VALU_DEP_1)
	v_add_co_ci_u32_e64 v4, null, s17, v4, vcc_lo
	global_load_b64 v[3:4], v[3:4], off
.LBB273_17:
	s_or_b32 exec_lo, exec_lo, s1
	s_and_saveexec_b32 s1, s4
	s_cbranch_execz .LBB273_19
; %bb.18:
	v_mul_lo_u32 v1, s12, v5
	v_mov_b32_e32 v2, 0
	s_delay_alu instid0(VALU_DEP_1) | instskip(NEXT) | instid1(VALU_DEP_1)
	v_lshlrev_b64_e32 v[1:2], 3, v[1:2]
	v_add_co_u32 v1, vcc_lo, s16, v1
	s_wait_alu 0xfffd
	s_delay_alu instid0(VALU_DEP_2)
	v_add_co_ci_u32_e64 v2, null, s17, v2, vcc_lo
	global_load_b64 v[1:2], v[1:2], off
.LBB273_19:
	s_or_b32 exec_lo, exec_lo, s1
	v_mov_b32_e32 v5, 0
	v_dual_mov_b32 v6, 0 :: v_dual_mov_b32 v7, 0
	v_mov_b32_e32 v8, 0
	s_and_saveexec_b32 s1, s3
	s_cbranch_execz .LBB273_21
; %bb.20:
	v_mul_lo_u32 v7, s12, v16
	v_mov_b32_e32 v8, 0
	s_delay_alu instid0(VALU_DEP_1) | instskip(NEXT) | instid1(VALU_DEP_1)
	v_lshlrev_b64_e32 v[7:8], 3, v[7:8]
	v_add_co_u32 v7, vcc_lo, s16, v7
	s_wait_alu 0xfffd
	s_delay_alu instid0(VALU_DEP_2)
	v_add_co_ci_u32_e64 v8, null, s17, v8, vcc_lo
	global_load_b64 v[7:8], v[7:8], off
.LBB273_21:
	s_or_b32 exec_lo, exec_lo, s1
	s_and_saveexec_b32 s1, s0
	s_cbranch_execz .LBB273_23
; %bb.22:
	v_mul_lo_u32 v5, s12, v14
	v_mov_b32_e32 v6, 0
	s_delay_alu instid0(VALU_DEP_1) | instskip(NEXT) | instid1(VALU_DEP_1)
	v_lshlrev_b64_e32 v[5:6], 3, v[5:6]
	v_add_co_u32 v5, vcc_lo, s16, v5
	s_wait_alu 0xfffd
	s_delay_alu instid0(VALU_DEP_2)
	v_add_co_ci_u32_e64 v6, null, s17, v6, vcc_lo
	global_load_b64 v[5:6], v[5:6], off
.LBB273_23:
	s_or_b32 exec_lo, exec_lo, s1
	v_lshlrev_b32_e32 v14, 3, v11
	v_lshlrev_b32_e32 v10, 3, v31
	v_lshrrev_b32_e32 v37, 16, v35
	v_lshrrev_b32_e32 v38, 8, v35
	v_lshrrev_b32_e32 v36, 24, v35
	v_lshl_add_u32 v26, v12, 3, v14
	v_lshl_add_u32 v30, v18, 3, v10
	;; [unrolled: 1-line block ×5, first 2 shown]
	s_wait_loadcnt 0x0
	ds_store_b64 v26, v[3:4]
	ds_store_b64 v27, v[1:2] offset:256
	ds_store_b64 v28, v[7:8] offset:512
	;; [unrolled: 1-line block ×3, first 2 shown]
	s_wait_dscnt 0x0
	; wave barrier
	global_inv scope:SCOPE_SE
	ds_load_2addr_b64 v[5:8], v30 offset1:1
	ds_load_2addr_b64 v[1:4], v30 offset0:2 offset1:3
	v_bfe_u32 v34, v0, 10, 10
	v_bfe_u32 v0, v0, 20, 10
	v_mbcnt_lo_u32_b32 v33, -1, 0
	v_lshlrev_b32_e32 v32, 5, v11
	s_and_b32 vcc_lo, exec_lo, s8
	; wave barrier
	s_wait_loadcnt_dscnt 0x0
	global_inv scope:SCOPE_SE
	s_wait_alu 0xfffe
	s_cbranch_vccz .LBB273_35
; %bb.24:
	v_and_b32_e32 v14, 28, v33
	v_and_b32_e32 v15, 0xff, v37
	;; [unrolled: 1-line block ×5, first 2 shown]
	s_getpc_b64 s[8:9]
	s_wait_alu 0xfffe
	s_sext_i32_i16 s9, s9
	s_add_co_u32 s8, s8, _ZN7rocprim17ROCPRIM_400000_NS16block_radix_sortIbLj32ELj4ElLj1ELj1ELj0ELNS0_26block_radix_rank_algorithmE1ELNS0_18block_padding_hintE2ELNS0_4arch9wavefront6targetE0EE19radix_bits_per_passE@rel32@lo+12
	s_wait_alu 0xfffe
	s_add_co_ci_u32 s9, s9, _ZN7rocprim17ROCPRIM_400000_NS16block_radix_sortIbLj32ELj4ElLj1ELj1ELj0ELNS0_26block_radix_rank_algorithmE1ELNS0_18block_padding_hintE2ELNS0_4arch9wavefront6targetE0EE19radix_bits_per_passE@rel32@hi+24
	ds_bpermute_b32 v19, v14, v15
	v_cmp_eq_u32_e32 vcc_lo, 2, v39
	ds_bpermute_b32 v16, v14, v12
	ds_bpermute_b32 v40, v14, v18
	v_cmp_eq_u32_e64 s6, 0, v39
	ds_bpermute_b32 v41, v14, v12 offset:32
	v_cmp_eq_u32_e64 s5, 1, v39
	v_cmp_eq_u32_e64 s1, 3, v39
	s_load_b32 s8, s[8:9], 0x0
	v_cndmask_b32_e64 v42, 0, 1, s6
	; wave barrier
	s_wait_loadcnt_dscnt 0x0
	global_inv scope:SCOPE_SE
	s_load_b32 s7, s[18:19], 0xc
	ds_bpermute_b32 v54, v14, v5
	ds_bpermute_b32 v58, v14, v6
	;; [unrolled: 1-line block ×6, first 2 shown]
	ds_bpermute_b32 v63, v14, v5 offset:32
	v_and_b32_e32 v19, 1, v19
	v_and_b32_e32 v13, 0xff, v38
	;; [unrolled: 1-line block ×3, first 2 shown]
	ds_bpermute_b32 v64, v14, v6 offset:32
	ds_bpermute_b32 v49, v14, v7 offset:32
	;; [unrolled: 1-line block ×3, first 2 shown]
	ds_bpermute_b32 v17, v14, v13
	ds_bpermute_b32 v46, v14, v1 offset:32
	s_wait_kmcnt 0x0
	s_min_u32 s8, s8, 8
	ds_bpermute_b32 v47, v14, v2 offset:32
	s_wait_alu 0xfffe
	s_lshl_b32 s8, -1, s8
	ds_bpermute_b32 v45, v14, v4 offset:32
	s_wait_alu 0xfffe
	s_not_b32 s9, s8
	s_lshr_b32 s8, s7, 16
	ds_bpermute_b32 v69, v14, v5 offset:64
	ds_bpermute_b32 v70, v14, v6 offset:64
	;; [unrolled: 1-line block ×12, first 2 shown]
	s_wait_dscnt 0xf
	v_and_b32_e32 v17, 1, v17
	ds_bpermute_b32 v56, v14, v1 offset:96
	ds_bpermute_b32 v61, v14, v2 offset:96
	;; [unrolled: 1-line block ×4, first 2 shown]
	v_cndmask_b32_e64 v16, v16, v17, s5
	v_and_b32_e32 v17, 1, v40
	v_and_b32_e32 v40, 1, v41
	ds_bpermute_b32 v41, v14, v4
	v_cndmask_b32_e32 v16, v16, v19, vcc_lo
	ds_bpermute_b32 v19, v14, v13 offset:32
	v_cndmask_b32_e64 v16, v16, v17, s1
	v_lshlrev_b16 v17, 8, v40
	ds_bpermute_b32 v40, v14, v3
	v_and_b32_e32 v39, 1, v16
	s_delay_alu instid0(VALU_DEP_1) | instskip(NEXT) | instid1(VALU_DEP_1)
	v_or_b32_e32 v17, v39, v17
	v_and_b32_e32 v17, 0xffff, v17
	s_wait_dscnt 0x1
	v_and_b32_e32 v19, 1, v19
	s_delay_alu instid0(VALU_DEP_2) | instskip(SKIP_3) | instid1(VALU_DEP_1)
	v_cndmask_b32_e64 v16, v16, v17, s6
	ds_bpermute_b32 v17, v14, v15 offset:32
	v_lshlrev_b16 v19, 8, v19
	v_and_b32_e32 v39, 0xff, v16
	v_or_b32_e32 v19, v39, v19
	s_delay_alu instid0(VALU_DEP_1) | instskip(NEXT) | instid1(VALU_DEP_1)
	v_and_b32_e32 v19, 0xffff, v19
	v_and_or_b32 v19, 0xffff0000, v16, v19
	s_wait_dscnt 0x0
	v_and_b32_e32 v17, 1, v17
	s_delay_alu instid0(VALU_DEP_2) | instskip(SKIP_3) | instid1(VALU_DEP_1)
	v_cndmask_b32_e64 v16, v16, v19, s5
	ds_bpermute_b32 v19, v14, v18 offset:32
	v_lshlrev_b16 v17, 8, v17
	v_and_b32_e32 v39, 0xff, v16
	v_or_b32_e32 v17, v39, v17
	ds_bpermute_b32 v39, v14, v3 offset:32
	v_and_b32_e32 v17, 0xffff, v17
	s_delay_alu instid0(VALU_DEP_1) | instskip(SKIP_1) | instid1(VALU_DEP_1)
	v_and_or_b32 v17, 0xffff0000, v16, v17
	s_wait_dscnt 0x1
	v_dual_cndmask_b32 v16, v16, v17 :: v_dual_and_b32 v19, 1, v19
	s_delay_alu instid0(VALU_DEP_1) | instskip(NEXT) | instid1(VALU_DEP_2)
	v_lshlrev_b16 v17, 8, v19
	v_and_b32_e32 v19, 0xff, v16
	s_delay_alu instid0(VALU_DEP_1) | instskip(SKIP_3) | instid1(VALU_DEP_1)
	v_or_b32_e32 v17, v19, v17
	ds_bpermute_b32 v19, v14, v12 offset:64
	ds_bpermute_b32 v12, v14, v12 offset:96
	v_and_b32_e32 v17, 0xffff, v17
	v_and_or_b32 v17, 0xffff0000, v16, v17
	s_delay_alu instid0(VALU_DEP_1) | instskip(NEXT) | instid1(VALU_DEP_1)
	v_cndmask_b32_e64 v16, v16, v17, s1
	v_lshrrev_b32_e32 v17, 16, v16
	s_wait_dscnt 0x1
	v_and_b32_e32 v19, 1, v19
	s_wait_dscnt 0x0
	v_and_b32_e32 v12, 1, v12
	v_and_b32_e32 v17, 0xffffff00, v17
	s_delay_alu instid0(VALU_DEP_2) | instskip(NEXT) | instid1(VALU_DEP_2)
	v_lshlrev_b16 v12, 8, v12
	v_or_b32_e32 v17, v19, v17
	ds_bpermute_b32 v19, v14, v13 offset:64
	ds_bpermute_b32 v13, v14, v13 offset:96
	v_lshlrev_b32_e32 v17, 16, v17
	s_delay_alu instid0(VALU_DEP_1) | instskip(NEXT) | instid1(VALU_DEP_1)
	v_and_or_b32 v17, 0xffff, v16, v17
	v_cndmask_b32_e64 v16, v16, v17, s6
	s_delay_alu instid0(VALU_DEP_1)
	v_lshrrev_b32_e32 v17, 16, v16
	s_wait_dscnt 0x1
	v_and_b32_e32 v19, 1, v19
	s_wait_dscnt 0x0
	v_and_b32_e32 v13, 1, v13
	v_and_b32_e32 v17, 0xffffff00, v17
	s_delay_alu instid0(VALU_DEP_2) | instskip(NEXT) | instid1(VALU_DEP_2)
	v_lshlrev_b16 v13, 8, v13
	v_or_b32_e32 v17, v19, v17
	ds_bpermute_b32 v19, v14, v15 offset:64
	ds_bpermute_b32 v15, v14, v15 offset:96
	v_lshlrev_b32_e32 v17, 16, v17
	s_delay_alu instid0(VALU_DEP_1) | instskip(NEXT) | instid1(VALU_DEP_1)
	v_and_or_b32 v17, 0xffff, v16, v17
	v_cndmask_b32_e64 v16, v16, v17, s5
	s_delay_alu instid0(VALU_DEP_1) | instskip(SKIP_2) | instid1(VALU_DEP_2)
	v_lshrrev_b32_e32 v17, 16, v16
	s_wait_dscnt 0x1
	v_and_b32_e32 v19, 1, v19
	v_and_b32_e32 v17, 0xffffff00, v17
	s_delay_alu instid0(VALU_DEP_1) | instskip(SKIP_2) | instid1(VALU_DEP_1)
	v_or_b32_e32 v17, v19, v17
	ds_bpermute_b32 v19, v14, v18 offset:64
	v_lshlrev_b32_e32 v17, 16, v17
	v_and_or_b32 v17, 0xffff, v16, v17
	s_delay_alu instid0(VALU_DEP_1) | instskip(NEXT) | instid1(VALU_DEP_1)
	v_cndmask_b32_e32 v16, v16, v17, vcc_lo
	v_lshrrev_b32_e32 v17, 16, v16
	s_wait_dscnt 0x0
	v_and_b32_e32 v19, 1, v19
	s_delay_alu instid0(VALU_DEP_2) | instskip(NEXT) | instid1(VALU_DEP_1)
	v_and_b32_e32 v17, 0xffffff00, v17
	v_or_b32_e32 v17, v19, v17
	s_delay_alu instid0(VALU_DEP_1) | instskip(NEXT) | instid1(VALU_DEP_1)
	v_lshlrev_b32_e32 v17, 16, v17
	v_and_or_b32 v17, 0xffff, v16, v17
	s_delay_alu instid0(VALU_DEP_1) | instskip(NEXT) | instid1(VALU_DEP_1)
	v_cndmask_b32_e64 v16, v16, v17, s1
	v_lshrrev_b32_e32 v17, 16, v16
	s_delay_alu instid0(VALU_DEP_1) | instskip(NEXT) | instid1(VALU_DEP_1)
	v_and_b32_e32 v17, 0xff, v17
	v_or_b32_e32 v12, v17, v12
	s_delay_alu instid0(VALU_DEP_1) | instskip(NEXT) | instid1(VALU_DEP_1)
	v_lshlrev_b32_e32 v12, 16, v12
	v_and_or_b32 v12, 0xffff, v16, v12
	s_delay_alu instid0(VALU_DEP_1) | instskip(NEXT) | instid1(VALU_DEP_1)
	v_cndmask_b32_e64 v12, v16, v12, s6
	v_lshrrev_b32_e32 v16, 16, v12
	s_delay_alu instid0(VALU_DEP_1) | instskip(NEXT) | instid1(VALU_DEP_1)
	v_and_b32_e32 v16, 0xff, v16
	v_or_b32_e32 v13, v16, v13
	ds_bpermute_b32 v16, v14, v18 offset:96
	v_mov_b32_e32 v14, 0
	ds_store_2addr_b32 v32, v14, v14 offset0:1 offset1:2
	ds_store_2addr_b32 v32, v14, v14 offset0:3 offset1:4
	;; [unrolled: 1-line block ×4, first 2 shown]
	v_lshlrev_b32_e32 v13, 16, v13
	; wave barrier
	s_wait_loadcnt_dscnt 0x0
	global_inv scope:SCOPE_SE
	; wave barrier
	v_and_or_b32 v13, 0xffff, v12, v13
	s_delay_alu instid0(VALU_DEP_1) | instskip(SKIP_1) | instid1(VALU_DEP_2)
	v_cndmask_b32_e64 v12, v12, v13, s5
	v_and_b32_e32 v13, 1, v15
	v_lshrrev_b32_e32 v15, 16, v12
	s_delay_alu instid0(VALU_DEP_2) | instskip(NEXT) | instid1(VALU_DEP_2)
	v_lshlrev_b16 v13, 8, v13
	v_and_b32_e32 v15, 0xff, v15
	s_delay_alu instid0(VALU_DEP_1) | instskip(NEXT) | instid1(VALU_DEP_1)
	v_or_b32_e32 v13, v15, v13
	v_lshlrev_b32_e32 v13, 16, v13
	s_delay_alu instid0(VALU_DEP_1) | instskip(NEXT) | instid1(VALU_DEP_1)
	v_and_or_b32 v13, 0xffff, v12, v13
	v_dual_cndmask_b32 v12, v12, v13 :: v_dual_and_b32 v13, 1, v16
	s_delay_alu instid0(VALU_DEP_1) | instskip(NEXT) | instid1(VALU_DEP_2)
	v_lshrrev_b32_e32 v15, 16, v12
	v_lshlrev_b16 v13, 8, v13
	s_delay_alu instid0(VALU_DEP_2) | instskip(NEXT) | instid1(VALU_DEP_1)
	v_and_b32_e32 v15, 0xff, v15
	v_or_b32_e32 v13, v15, v13
	s_delay_alu instid0(VALU_DEP_1) | instskip(NEXT) | instid1(VALU_DEP_1)
	v_lshlrev_b32_e32 v13, 16, v13
	v_and_or_b32 v13, 0xffff, v12, v13
	s_delay_alu instid0(VALU_DEP_1) | instskip(SKIP_3) | instid1(VALU_DEP_2)
	v_cndmask_b32_e64 v42, v12, v13, s1
	s_wait_alu 0xfffe
	v_mad_u32_u24 v13, v0, s8, v34
	s_and_b32 s8, s7, 0xffff
	v_and_b32_e32 v12, s9, v42
	s_delay_alu instid0(VALU_DEP_1) | instskip(NEXT) | instid1(VALU_DEP_1)
	v_and_b32_e32 v15, 0xff, v12
	v_add_co_u32 v16, s11, v15, -1
	s_wait_alu 0xf1ff
	v_cndmask_b32_e64 v12, 0, 1, s11
	s_delay_alu instid0(VALU_DEP_1) | instskip(SKIP_3) | instid1(VALU_DEP_2)
	v_cmp_ne_u32_e64 s7, 0, v12
	s_wait_alu 0xfffe
	v_mad_co_u64_u32 v[12:13], null, v13, s8, v[11:12]
	s_wait_alu 0xf1ff
	v_xor_b32_e32 v13, s7, v16
	s_delay_alu instid0(VALU_DEP_2) | instskip(NEXT) | instid1(VALU_DEP_2)
	v_lshrrev_b32_e32 v12, 3, v12
	v_and_b32_e32 v13, exec_lo, v13
	s_delay_alu instid0(VALU_DEP_2) | instskip(NEXT) | instid1(VALU_DEP_2)
	v_and_b32_e32 v12, 0x1ffffffc, v12
	v_mbcnt_lo_u32_b32 v67, v13, 0
	v_cmp_ne_u32_e64 s8, 0, v13
	s_delay_alu instid0(VALU_DEP_3) | instskip(NEXT) | instid1(VALU_DEP_3)
	v_lshl_add_u32 v74, v15, 2, v12
	v_cmp_eq_u32_e64 s7, 0, v67
	s_and_b32 s8, s8, s7
	s_wait_alu 0xfffe
	s_and_saveexec_b32 s7, s8
; %bb.25:
	v_bcnt_u32_b32 v13, v13, 0
	ds_store_b32 v74, v13 offset:4
; %bb.26:
	s_wait_alu 0xfffe
	s_or_b32 exec_lo, exec_lo, s7
	v_lshrrev_b32_e32 v71, 8, v42
	; wave barrier
	s_delay_alu instid0(VALU_DEP_1) | instskip(NEXT) | instid1(VALU_DEP_1)
	v_and_b32_e32 v13, s9, v71
	v_and_b32_e32 v13, 0xff, v13
	s_delay_alu instid0(VALU_DEP_1) | instskip(SKIP_3) | instid1(VALU_DEP_2)
	v_add_co_u32 v14, s7, v13, -1
	s_wait_alu 0xf1ff
	v_cndmask_b32_e64 v15, 0, 1, s7
	v_lshl_add_u32 v78, v13, 2, v12
	v_cmp_ne_u32_e64 s7, 0, v15
	ds_load_b32 v75, v78 offset:4
	; wave barrier
	s_wait_alu 0xf1ff
	v_xor_b32_e32 v13, s7, v14
	s_delay_alu instid0(VALU_DEP_1) | instskip(NEXT) | instid1(VALU_DEP_1)
	v_and_b32_e32 v13, exec_lo, v13
	v_mbcnt_lo_u32_b32 v76, v13, 0
	v_cmp_ne_u32_e64 s8, 0, v13
	s_delay_alu instid0(VALU_DEP_2)
	v_cmp_eq_u32_e64 s7, 0, v76
	s_and_b32 s8, s8, s7
	s_wait_alu 0xfffe
	s_and_saveexec_b32 s7, s8
	s_cbranch_execz .LBB273_28
; %bb.27:
	s_wait_dscnt 0x0
	v_bcnt_u32_b32 v13, v13, v75
	ds_store_b32 v78, v13 offset:4
.LBB273_28:
	s_wait_alu 0xfffe
	s_or_b32 exec_lo, exec_lo, s7
	v_lshrrev_b32_e32 v77, 16, v42
	; wave barrier
	s_delay_alu instid0(VALU_DEP_1) | instskip(NEXT) | instid1(VALU_DEP_1)
	v_and_b32_e32 v13, s9, v77
	v_and_b32_e32 v13, 0xff, v13
	s_delay_alu instid0(VALU_DEP_1) | instskip(SKIP_3) | instid1(VALU_DEP_2)
	v_add_co_u32 v14, s7, v13, -1
	s_wait_alu 0xf1ff
	v_cndmask_b32_e64 v15, 0, 1, s7
	v_lshl_add_u32 v82, v13, 2, v12
	v_cmp_ne_u32_e64 s7, 0, v15
	ds_load_b32 v79, v82 offset:4
	; wave barrier
	s_wait_alu 0xf1ff
	v_xor_b32_e32 v13, s7, v14
	s_delay_alu instid0(VALU_DEP_1) | instskip(NEXT) | instid1(VALU_DEP_1)
	v_and_b32_e32 v13, exec_lo, v13
	v_mbcnt_lo_u32_b32 v80, v13, 0
	v_cmp_ne_u32_e64 s8, 0, v13
	s_delay_alu instid0(VALU_DEP_2)
	v_cmp_eq_u32_e64 s7, 0, v80
	s_and_b32 s8, s8, s7
	s_wait_alu 0xfffe
	s_and_saveexec_b32 s7, s8
	s_cbranch_execz .LBB273_30
; %bb.29:
	s_wait_dscnt 0x0
	v_bcnt_u32_b32 v13, v13, v79
	ds_store_b32 v82, v13 offset:4
.LBB273_30:
	s_wait_alu 0xfffe
	s_or_b32 exec_lo, exec_lo, s7
	v_lshrrev_b32_e32 v81, 24, v42
	; wave barrier
	s_delay_alu instid0(VALU_DEP_1) | instskip(NEXT) | instid1(VALU_DEP_1)
	v_and_b32_e32 v13, s9, v81
	v_add_co_u32 v14, s7, v13, -1
	s_wait_alu 0xf1ff
	v_cndmask_b32_e64 v15, 0, 1, s7
	v_lshl_add_u32 v85, v13, 2, v12
	s_delay_alu instid0(VALU_DEP_2) | instskip(SKIP_3) | instid1(VALU_DEP_1)
	v_cmp_ne_u32_e64 s7, 0, v15
	ds_load_b32 v83, v85 offset:4
	; wave barrier
	s_wait_alu 0xf1ff
	v_xor_b32_e32 v12, s7, v14
	v_and_b32_e32 v12, exec_lo, v12
	s_delay_alu instid0(VALU_DEP_1) | instskip(SKIP_1) | instid1(VALU_DEP_2)
	v_mbcnt_lo_u32_b32 v84, v12, 0
	v_cmp_ne_u32_e64 s8, 0, v12
	v_cmp_eq_u32_e64 s7, 0, v84
	s_and_b32 s8, s8, s7
	s_wait_alu 0xfffe
	s_and_saveexec_b32 s7, s8
	s_cbranch_execz .LBB273_32
; %bb.31:
	s_wait_dscnt 0x0
	v_bcnt_u32_b32 v12, v12, v83
	ds_store_b32 v85, v12 offset:4
.LBB273_32:
	s_wait_alu 0xfffe
	s_or_b32 exec_lo, exec_lo, s7
	; wave barrier
	; wave barrier
	s_wait_loadcnt_dscnt 0x0
	global_inv scope:SCOPE_SE
	ds_load_2addr_b32 v[18:19], v32 offset0:1 offset1:2
	ds_load_2addr_b32 v[16:17], v32 offset0:3 offset1:4
	;; [unrolled: 1-line block ×4, first 2 shown]
	s_mov_b32 s8, 0
	s_mov_b32 s9, exec_lo
	s_wait_dscnt 0x3
	v_add_nc_u32_e32 v86, v19, v18
	s_wait_dscnt 0x2
	s_delay_alu instid0(VALU_DEP_1) | instskip(SKIP_1) | instid1(VALU_DEP_1)
	v_add3_u32 v86, v86, v16, v17
	s_wait_dscnt 0x1
	v_add3_u32 v86, v86, v14, v15
	s_wait_dscnt 0x0
	s_delay_alu instid0(VALU_DEP_1) | instskip(SKIP_1) | instid1(VALU_DEP_2)
	v_add3_u32 v13, v86, v12, v13
	v_and_b32_e32 v86, 15, v33
	v_mov_b32_dpp v87, v13 row_shr:1 row_mask:0xf bank_mask:0xf
	s_delay_alu instid0(VALU_DEP_2) | instskip(SKIP_1) | instid1(VALU_DEP_1)
	v_cmp_ne_u32_e64 s7, 0, v86
	s_wait_alu 0xf1ff
	v_cndmask_b32_e64 v87, 0, v87, s7
	v_cmp_lt_u32_e64 s7, 1, v86
	s_delay_alu instid0(VALU_DEP_2) | instskip(NEXT) | instid1(VALU_DEP_1)
	v_add_nc_u32_e32 v13, v87, v13
	v_mov_b32_dpp v87, v13 row_shr:2 row_mask:0xf bank_mask:0xf
	s_wait_alu 0xf1ff
	s_delay_alu instid0(VALU_DEP_1) | instskip(SKIP_1) | instid1(VALU_DEP_2)
	v_cndmask_b32_e64 v87, 0, v87, s7
	v_cmp_lt_u32_e64 s7, 3, v86
	v_add_nc_u32_e32 v13, v13, v87
	s_delay_alu instid0(VALU_DEP_1) | instskip(SKIP_1) | instid1(VALU_DEP_1)
	v_mov_b32_dpp v87, v13 row_shr:4 row_mask:0xf bank_mask:0xf
	s_wait_alu 0xf1ff
	v_cndmask_b32_e64 v87, 0, v87, s7
	v_cmp_lt_u32_e64 s7, 7, v86
	s_delay_alu instid0(VALU_DEP_2) | instskip(NEXT) | instid1(VALU_DEP_1)
	v_add_nc_u32_e32 v13, v13, v87
	v_mov_b32_dpp v87, v13 row_shr:8 row_mask:0xf bank_mask:0xf
	s_wait_alu 0xf1ff
	s_delay_alu instid0(VALU_DEP_1) | instskip(SKIP_1) | instid1(VALU_DEP_2)
	v_cndmask_b32_e64 v86, 0, v87, s7
	v_bfe_i32 v87, v33, 4, 1
	v_add_nc_u32_e32 v13, v13, v86
	ds_swizzle_b32 v86, v13 offset:swizzle(BROADCAST,32,15)
	s_wait_dscnt 0x0
	v_and_b32_e32 v86, v87, v86
	s_delay_alu instid0(VALU_DEP_1)
	v_add_nc_u32_e32 v13, v13, v86
	v_cmpx_eq_u32_e32 31, v11
; %bb.33:
	v_mov_b32_e32 v86, 0
	ds_store_b32 v86, v13
; %bb.34:
	s_wait_alu 0xfffe
	s_or_b32 exec_lo, exec_lo, s9
	v_sub_co_u32 v86, s9, v33, 1
	v_cndmask_b32_e64 v54, 0, v54, s6
	v_cndmask_b32_e64 v58, 0, v58, s6
	s_wait_loadcnt_dscnt 0x0
	s_delay_alu instid0(VALU_DEP_3)
	v_cmp_gt_i32_e64 s7, 0, v86
	; wave barrier
	global_inv scope:SCOPE_SE
	v_cndmask_b32_e64 v52, v54, v52, s5
	v_cndmask_b32_e64 v53, v58, v53, s5
	;; [unrolled: 1-line block ×3, first 2 shown]
	s_wait_alu 0xf1ff
	v_cndmask_b32_e64 v86, v86, v33, s7
	v_cmp_eq_u32_e64 s7, 0, v11
	v_cndmask_b32_e64 v63, 0, v63, s6
	v_cndmask_b32_e64 v70, 0, v70, s6
	;; [unrolled: 1-line block ×3, first 2 shown]
	v_dual_cndmask_b32 v43, v52, v43 :: v_dual_lshlrev_b32 v86, 2, v86
	s_or_b32 s7, s7, s9
	v_cndmask_b32_e64 v69, 0, v69, s6
	v_cndmask_b32_e64 v72, 0, v72, s6
	ds_bpermute_b32 v13, v86, v13
	v_cndmask_b32_e32 v44, v53, v44, vcc_lo
	s_wait_dscnt 0x0
	s_wait_alu 0xfffe
	v_cndmask_b32_e64 v13, v13, 0, s7
	s_delay_alu instid0(VALU_DEP_1) | instskip(NEXT) | instid1(VALU_DEP_1)
	v_add_nc_u32_e32 v18, v13, v18
	v_add_nc_u32_e32 v19, v18, v19
	s_delay_alu instid0(VALU_DEP_1) | instskip(NEXT) | instid1(VALU_DEP_1)
	v_add_nc_u32_e32 v16, v19, v16
	v_add_nc_u32_e32 v17, v16, v17
	;; [unrolled: 3-line block ×3, first 2 shown]
	s_delay_alu instid0(VALU_DEP_1)
	v_add_nc_u32_e32 v12, v15, v12
	ds_store_2addr_b32 v32, v13, v18 offset0:1 offset1:2
	ds_store_2addr_b32 v32, v19, v16 offset0:3 offset1:4
	;; [unrolled: 1-line block ×4, first 2 shown]
	; wave barrier
	s_wait_loadcnt_dscnt 0x0
	global_inv scope:SCOPE_SE
	ds_load_b32 v12, v74 offset:4
	ds_load_b32 v15, v78 offset:4
	;; [unrolled: 1-line block ×4, first 2 shown]
	v_cndmask_b32_e64 v13, v64, v51, s5
	v_cndmask_b32_e64 v14, v63, v49, s5
	;; [unrolled: 1-line block ×4, first 2 shown]
	s_wait_loadcnt_dscnt 0x0
	s_delay_alu instid0(VALU_DEP_3) | instskip(SKIP_3) | instid1(VALU_DEP_4)
	v_dual_cndmask_b32 v47, v13, v47 :: v_dual_cndmask_b32 v46, v14, v46
	v_cndmask_b32_e64 v14, v44, v41, s1
	v_cndmask_b32_e64 v13, v43, v40, s1
	v_cndmask_b32_e32 v52, v16, v60, vcc_lo
	v_cndmask_b32_e64 v16, v47, v45, s1
	; wave barrier
	global_inv scope:SCOPE_SE
	v_cndmask_b32_e64 v19, v69, v62, s5
	v_cndmask_b32_e32 v40, v49, v61, vcc_lo
	v_cndmask_b32_e64 v51, v72, v66, s5
	v_add_nc_u32_e32 v41, v12, v67
	v_add3_u32 v43, v76, v75, v15
	v_add3_u32 v44, v80, v79, v17
	;; [unrolled: 1-line block ×3, first 2 shown]
	ds_store_b8 v41, v42
	ds_store_b8 v43, v71
	;; [unrolled: 1-line block ×4, first 2 shown]
	; wave barrier
	s_wait_loadcnt_dscnt 0x0
	global_inv scope:SCOPE_SE
	ds_load_b32 v12, v31
	v_cndmask_b32_e32 v19, v19, v59, vcc_lo
	v_cndmask_b32_e32 v42, v51, v56, vcc_lo
	v_cndmask_b32_e64 v15, v46, v39, s1
	v_cndmask_b32_e64 v18, v52, v50, s1
	;; [unrolled: 1-line block ×4, first 2 shown]
	v_lshlrev_b32_e32 v19, 3, v41
	v_lshlrev_b32_e32 v41, 3, v43
	v_cndmask_b32_e64 v39, v42, v55, s1
	v_lshlrev_b32_e32 v42, 3, v44
	v_lshlrev_b32_e32 v43, 3, v45
	; wave barrier
	s_wait_loadcnt_dscnt 0x0
	global_inv scope:SCOPE_SE
	ds_store_b64 v19, v[13:14]
	ds_store_b64 v41, v[15:16]
	;; [unrolled: 1-line block ×4, first 2 shown]
	; wave barrier
	s_wait_loadcnt_dscnt 0x0
	global_inv scope:SCOPE_SE
	s_and_b32 vcc_lo, exec_lo, s8
	s_wait_alu 0xfffe
	s_cbranch_vccnz .LBB273_36
	s_branch .LBB273_47
.LBB273_35:
                                        ; implicit-def: $vgpr12
	s_cbranch_execz .LBB273_47
.LBB273_36:
	v_xor_b32_e32 v12, 1, v35
	v_xor_b32_e32 v13, 1, v38
	v_and_b32_e32 v19, 3, v33
	v_xor_b32_e32 v14, 1, v37
	v_xor_b32_e32 v15, 1, v36
	v_and_b32_e32 v12, 0xff, v12
	v_and_b32_e32 v13, 0xff, v13
	v_cmp_eq_u32_e32 vcc_lo, 3, v19
	v_and_b32_e32 v58, 28, v33
	v_and_b32_e32 v14, 0xff, v14
	v_cmp_eq_u32_e64 s6, 0, v19
	v_cmp_eq_u32_e64 s5, 1, v19
	;; [unrolled: 1-line block ×3, first 2 shown]
	ds_bpermute_b32 v16, v58, v12
	ds_bpermute_b32 v17, v58, v13
	;; [unrolled: 1-line block ×3, first 2 shown]
	s_wait_alu 0xf1ff
	v_cndmask_b32_e64 v37, 0, 1, s6
	ds_bpermute_b32 v36, v58, v12 offset:32
	s_getpc_b64 s[8:9]
	s_wait_alu 0xfffe
	s_sext_i32_i16 s9, s9
	s_add_co_u32 s8, s8, _ZN7rocprim17ROCPRIM_400000_NS16block_radix_sortIbLj32ELj4ElLj1ELj1ELj0ELNS0_26block_radix_rank_algorithmE1ELNS0_18block_padding_hintE2ELNS0_4arch9wavefront6targetE0EE19radix_bits_per_passE@rel32@lo+12
	s_wait_alu 0xfffe
	s_add_co_ci_u32 s9, s9, _ZN7rocprim17ROCPRIM_400000_NS16block_radix_sortIbLj32ELj4ElLj1ELj1ELj0ELNS0_26block_radix_rank_algorithmE1ELNS0_18block_padding_hintE2ELNS0_4arch9wavefront6targetE0EE19radix_bits_per_passE@rel32@hi+24
	s_wait_loadcnt_dscnt 0x0
	s_load_b32 s8, s[8:9], 0x0
	; wave barrier
	global_inv scope:SCOPE_SE
	s_load_b32 s7, s[18:19], 0xc
	v_and_b32_e32 v16, v37, v16
	v_and_b32_e32 v17, 1, v17
	;; [unrolled: 1-line block ×3, first 2 shown]
	s_delay_alu instid0(VALU_DEP_2)
	v_cndmask_b32_e64 v16, v16, v17, s5
	s_wait_kmcnt 0x0
	s_min_u32 s8, s8, 8
	s_wait_alu 0xfffe
	s_lshl_b32 s8, -1, s8
	v_cndmask_b32_e64 v16, v16, v18, s1
	v_and_b32_e32 v15, 0xffff, v15
	ds_bpermute_b32 v18, v58, v13 offset:32
	s_wait_alu 0xfffe
	s_not_b32 s9, s8
	s_lshr_b32 s8, s7, 16
	ds_bpermute_b32 v35, v58, v15
	s_wait_alu 0xfffe
	v_mad_u32_u24 v0, v0, s8, v34
	s_and_b32 s8, s7, 0xffff
	s_wait_dscnt 0x1
	v_and_b32_e32 v18, 1, v18
	s_wait_dscnt 0x0
	v_and_b32_e32 v17, 1, v35
	v_and_b32_e32 v35, 1, v36
	s_delay_alu instid0(VALU_DEP_3) | instskip(NEXT) | instid1(VALU_DEP_3)
	v_lshlrev_b16 v18, 8, v18
	v_cndmask_b32_e32 v16, v16, v17, vcc_lo
	s_delay_alu instid0(VALU_DEP_3) | instskip(NEXT) | instid1(VALU_DEP_2)
	v_lshlrev_b16 v17, 8, v35
	v_and_b32_e32 v19, 1, v16
	s_delay_alu instid0(VALU_DEP_1) | instskip(NEXT) | instid1(VALU_DEP_1)
	v_or_b32_e32 v17, v19, v17
	v_and_b32_e32 v17, 0xffff, v17
	s_delay_alu instid0(VALU_DEP_1) | instskip(SKIP_2) | instid1(VALU_DEP_1)
	v_cndmask_b32_e64 v16, v16, v17, s6
	ds_bpermute_b32 v17, v58, v14 offset:32
	v_and_b32_e32 v19, 0xff, v16
	v_or_b32_e32 v18, v19, v18
	s_delay_alu instid0(VALU_DEP_1) | instskip(NEXT) | instid1(VALU_DEP_1)
	v_and_b32_e32 v18, 0xffff, v18
	v_and_or_b32 v18, 0xffff0000, v16, v18
	s_wait_dscnt 0x0
	v_and_b32_e32 v17, 1, v17
	s_delay_alu instid0(VALU_DEP_2) | instskip(SKIP_3) | instid1(VALU_DEP_1)
	v_cndmask_b32_e64 v16, v16, v18, s5
	ds_bpermute_b32 v18, v58, v15 offset:32
	v_lshlrev_b16 v17, 8, v17
	v_and_b32_e32 v19, 0xff, v16
	v_or_b32_e32 v17, v19, v17
	s_delay_alu instid0(VALU_DEP_1) | instskip(NEXT) | instid1(VALU_DEP_1)
	v_and_b32_e32 v17, 0xffff, v17
	v_and_or_b32 v17, 0xffff0000, v16, v17
	s_wait_dscnt 0x0
	v_and_b32_e32 v18, 1, v18
	s_delay_alu instid0(VALU_DEP_2) | instskip(NEXT) | instid1(VALU_DEP_2)
	v_cndmask_b32_e64 v16, v16, v17, s1
	v_lshlrev_b16 v17, 8, v18
	s_delay_alu instid0(VALU_DEP_2) | instskip(NEXT) | instid1(VALU_DEP_1)
	v_and_b32_e32 v18, 0xff, v16
	v_or_b32_e32 v17, v18, v17
	ds_bpermute_b32 v18, v58, v12 offset:64
	ds_bpermute_b32 v12, v58, v12 offset:96
	v_and_b32_e32 v17, 0xffff, v17
	s_delay_alu instid0(VALU_DEP_1) | instskip(NEXT) | instid1(VALU_DEP_1)
	v_and_or_b32 v17, 0xffff0000, v16, v17
	v_cndmask_b32_e32 v16, v16, v17, vcc_lo
	s_delay_alu instid0(VALU_DEP_1)
	v_lshrrev_b32_e32 v17, 16, v16
	s_wait_dscnt 0x1
	v_and_b32_e32 v18, 1, v18
	s_wait_dscnt 0x0
	v_and_b32_e32 v12, 1, v12
	v_and_b32_e32 v17, 0xffffff00, v17
	s_delay_alu instid0(VALU_DEP_2) | instskip(NEXT) | instid1(VALU_DEP_2)
	v_lshlrev_b16 v12, 8, v12
	v_or_b32_e32 v17, v18, v17
	ds_bpermute_b32 v18, v58, v13 offset:64
	ds_bpermute_b32 v13, v58, v13 offset:96
	v_lshlrev_b32_e32 v17, 16, v17
	s_delay_alu instid0(VALU_DEP_1) | instskip(NEXT) | instid1(VALU_DEP_1)
	v_and_or_b32 v17, 0xffff, v16, v17
	v_cndmask_b32_e64 v16, v16, v17, s6
	s_delay_alu instid0(VALU_DEP_1)
	v_lshrrev_b32_e32 v17, 16, v16
	s_wait_dscnt 0x1
	v_and_b32_e32 v18, 1, v18
	s_wait_dscnt 0x0
	v_and_b32_e32 v13, 1, v13
	v_and_b32_e32 v17, 0xffffff00, v17
	s_delay_alu instid0(VALU_DEP_2) | instskip(NEXT) | instid1(VALU_DEP_2)
	v_lshlrev_b16 v13, 8, v13
	v_or_b32_e32 v17, v18, v17
	ds_bpermute_b32 v18, v58, v14 offset:64
	ds_bpermute_b32 v14, v58, v14 offset:96
	v_lshlrev_b32_e32 v17, 16, v17
	s_delay_alu instid0(VALU_DEP_1) | instskip(NEXT) | instid1(VALU_DEP_1)
	v_and_or_b32 v17, 0xffff, v16, v17
	v_cndmask_b32_e64 v16, v16, v17, s5
	s_delay_alu instid0(VALU_DEP_1) | instskip(SKIP_2) | instid1(VALU_DEP_2)
	v_lshrrev_b32_e32 v17, 16, v16
	s_wait_dscnt 0x1
	v_and_b32_e32 v18, 1, v18
	v_and_b32_e32 v17, 0xffffff00, v17
	s_delay_alu instid0(VALU_DEP_1) | instskip(SKIP_3) | instid1(VALU_DEP_1)
	v_or_b32_e32 v17, v18, v17
	ds_bpermute_b32 v18, v58, v15 offset:64
	ds_bpermute_b32 v15, v58, v15 offset:96
	v_lshlrev_b32_e32 v17, 16, v17
	v_and_or_b32 v17, 0xffff, v16, v17
	s_delay_alu instid0(VALU_DEP_1) | instskip(NEXT) | instid1(VALU_DEP_1)
	v_cndmask_b32_e64 v16, v16, v17, s1
	v_lshrrev_b32_e32 v17, 16, v16
	s_wait_dscnt 0x1
	v_and_b32_e32 v18, 1, v18
	s_delay_alu instid0(VALU_DEP_2) | instskip(NEXT) | instid1(VALU_DEP_1)
	v_and_b32_e32 v17, 0xffffff00, v17
	v_or_b32_e32 v17, v18, v17
	s_delay_alu instid0(VALU_DEP_1) | instskip(NEXT) | instid1(VALU_DEP_1)
	v_lshlrev_b32_e32 v17, 16, v17
	v_and_or_b32 v17, 0xffff, v16, v17
	s_delay_alu instid0(VALU_DEP_1) | instskip(NEXT) | instid1(VALU_DEP_1)
	v_cndmask_b32_e32 v16, v16, v17, vcc_lo
	v_lshrrev_b32_e32 v17, 16, v16
	s_delay_alu instid0(VALU_DEP_1) | instskip(NEXT) | instid1(VALU_DEP_1)
	v_and_b32_e32 v17, 0xff, v17
	v_or_b32_e32 v12, v17, v12
	s_delay_alu instid0(VALU_DEP_1) | instskip(NEXT) | instid1(VALU_DEP_1)
	v_lshlrev_b32_e32 v12, 16, v12
	v_and_or_b32 v12, 0xffff, v16, v12
	s_delay_alu instid0(VALU_DEP_1) | instskip(NEXT) | instid1(VALU_DEP_1)
	v_cndmask_b32_e64 v12, v16, v12, s6
	v_lshrrev_b32_e32 v16, 16, v12
	s_delay_alu instid0(VALU_DEP_1) | instskip(NEXT) | instid1(VALU_DEP_1)
	v_and_b32_e32 v16, 0xff, v16
	v_or_b32_e32 v13, v16, v13
	s_delay_alu instid0(VALU_DEP_1) | instskip(NEXT) | instid1(VALU_DEP_1)
	v_lshlrev_b32_e32 v13, 16, v13
	v_and_or_b32 v13, 0xffff, v12, v13
	s_delay_alu instid0(VALU_DEP_1) | instskip(SKIP_1) | instid1(VALU_DEP_2)
	v_cndmask_b32_e64 v12, v12, v13, s5
	v_and_b32_e32 v13, 1, v14
	v_lshrrev_b32_e32 v14, 16, v12
	s_delay_alu instid0(VALU_DEP_2) | instskip(NEXT) | instid1(VALU_DEP_2)
	v_lshlrev_b16 v13, 8, v13
	v_and_b32_e32 v14, 0xff, v14
	s_delay_alu instid0(VALU_DEP_1) | instskip(NEXT) | instid1(VALU_DEP_1)
	v_or_b32_e32 v13, v14, v13
	v_lshlrev_b32_e32 v13, 16, v13
	s_delay_alu instid0(VALU_DEP_1) | instskip(NEXT) | instid1(VALU_DEP_1)
	v_and_or_b32 v13, 0xffff, v12, v13
	v_cndmask_b32_e64 v35, v12, v13, s1
	s_wait_dscnt 0x0
	v_and_b32_e32 v12, 1, v15
	s_delay_alu instid0(VALU_DEP_2) | instskip(NEXT) | instid1(VALU_DEP_2)
	v_lshrrev_b32_e32 v13, 16, v35
	v_lshlrev_b16 v12, 8, v12
	s_delay_alu instid0(VALU_DEP_2) | instskip(NEXT) | instid1(VALU_DEP_1)
	v_and_b32_e32 v13, 0xff, v13
	v_or_b32_e32 v16, v13, v12
	s_delay_alu instid0(VALU_DEP_1) | instskip(NEXT) | instid1(VALU_DEP_1)
	v_lshlrev_b32_e32 v16, 16, v16
	v_and_or_b32 v40, 0xffff, v35, v16
	s_delay_alu instid0(VALU_DEP_1)
	v_cndmask_b32_e32 v45, v35, v40, vcc_lo
	ds_bpermute_b32 v12, v58, v3
	ds_bpermute_b32 v41, v58, v5
	;; [unrolled: 1-line block ×3, first 2 shown]
	ds_bpermute_b32 v47, v58, v5 offset:32
	v_and_b32_e32 v35, s9, v45
	ds_bpermute_b32 v48, v58, v6 offset:32
	ds_bpermute_b32 v54, v58, v5 offset:64
	;; [unrolled: 1-line block ×4, first 2 shown]
	v_and_b32_e32 v59, 0xff, v35
	ds_bpermute_b32 v57, v58, v6 offset:96
	ds_bpermute_b32 v18, v58, v7
	ds_bpermute_b32 v19, v58, v8
	;; [unrolled: 1-line block ×3, first 2 shown]
	v_add_co_u32 v51, s11, v59, -1
	s_wait_alu 0xf1ff
	v_cndmask_b32_e64 v50, 0, 1, s11
	ds_bpermute_b32 v15, v58, v2
	ds_bpermute_b32 v13, v58, v4
	ds_bpermute_b32 v38, v58, v7 offset:32
	s_wait_dscnt 0xe
	s_wait_alu 0xfffe
	v_mad_co_u64_u32 v[5:6], null, v0, s8, v[11:12]
	v_cmp_ne_u32_e64 s7, 0, v50
	ds_bpermute_b32 v39, v58, v8 offset:32
	ds_bpermute_b32 v36, v58, v1 offset:32
	;; [unrolled: 1-line block ×4, first 2 shown]
	s_wait_alu 0xf1ff
	v_xor_b32_e32 v0, s7, v51
	ds_bpermute_b32 v17, v58, v4 offset:32
	ds_bpermute_b32 v46, v58, v7 offset:64
	ds_bpermute_b32 v49, v58, v8 offset:64
	ds_bpermute_b32 v43, v58, v1 offset:64
	ds_bpermute_b32 v44, v58, v2 offset:64
	ds_bpermute_b32 v35, v58, v3 offset:64
	ds_bpermute_b32 v40, v58, v4 offset:64
	ds_bpermute_b32 v52, v58, v7 offset:96
	ds_bpermute_b32 v53, v58, v8 offset:96
	ds_bpermute_b32 v50, v58, v1 offset:96
	ds_bpermute_b32 v51, v58, v2 offset:96
	ds_bpermute_b32 v8, v58, v3 offset:96
	ds_bpermute_b32 v34, v58, v4 offset:96
	v_and_b32_e32 v1, exec_lo, v0
	v_lshrrev_b32_e32 v2, 3, v5
	v_mov_b32_e32 v3, 0
	ds_store_2addr_b32 v32, v3, v3 offset0:1 offset1:2
	ds_store_2addr_b32 v32, v3, v3 offset0:3 offset1:4
	;; [unrolled: 1-line block ×4, first 2 shown]
	v_mbcnt_lo_u32_b32 v58, v1, 0
	v_and_b32_e32 v0, 0x1ffffffc, v2
	v_cmp_ne_u32_e64 s8, 0, v1
	; wave barrier
	s_wait_loadcnt_dscnt 0x0
	global_inv scope:SCOPE_SE
	v_cmp_eq_u32_e64 s7, 0, v58
	v_lshl_add_u32 v60, v59, 2, v0
	; wave barrier
	s_and_b32 s8, s8, s7
	s_wait_alu 0xfffe
	s_and_saveexec_b32 s7, s8
; %bb.37:
	v_bcnt_u32_b32 v1, v1, 0
	ds_store_b32 v60, v1 offset:4
; %bb.38:
	s_wait_alu 0xfffe
	s_or_b32 exec_lo, exec_lo, s7
	v_lshrrev_b32_e32 v59, 8, v45
	; wave barrier
	s_delay_alu instid0(VALU_DEP_1) | instskip(NEXT) | instid1(VALU_DEP_1)
	v_and_b32_e32 v1, s9, v59
	v_and_b32_e32 v1, 0xff, v1
	s_delay_alu instid0(VALU_DEP_1) | instskip(SKIP_3) | instid1(VALU_DEP_2)
	v_add_co_u32 v2, s7, v1, -1
	s_wait_alu 0xf1ff
	v_cndmask_b32_e64 v3, 0, 1, s7
	v_lshl_add_u32 v63, v1, 2, v0
	v_cmp_ne_u32_e64 s7, 0, v3
	ds_load_b32 v61, v63 offset:4
	; wave barrier
	s_wait_alu 0xf1ff
	v_xor_b32_e32 v1, s7, v2
	s_delay_alu instid0(VALU_DEP_1) | instskip(NEXT) | instid1(VALU_DEP_1)
	v_and_b32_e32 v1, exec_lo, v1
	v_mbcnt_lo_u32_b32 v62, v1, 0
	v_cmp_ne_u32_e64 s8, 0, v1
	s_delay_alu instid0(VALU_DEP_2)
	v_cmp_eq_u32_e64 s7, 0, v62
	s_and_b32 s8, s8, s7
	s_wait_alu 0xfffe
	s_and_saveexec_b32 s7, s8
	s_cbranch_execz .LBB273_40
; %bb.39:
	s_wait_dscnt 0x0
	v_bcnt_u32_b32 v1, v1, v61
	ds_store_b32 v63, v1 offset:4
.LBB273_40:
	s_wait_alu 0xfffe
	s_or_b32 exec_lo, exec_lo, s7
	v_lshrrev_b32_e32 v64, 16, v45
	; wave barrier
	s_delay_alu instid0(VALU_DEP_1) | instskip(NEXT) | instid1(VALU_DEP_1)
	v_and_b32_e32 v1, s9, v64
	v_and_b32_e32 v1, 0xff, v1
	s_delay_alu instid0(VALU_DEP_1) | instskip(SKIP_3) | instid1(VALU_DEP_2)
	v_add_co_u32 v2, s7, v1, -1
	s_wait_alu 0xf1ff
	v_cndmask_b32_e64 v3, 0, 1, s7
	v_lshl_add_u32 v67, v1, 2, v0
	v_cmp_ne_u32_e64 s7, 0, v3
	ds_load_b32 v65, v67 offset:4
	; wave barrier
	s_wait_alu 0xf1ff
	v_xor_b32_e32 v1, s7, v2
	s_delay_alu instid0(VALU_DEP_1) | instskip(NEXT) | instid1(VALU_DEP_1)
	v_and_b32_e32 v1, exec_lo, v1
	v_mbcnt_lo_u32_b32 v66, v1, 0
	v_cmp_ne_u32_e64 s8, 0, v1
	s_delay_alu instid0(VALU_DEP_2)
	v_cmp_eq_u32_e64 s7, 0, v66
	s_and_b32 s8, s8, s7
	s_wait_alu 0xfffe
	s_and_saveexec_b32 s7, s8
	s_cbranch_execz .LBB273_42
; %bb.41:
	s_wait_dscnt 0x0
	v_bcnt_u32_b32 v1, v1, v65
	ds_store_b32 v67, v1 offset:4
.LBB273_42:
	s_wait_alu 0xfffe
	s_or_b32 exec_lo, exec_lo, s7
	v_lshrrev_b32_e32 v68, 24, v45
	; wave barrier
	s_delay_alu instid0(VALU_DEP_1) | instskip(NEXT) | instid1(VALU_DEP_1)
	v_and_b32_e32 v1, s9, v68
	v_add_co_u32 v2, s7, v1, -1
	s_wait_alu 0xf1ff
	v_cndmask_b32_e64 v3, 0, 1, s7
	v_lshl_add_u32 v71, v1, 2, v0
	s_delay_alu instid0(VALU_DEP_2) | instskip(SKIP_3) | instid1(VALU_DEP_1)
	v_cmp_ne_u32_e64 s7, 0, v3
	ds_load_b32 v69, v71 offset:4
	; wave barrier
	s_wait_alu 0xf1ff
	v_xor_b32_e32 v0, s7, v2
	v_and_b32_e32 v0, exec_lo, v0
	s_delay_alu instid0(VALU_DEP_1) | instskip(SKIP_1) | instid1(VALU_DEP_2)
	v_mbcnt_lo_u32_b32 v70, v0, 0
	v_cmp_ne_u32_e64 s8, 0, v0
	v_cmp_eq_u32_e64 s7, 0, v70
	s_and_b32 s8, s8, s7
	s_wait_alu 0xfffe
	s_and_saveexec_b32 s7, s8
	s_cbranch_execz .LBB273_44
; %bb.43:
	s_wait_dscnt 0x0
	v_bcnt_u32_b32 v0, v0, v69
	ds_store_b32 v71, v0 offset:4
.LBB273_44:
	s_wait_alu 0xfffe
	s_or_b32 exec_lo, exec_lo, s7
	; wave barrier
	; wave barrier
	s_wait_loadcnt_dscnt 0x0
	global_inv scope:SCOPE_SE
	ds_load_2addr_b32 v[6:7], v32 offset0:1 offset1:2
	ds_load_2addr_b32 v[4:5], v32 offset0:3 offset1:4
	;; [unrolled: 1-line block ×4, first 2 shown]
	s_mov_b32 s8, exec_lo
	s_wait_dscnt 0x3
	v_add_nc_u32_e32 v72, v7, v6
	s_wait_dscnt 0x2
	s_delay_alu instid0(VALU_DEP_1) | instskip(SKIP_1) | instid1(VALU_DEP_1)
	v_add3_u32 v72, v72, v4, v5
	s_wait_dscnt 0x1
	v_add3_u32 v72, v72, v2, v3
	s_wait_dscnt 0x0
	s_delay_alu instid0(VALU_DEP_1) | instskip(SKIP_1) | instid1(VALU_DEP_2)
	v_add3_u32 v1, v72, v0, v1
	v_and_b32_e32 v72, 15, v33
	v_mov_b32_dpp v73, v1 row_shr:1 row_mask:0xf bank_mask:0xf
	s_delay_alu instid0(VALU_DEP_2) | instskip(SKIP_1) | instid1(VALU_DEP_1)
	v_cmp_ne_u32_e64 s7, 0, v72
	s_wait_alu 0xf1ff
	v_cndmask_b32_e64 v73, 0, v73, s7
	v_cmp_lt_u32_e64 s7, 1, v72
	s_delay_alu instid0(VALU_DEP_2) | instskip(NEXT) | instid1(VALU_DEP_1)
	v_add_nc_u32_e32 v1, v73, v1
	v_mov_b32_dpp v73, v1 row_shr:2 row_mask:0xf bank_mask:0xf
	s_wait_alu 0xf1ff
	s_delay_alu instid0(VALU_DEP_1) | instskip(SKIP_1) | instid1(VALU_DEP_2)
	v_cndmask_b32_e64 v73, 0, v73, s7
	v_cmp_lt_u32_e64 s7, 3, v72
	v_add_nc_u32_e32 v1, v1, v73
	s_delay_alu instid0(VALU_DEP_1) | instskip(SKIP_1) | instid1(VALU_DEP_1)
	v_mov_b32_dpp v73, v1 row_shr:4 row_mask:0xf bank_mask:0xf
	s_wait_alu 0xf1ff
	v_cndmask_b32_e64 v73, 0, v73, s7
	v_cmp_lt_u32_e64 s7, 7, v72
	s_delay_alu instid0(VALU_DEP_2) | instskip(NEXT) | instid1(VALU_DEP_1)
	v_add_nc_u32_e32 v1, v1, v73
	v_mov_b32_dpp v73, v1 row_shr:8 row_mask:0xf bank_mask:0xf
	s_wait_alu 0xf1ff
	s_delay_alu instid0(VALU_DEP_1) | instskip(SKIP_1) | instid1(VALU_DEP_2)
	v_cndmask_b32_e64 v72, 0, v73, s7
	v_bfe_i32 v73, v33, 4, 1
	v_add_nc_u32_e32 v1, v1, v72
	ds_swizzle_b32 v72, v1 offset:swizzle(BROADCAST,32,15)
	s_wait_dscnt 0x0
	v_and_b32_e32 v72, v73, v72
	s_delay_alu instid0(VALU_DEP_1)
	v_add_nc_u32_e32 v1, v1, v72
	v_cmpx_eq_u32_e32 31, v11
; %bb.45:
	v_mov_b32_e32 v72, 0
	ds_store_b32 v72, v1
; %bb.46:
	s_wait_alu 0xfffe
	s_or_b32 exec_lo, exec_lo, s8
	v_sub_co_u32 v72, s8, v33, 1
	; wave barrier
	s_wait_loadcnt_dscnt 0x0
	global_inv scope:SCOPE_SE
	v_cmp_gt_i32_e64 s7, 0, v72
	s_wait_alu 0xf1ff
	s_delay_alu instid0(VALU_DEP_1) | instskip(SKIP_2) | instid1(VALU_DEP_3)
	v_cndmask_b32_e64 v33, v72, v33, s7
	v_cmp_eq_u32_e64 s7, 0, v11
	v_cndmask_b32_e64 v11, 0, v54, s6
	v_lshlrev_b32_e32 v33, 2, v33
	s_or_b32 s7, s7, s8
	ds_bpermute_b32 v1, v33, v1
	v_cndmask_b32_e64 v33, 0, v56, s6
	s_wait_dscnt 0x0
	s_wait_alu 0xfffe
	v_cndmask_b32_e64 v1, v1, 0, s7
	s_delay_alu instid0(VALU_DEP_1) | instskip(NEXT) | instid1(VALU_DEP_1)
	v_add_nc_u32_e32 v6, v1, v6
	v_add_nc_u32_e32 v7, v6, v7
	s_delay_alu instid0(VALU_DEP_1) | instskip(NEXT) | instid1(VALU_DEP_1)
	v_add_nc_u32_e32 v4, v7, v4
	v_add_nc_u32_e32 v5, v4, v5
	;; [unrolled: 3-line block ×3, first 2 shown]
	s_delay_alu instid0(VALU_DEP_1)
	v_add_nc_u32_e32 v0, v3, v0
	ds_store_2addr_b32 v32, v1, v6 offset0:1 offset1:2
	ds_store_2addr_b32 v32, v7, v4 offset0:3 offset1:4
	;; [unrolled: 1-line block ×4, first 2 shown]
	; wave barrier
	s_wait_loadcnt_dscnt 0x0
	global_inv scope:SCOPE_SE
	ds_load_b32 v0, v60 offset:4
	ds_load_b32 v1, v63 offset:4
	;; [unrolled: 1-line block ×4, first 2 shown]
	v_cndmask_b32_e64 v5, 0, v42, s6
	v_cndmask_b32_e64 v6, 0, v47, s6
	v_cndmask_b32_e64 v7, 0, v48, s6
	; wave barrier
	s_wait_loadcnt_dscnt 0x0
	global_inv scope:SCOPE_SE
	v_cndmask_b32_e64 v4, 0, v41, s6
	v_cndmask_b32_e64 v41, 0, v57, s6
	;; [unrolled: 1-line block ×3, first 2 shown]
	v_add_nc_u32_e32 v42, v0, v58
	v_add3_u32 v47, v62, v61, v1
	v_add3_u32 v48, v66, v65, v2
	;; [unrolled: 1-line block ×3, first 2 shown]
	ds_store_b8 v42, v45
	ds_store_b8 v47, v59
	;; [unrolled: 1-line block ×4, first 2 shown]
	; wave barrier
	s_wait_loadcnt_dscnt 0x0
	global_inv scope:SCOPE_SE
	ds_load_b32 v31, v31
	v_cndmask_b32_e64 v0, v5, v19, s5
	v_cndmask_b32_e64 v1, v4, v18, s5
	;; [unrolled: 1-line block ×13, first 2 shown]
	v_dual_cndmask_b32 v1, v0, v13 :: v_dual_cndmask_b32 v0, v11, v12
	v_cndmask_b32_e64 v4, v32, v49, s5
	s_delay_alu instid0(VALU_DEP_4)
	v_cndmask_b32_e32 v3, v2, v17, vcc_lo
	v_cndmask_b32_e32 v2, v14, v16, vcc_lo
	v_cndmask_b32_e64 v15, v5, v43, s1
	s_wait_dscnt 0x0
	v_lshrrev_b32_e32 v7, 16, v31
	v_and_b32_e32 v11, 0xffffff00, v31
	v_xor_b32_e32 v12, 1, v31
	v_cndmask_b32_e64 v4, v4, v44, s1
	s_wait_loadcnt 0x0
	v_and_b32_e32 v13, 0xffffff00, v7
	v_xor_b32_e32 v7, 1, v7
	v_and_b32_e32 v12, 0xff, v12
	v_dual_cndmask_b32 v5, v4, v40 :: v_dual_cndmask_b32 v4, v15, v35
	v_lshlrev_b32_e32 v15, 3, v54
	v_xor_b32_e32 v13, 0x100, v13
	v_dual_cndmask_b32 v7, v6, v34 :: v_dual_and_b32 v14, 0xff, v7
	v_cndmask_b32_e32 v6, v18, v8, vcc_lo
	v_xor_b32_e32 v11, 0x100, v11
	v_lshlrev_b32_e32 v8, 3, v42
	; wave barrier
	global_inv scope:SCOPE_SE
	v_or_b32_e32 v11, v12, v11
	v_or_b32_e32 v12, v14, v13
	v_lshlrev_b32_e32 v14, 3, v48
	v_lshlrev_b32_e32 v13, 3, v47
	ds_store_b64 v8, v[0:1]
	ds_store_b64 v13, v[2:3]
	v_and_b32_e32 v11, 0xffff, v11
	v_lshlrev_b32_e32 v12, 16, v12
	ds_store_b64 v14, v[4:5]
	ds_store_b64 v15, v[6:7]
	; wave barrier
	s_wait_loadcnt_dscnt 0x0
	global_inv scope:SCOPE_SE
	v_or_b32_e32 v12, v11, v12
.LBB273_47:
	ds_load_b128 v[0:3], v10
	ds_load_b128 v[4:7], v10 offset:16
	; wave barrier
	s_wait_loadcnt_dscnt 0x0
	global_inv scope:SCOPE_SE
	ds_store_b32 v25, v12
	; wave barrier
	s_wait_loadcnt_dscnt 0x0
	global_inv scope:SCOPE_SE
	ds_load_u8 v13, v22 offset:32
	ds_load_u8 v12, v23 offset:64
	;; [unrolled: 1-line block ×3, first 2 shown]
	v_add_co_u32 v10, s1, s14, v20
	s_wait_alu 0xf1ff
	v_add_co_ci_u32_e64 v11, null, s15, 0, s1
	s_and_saveexec_b32 s1, s2
	s_cbranch_execnz .LBB273_58
; %bb.48:
	s_wait_alu 0xfffe
	s_or_b32 exec_lo, exec_lo, s1
	s_and_saveexec_b32 s1, s4
	s_cbranch_execnz .LBB273_59
.LBB273_49:
	s_wait_alu 0xfffe
	s_or_b32 exec_lo, exec_lo, s1
	s_and_saveexec_b32 s1, s3
	s_cbranch_execnz .LBB273_60
.LBB273_50:
	s_wait_alu 0xfffe
	s_or_b32 exec_lo, exec_lo, s1
	s_and_saveexec_b32 s1, s0
	s_cbranch_execz .LBB273_52
.LBB273_51:
	s_mul_i32 s5, s10, 0x60
	s_wait_alu 0xfffe
	v_add_co_u32 v10, vcc_lo, v10, s5
	s_wait_alu 0xfffd
	v_add_co_ci_u32_e64 v11, null, 0, v11, vcc_lo
	s_wait_dscnt 0x0
	global_store_b8 v[10:11], v8, off
.LBB273_52:
	s_wait_alu 0xfffe
	s_or_b32 exec_lo, exec_lo, s1
	s_wait_storecnt 0x0
	; wave barrier
	s_wait_loadcnt_dscnt 0x0
	global_inv scope:SCOPE_SE
	ds_store_2addr_b64 v30, v[0:1], v[2:3] offset1:1
	ds_store_2addr_b64 v30, v[4:5], v[6:7] offset0:2 offset1:3
	; wave barrier
	s_wait_loadcnt_dscnt 0x0
	global_inv scope:SCOPE_SE
	ds_load_b64 v[6:7], v27 offset:256
	ds_load_b64 v[4:5], v28 offset:512
	ds_load_b64 v[0:1], v29 offset:768
	v_mov_b32_e32 v10, 0
	s_delay_alu instid0(VALU_DEP_1) | instskip(NEXT) | instid1(VALU_DEP_1)
	v_lshlrev_b64_e32 v[2:3], 3, v[9:10]
	v_add_co_u32 v2, vcc_lo, s16, v2
	s_wait_alu 0xfffd
	s_delay_alu instid0(VALU_DEP_2)
	v_add_co_ci_u32_e64 v3, null, s17, v3, vcc_lo
	s_and_saveexec_b32 s1, s2
	s_cbranch_execnz .LBB273_61
; %bb.53:
	s_wait_alu 0xfffe
	s_or_b32 exec_lo, exec_lo, s1
	s_and_saveexec_b32 s1, s4
	s_cbranch_execnz .LBB273_62
.LBB273_54:
	s_wait_alu 0xfffe
	s_or_b32 exec_lo, exec_lo, s1
	s_and_saveexec_b32 s1, s3
	s_cbranch_execnz .LBB273_63
.LBB273_55:
	s_wait_alu 0xfffe
	s_or_b32 exec_lo, exec_lo, s1
	s_and_saveexec_b32 s1, s0
	s_cbranch_execz .LBB273_57
.LBB273_56:
	s_mul_i32 s0, s12, 0x60
	s_mov_b32 s1, 0
	s_wait_alu 0xfffe
	s_lshl_b64 s[0:1], s[0:1], 3
	s_wait_alu 0xfffe
	v_add_co_u32 v2, vcc_lo, v2, s0
	s_wait_alu 0xfffd
	v_add_co_ci_u32_e64 v3, null, s1, v3, vcc_lo
	s_wait_dscnt 0x0
	global_store_b64 v[2:3], v[0:1], off
.LBB273_57:
	s_endpgm
.LBB273_58:
	ds_load_u8 v14, v21
	s_wait_dscnt 0x0
	global_store_b8 v[10:11], v14, off
	s_wait_alu 0xfffe
	s_or_b32 exec_lo, exec_lo, s1
	s_and_saveexec_b32 s1, s4
	s_cbranch_execz .LBB273_49
.LBB273_59:
	s_lshl_b32 s5, s10, 5
	s_wait_alu 0xfffe
	v_add_co_u32 v14, vcc_lo, v10, s5
	s_wait_alu 0xfffd
	v_add_co_ci_u32_e64 v15, null, 0, v11, vcc_lo
	s_wait_dscnt 0x2
	global_store_b8 v[14:15], v13, off
	s_or_b32 exec_lo, exec_lo, s1
	s_and_saveexec_b32 s1, s3
	s_cbranch_execz .LBB273_50
.LBB273_60:
	s_lshl_b32 s5, s10, 6
	s_wait_dscnt 0x2
	s_wait_alu 0xfffe
	v_add_co_u32 v13, vcc_lo, v10, s5
	s_wait_alu 0xfffd
	v_add_co_ci_u32_e64 v14, null, 0, v11, vcc_lo
	s_wait_dscnt 0x1
	global_store_b8 v[13:14], v12, off
	s_or_b32 exec_lo, exec_lo, s1
	s_and_saveexec_b32 s1, s0
	s_cbranch_execnz .LBB273_51
	s_branch .LBB273_52
.LBB273_61:
	ds_load_b64 v[8:9], v26
	s_wait_dscnt 0x0
	global_store_b64 v[2:3], v[8:9], off
	s_wait_alu 0xfffe
	s_or_b32 exec_lo, exec_lo, s1
	s_and_saveexec_b32 s1, s4
	s_cbranch_execz .LBB273_54
.LBB273_62:
	s_lshl_b32 s4, s12, 5
	s_mov_b32 s5, 0
	s_wait_alu 0xfffe
	s_lshl_b64 s[4:5], s[4:5], 3
	s_wait_alu 0xfffe
	v_add_co_u32 v8, vcc_lo, v2, s4
	s_wait_alu 0xfffd
	v_add_co_ci_u32_e64 v9, null, s5, v3, vcc_lo
	s_wait_dscnt 0x2
	global_store_b64 v[8:9], v[6:7], off
	s_or_b32 exec_lo, exec_lo, s1
	s_and_saveexec_b32 s1, s3
	s_cbranch_execz .LBB273_55
.LBB273_63:
	s_lshl_b32 s2, s12, 6
	s_mov_b32 s3, 0
	s_delay_alu instid0(SALU_CYCLE_1)
	s_lshl_b64 s[2:3], s[2:3], 3
	s_wait_dscnt 0x2
	v_add_co_u32 v6, vcc_lo, v2, s2
	s_wait_alu 0xfffd
	v_add_co_ci_u32_e64 v7, null, s3, v3, vcc_lo
	s_wait_dscnt 0x1
	global_store_b64 v[6:7], v[4:5], off
	s_wait_alu 0xfffe
	s_or_b32 exec_lo, exec_lo, s1
	s_and_saveexec_b32 s1, s0
	s_cbranch_execnz .LBB273_56
	s_branch .LBB273_57
	.section	.rodata,"a",@progbits
	.p2align	6, 0x0
	.amdhsa_kernel _ZN2at6native18radixSortKVInPlaceILin1ELin1ELi32ELi4EbljEEvNS_4cuda6detail10TensorInfoIT3_T5_EES6_S6_S6_NS4_IT4_S6_EES6_b
		.amdhsa_group_segment_fixed_size 1056
		.amdhsa_private_segment_fixed_size 0
		.amdhsa_kernarg_size 712
		.amdhsa_user_sgpr_count 2
		.amdhsa_user_sgpr_dispatch_ptr 0
		.amdhsa_user_sgpr_queue_ptr 0
		.amdhsa_user_sgpr_kernarg_segment_ptr 1
		.amdhsa_user_sgpr_dispatch_id 0
		.amdhsa_user_sgpr_private_segment_size 0
		.amdhsa_wavefront_size32 1
		.amdhsa_uses_dynamic_stack 0
		.amdhsa_enable_private_segment 0
		.amdhsa_system_sgpr_workgroup_id_x 1
		.amdhsa_system_sgpr_workgroup_id_y 1
		.amdhsa_system_sgpr_workgroup_id_z 1
		.amdhsa_system_sgpr_workgroup_info 0
		.amdhsa_system_vgpr_workitem_id 2
		.amdhsa_next_free_vgpr 88
		.amdhsa_next_free_sgpr 20
		.amdhsa_reserve_vcc 1
		.amdhsa_float_round_mode_32 0
		.amdhsa_float_round_mode_16_64 0
		.amdhsa_float_denorm_mode_32 3
		.amdhsa_float_denorm_mode_16_64 3
		.amdhsa_fp16_overflow 0
		.amdhsa_workgroup_processor_mode 1
		.amdhsa_memory_ordered 1
		.amdhsa_forward_progress 1
		.amdhsa_inst_pref_size 67
		.amdhsa_round_robin_scheduling 0
		.amdhsa_exception_fp_ieee_invalid_op 0
		.amdhsa_exception_fp_denorm_src 0
		.amdhsa_exception_fp_ieee_div_zero 0
		.amdhsa_exception_fp_ieee_overflow 0
		.amdhsa_exception_fp_ieee_underflow 0
		.amdhsa_exception_fp_ieee_inexact 0
		.amdhsa_exception_int_div_zero 0
	.end_amdhsa_kernel
	.section	.text._ZN2at6native18radixSortKVInPlaceILin1ELin1ELi32ELi4EbljEEvNS_4cuda6detail10TensorInfoIT3_T5_EES6_S6_S6_NS4_IT4_S6_EES6_b,"axG",@progbits,_ZN2at6native18radixSortKVInPlaceILin1ELin1ELi32ELi4EbljEEvNS_4cuda6detail10TensorInfoIT3_T5_EES6_S6_S6_NS4_IT4_S6_EES6_b,comdat
.Lfunc_end273:
	.size	_ZN2at6native18radixSortKVInPlaceILin1ELin1ELi32ELi4EbljEEvNS_4cuda6detail10TensorInfoIT3_T5_EES6_S6_S6_NS4_IT4_S6_EES6_b, .Lfunc_end273-_ZN2at6native18radixSortKVInPlaceILin1ELin1ELi32ELi4EbljEEvNS_4cuda6detail10TensorInfoIT3_T5_EES6_S6_S6_NS4_IT4_S6_EES6_b
                                        ; -- End function
	.set _ZN2at6native18radixSortKVInPlaceILin1ELin1ELi32ELi4EbljEEvNS_4cuda6detail10TensorInfoIT3_T5_EES6_S6_S6_NS4_IT4_S6_EES6_b.num_vgpr, 88
	.set _ZN2at6native18radixSortKVInPlaceILin1ELin1ELi32ELi4EbljEEvNS_4cuda6detail10TensorInfoIT3_T5_EES6_S6_S6_NS4_IT4_S6_EES6_b.num_agpr, 0
	.set _ZN2at6native18radixSortKVInPlaceILin1ELin1ELi32ELi4EbljEEvNS_4cuda6detail10TensorInfoIT3_T5_EES6_S6_S6_NS4_IT4_S6_EES6_b.numbered_sgpr, 20
	.set _ZN2at6native18radixSortKVInPlaceILin1ELin1ELi32ELi4EbljEEvNS_4cuda6detail10TensorInfoIT3_T5_EES6_S6_S6_NS4_IT4_S6_EES6_b.num_named_barrier, 0
	.set _ZN2at6native18radixSortKVInPlaceILin1ELin1ELi32ELi4EbljEEvNS_4cuda6detail10TensorInfoIT3_T5_EES6_S6_S6_NS4_IT4_S6_EES6_b.private_seg_size, 0
	.set _ZN2at6native18radixSortKVInPlaceILin1ELin1ELi32ELi4EbljEEvNS_4cuda6detail10TensorInfoIT3_T5_EES6_S6_S6_NS4_IT4_S6_EES6_b.uses_vcc, 1
	.set _ZN2at6native18radixSortKVInPlaceILin1ELin1ELi32ELi4EbljEEvNS_4cuda6detail10TensorInfoIT3_T5_EES6_S6_S6_NS4_IT4_S6_EES6_b.uses_flat_scratch, 0
	.set _ZN2at6native18radixSortKVInPlaceILin1ELin1ELi32ELi4EbljEEvNS_4cuda6detail10TensorInfoIT3_T5_EES6_S6_S6_NS4_IT4_S6_EES6_b.has_dyn_sized_stack, 0
	.set _ZN2at6native18radixSortKVInPlaceILin1ELin1ELi32ELi4EbljEEvNS_4cuda6detail10TensorInfoIT3_T5_EES6_S6_S6_NS4_IT4_S6_EES6_b.has_recursion, 0
	.set _ZN2at6native18radixSortKVInPlaceILin1ELin1ELi32ELi4EbljEEvNS_4cuda6detail10TensorInfoIT3_T5_EES6_S6_S6_NS4_IT4_S6_EES6_b.has_indirect_call, 0
	.section	.AMDGPU.csdata,"",@progbits
; Kernel info:
; codeLenInByte = 8456
; TotalNumSgprs: 22
; NumVgprs: 88
; ScratchSize: 0
; MemoryBound: 0
; FloatMode: 240
; IeeeMode: 1
; LDSByteSize: 1056 bytes/workgroup (compile time only)
; SGPRBlocks: 0
; VGPRBlocks: 10
; NumSGPRsForWavesPerEU: 22
; NumVGPRsForWavesPerEU: 88
; Occupancy: 16
; WaveLimiterHint : 1
; COMPUTE_PGM_RSRC2:SCRATCH_EN: 0
; COMPUTE_PGM_RSRC2:USER_SGPR: 2
; COMPUTE_PGM_RSRC2:TRAP_HANDLER: 0
; COMPUTE_PGM_RSRC2:TGID_X_EN: 1
; COMPUTE_PGM_RSRC2:TGID_Y_EN: 1
; COMPUTE_PGM_RSRC2:TGID_Z_EN: 1
; COMPUTE_PGM_RSRC2:TIDIG_COMP_CNT: 2
	.section	.text._ZN2at6native18radixSortKVInPlaceILin1ELin1ELi16ELi2EbljEEvNS_4cuda6detail10TensorInfoIT3_T5_EES6_S6_S6_NS4_IT4_S6_EES6_b,"axG",@progbits,_ZN2at6native18radixSortKVInPlaceILin1ELin1ELi16ELi2EbljEEvNS_4cuda6detail10TensorInfoIT3_T5_EES6_S6_S6_NS4_IT4_S6_EES6_b,comdat
	.protected	_ZN2at6native18radixSortKVInPlaceILin1ELin1ELi16ELi2EbljEEvNS_4cuda6detail10TensorInfoIT3_T5_EES6_S6_S6_NS4_IT4_S6_EES6_b ; -- Begin function _ZN2at6native18radixSortKVInPlaceILin1ELin1ELi16ELi2EbljEEvNS_4cuda6detail10TensorInfoIT3_T5_EES6_S6_S6_NS4_IT4_S6_EES6_b
	.globl	_ZN2at6native18radixSortKVInPlaceILin1ELin1ELi16ELi2EbljEEvNS_4cuda6detail10TensorInfoIT3_T5_EES6_S6_S6_NS4_IT4_S6_EES6_b
	.p2align	8
	.type	_ZN2at6native18radixSortKVInPlaceILin1ELin1ELi16ELi2EbljEEvNS_4cuda6detail10TensorInfoIT3_T5_EES6_S6_S6_NS4_IT4_S6_EES6_b,@function
_ZN2at6native18radixSortKVInPlaceILin1ELin1ELi16ELi2EbljEEvNS_4cuda6detail10TensorInfoIT3_T5_EES6_S6_S6_NS4_IT4_S6_EES6_b: ; @_ZN2at6native18radixSortKVInPlaceILin1ELin1ELi16ELi2EbljEEvNS_4cuda6detail10TensorInfoIT3_T5_EES6_S6_S6_NS4_IT4_S6_EES6_b
; %bb.0:
	s_clause 0x1
	s_load_b64 s[2:3], s[0:1], 0x1c8
	s_load_b96 s[8:10], s[0:1], 0xd8
	s_lshr_b32 s4, ttmp7, 16
	s_wait_kmcnt 0x0
	s_mul_i32 s3, s3, s4
	s_and_b32 s4, ttmp7, 0xffff
	s_delay_alu instid0(SALU_CYCLE_1) | instskip(NEXT) | instid1(SALU_CYCLE_1)
	s_add_co_i32 s3, s3, s4
	s_mul_i32 s2, s3, s2
	s_delay_alu instid0(SALU_CYCLE_1) | instskip(NEXT) | instid1(SALU_CYCLE_1)
	s_add_co_i32 s11, s2, ttmp9
	s_cmp_ge_u32 s11, s8
	s_cbranch_scc1 .LBB274_77
; %bb.1:
	s_load_b32 s4, s[0:1], 0xd0
	s_mov_b32 s3, 0
	s_mov_b32 s2, s11
	s_wait_kmcnt 0x0
	s_cmp_lt_i32 s4, 2
	s_cbranch_scc1 .LBB274_4
; %bb.2:
	s_add_co_i32 s2, s4, -1
	s_delay_alu instid0(SALU_CYCLE_1)
	s_lshl_b64 s[6:7], s[2:3], 2
	s_mov_b32 s2, s11
	s_add_nc_u64 s[12:13], s[0:1], s[6:7]
	s_add_co_i32 s6, s4, 1
	s_add_nc_u64 s[4:5], s[12:13], 8
.LBB274_3:                              ; =>This Inner Loop Header: Depth=1
	s_clause 0x1
	s_load_b32 s7, s[4:5], 0x0
	s_load_b32 s8, s[4:5], 0x64
	s_mov_b32 s14, s2
	s_add_nc_u64 s[4:5], s[4:5], -4
	s_wait_kmcnt 0x0
	s_cvt_f32_u32 s12, s7
	s_sub_co_i32 s13, 0, s7
	s_wait_alu 0xfffe
	s_delay_alu instid0(SALU_CYCLE_1) | instskip(NEXT) | instid1(TRANS32_DEP_1)
	v_rcp_iflag_f32_e32 v1, s12
	v_readfirstlane_b32 s12, v1
	s_mul_f32 s12, s12, 0x4f7ffffe
	s_wait_alu 0xfffe
	s_delay_alu instid0(SALU_CYCLE_2) | instskip(SKIP_1) | instid1(SALU_CYCLE_2)
	s_cvt_u32_f32 s12, s12
	s_wait_alu 0xfffe
	s_mul_i32 s13, s13, s12
	s_wait_alu 0xfffe
	s_mul_hi_u32 s13, s12, s13
	s_wait_alu 0xfffe
	s_add_co_i32 s12, s12, s13
	s_wait_alu 0xfffe
	s_mul_hi_u32 s2, s2, s12
	s_delay_alu instid0(SALU_CYCLE_1)
	s_mul_i32 s12, s2, s7
	s_add_co_i32 s13, s2, 1
	s_wait_alu 0xfffe
	s_sub_co_i32 s12, s14, s12
	s_wait_alu 0xfffe
	s_sub_co_i32 s15, s12, s7
	s_cmp_ge_u32 s12, s7
	s_cselect_b32 s2, s13, s2
	s_cselect_b32 s12, s15, s12
	s_add_co_i32 s13, s2, 1
	s_wait_alu 0xfffe
	s_cmp_ge_u32 s12, s7
	s_cselect_b32 s2, s13, s2
	s_add_co_i32 s6, s6, -1
	s_mul_i32 s7, s2, s7
	s_delay_alu instid0(SALU_CYCLE_1) | instskip(NEXT) | instid1(SALU_CYCLE_1)
	s_sub_co_i32 s7, s14, s7
	s_mul_i32 s7, s8, s7
	s_delay_alu instid0(SALU_CYCLE_1)
	s_add_co_i32 s3, s7, s3
	s_cmp_gt_u32 s6, 2
	s_cbranch_scc1 .LBB274_3
.LBB274_4:
	s_load_b32 s6, s[0:1], 0x1b8
	s_mov_b32 s5, 0
	s_wait_kmcnt 0x0
	s_cmp_lt_i32 s6, 2
	s_cbranch_scc1 .LBB274_7
; %bb.5:
	s_add_co_i32 s4, s6, -1
	s_delay_alu instid0(SALU_CYCLE_1)
	s_lshl_b64 s[12:13], s[4:5], 2
	s_add_co_i32 s4, s6, 1
	s_wait_alu 0xfffe
	s_add_nc_u64 s[12:13], s[0:1], s[12:13]
	s_wait_alu 0xfffe
	s_add_nc_u64 s[6:7], s[12:13], 0xf0
.LBB274_6:                              ; =>This Inner Loop Header: Depth=1
	s_clause 0x1
	s_load_b32 s8, s[6:7], 0x0
	s_load_b32 s12, s[6:7], 0x64
	s_mov_b32 s15, s11
	s_add_nc_u64 s[6:7], s[6:7], -4
	s_wait_kmcnt 0x0
	s_cvt_f32_u32 s13, s8
	s_sub_co_i32 s14, 0, s8
	s_wait_alu 0xfffe
	s_delay_alu instid0(SALU_CYCLE_1) | instskip(NEXT) | instid1(TRANS32_DEP_1)
	v_rcp_iflag_f32_e32 v1, s13
	v_readfirstlane_b32 s13, v1
	s_mul_f32 s13, s13, 0x4f7ffffe
	s_wait_alu 0xfffe
	s_delay_alu instid0(SALU_CYCLE_2) | instskip(SKIP_1) | instid1(SALU_CYCLE_2)
	s_cvt_u32_f32 s13, s13
	s_wait_alu 0xfffe
	s_mul_i32 s14, s14, s13
	s_delay_alu instid0(SALU_CYCLE_1) | instskip(NEXT) | instid1(SALU_CYCLE_1)
	s_mul_hi_u32 s14, s13, s14
	s_add_co_i32 s13, s13, s14
	s_wait_alu 0xfffe
	s_mul_hi_u32 s11, s11, s13
	s_delay_alu instid0(SALU_CYCLE_1)
	s_mul_i32 s13, s11, s8
	s_add_co_i32 s14, s11, 1
	s_wait_alu 0xfffe
	s_sub_co_i32 s13, s15, s13
	s_wait_alu 0xfffe
	s_sub_co_i32 s16, s13, s8
	s_cmp_ge_u32 s13, s8
	s_cselect_b32 s11, s14, s11
	s_cselect_b32 s13, s16, s13
	s_add_co_i32 s14, s11, 1
	s_wait_alu 0xfffe
	s_cmp_ge_u32 s13, s8
	s_cselect_b32 s11, s14, s11
	s_add_co_i32 s4, s4, -1
	s_mul_i32 s8, s11, s8
	s_delay_alu instid0(SALU_CYCLE_1) | instskip(NEXT) | instid1(SALU_CYCLE_1)
	s_sub_co_i32 s8, s15, s8
	s_mul_i32 s8, s12, s8
	s_delay_alu instid0(SALU_CYCLE_1)
	s_add_co_i32 s5, s8, s5
	s_cmp_gt_u32 s4, 2
	s_cbranch_scc1 .LBB274_6
.LBB274_7:
	s_clause 0x2
	s_load_b32 s4, s[0:1], 0x6c
	s_load_b64 s[12:13], s[0:1], 0x1c0
	s_load_b64 s[6:7], s[0:1], 0x0
	v_mul_lo_u32 v20, s10, v0
	s_mov_b32 s15, 0
	s_wait_kmcnt 0x0
	s_mul_i32 s2, s4, s2
	s_delay_alu instid0(SALU_CYCLE_1) | instskip(SKIP_3) | instid1(SALU_CYCLE_1)
	s_add_co_i32 s14, s2, s3
	s_bitcmp1_b32 s13, 0
	s_add_nc_u64 s[14:15], s[6:7], s[14:15]
	s_cselect_b32 s2, -1, 0
	s_xor_b32 s3, s2, -1
	v_cmp_gt_u32_e64 s2, s9, v0
	v_cndmask_b32_e64 v2, 0, 1, s3
	v_cndmask_b32_e64 v1, 0, 1, s3
	s_delay_alu instid0(VALU_DEP_2) | instskip(NEXT) | instid1(VALU_DEP_1)
	v_lshlrev_b32_e32 v3, 8, v2
	v_or_b32_e32 v2, v2, v3
	s_delay_alu instid0(VALU_DEP_1)
	v_and_b32_e32 v2, 0x101, v2
	s_and_saveexec_b32 s4, s2
	s_cbranch_execz .LBB274_9
; %bb.8:
	global_load_u8 v1, v20, s[14:15]
	v_and_b32_e32 v2, 0x100, v2
	s_wait_loadcnt 0x0
	s_delay_alu instid0(VALU_DEP_1) | instskip(NEXT) | instid1(VALU_DEP_1)
	v_or_b32_e32 v2, v1, v2
	v_and_b32_e32 v2, 0xffff, v2
.LBB274_9:
	s_or_b32 exec_lo, exec_lo, s4
	s_clause 0x1
	s_load_b32 s4, s[0:1], 0x154
	s_load_b64 s[6:7], s[0:1], 0xe8
	v_or_b32_e32 v3, 16, v0
	s_delay_alu instid0(VALU_DEP_1)
	v_cmp_gt_u32_e64 s0, s9, v3
	s_and_saveexec_b32 s1, s0
	s_cbranch_execz .LBB274_11
; %bb.10:
	v_mul_lo_u32 v4, s10, v3
	global_load_u8 v4, v4, s[14:15]
	s_wait_loadcnt 0x0
	v_perm_b32 v2, v2, v4, 0xc0c0004
.LBB274_11:
	s_or_b32 exec_lo, exec_lo, s1
	v_dual_mov_b32 v18, 0 :: v_dual_lshlrev_b32 v21, 1, v0
	s_delay_alu instid0(VALU_DEP_2)
	v_lshrrev_b16 v2, 8, v2
	s_wait_kmcnt 0x0
	s_mul_i32 s1, s4, s11
	ds_store_b8 v0, v1
	ds_store_b8 v0, v2 offset:16
	s_wait_dscnt 0x0
	; wave barrier
	global_inv scope:SCOPE_SE
	ds_load_u16 v24, v21
	v_mul_lo_u32 v17, s12, v0
	s_add_co_i32 s4, s1, s5
	s_mov_b32 s5, 0
	v_mov_b32_e32 v1, 0
	v_dual_mov_b32 v2, 0 :: v_dual_mov_b32 v19, v18
	s_lshl_b64 s[4:5], s[4:5], 3
	s_wait_loadcnt_dscnt 0x0
	s_add_nc_u64 s[16:17], s[6:7], s[4:5]
	; wave barrier
	global_inv scope:SCOPE_SE
	s_and_saveexec_b32 s1, s2
	s_cbranch_execz .LBB274_13
; %bb.12:
	v_lshlrev_b64_e32 v[1:2], 3, v[17:18]
	v_mov_b32_e32 v19, v18
	s_delay_alu instid0(VALU_DEP_2) | instskip(NEXT) | instid1(VALU_DEP_1)
	v_add_co_u32 v1, vcc_lo, s16, v1
	v_add_co_ci_u32_e64 v2, null, s17, v2, vcc_lo
	global_load_b64 v[1:2], v[1:2], off
.LBB274_13:
	s_or_b32 exec_lo, exec_lo, s1
	s_and_saveexec_b32 s1, s0
	s_cbranch_execz .LBB274_15
; %bb.14:
	v_mul_lo_u32 v3, s12, v3
	v_mov_b32_e32 v4, 0
	s_delay_alu instid0(VALU_DEP_1) | instskip(NEXT) | instid1(VALU_DEP_1)
	v_lshlrev_b64_e32 v[3:4], 3, v[3:4]
	v_add_co_u32 v3, vcc_lo, s16, v3
	s_wait_alu 0xfffd
	s_delay_alu instid0(VALU_DEP_2)
	v_add_co_ci_u32_e64 v4, null, s17, v4, vcc_lo
	global_load_b64 v[18:19], v[3:4], off
.LBB274_15:
	s_or_b32 exec_lo, exec_lo, s1
	v_lshlrev_b32_e32 v22, 3, v0
	v_lshlrev_b32_e32 v23, 3, v21
	s_and_b32 vcc_lo, exec_lo, s3
	v_cmp_lt_u32_e64 s1, 0x7f, v0
	v_cmp_gt_u32_e64 s3, 0x80, v0
	s_wait_loadcnt 0x0
	ds_store_2addr_b64 v22, v[1:2], v[18:19] offset1:16
	s_wait_dscnt 0x0
	; wave barrier
	global_inv scope:SCOPE_SE
	ds_load_2addr_b64 v[1:4], v23 offset1:1
	v_lshrrev_b16 v19, 8, v24
	v_lshlrev_b32_e32 v18, 5, v0
	; wave barrier
	s_wait_loadcnt_dscnt 0x0
	global_inv scope:SCOPE_SE
	s_wait_alu 0xfffe
	s_cbranch_vccz .LBB274_42
; %bb.16:
	s_getpc_b64 s[4:5]
	s_sext_i32_i16 s5, s5
	s_add_co_u32 s4, s4, _ZN7rocprim17ROCPRIM_400000_NS16block_radix_sortIbLj16ELj2ElLj1ELj1ELj0ELNS0_26block_radix_rank_algorithmE1ELNS0_18block_padding_hintE2ELNS0_4arch9wavefront6targetE0EE19radix_bits_per_passE@rel32@lo+8
	s_add_co_ci_u32 s5, s5, _ZN7rocprim17ROCPRIM_400000_NS16block_radix_sortIbLj16ELj2ElLj1ELj1ELj0ELNS0_26block_radix_rank_algorithmE1ELNS0_18block_padding_hintE2ELNS0_4arch9wavefront6targetE0EE19radix_bits_per_passE@rel32@hi+16
	v_mad_i32_i24 v26, 0xffffffe2, v0, v18
	s_load_b32 s4, s[4:5], 0x0
	s_delay_alu instid0(VALU_DEP_1)
	v_mad_u32_u24 v25, v0, 14, v26
	s_and_saveexec_b32 s5, s3
	s_cbranch_execz .LBB274_25
; %bb.17:
	s_delay_alu instid0(VALU_DEP_1)
	v_mad_i32_i24 v5, v0, -12, v25
	v_mov_b32_e32 v6, 0
	v_cmp_gt_u32_e32 vcc_lo, 0x70, v0
	ds_store_b32 v5, v6
	s_and_b32 exec_lo, exec_lo, vcc_lo
	s_cbranch_execz .LBB274_25
; %bb.18:
	v_mul_i32_i24_e32 v5, -12, v0
	v_cmp_gt_u32_e32 vcc_lo, 0x60, v0
	s_delay_alu instid0(VALU_DEP_2)
	v_add_nc_u32_e32 v5, v25, v5
	ds_store_b32 v5, v6 offset:64
	s_and_b32 exec_lo, exec_lo, vcc_lo
	s_cbranch_execz .LBB274_25
; %bb.19:
	v_mov_b32_e32 v6, 0
	v_cmp_gt_u32_e32 vcc_lo, 0x50, v0
	ds_store_b32 v5, v6 offset:128
	s_and_b32 exec_lo, exec_lo, vcc_lo
	s_cbranch_execz .LBB274_25
; %bb.20:
	v_cmp_gt_u32_e32 vcc_lo, 64, v0
	ds_store_b32 v5, v6 offset:192
	s_and_b32 exec_lo, exec_lo, vcc_lo
	s_cbranch_execz .LBB274_25
; %bb.21:
	v_mov_b32_e32 v6, 0
	v_cmp_gt_u32_e32 vcc_lo, 48, v0
	ds_store_b32 v5, v6 offset:256
	s_and_b32 exec_lo, exec_lo, vcc_lo
	s_cbranch_execz .LBB274_25
; %bb.22:
	v_cmp_gt_u32_e32 vcc_lo, 32, v0
	ds_store_b32 v5, v6 offset:320
	s_and_b32 exec_lo, exec_lo, vcc_lo
	s_cbranch_execz .LBB274_25
; %bb.23:
	v_mov_b32_e32 v6, 0
	v_cmp_gt_u32_e32 vcc_lo, 16, v0
	ds_store_b32 v5, v6 offset:384
	s_and_b32 exec_lo, exec_lo, vcc_lo
; %bb.24:
	ds_store_b32 v5, v6 offset:448
.LBB274_25:
	s_or_b32 exec_lo, exec_lo, s5
	s_wait_kmcnt 0x0
	s_min_u32 s3, s4, 8
	v_lshlrev_b32_e32 v27, 1, v21
	s_wait_alu 0xfffe
	s_lshl_b32 s3, -1, s3
	v_cmp_eq_u32_e64 s4, 15, v0
	s_wait_alu 0xfffe
	s_not_b32 s3, s3
	s_wait_alu 0xfffe
	v_and_b32_e32 v5, s3, v24
	s_delay_alu instid0(VALU_DEP_1) | instskip(NEXT) | instid1(VALU_DEP_1)
	v_and_b32_e32 v5, 0xff, v5
	v_lshl_or_b32 v14, v5, 6, v27
	v_and_b32_e32 v5, 0xffff, v19
	ds_load_u16 v13, v14
	v_and_b32_e32 v5, s3, v5
	s_delay_alu instid0(VALU_DEP_1)
	v_lshl_or_b32 v15, v5, 6, v27
	s_wait_dscnt 0x0
	v_add_nc_u16 v6, v13, 1
	ds_store_b16 v14, v6
	ds_load_u16 v16, v15
	s_wait_dscnt 0x0
	v_add_nc_u16 v5, v16, 1
	ds_store_b16 v15, v5
	; wave barrier
	s_wait_loadcnt_dscnt 0x0
	global_inv scope:SCOPE_SE
	ds_load_b128 v[9:12], v18
	ds_load_b128 v[5:8], v18 offset:16
	s_wait_dscnt 0x1
	v_add_nc_u32_e32 v28, v10, v9
	s_delay_alu instid0(VALU_DEP_1) | instskip(SKIP_1) | instid1(VALU_DEP_1)
	v_add3_u32 v28, v28, v11, v12
	s_wait_dscnt 0x0
	v_add3_u32 v29, v28, v5, v6
	v_mbcnt_lo_u32_b32 v28, -1, 0
	s_delay_alu instid0(VALU_DEP_2) | instskip(NEXT) | instid1(VALU_DEP_2)
	v_add3_u32 v8, v29, v7, v8
	v_and_b32_e32 v29, 15, v28
	s_delay_alu instid0(VALU_DEP_2) | instskip(NEXT) | instid1(VALU_DEP_2)
	v_mov_b32_dpp v30, v8 row_shr:1 row_mask:0xf bank_mask:0xf
	v_cmp_eq_u32_e32 vcc_lo, 0, v29
	v_cmp_lt_u32_e64 s3, 1, v29
	v_cmp_lt_u32_e64 s5, 3, v29
	;; [unrolled: 1-line block ×3, first 2 shown]
	s_wait_alu 0xfffd
	v_cndmask_b32_e64 v30, v30, 0, vcc_lo
	s_delay_alu instid0(VALU_DEP_1) | instskip(NEXT) | instid1(VALU_DEP_1)
	v_add_nc_u32_e32 v8, v30, v8
	v_mov_b32_dpp v30, v8 row_shr:2 row_mask:0xf bank_mask:0xf
	s_wait_alu 0xf1ff
	s_delay_alu instid0(VALU_DEP_1) | instskip(NEXT) | instid1(VALU_DEP_1)
	v_cndmask_b32_e64 v30, 0, v30, s3
	v_add_nc_u32_e32 v8, v8, v30
	s_delay_alu instid0(VALU_DEP_1) | instskip(NEXT) | instid1(VALU_DEP_1)
	v_mov_b32_dpp v30, v8 row_shr:4 row_mask:0xf bank_mask:0xf
	v_cndmask_b32_e64 v30, 0, v30, s5
	s_delay_alu instid0(VALU_DEP_1) | instskip(NEXT) | instid1(VALU_DEP_1)
	v_add_nc_u32_e32 v8, v8, v30
	v_mov_b32_dpp v30, v8 row_shr:8 row_mask:0xf bank_mask:0xf
	s_delay_alu instid0(VALU_DEP_1) | instskip(NEXT) | instid1(VALU_DEP_1)
	v_cndmask_b32_e64 v29, 0, v30, s6
	v_add_nc_u32_e32 v8, v8, v29
	s_and_saveexec_b32 s7, s4
; %bb.26:
	v_mov_b32_e32 v29, 0
	ds_store_b32 v29, v8 offset:512
; %bb.27:
	s_wait_alu 0xfffe
	s_or_b32 exec_lo, exec_lo, s7
	v_sub_co_u32 v29, s8, v28, 1
	v_and_b32_e32 v30, 16, v28
	; wave barrier
	s_wait_loadcnt_dscnt 0x0
	global_inv scope:SCOPE_SE
	v_cmp_lt_i32_e64 s7, v29, v30
	s_wait_alu 0xf1ff
	s_delay_alu instid0(VALU_DEP_1) | instskip(NEXT) | instid1(VALU_DEP_1)
	v_cndmask_b32_e64 v28, v29, v28, s7
	v_dual_mov_b32 v29, 0 :: v_dual_lshlrev_b32 v28, 2, v28
	ds_load_b32 v29, v29 offset:512
	ds_bpermute_b32 v8, v28, v8
	s_wait_dscnt 0x0
	v_cndmask_b32_e64 v8, v8, 0, s8
	s_delay_alu instid0(VALU_DEP_1) | instskip(NEXT) | instid1(VALU_DEP_1)
	v_lshl_add_u32 v8, v29, 16, v8
	v_add_nc_u32_e32 v9, v8, v9
	s_delay_alu instid0(VALU_DEP_1) | instskip(NEXT) | instid1(VALU_DEP_1)
	v_add_nc_u32_e32 v10, v9, v10
	v_add_nc_u32_e32 v11, v10, v11
	s_delay_alu instid0(VALU_DEP_1) | instskip(NEXT) | instid1(VALU_DEP_1)
	v_add_nc_u32_e32 v29, v11, v12
	;; [unrolled: 3-line block ×3, first 2 shown]
	v_add_nc_u32_e32 v32, v31, v7
	v_and_b32_e32 v7, 0xffff, v13
	ds_store_b128 v18, v[8:11]
	ds_store_b128 v18, v[29:32] offset:16
	; wave barrier
	s_wait_loadcnt_dscnt 0x0
	global_inv scope:SCOPE_SE
	ds_load_u16 v5, v14
	ds_load_u16 v6, v15
	v_and_b32_e32 v8, 0xffff, v16
	; wave barrier
	s_wait_loadcnt_dscnt 0x0
	global_inv scope:SCOPE_SE
                                        ; implicit-def: $vgpr30
	v_add_nc_u32_e32 v5, v5, v7
	v_add_nc_u32_e32 v6, v6, v8
	ds_store_b8 v5, v24
	ds_store_b8 v6, v19
	v_lshlrev_b32_e32 v5, 3, v5
	v_lshlrev_b32_e32 v6, 3, v6
	; wave barrier
	s_wait_loadcnt_dscnt 0x0
	global_inv scope:SCOPE_SE
	ds_load_u16 v29, v26
	; wave barrier
	s_wait_loadcnt_dscnt 0x0
	global_inv scope:SCOPE_SE
	ds_store_b64 v5, v[1:2]
	ds_store_b64 v6, v[3:4]
	; wave barrier
	s_wait_loadcnt_dscnt 0x0
	global_inv scope:SCOPE_SE
	ds_load_b128 v[5:8], v25
	; wave barrier
	s_wait_loadcnt_dscnt 0x0
	global_inv scope:SCOPE_SE
	s_and_saveexec_b32 s7, s1
	s_wait_alu 0xfffe
	s_xor_b32 s1, exec_lo, s7
; %bb.28:
	ds_load_u16 v30, v27
; %bb.29:
	s_and_not1_saveexec_b32 s7, s1
	s_cbranch_execz .LBB274_39
; %bb.30:
	s_wait_dscnt 0x0
	v_dual_mov_b32 v30, 0 :: v_dual_lshlrev_b32 v9, 2, v0
	s_mov_b32 s9, exec_lo
	ds_store_b32 v9, v30
	v_cmpx_gt_u32_e32 0x70, v0
	s_cbranch_execz .LBB274_38
; %bb.31:
	v_mov_b32_e32 v10, 0
	v_cmp_gt_u32_e64 s1, 0x60, v0
	ds_store_b32 v9, v10 offset:64
	s_and_b32 exec_lo, exec_lo, s1
	s_cbranch_execz .LBB274_38
; %bb.32:
	v_cmp_gt_u32_e64 s1, 0x50, v0
	ds_store_b32 v9, v10 offset:128
	s_and_b32 exec_lo, exec_lo, s1
	s_cbranch_execz .LBB274_38
; %bb.33:
	v_mov_b32_e32 v10, 0
	v_cmp_gt_u32_e64 s1, 64, v0
	ds_store_b32 v9, v10 offset:192
	s_and_b32 exec_lo, exec_lo, s1
	s_cbranch_execz .LBB274_38
; %bb.34:
	v_cmp_gt_u32_e64 s1, 48, v0
	ds_store_b32 v9, v10 offset:256
	s_and_b32 exec_lo, exec_lo, s1
	;; [unrolled: 11-line block ×3, first 2 shown]
; %bb.37:
	v_mov_b32_e32 v10, 0
	ds_store_b32 v9, v10 offset:448
.LBB274_38:
	s_wait_alu 0xfffe
	s_or_b32 exec_lo, exec_lo, s9
.LBB274_39:
	s_wait_alu 0xfffe
	s_or_b32 exec_lo, exec_lo, s7
	s_wait_dscnt 0x0
	v_add_nc_u16 v9, v30, 2
	s_mov_b32 s1, 0
	ds_store_b16 v27, v9
	; wave barrier
	s_wait_loadcnt_dscnt 0x0
	global_inv scope:SCOPE_SE
	ds_load_b128 v[13:16], v18
	ds_load_b128 v[9:12], v18 offset:16
	s_wait_dscnt 0x1
	v_add_nc_u32_e32 v31, v14, v13
	s_delay_alu instid0(VALU_DEP_1) | instskip(SKIP_1) | instid1(VALU_DEP_1)
	v_add3_u32 v31, v31, v15, v16
	s_wait_dscnt 0x0
	v_add3_u32 v31, v31, v9, v10
	s_delay_alu instid0(VALU_DEP_1) | instskip(NEXT) | instid1(VALU_DEP_1)
	v_add3_u32 v12, v31, v11, v12
	v_mov_b32_dpp v31, v12 row_shr:1 row_mask:0xf bank_mask:0xf
	s_delay_alu instid0(VALU_DEP_1) | instskip(NEXT) | instid1(VALU_DEP_1)
	v_cndmask_b32_e64 v31, v31, 0, vcc_lo
	v_add_nc_u32_e32 v12, v31, v12
	s_delay_alu instid0(VALU_DEP_1) | instskip(NEXT) | instid1(VALU_DEP_1)
	v_mov_b32_dpp v31, v12 row_shr:2 row_mask:0xf bank_mask:0xf
	v_cndmask_b32_e64 v31, 0, v31, s3
	s_delay_alu instid0(VALU_DEP_1) | instskip(NEXT) | instid1(VALU_DEP_1)
	v_add_nc_u32_e32 v12, v12, v31
	v_mov_b32_dpp v31, v12 row_shr:4 row_mask:0xf bank_mask:0xf
	s_delay_alu instid0(VALU_DEP_1) | instskip(NEXT) | instid1(VALU_DEP_1)
	v_cndmask_b32_e64 v31, 0, v31, s5
	v_add_nc_u32_e32 v12, v12, v31
	s_delay_alu instid0(VALU_DEP_1) | instskip(NEXT) | instid1(VALU_DEP_1)
	v_mov_b32_dpp v31, v12 row_shr:8 row_mask:0xf bank_mask:0xf
	v_cndmask_b32_e64 v31, 0, v31, s6
	s_delay_alu instid0(VALU_DEP_1)
	v_add_nc_u32_e32 v12, v12, v31
	s_and_saveexec_b32 s3, s4
; %bb.40:
	v_mov_b32_e32 v31, 0
	ds_store_b32 v31, v12 offset:512
; %bb.41:
	s_wait_alu 0xfffe
	s_or_b32 exec_lo, exec_lo, s3
	ds_bpermute_b32 v12, v28, v12
	v_mov_b32_e32 v28, 0
	; wave barrier
	s_wait_loadcnt_dscnt 0x0
	global_inv scope:SCOPE_SE
	ds_load_b32 v28, v28 offset:512
	v_cndmask_b32_e64 v12, v12, 0, s8
	s_wait_dscnt 0x0
	s_delay_alu instid0(VALU_DEP_1) | instskip(NEXT) | instid1(VALU_DEP_1)
	v_lshl_add_u32 v12, v28, 16, v12
	v_add_nc_u32_e32 v13, v12, v13
	s_delay_alu instid0(VALU_DEP_1) | instskip(NEXT) | instid1(VALU_DEP_1)
	v_add_nc_u32_e32 v14, v13, v14
	v_add_nc_u32_e32 v15, v14, v15
	s_delay_alu instid0(VALU_DEP_1) | instskip(NEXT) | instid1(VALU_DEP_1)
	v_add_nc_u32_e32 v31, v15, v16
	v_add_nc_u32_e32 v32, v31, v9
	s_delay_alu instid0(VALU_DEP_1) | instskip(SKIP_1) | instid1(VALU_DEP_2)
	v_add_nc_u32_e32 v33, v32, v10
	v_add_nc_u16 v10, v30, 1
	v_add_nc_u32_e32 v34, v33, v11
	v_and_b32_e32 v11, 0xffff, v30
	s_delay_alu instid0(VALU_DEP_3)
	v_and_b32_e32 v10, 0xffff, v10
	ds_store_b128 v18, v[12:15]
	ds_store_b128 v18, v[31:34] offset:16
	; wave barrier
	s_wait_loadcnt_dscnt 0x0
	global_inv scope:SCOPE_SE
	ds_load_u16 v9, v27
	v_lshrrev_b16 v12, 8, v29
	; wave barrier
	s_wait_loadcnt_dscnt 0x0
	global_inv scope:SCOPE_SE
	v_add_nc_u32_e32 v11, v9, v11
	v_add_nc_u32_e32 v9, v9, v10
	ds_store_b8 v11, v29
	ds_store_b8 v9, v12
	v_lshlrev_b32_e32 v10, 3, v11
	v_lshlrev_b32_e32 v11, 3, v9
	; wave barrier
	s_wait_loadcnt_dscnt 0x0
	global_inv scope:SCOPE_SE
	ds_load_u16 v9, v26
	; wave barrier
	s_wait_loadcnt_dscnt 0x0
	global_inv scope:SCOPE_SE
	ds_store_b64 v10, v[5:6]
	ds_store_b64 v11, v[7:8]
	; wave barrier
	s_wait_loadcnt_dscnt 0x0
	global_inv scope:SCOPE_SE
	ds_load_b128 v[5:8], v25
	s_and_b32 vcc_lo, exec_lo, s1
	s_wait_alu 0xfffe
	s_cbranch_vccnz .LBB274_43
	s_branch .LBB274_69
.LBB274_42:
                                        ; implicit-def: $vgpr7_vgpr8
                                        ; implicit-def: $vgpr9
	s_cbranch_execz .LBB274_69
.LBB274_43:
	s_getpc_b64 s[4:5]
	s_wait_alu 0xfffe
	s_sext_i32_i16 s5, s5
	s_add_co_u32 s4, s4, _ZN7rocprim17ROCPRIM_400000_NS16block_radix_sortIbLj16ELj2ElLj1ELj1ELj0ELNS0_26block_radix_rank_algorithmE1ELNS0_18block_padding_hintE2ELNS0_4arch9wavefront6targetE0EE19radix_bits_per_passE@rel32@lo+12
	s_wait_alu 0xfffe
	s_add_co_ci_u32 s5, s5, _ZN7rocprim17ROCPRIM_400000_NS16block_radix_sortIbLj16ELj2ElLj1ELj1ELj0ELNS0_26block_radix_rank_algorithmE1ELNS0_18block_padding_hintE2ELNS0_4arch9wavefront6targetE0EE19radix_bits_per_passE@rel32@hi+24
	v_mad_i32_i24 v14, 0xffffffe2, v0, v18
	s_load_b32 s3, s[4:5], 0x0
	s_mov_b32 s4, exec_lo
	v_cmp_lt_u32_e32 vcc_lo, 0x7f, v0
	s_delay_alu instid0(VALU_DEP_2)
	v_mad_u32_u24 v13, v0, 14, v14
	v_cmpx_gt_u32_e32 0x80, v0
	s_cbranch_execz .LBB274_52
; %bb.44:
	s_wait_dscnt 0x0
	s_delay_alu instid0(VALU_DEP_2)
	v_mad_i32_i24 v5, v0, -12, v13
	v_mov_b32_e32 v6, 0
	v_cmp_gt_u32_e64 s1, 0x70, v0
	ds_store_b32 v5, v6
	s_and_b32 exec_lo, exec_lo, s1
	s_cbranch_execz .LBB274_52
; %bb.45:
	v_mul_i32_i24_e32 v5, -12, v0
	v_cmp_gt_u32_e64 s1, 0x60, v0
	s_delay_alu instid0(VALU_DEP_2)
	v_add_nc_u32_e32 v5, v13, v5
	ds_store_b32 v5, v6 offset:64
	s_and_b32 exec_lo, exec_lo, s1
	s_cbranch_execz .LBB274_52
; %bb.46:
	v_mov_b32_e32 v6, 0
	v_cmp_gt_u32_e64 s1, 0x50, v0
	ds_store_b32 v5, v6 offset:128
	s_and_b32 exec_lo, exec_lo, s1
	s_cbranch_execz .LBB274_52
; %bb.47:
	v_cmp_gt_u32_e64 s1, 64, v0
	ds_store_b32 v5, v6 offset:192
	s_and_b32 exec_lo, exec_lo, s1
	s_cbranch_execz .LBB274_52
; %bb.48:
	v_mov_b32_e32 v6, 0
	v_cmp_gt_u32_e64 s1, 48, v0
	ds_store_b32 v5, v6 offset:256
	s_and_b32 exec_lo, exec_lo, s1
	s_cbranch_execz .LBB274_52
; %bb.49:
	v_cmp_gt_u32_e64 s1, 32, v0
	ds_store_b32 v5, v6 offset:320
	s_and_b32 exec_lo, exec_lo, s1
	s_cbranch_execz .LBB274_52
; %bb.50:
	v_mov_b32_e32 v6, 0
	v_cmp_gt_u32_e64 s1, 16, v0
	ds_store_b32 v5, v6 offset:384
	s_and_b32 exec_lo, exec_lo, s1
; %bb.51:
	ds_store_b32 v5, v6 offset:448
.LBB274_52:
	s_wait_alu 0xfffe
	s_or_b32 exec_lo, exec_lo, s4
	s_wait_kmcnt 0x0
	s_min_u32 s1, s3, 8
	s_wait_dscnt 0x0
	v_and_b32_e32 v5, 1, v24
	s_lshl_b32 s1, -1, s1
	v_lshlrev_b32_e32 v15, 1, v21
	s_not_b32 s1, s1
	v_cmp_eq_u32_e64 s5, 15, v0
	v_cmp_eq_u32_e64 s7, 1, v5
	s_lshl_b32 s1, s1, 5
	s_delay_alu instid0(SALU_CYCLE_1) | instskip(SKIP_2) | instid1(VALU_DEP_1)
	s_and_b32 s1, s1, 32
	s_wait_alu 0xf1ff
	v_cndmask_b32_e64 v5, s1, 0, s7
	v_lshl_or_b32 v25, v5, 1, v15
	v_and_b32_e32 v5, 1, v19
	ds_load_u16 v24, v25
	v_cmp_eq_u32_e64 s8, 1, v5
	s_wait_alu 0xf1ff
	s_delay_alu instid0(VALU_DEP_1) | instskip(NEXT) | instid1(VALU_DEP_1)
	v_cndmask_b32_e64 v5, s1, 0, s8
	v_lshl_or_b32 v19, v5, 1, v15
	s_wait_dscnt 0x0
	v_add_nc_u16 v6, v24, 1
	ds_store_b16 v25, v6
	ds_load_u16 v26, v19
	s_wait_dscnt 0x0
	v_add_nc_u16 v5, v26, 1
	ds_store_b16 v19, v5
	; wave barrier
	s_wait_loadcnt_dscnt 0x0
	global_inv scope:SCOPE_SE
	ds_load_b128 v[9:12], v18
	ds_load_b128 v[5:8], v18 offset:16
	s_wait_dscnt 0x1
	v_add_nc_u32_e32 v16, v10, v9
	s_delay_alu instid0(VALU_DEP_1) | instskip(SKIP_1) | instid1(VALU_DEP_1)
	v_add3_u32 v16, v16, v11, v12
	s_wait_dscnt 0x0
	v_add3_u32 v27, v16, v5, v6
	v_mbcnt_lo_u32_b32 v16, -1, 0
	s_delay_alu instid0(VALU_DEP_2) | instskip(NEXT) | instid1(VALU_DEP_2)
	v_add3_u32 v8, v27, v7, v8
	v_and_b32_e32 v27, 15, v16
	s_delay_alu instid0(VALU_DEP_2) | instskip(NEXT) | instid1(VALU_DEP_2)
	v_mov_b32_dpp v28, v8 row_shr:1 row_mask:0xf bank_mask:0xf
	v_cmp_eq_u32_e64 s1, 0, v27
	v_cmp_lt_u32_e64 s3, 1, v27
	v_cmp_lt_u32_e64 s4, 3, v27
	;; [unrolled: 1-line block ×3, first 2 shown]
	s_wait_alu 0xf1ff
	v_cndmask_b32_e64 v28, v28, 0, s1
	s_delay_alu instid0(VALU_DEP_1) | instskip(NEXT) | instid1(VALU_DEP_1)
	v_add_nc_u32_e32 v8, v28, v8
	v_mov_b32_dpp v28, v8 row_shr:2 row_mask:0xf bank_mask:0xf
	s_delay_alu instid0(VALU_DEP_1) | instskip(NEXT) | instid1(VALU_DEP_1)
	v_cndmask_b32_e64 v28, 0, v28, s3
	v_add_nc_u32_e32 v8, v8, v28
	s_delay_alu instid0(VALU_DEP_1) | instskip(NEXT) | instid1(VALU_DEP_1)
	v_mov_b32_dpp v28, v8 row_shr:4 row_mask:0xf bank_mask:0xf
	v_cndmask_b32_e64 v28, 0, v28, s4
	s_delay_alu instid0(VALU_DEP_1) | instskip(NEXT) | instid1(VALU_DEP_1)
	v_add_nc_u32_e32 v8, v8, v28
	v_mov_b32_dpp v28, v8 row_shr:8 row_mask:0xf bank_mask:0xf
	s_delay_alu instid0(VALU_DEP_1) | instskip(NEXT) | instid1(VALU_DEP_1)
	v_cndmask_b32_e64 v27, 0, v28, s6
	v_add_nc_u32_e32 v8, v8, v27
	s_and_saveexec_b32 s9, s5
; %bb.53:
	v_mov_b32_e32 v27, 0
	ds_store_b32 v27, v8 offset:512
; %bb.54:
	s_wait_alu 0xfffe
	s_or_b32 exec_lo, exec_lo, s9
	v_sub_co_u32 v27, s11, v16, 1
	v_and_b32_e32 v28, 16, v16
	; wave barrier
	s_wait_loadcnt_dscnt 0x0
	global_inv scope:SCOPE_SE
	s_xor_b32 s7, s7, -1
	v_cmp_lt_i32_e64 s9, v27, v28
	s_wait_alu 0xf1ff
	s_delay_alu instid0(VALU_DEP_1) | instskip(NEXT) | instid1(VALU_DEP_1)
	v_cndmask_b32_e64 v16, v27, v16, s9
	v_dual_mov_b32 v27, 0 :: v_dual_lshlrev_b32 v16, 2, v16
	ds_load_b32 v27, v27 offset:512
	ds_bpermute_b32 v8, v16, v8
	s_wait_dscnt 0x0
	v_cndmask_b32_e64 v8, v8, 0, s11
	s_delay_alu instid0(VALU_DEP_1) | instskip(NEXT) | instid1(VALU_DEP_1)
	v_lshl_add_u32 v8, v27, 16, v8
	v_add_nc_u32_e32 v9, v8, v9
	s_delay_alu instid0(VALU_DEP_1) | instskip(NEXT) | instid1(VALU_DEP_1)
	v_add_nc_u32_e32 v10, v9, v10
	v_add_nc_u32_e32 v11, v10, v11
	s_delay_alu instid0(VALU_DEP_1) | instskip(NEXT) | instid1(VALU_DEP_1)
	v_add_nc_u32_e32 v27, v11, v12
	;; [unrolled: 3-line block ×3, first 2 shown]
	v_add_nc_u32_e32 v30, v29, v7
	v_and_b32_e32 v7, 0xffff, v24
	ds_store_b128 v18, v[8:11]
	ds_store_b128 v18, v[27:30] offset:16
	; wave barrier
	s_wait_loadcnt_dscnt 0x0
	global_inv scope:SCOPE_SE
	ds_load_u16 v5, v25
	ds_load_u16 v6, v19
	v_and_b32_e32 v8, 0xffff, v26
	s_wait_alu 0xfffe
	v_cndmask_b32_e64 v9, 0, 1, s7
	s_xor_b32 s7, s8, -1
	s_wait_loadcnt_dscnt 0x0
	s_wait_alu 0xfffe
	v_cndmask_b32_e64 v10, 0, 1, s7
	; wave barrier
	global_inv scope:SCOPE_SE
                                        ; implicit-def: $vgpr24
	v_add_nc_u32_e32 v5, v5, v7
	v_add_nc_u32_e32 v6, v6, v8
	ds_store_b8 v5, v9
	ds_store_b8 v6, v10
	v_lshlrev_b32_e32 v5, 3, v5
	v_lshlrev_b32_e32 v6, 3, v6
	; wave barrier
	s_wait_loadcnt_dscnt 0x0
	global_inv scope:SCOPE_SE
	ds_load_u16 v19, v14
	; wave barrier
	s_wait_loadcnt_dscnt 0x0
	global_inv scope:SCOPE_SE
	ds_store_b64 v5, v[1:2]
	ds_store_b64 v6, v[3:4]
	; wave barrier
	s_wait_loadcnt_dscnt 0x0
	global_inv scope:SCOPE_SE
	ds_load_b128 v[1:4], v13
	; wave barrier
	s_wait_loadcnt_dscnt 0x0
	global_inv scope:SCOPE_SE
	s_and_saveexec_b32 s7, vcc_lo
	s_wait_alu 0xfffe
	s_xor_b32 s7, exec_lo, s7
; %bb.55:
	ds_load_u16 v24, v15
; %bb.56:
	s_wait_alu 0xfffe
	s_and_not1_saveexec_b32 s7, s7
	s_cbranch_execz .LBB274_66
; %bb.57:
	s_wait_dscnt 0x0
	v_dual_mov_b32 v24, 0 :: v_dual_lshlrev_b32 v5, 2, v0
	s_mov_b32 s8, exec_lo
	ds_store_b32 v5, v24
	v_cmpx_gt_u32_e32 0x70, v0
	s_cbranch_execz .LBB274_65
; %bb.58:
	v_mov_b32_e32 v6, 0
	v_cmp_gt_u32_e32 vcc_lo, 0x60, v0
	ds_store_b32 v5, v6 offset:64
	s_and_b32 exec_lo, exec_lo, vcc_lo
	s_cbranch_execz .LBB274_65
; %bb.59:
	v_cmp_gt_u32_e32 vcc_lo, 0x50, v0
	ds_store_b32 v5, v6 offset:128
	s_and_b32 exec_lo, exec_lo, vcc_lo
	s_cbranch_execz .LBB274_65
; %bb.60:
	v_mov_b32_e32 v6, 0
	v_cmp_gt_u32_e32 vcc_lo, 64, v0
	ds_store_b32 v5, v6 offset:192
	s_and_b32 exec_lo, exec_lo, vcc_lo
	s_cbranch_execz .LBB274_65
; %bb.61:
	v_cmp_gt_u32_e32 vcc_lo, 48, v0
	ds_store_b32 v5, v6 offset:256
	s_and_b32 exec_lo, exec_lo, vcc_lo
	;; [unrolled: 11-line block ×3, first 2 shown]
; %bb.64:
	v_mov_b32_e32 v6, 0
	ds_store_b32 v5, v6 offset:448
.LBB274_65:
	s_wait_alu 0xfffe
	s_or_b32 exec_lo, exec_lo, s8
.LBB274_66:
	s_wait_alu 0xfffe
	s_or_b32 exec_lo, exec_lo, s7
	s_wait_dscnt 0x0
	v_add_nc_u16 v5, v24, 2
	ds_store_b16 v15, v5
	; wave barrier
	s_wait_loadcnt_dscnt 0x0
	global_inv scope:SCOPE_SE
	ds_load_b128 v[9:12], v18
	ds_load_b128 v[5:8], v18 offset:16
	s_wait_dscnt 0x1
	v_add_nc_u32_e32 v25, v10, v9
	s_delay_alu instid0(VALU_DEP_1) | instskip(SKIP_1) | instid1(VALU_DEP_1)
	v_add3_u32 v25, v25, v11, v12
	s_wait_dscnt 0x0
	v_add3_u32 v25, v25, v5, v6
	s_delay_alu instid0(VALU_DEP_1) | instskip(NEXT) | instid1(VALU_DEP_1)
	v_add3_u32 v8, v25, v7, v8
	v_mov_b32_dpp v25, v8 row_shr:1 row_mask:0xf bank_mask:0xf
	s_delay_alu instid0(VALU_DEP_1) | instskip(NEXT) | instid1(VALU_DEP_1)
	v_cndmask_b32_e64 v25, v25, 0, s1
	v_add_nc_u32_e32 v8, v25, v8
	s_delay_alu instid0(VALU_DEP_1) | instskip(NEXT) | instid1(VALU_DEP_1)
	v_mov_b32_dpp v25, v8 row_shr:2 row_mask:0xf bank_mask:0xf
	v_cndmask_b32_e64 v25, 0, v25, s3
	s_delay_alu instid0(VALU_DEP_1) | instskip(NEXT) | instid1(VALU_DEP_1)
	v_add_nc_u32_e32 v8, v8, v25
	v_mov_b32_dpp v25, v8 row_shr:4 row_mask:0xf bank_mask:0xf
	s_delay_alu instid0(VALU_DEP_1) | instskip(NEXT) | instid1(VALU_DEP_1)
	v_cndmask_b32_e64 v25, 0, v25, s4
	v_add_nc_u32_e32 v8, v8, v25
	s_delay_alu instid0(VALU_DEP_1) | instskip(NEXT) | instid1(VALU_DEP_1)
	v_mov_b32_dpp v25, v8 row_shr:8 row_mask:0xf bank_mask:0xf
	v_cndmask_b32_e64 v25, 0, v25, s6
	s_delay_alu instid0(VALU_DEP_1)
	v_add_nc_u32_e32 v8, v8, v25
	s_and_saveexec_b32 s1, s5
; %bb.67:
	v_mov_b32_e32 v25, 0
	ds_store_b32 v25, v8 offset:512
; %bb.68:
	s_wait_alu 0xfffe
	s_or_b32 exec_lo, exec_lo, s1
	ds_bpermute_b32 v8, v16, v8
	v_mov_b32_e32 v16, 0
	; wave barrier
	s_wait_loadcnt_dscnt 0x0
	global_inv scope:SCOPE_SE
	ds_load_b32 v16, v16 offset:512
	v_cndmask_b32_e64 v8, v8, 0, s11
	s_wait_dscnt 0x0
	s_delay_alu instid0(VALU_DEP_1) | instskip(NEXT) | instid1(VALU_DEP_1)
	v_lshl_add_u32 v8, v16, 16, v8
	v_add_nc_u32_e32 v9, v8, v9
	s_delay_alu instid0(VALU_DEP_1) | instskip(NEXT) | instid1(VALU_DEP_1)
	v_add_nc_u32_e32 v10, v9, v10
	v_add_nc_u32_e32 v11, v10, v11
	s_delay_alu instid0(VALU_DEP_1) | instskip(NEXT) | instid1(VALU_DEP_1)
	v_add_nc_u32_e32 v25, v11, v12
	v_add_nc_u32_e32 v26, v25, v5
	s_delay_alu instid0(VALU_DEP_1) | instskip(SKIP_1) | instid1(VALU_DEP_2)
	v_add_nc_u32_e32 v27, v26, v6
	v_add_nc_u16 v6, v24, 1
	v_add_nc_u32_e32 v28, v27, v7
	v_and_b32_e32 v7, 0xffff, v24
	s_delay_alu instid0(VALU_DEP_3)
	v_and_b32_e32 v6, 0xffff, v6
	ds_store_b128 v18, v[8:11]
	ds_store_b128 v18, v[25:28] offset:16
	; wave barrier
	s_wait_loadcnt_dscnt 0x0
	global_inv scope:SCOPE_SE
	ds_load_u16 v5, v15
	v_lshrrev_b16 v8, 8, v19
	; wave barrier
	s_wait_loadcnt_dscnt 0x0
	global_inv scope:SCOPE_SE
	v_add_nc_u32_e32 v7, v5, v7
	v_add_nc_u32_e32 v5, v5, v6
	ds_store_b8 v7, v19
	ds_store_b8 v5, v8
	; wave barrier
	s_wait_loadcnt_dscnt 0x0
	global_inv scope:SCOPE_SE
	ds_load_u16 v9, v14
	v_lshlrev_b32_e32 v6, 3, v7
	v_lshlrev_b32_e32 v5, 3, v5
	; wave barrier
	s_wait_loadcnt_dscnt 0x0
	global_inv scope:SCOPE_SE
	ds_store_b64 v6, v[1:2]
	ds_store_b64 v5, v[3:4]
	; wave barrier
	s_wait_loadcnt_dscnt 0x0
	global_inv scope:SCOPE_SE
	ds_load_b128 v[5:8], v13
	v_and_b32_e32 v1, 0xffffff00, v9
	v_xor_b32_e32 v2, 1, v9
	s_delay_alu instid0(VALU_DEP_2) | instskip(NEXT) | instid1(VALU_DEP_2)
	v_xor_b32_e32 v1, 0x100, v1
	v_and_b32_e32 v2, 0xff, v2
	s_delay_alu instid0(VALU_DEP_1) | instskip(NEXT) | instid1(VALU_DEP_1)
	v_or_b32_e32 v1, v2, v1
	v_and_b32_e32 v9, 0xffff, v1
.LBB274_69:
	; wave barrier
	s_wait_loadcnt_dscnt 0x0
	global_inv scope:SCOPE_SE
	ds_store_b16 v21, v9
	; wave barrier
	s_wait_loadcnt_dscnt 0x0
	global_inv scope:SCOPE_SE
	ds_load_u8 v3, v0 offset:16
	v_add_co_u32 v1, s1, s14, v20
	s_wait_alu 0xf1ff
	v_add_co_ci_u32_e64 v2, null, s15, 0, s1
	s_and_saveexec_b32 s1, s2
	s_cbranch_execz .LBB274_71
; %bb.70:
	ds_load_u8 v0, v0
	s_wait_dscnt 0x0
	global_store_b8 v[1:2], v0, off
.LBB274_71:
	s_wait_alu 0xfffe
	s_or_b32 exec_lo, exec_lo, s1
	s_and_saveexec_b32 s1, s0
	s_cbranch_execz .LBB274_73
; %bb.72:
	s_lshl_b32 s3, s10, 4
	s_wait_alu 0xfffe
	v_add_co_u32 v0, vcc_lo, v1, s3
	s_wait_alu 0xfffd
	v_add_co_ci_u32_e64 v1, null, 0, v2, vcc_lo
	s_wait_dscnt 0x0
	global_store_b8 v[0:1], v3, off
.LBB274_73:
	s_wait_alu 0xfffe
	s_or_b32 exec_lo, exec_lo, s1
	s_wait_storecnt 0x0
	; wave barrier
	s_wait_loadcnt_dscnt 0x0
	global_inv scope:SCOPE_SE
	ds_store_2addr_b64 v23, v[5:6], v[7:8] offset1:1
	; wave barrier
	s_wait_loadcnt_dscnt 0x0
	global_inv scope:SCOPE_SE
	ds_load_b64 v[0:1], v22 offset:128
	v_mov_b32_e32 v18, 0
	s_delay_alu instid0(VALU_DEP_1) | instskip(NEXT) | instid1(VALU_DEP_1)
	v_lshlrev_b64_e32 v[2:3], 3, v[17:18]
	v_add_co_u32 v2, vcc_lo, s16, v2
	s_wait_alu 0xfffd
	s_delay_alu instid0(VALU_DEP_2)
	v_add_co_ci_u32_e64 v3, null, s17, v3, vcc_lo
	s_and_saveexec_b32 s1, s2
	s_cbranch_execz .LBB274_75
; %bb.74:
	ds_load_b64 v[4:5], v22
	s_wait_dscnt 0x0
	global_store_b64 v[2:3], v[4:5], off
.LBB274_75:
	s_wait_alu 0xfffe
	s_or_b32 exec_lo, exec_lo, s1
	s_and_saveexec_b32 s1, s0
	s_cbranch_execz .LBB274_77
; %bb.76:
	s_lshl_b32 s0, s12, 4
	s_mov_b32 s1, 0
	s_wait_alu 0xfffe
	s_lshl_b64 s[0:1], s[0:1], 3
	s_wait_alu 0xfffe
	v_add_co_u32 v2, vcc_lo, v2, s0
	s_wait_alu 0xfffd
	v_add_co_ci_u32_e64 v3, null, s1, v3, vcc_lo
	s_wait_dscnt 0x0
	global_store_b64 v[2:3], v[0:1], off
.LBB274_77:
	s_endpgm
	.section	.rodata,"a",@progbits
	.p2align	6, 0x0
	.amdhsa_kernel _ZN2at6native18radixSortKVInPlaceILin1ELin1ELi16ELi2EbljEEvNS_4cuda6detail10TensorInfoIT3_T5_EES6_S6_S6_NS4_IT4_S6_EES6_b
		.amdhsa_group_segment_fixed_size 528
		.amdhsa_private_segment_fixed_size 0
		.amdhsa_kernarg_size 712
		.amdhsa_user_sgpr_count 2
		.amdhsa_user_sgpr_dispatch_ptr 0
		.amdhsa_user_sgpr_queue_ptr 0
		.amdhsa_user_sgpr_kernarg_segment_ptr 1
		.amdhsa_user_sgpr_dispatch_id 0
		.amdhsa_user_sgpr_private_segment_size 0
		.amdhsa_wavefront_size32 1
		.amdhsa_uses_dynamic_stack 0
		.amdhsa_enable_private_segment 0
		.amdhsa_system_sgpr_workgroup_id_x 1
		.amdhsa_system_sgpr_workgroup_id_y 1
		.amdhsa_system_sgpr_workgroup_id_z 1
		.amdhsa_system_sgpr_workgroup_info 0
		.amdhsa_system_vgpr_workitem_id 0
		.amdhsa_next_free_vgpr 35
		.amdhsa_next_free_sgpr 18
		.amdhsa_reserve_vcc 1
		.amdhsa_float_round_mode_32 0
		.amdhsa_float_round_mode_16_64 0
		.amdhsa_float_denorm_mode_32 3
		.amdhsa_float_denorm_mode_16_64 3
		.amdhsa_fp16_overflow 0
		.amdhsa_workgroup_processor_mode 1
		.amdhsa_memory_ordered 1
		.amdhsa_forward_progress 1
		.amdhsa_inst_pref_size 42
		.amdhsa_round_robin_scheduling 0
		.amdhsa_exception_fp_ieee_invalid_op 0
		.amdhsa_exception_fp_denorm_src 0
		.amdhsa_exception_fp_ieee_div_zero 0
		.amdhsa_exception_fp_ieee_overflow 0
		.amdhsa_exception_fp_ieee_underflow 0
		.amdhsa_exception_fp_ieee_inexact 0
		.amdhsa_exception_int_div_zero 0
	.end_amdhsa_kernel
	.section	.text._ZN2at6native18radixSortKVInPlaceILin1ELin1ELi16ELi2EbljEEvNS_4cuda6detail10TensorInfoIT3_T5_EES6_S6_S6_NS4_IT4_S6_EES6_b,"axG",@progbits,_ZN2at6native18radixSortKVInPlaceILin1ELin1ELi16ELi2EbljEEvNS_4cuda6detail10TensorInfoIT3_T5_EES6_S6_S6_NS4_IT4_S6_EES6_b,comdat
.Lfunc_end274:
	.size	_ZN2at6native18radixSortKVInPlaceILin1ELin1ELi16ELi2EbljEEvNS_4cuda6detail10TensorInfoIT3_T5_EES6_S6_S6_NS4_IT4_S6_EES6_b, .Lfunc_end274-_ZN2at6native18radixSortKVInPlaceILin1ELin1ELi16ELi2EbljEEvNS_4cuda6detail10TensorInfoIT3_T5_EES6_S6_S6_NS4_IT4_S6_EES6_b
                                        ; -- End function
	.set _ZN2at6native18radixSortKVInPlaceILin1ELin1ELi16ELi2EbljEEvNS_4cuda6detail10TensorInfoIT3_T5_EES6_S6_S6_NS4_IT4_S6_EES6_b.num_vgpr, 35
	.set _ZN2at6native18radixSortKVInPlaceILin1ELin1ELi16ELi2EbljEEvNS_4cuda6detail10TensorInfoIT3_T5_EES6_S6_S6_NS4_IT4_S6_EES6_b.num_agpr, 0
	.set _ZN2at6native18radixSortKVInPlaceILin1ELin1ELi16ELi2EbljEEvNS_4cuda6detail10TensorInfoIT3_T5_EES6_S6_S6_NS4_IT4_S6_EES6_b.numbered_sgpr, 18
	.set _ZN2at6native18radixSortKVInPlaceILin1ELin1ELi16ELi2EbljEEvNS_4cuda6detail10TensorInfoIT3_T5_EES6_S6_S6_NS4_IT4_S6_EES6_b.num_named_barrier, 0
	.set _ZN2at6native18radixSortKVInPlaceILin1ELin1ELi16ELi2EbljEEvNS_4cuda6detail10TensorInfoIT3_T5_EES6_S6_S6_NS4_IT4_S6_EES6_b.private_seg_size, 0
	.set _ZN2at6native18radixSortKVInPlaceILin1ELin1ELi16ELi2EbljEEvNS_4cuda6detail10TensorInfoIT3_T5_EES6_S6_S6_NS4_IT4_S6_EES6_b.uses_vcc, 1
	.set _ZN2at6native18radixSortKVInPlaceILin1ELin1ELi16ELi2EbljEEvNS_4cuda6detail10TensorInfoIT3_T5_EES6_S6_S6_NS4_IT4_S6_EES6_b.uses_flat_scratch, 0
	.set _ZN2at6native18radixSortKVInPlaceILin1ELin1ELi16ELi2EbljEEvNS_4cuda6detail10TensorInfoIT3_T5_EES6_S6_S6_NS4_IT4_S6_EES6_b.has_dyn_sized_stack, 0
	.set _ZN2at6native18radixSortKVInPlaceILin1ELin1ELi16ELi2EbljEEvNS_4cuda6detail10TensorInfoIT3_T5_EES6_S6_S6_NS4_IT4_S6_EES6_b.has_recursion, 0
	.set _ZN2at6native18radixSortKVInPlaceILin1ELin1ELi16ELi2EbljEEvNS_4cuda6detail10TensorInfoIT3_T5_EES6_S6_S6_NS4_IT4_S6_EES6_b.has_indirect_call, 0
	.section	.AMDGPU.csdata,"",@progbits
; Kernel info:
; codeLenInByte = 5292
; TotalNumSgprs: 20
; NumVgprs: 35
; ScratchSize: 0
; MemoryBound: 0
; FloatMode: 240
; IeeeMode: 1
; LDSByteSize: 528 bytes/workgroup (compile time only)
; SGPRBlocks: 0
; VGPRBlocks: 4
; NumSGPRsForWavesPerEU: 20
; NumVGPRsForWavesPerEU: 35
; Occupancy: 16
; WaveLimiterHint : 1
; COMPUTE_PGM_RSRC2:SCRATCH_EN: 0
; COMPUTE_PGM_RSRC2:USER_SGPR: 2
; COMPUTE_PGM_RSRC2:TRAP_HANDLER: 0
; COMPUTE_PGM_RSRC2:TGID_X_EN: 1
; COMPUTE_PGM_RSRC2:TGID_Y_EN: 1
; COMPUTE_PGM_RSRC2:TGID_Z_EN: 1
; COMPUTE_PGM_RSRC2:TIDIG_COMP_CNT: 0
	.section	.text._ZN2at6native18radixSortKVInPlaceILin1ELin1ELi512ELi8EblmEEvNS_4cuda6detail10TensorInfoIT3_T5_EES6_S6_S6_NS4_IT4_S6_EES6_b,"axG",@progbits,_ZN2at6native18radixSortKVInPlaceILin1ELin1ELi512ELi8EblmEEvNS_4cuda6detail10TensorInfoIT3_T5_EES6_S6_S6_NS4_IT4_S6_EES6_b,comdat
	.protected	_ZN2at6native18radixSortKVInPlaceILin1ELin1ELi512ELi8EblmEEvNS_4cuda6detail10TensorInfoIT3_T5_EES6_S6_S6_NS4_IT4_S6_EES6_b ; -- Begin function _ZN2at6native18radixSortKVInPlaceILin1ELin1ELi512ELi8EblmEEvNS_4cuda6detail10TensorInfoIT3_T5_EES6_S6_S6_NS4_IT4_S6_EES6_b
	.globl	_ZN2at6native18radixSortKVInPlaceILin1ELin1ELi512ELi8EblmEEvNS_4cuda6detail10TensorInfoIT3_T5_EES6_S6_S6_NS4_IT4_S6_EES6_b
	.p2align	8
	.type	_ZN2at6native18radixSortKVInPlaceILin1ELin1ELi512ELi8EblmEEvNS_4cuda6detail10TensorInfoIT3_T5_EES6_S6_S6_NS4_IT4_S6_EES6_b,@function
_ZN2at6native18radixSortKVInPlaceILin1ELin1ELi512ELi8EblmEEvNS_4cuda6detail10TensorInfoIT3_T5_EES6_S6_S6_NS4_IT4_S6_EES6_b: ; @_ZN2at6native18radixSortKVInPlaceILin1ELin1ELi512ELi8EblmEEvNS_4cuda6detail10TensorInfoIT3_T5_EES6_S6_S6_NS4_IT4_S6_EES6_b
; %bb.0:
	s_clause 0x1
	s_load_b64 s[2:3], s[0:1], 0x368
	s_load_b128 s[8:11], s[0:1], 0x1a0
	s_lshr_b32 s4, ttmp7, 16
	s_and_b32 s5, ttmp7, 0xffff
	s_wait_kmcnt 0x0
	s_mul_i32 s3, s3, s4
	s_delay_alu instid0(SALU_CYCLE_1) | instskip(NEXT) | instid1(SALU_CYCLE_1)
	s_add_co_i32 s3, s3, s5
	s_mul_i32 s2, s3, s2
	s_mov_b32 s3, 0
	s_add_co_i32 s2, s2, ttmp9
	s_delay_alu instid0(SALU_CYCLE_1)
	v_cmp_le_u64_e64 s4, s[8:9], s[2:3]
	s_and_b32 vcc_lo, exec_lo, s4
	s_cbranch_vccnz .LBB275_116
; %bb.1:
	s_clause 0x1
	s_load_b32 s9, s[0:1], 0x198
	s_load_b64 s[12:13], s[0:1], 0x1b0
	s_mov_b64 s[4:5], 0
	s_mov_b64 s[6:7], s[2:3]
	s_wait_kmcnt 0x0
	s_cmp_lt_i32 s9, 2
	s_cbranch_scc1 .LBB275_9
; %bb.2:
	s_mov_b32 s8, 0
	s_add_co_i32 s4, s9, -1
	s_wait_alu 0xfffe
	s_mov_b32 s5, s8
	s_add_co_i32 s11, s9, 1
	s_lshl_b64 s[4:5], s[4:5], 3
	s_mov_b64 s[16:17], s[2:3]
	s_add_nc_u64 s[6:7], s[0:1], s[4:5]
	s_mov_b64 s[4:5], 0
	s_add_nc_u64 s[14:15], s[6:7], 8
.LBB275_3:                              ; =>This Inner Loop Header: Depth=1
	s_load_b64 s[18:19], s[14:15], 0x0
	s_wait_kmcnt 0x0
	s_or_b64 s[6:7], s[16:17], s[18:19]
	s_wait_alu 0xfffe
	s_mov_b32 s9, s7
                                        ; implicit-def: $sgpr6_sgpr7
	s_wait_alu 0xfffe
	s_cmp_lg_u64 s[8:9], 0
	s_mov_b32 s9, -1
	s_cbranch_scc0 .LBB275_5
; %bb.4:                                ;   in Loop: Header=BB275_3 Depth=1
	s_cvt_f32_u32 s6, s18
	s_cvt_f32_u32 s7, s19
	s_sub_nc_u64 s[20:21], 0, s[18:19]
	s_mov_b32 s23, s8
	s_mov_b32 s27, s8
	s_wait_alu 0xfffe
	s_fmamk_f32 s6, s7, 0x4f800000, s6
	s_wait_alu 0xfffe
	s_delay_alu instid0(SALU_CYCLE_2) | instskip(NEXT) | instid1(TRANS32_DEP_1)
	v_s_rcp_f32 s6, s6
	s_mul_f32 s6, s6, 0x5f7ffffc
	s_wait_alu 0xfffe
	s_delay_alu instid0(SALU_CYCLE_2) | instskip(SKIP_1) | instid1(SALU_CYCLE_2)
	s_mul_f32 s7, s6, 0x2f800000
	s_wait_alu 0xfffe
	s_trunc_f32 s7, s7
	s_wait_alu 0xfffe
	s_delay_alu instid0(SALU_CYCLE_2) | instskip(SKIP_2) | instid1(SALU_CYCLE_1)
	s_fmamk_f32 s6, s7, 0xcf800000, s6
	s_cvt_u32_f32 s7, s7
	s_wait_alu 0xfffe
	s_cvt_u32_f32 s6, s6
	s_wait_alu 0xfffe
	s_delay_alu instid0(SALU_CYCLE_2) | instskip(NEXT) | instid1(SALU_CYCLE_1)
	s_mul_u64 s[24:25], s[20:21], s[6:7]
	s_mul_hi_u32 s29, s6, s25
	s_mul_i32 s28, s6, s25
	s_mul_hi_u32 s22, s6, s24
	s_mul_i32 s26, s7, s24
	s_add_nc_u64 s[22:23], s[22:23], s[28:29]
	s_mul_hi_u32 s9, s7, s24
	s_mul_hi_u32 s30, s7, s25
	s_add_co_u32 s22, s22, s26
	s_wait_alu 0xfffe
	s_add_co_ci_u32 s26, s23, s9
	s_mul_i32 s24, s7, s25
	s_add_co_ci_u32 s25, s30, 0
	s_delay_alu instid0(SALU_CYCLE_1)
	s_add_nc_u64 s[22:23], s[26:27], s[24:25]
	s_mov_b32 s25, s8
	s_add_co_u32 s6, s6, s22
	s_cselect_b32 s9, -1, 0
	s_wait_alu 0xfffe
	s_cmp_lg_u32 s9, 0
	s_add_co_ci_u32 s7, s7, s23
	s_mov_b32 s23, s8
	s_wait_alu 0xfffe
	s_mul_u64 s[20:21], s[20:21], s[6:7]
	s_delay_alu instid0(SALU_CYCLE_1)
	s_mul_hi_u32 s27, s6, s21
	s_mul_i32 s26, s6, s21
	s_mul_hi_u32 s22, s6, s20
	s_mul_i32 s24, s7, s20
	s_add_nc_u64 s[22:23], s[22:23], s[26:27]
	s_mul_hi_u32 s9, s7, s20
	s_mul_hi_u32 s28, s7, s21
	s_mul_i32 s20, s7, s21
	s_add_co_u32 s21, s22, s24
	s_wait_alu 0xfffe
	s_add_co_ci_u32 s24, s23, s9
	s_add_co_ci_u32 s21, s28, 0
	s_mov_b32 s23, s8
	s_add_nc_u64 s[20:21], s[24:25], s[20:21]
	s_delay_alu instid0(SALU_CYCLE_1)
	s_add_co_u32 s6, s6, s20
	s_cselect_b32 s9, -1, 0
	s_wait_alu 0xfffe
	s_mul_hi_u32 s22, s16, s6
	s_cmp_lg_u32 s9, 0
	s_mul_hi_u32 s9, s17, s6
	s_add_co_ci_u32 s20, s7, s21
	s_mul_i32 s21, s17, s6
	s_mul_hi_u32 s7, s16, s20
	s_mul_i32 s6, s16, s20
	s_mul_hi_u32 s26, s17, s20
	s_wait_alu 0xfffe
	s_add_nc_u64 s[6:7], s[22:23], s[6:7]
	s_mul_i32 s20, s17, s20
	s_wait_alu 0xfffe
	s_add_co_u32 s6, s6, s21
	s_add_co_ci_u32 s24, s7, s9
	s_add_co_ci_u32 s21, s26, 0
	s_delay_alu instid0(SALU_CYCLE_1) | instskip(SKIP_2) | instid1(SALU_CYCLE_1)
	s_add_nc_u64 s[6:7], s[24:25], s[20:21]
	s_wait_alu 0xfffe
	s_mul_u64 s[20:21], s[18:19], s[6:7]
	s_sub_co_u32 s9, s16, s20
	s_cselect_b32 s20, -1, 0
	s_sub_co_i32 s22, s17, s21
	s_cmp_lg_u32 s20, 0
	s_sub_co_ci_u32 s22, s22, s19
	s_wait_alu 0xfffe
	s_sub_co_u32 s23, s9, s18
	s_cselect_b32 s24, -1, 0
	s_delay_alu instid0(SALU_CYCLE_1) | instskip(SKIP_1) | instid1(SALU_CYCLE_1)
	s_cmp_lg_u32 s24, 0
	s_sub_co_ci_u32 s22, s22, 0
	s_cmp_ge_u32 s22, s19
	s_cselect_b32 s24, -1, 0
	s_cmp_ge_u32 s23, s18
	s_cselect_b32 s25, -1, 0
	s_cmp_eq_u32 s22, s19
	s_add_nc_u64 s[22:23], s[6:7], 1
	s_cselect_b32 s26, s25, s24
	s_add_nc_u64 s[24:25], s[6:7], 2
	s_cmp_lg_u32 s26, 0
	s_cselect_b32 s22, s24, s22
	s_cselect_b32 s23, s25, s23
	s_cmp_lg_u32 s20, 0
	s_sub_co_ci_u32 s20, s17, s21
	s_delay_alu instid0(SALU_CYCLE_1)
	s_cmp_ge_u32 s20, s19
	s_cselect_b32 s21, -1, 0
	s_cmp_ge_u32 s9, s18
	s_cselect_b32 s9, -1, 0
	s_cmp_eq_u32 s20, s19
	s_wait_alu 0xfffe
	s_cselect_b32 s9, s9, s21
	s_wait_alu 0xfffe
	s_cmp_lg_u32 s9, 0
	s_mov_b32 s9, 0
	s_cselect_b32 s7, s23, s7
	s_cselect_b32 s6, s22, s6
.LBB275_5:                              ;   in Loop: Header=BB275_3 Depth=1
	s_wait_alu 0xfffe
	s_and_not1_b32 vcc_lo, exec_lo, s9
	s_cbranch_vccnz .LBB275_7
; %bb.6:                                ;   in Loop: Header=BB275_3 Depth=1
	v_cvt_f32_u32_e32 v1, s18
	s_sub_co_i32 s7, 0, s18
	s_delay_alu instid0(VALU_DEP_1) | instskip(NEXT) | instid1(TRANS32_DEP_1)
	v_rcp_iflag_f32_e32 v1, v1
	v_mul_f32_e32 v1, 0x4f7ffffe, v1
	s_delay_alu instid0(VALU_DEP_1) | instskip(NEXT) | instid1(VALU_DEP_1)
	v_cvt_u32_f32_e32 v1, v1
	v_readfirstlane_b32 s6, v1
	s_wait_alu 0xfffe
	s_mul_i32 s7, s7, s6
	s_wait_alu 0xfffe
	s_mul_hi_u32 s7, s6, s7
	s_wait_alu 0xfffe
	s_add_co_i32 s6, s6, s7
	s_wait_alu 0xfffe
	s_mul_hi_u32 s6, s16, s6
	s_wait_alu 0xfffe
	s_mul_i32 s7, s6, s18
	s_add_co_i32 s9, s6, 1
	s_wait_alu 0xfffe
	s_sub_co_i32 s7, s16, s7
	s_wait_alu 0xfffe
	s_sub_co_i32 s20, s7, s18
	s_cmp_ge_u32 s7, s18
	s_cselect_b32 s6, s9, s6
	s_cselect_b32 s7, s20, s7
	s_wait_alu 0xfffe
	s_add_co_i32 s9, s6, 1
	s_cmp_ge_u32 s7, s18
	s_mov_b32 s7, s8
	s_wait_alu 0xfffe
	s_cselect_b32 s6, s9, s6
.LBB275_7:                              ;   in Loop: Header=BB275_3 Depth=1
	s_load_b64 s[20:21], s[14:15], 0xc8
	s_mul_u64 s[18:19], s[6:7], s[18:19]
	s_add_co_i32 s11, s11, -1
	s_wait_alu 0xfffe
	s_sub_nc_u64 s[16:17], s[16:17], s[18:19]
	s_cmp_gt_u32 s11, 2
	s_add_nc_u64 s[14:15], s[14:15], -8
	s_wait_kmcnt 0x0
	s_mul_u64 s[16:17], s[20:21], s[16:17]
	s_delay_alu instid0(SALU_CYCLE_1)
	s_add_nc_u64 s[4:5], s[16:17], s[4:5]
	s_cbranch_scc0 .LBB275_9
; %bb.8:                                ;   in Loop: Header=BB275_3 Depth=1
	s_mov_b64 s[16:17], s[6:7]
	s_branch .LBB275_3
.LBB275_9:
	s_load_b32 s9, s[0:1], 0x350
	s_add_nc_u64 s[20:21], s[0:1], 0x368
	s_mov_b64 s[14:15], 0
	s_wait_kmcnt 0x0
	s_cmp_lt_i32 s9, 2
	s_cbranch_scc1 .LBB275_17
; %bb.10:
	s_mov_b32 s8, 0
	s_add_co_i32 s14, s9, -1
	s_wait_alu 0xfffe
	s_mov_b32 s15, s8
	s_add_co_i32 s11, s9, 1
	s_lshl_b64 s[14:15], s[14:15], 3
	s_delay_alu instid0(SALU_CYCLE_1) | instskip(NEXT) | instid1(SALU_CYCLE_1)
	s_add_nc_u64 s[14:15], s[0:1], s[14:15]
	s_add_nc_u64 s[16:17], s[14:15], 0x1c0
	s_mov_b64 s[14:15], 0
.LBB275_11:                             ; =>This Inner Loop Header: Depth=1
	s_load_b64 s[22:23], s[16:17], 0x0
	s_wait_kmcnt 0x0
	s_or_b64 s[18:19], s[2:3], s[22:23]
	s_wait_alu 0xfffe
	s_mov_b32 s9, s19
                                        ; implicit-def: $sgpr18_sgpr19
	s_wait_alu 0xfffe
	s_cmp_lg_u64 s[8:9], 0
	s_mov_b32 s9, -1
	s_cbranch_scc0 .LBB275_13
; %bb.12:                               ;   in Loop: Header=BB275_11 Depth=1
	s_cvt_f32_u32 s9, s22
	s_cvt_f32_u32 s18, s23
	s_sub_nc_u64 s[24:25], 0, s[22:23]
	s_mov_b32 s27, s8
	s_mov_b32 s31, s8
	s_wait_alu 0xfffe
	s_fmamk_f32 s9, s18, 0x4f800000, s9
	s_wait_alu 0xfffe
	s_delay_alu instid0(SALU_CYCLE_2) | instskip(NEXT) | instid1(TRANS32_DEP_1)
	v_s_rcp_f32 s9, s9
	s_mul_f32 s9, s9, 0x5f7ffffc
	s_wait_alu 0xfffe
	s_delay_alu instid0(SALU_CYCLE_2) | instskip(SKIP_1) | instid1(SALU_CYCLE_2)
	s_mul_f32 s18, s9, 0x2f800000
	s_wait_alu 0xfffe
	s_trunc_f32 s18, s18
	s_wait_alu 0xfffe
	s_delay_alu instid0(SALU_CYCLE_2) | instskip(SKIP_2) | instid1(SALU_CYCLE_1)
	s_fmamk_f32 s9, s18, 0xcf800000, s9
	s_cvt_u32_f32 s19, s18
	s_wait_alu 0xfffe
	s_cvt_u32_f32 s18, s9
	s_wait_alu 0xfffe
	s_delay_alu instid0(SALU_CYCLE_2) | instskip(NEXT) | instid1(SALU_CYCLE_1)
	s_mul_u64 s[28:29], s[24:25], s[18:19]
	s_mul_hi_u32 s35, s18, s29
	s_mul_i32 s34, s18, s29
	s_mul_hi_u32 s26, s18, s28
	s_mul_i32 s30, s19, s28
	s_add_nc_u64 s[26:27], s[26:27], s[34:35]
	s_mul_hi_u32 s9, s19, s28
	s_mul_hi_u32 s33, s19, s29
	s_add_co_u32 s26, s26, s30
	s_wait_alu 0xfffe
	s_add_co_ci_u32 s30, s27, s9
	s_mul_i32 s28, s19, s29
	s_add_co_ci_u32 s29, s33, 0
	s_delay_alu instid0(SALU_CYCLE_1)
	s_add_nc_u64 s[26:27], s[30:31], s[28:29]
	s_mov_b32 s29, s8
	s_add_co_u32 s18, s18, s26
	s_cselect_b32 s9, -1, 0
	s_wait_alu 0xfffe
	s_cmp_lg_u32 s9, 0
	s_add_co_ci_u32 s19, s19, s27
	s_mov_b32 s27, s8
	s_wait_alu 0xfffe
	s_mul_u64 s[24:25], s[24:25], s[18:19]
	s_delay_alu instid0(SALU_CYCLE_1)
	s_mul_hi_u32 s31, s18, s25
	s_mul_i32 s30, s18, s25
	s_mul_hi_u32 s26, s18, s24
	s_mul_i32 s28, s19, s24
	s_add_nc_u64 s[26:27], s[26:27], s[30:31]
	s_mul_hi_u32 s9, s19, s24
	s_mul_hi_u32 s33, s19, s25
	s_mul_i32 s24, s19, s25
	s_add_co_u32 s25, s26, s28
	s_wait_alu 0xfffe
	s_add_co_ci_u32 s28, s27, s9
	s_add_co_ci_u32 s25, s33, 0
	s_mov_b32 s27, s8
	s_add_nc_u64 s[24:25], s[28:29], s[24:25]
	s_delay_alu instid0(SALU_CYCLE_1)
	s_add_co_u32 s9, s18, s24
	s_cselect_b32 s18, -1, 0
	s_wait_alu 0xfffe
	s_mul_hi_u32 s26, s2, s9
	s_cmp_lg_u32 s18, 0
	s_mul_hi_u32 s28, s3, s9
	s_add_co_ci_u32 s24, s19, s25
	s_mul_i32 s9, s3, s9
	s_mul_hi_u32 s19, s2, s24
	s_mul_i32 s18, s2, s24
	s_mul_hi_u32 s25, s3, s24
	s_wait_alu 0xfffe
	s_add_nc_u64 s[18:19], s[26:27], s[18:19]
	s_mul_i32 s24, s3, s24
	s_wait_alu 0xfffe
	s_add_co_u32 s9, s18, s9
	s_add_co_ci_u32 s28, s19, s28
	s_add_co_ci_u32 s25, s25, 0
	s_delay_alu instid0(SALU_CYCLE_1) | instskip(SKIP_2) | instid1(SALU_CYCLE_1)
	s_add_nc_u64 s[18:19], s[28:29], s[24:25]
	s_wait_alu 0xfffe
	s_mul_u64 s[24:25], s[22:23], s[18:19]
	s_sub_co_u32 s9, s2, s24
	s_cselect_b32 s24, -1, 0
	s_sub_co_i32 s26, s3, s25
	s_cmp_lg_u32 s24, 0
	s_sub_co_ci_u32 s26, s26, s23
	s_wait_alu 0xfffe
	s_sub_co_u32 s27, s9, s22
	s_cselect_b32 s28, -1, 0
	s_delay_alu instid0(SALU_CYCLE_1) | instskip(SKIP_1) | instid1(SALU_CYCLE_1)
	s_cmp_lg_u32 s28, 0
	s_sub_co_ci_u32 s26, s26, 0
	s_cmp_ge_u32 s26, s23
	s_cselect_b32 s28, -1, 0
	s_cmp_ge_u32 s27, s22
	s_cselect_b32 s29, -1, 0
	s_cmp_eq_u32 s26, s23
	s_add_nc_u64 s[26:27], s[18:19], 1
	s_cselect_b32 s30, s29, s28
	s_add_nc_u64 s[28:29], s[18:19], 2
	s_cmp_lg_u32 s30, 0
	s_cselect_b32 s26, s28, s26
	s_cselect_b32 s27, s29, s27
	s_cmp_lg_u32 s24, 0
	s_sub_co_ci_u32 s24, s3, s25
	s_delay_alu instid0(SALU_CYCLE_1)
	s_cmp_ge_u32 s24, s23
	s_cselect_b32 s25, -1, 0
	s_cmp_ge_u32 s9, s22
	s_cselect_b32 s9, -1, 0
	s_cmp_eq_u32 s24, s23
	s_wait_alu 0xfffe
	s_cselect_b32 s9, s9, s25
	s_wait_alu 0xfffe
	s_cmp_lg_u32 s9, 0
	s_mov_b32 s9, 0
	s_cselect_b32 s19, s27, s19
	s_cselect_b32 s18, s26, s18
.LBB275_13:                             ;   in Loop: Header=BB275_11 Depth=1
	s_wait_alu 0xfffe
	s_and_not1_b32 vcc_lo, exec_lo, s9
	s_cbranch_vccnz .LBB275_15
; %bb.14:                               ;   in Loop: Header=BB275_11 Depth=1
	v_cvt_f32_u32_e32 v1, s22
	s_sub_co_i32 s18, 0, s22
	s_delay_alu instid0(VALU_DEP_1) | instskip(NEXT) | instid1(TRANS32_DEP_1)
	v_rcp_iflag_f32_e32 v1, v1
	v_mul_f32_e32 v1, 0x4f7ffffe, v1
	s_delay_alu instid0(VALU_DEP_1) | instskip(NEXT) | instid1(VALU_DEP_1)
	v_cvt_u32_f32_e32 v1, v1
	v_readfirstlane_b32 s9, v1
	s_wait_alu 0xfffe
	s_mul_i32 s18, s18, s9
	s_wait_alu 0xfffe
	s_mul_hi_u32 s18, s9, s18
	s_wait_alu 0xfffe
	s_add_co_i32 s9, s9, s18
	s_wait_alu 0xfffe
	s_mul_hi_u32 s9, s2, s9
	s_wait_alu 0xfffe
	s_mul_i32 s18, s9, s22
	s_add_co_i32 s19, s9, 1
	s_wait_alu 0xfffe
	s_sub_co_i32 s18, s2, s18
	s_wait_alu 0xfffe
	s_sub_co_i32 s24, s18, s22
	s_cmp_ge_u32 s18, s22
	s_cselect_b32 s9, s19, s9
	s_cselect_b32 s18, s24, s18
	s_wait_alu 0xfffe
	s_add_co_i32 s19, s9, 1
	s_cmp_ge_u32 s18, s22
	s_wait_alu 0xfffe
	s_cselect_b32 s18, s19, s9
	s_mov_b32 s19, s8
.LBB275_15:                             ;   in Loop: Header=BB275_11 Depth=1
	s_load_b64 s[24:25], s[16:17], 0xc8
	s_mul_u64 s[22:23], s[18:19], s[22:23]
	s_add_co_i32 s11, s11, -1
	s_wait_alu 0xfffe
	s_sub_nc_u64 s[2:3], s[2:3], s[22:23]
	s_cmp_gt_u32 s11, 2
	s_add_nc_u64 s[16:17], s[16:17], -8
	s_wait_kmcnt 0x0
	s_wait_alu 0xfffe
	s_mul_u64 s[2:3], s[24:25], s[2:3]
	s_wait_alu 0xfffe
	s_add_nc_u64 s[14:15], s[2:3], s[14:15]
	s_cbranch_scc0 .LBB275_18
; %bb.16:                               ;   in Loop: Header=BB275_11 Depth=1
	s_mov_b64 s[2:3], s[18:19]
	s_branch .LBB275_11
.LBB275_17:
	s_mov_b64 s[18:19], s[2:3]
.LBB275_18:
	s_clause 0x2
	s_load_b64 s[2:3], s[0:1], 0xd0
	s_load_b32 s11, s[0:1], 0x360
	s_load_b64 s[8:9], s[0:1], 0x0
	s_wait_kmcnt 0x0
	s_mul_u64 s[6:7], s[2:3], s[6:7]
	s_bitcmp1_b32 s11, 0
	s_wait_alu 0xfffe
	s_add_nc_u64 s[6:7], s[8:9], s[6:7]
	s_cselect_b32 s11, -1, 0
	s_wait_alu 0xfffe
	s_add_nc_u64 s[16:17], s[6:7], s[4:5]
	s_xor_b32 s11, s11, -1
	s_delay_alu instid0(SALU_CYCLE_1) | instskip(SKIP_1) | instid1(VALU_DEP_2)
	v_cndmask_b32_e64 v1, 0, 1, s11
	v_cndmask_b32_e64 v3, 0, 1, s11
	v_lshlrev_b32_e32 v2, 8, v1
	s_delay_alu instid0(VALU_DEP_1) | instskip(NEXT) | instid1(VALU_DEP_1)
	v_or_b32_e32 v1, v1, v2
	v_and_b32_e32 v2, 0x101, v1
	v_lshlrev_b32_e32 v1, 16, v1
	s_delay_alu instid0(VALU_DEP_1) | instskip(NEXT) | instid1(VALU_DEP_1)
	v_or_b32_e32 v1, v2, v1
	v_dual_mov_b32 v2, v1 :: v_dual_and_b32 v41, 0x3ff, v0
	s_delay_alu instid0(VALU_DEP_1)
	v_cmp_gt_u32_e64 s2, s10, v41
	s_and_saveexec_b32 s3, s2
	s_cbranch_execz .LBB275_20
; %bb.19:
	v_mad_co_u64_u32 v[2:3], null, s12, v41, s[16:17]
	v_mov_b32_e32 v5, v1
	s_delay_alu instid0(VALU_DEP_2) | instskip(SKIP_3) | instid1(VALU_DEP_1)
	v_mad_co_u64_u32 v[3:4], null, s13, v41, v[3:4]
	global_load_u8 v3, v[2:3], off
	s_wait_loadcnt 0x0
	v_perm_b32 v4, v3, v1, 0x3020104
	v_dual_mov_b32 v1, v4 :: v_dual_mov_b32 v2, v5
.LBB275_20:
	s_wait_alu 0xfffe
	s_or_b32 exec_lo, exec_lo, s3
	v_add_nc_u32_e32 v23, 0x200, v41
	s_delay_alu instid0(VALU_DEP_1)
	v_cmp_gt_u32_e64 s3, s10, v23
	s_and_saveexec_b32 s4, s3
	s_cbranch_execz .LBB275_22
; %bb.21:
	v_mad_co_u64_u32 v[4:5], null, s12, v23, s[16:17]
	s_delay_alu instid0(VALU_DEP_1)
	v_mad_co_u64_u32 v[5:6], null, s13, v23, v[5:6]
	global_load_u8 v4, v[4:5], off
	s_wait_loadcnt 0x0
	v_perm_b32 v1, v1, v4, 0x7060004
.LBB275_22:
	s_or_b32 exec_lo, exec_lo, s4
	v_or_b32_e32 v22, 0x400, v41
	s_delay_alu instid0(VALU_DEP_1)
	v_cmp_gt_u32_e64 s4, s10, v22
	s_and_saveexec_b32 s5, s4
	s_cbranch_execz .LBB275_24
; %bb.23:
	v_mad_co_u64_u32 v[4:5], null, s12, v22, s[16:17]
	s_delay_alu instid0(VALU_DEP_1) | instskip(SKIP_3) | instid1(VALU_DEP_1)
	v_mad_co_u64_u32 v[5:6], null, s13, v22, v[5:6]
	global_load_u8 v4, v[4:5], off
	s_wait_loadcnt 0x0
	v_perm_b32 v4, v4, v1, 0xc0c0304
	v_lshlrev_b32_e32 v4, 16, v4
	s_delay_alu instid0(VALU_DEP_1)
	v_and_or_b32 v1, 0xffff, v1, v4
.LBB275_24:
	s_or_b32 exec_lo, exec_lo, s5
	v_add_nc_u32_e32 v21, 0x600, v41
	s_delay_alu instid0(VALU_DEP_1)
	v_cmp_gt_u32_e64 s5, s10, v21
	s_and_saveexec_b32 s6, s5
	s_cbranch_execz .LBB275_26
; %bb.25:
	v_mad_co_u64_u32 v[4:5], null, s12, v21, s[16:17]
	s_delay_alu instid0(VALU_DEP_1) | instskip(SKIP_3) | instid1(VALU_DEP_1)
	v_mad_co_u64_u32 v[5:6], null, s13, v21, v[5:6]
	global_load_u8 v4, v[4:5], off
	s_wait_loadcnt 0x0
	v_perm_b32 v4, v1, v4, 0xc0c0006
	v_lshlrev_b32_e32 v4, 16, v4
	s_delay_alu instid0(VALU_DEP_1)
	v_and_or_b32 v1, 0xffff, v1, v4
.LBB275_26:
	s_wait_alu 0xfffe
	s_or_b32 exec_lo, exec_lo, s6
	v_or_b32_e32 v20, 0x800, v41
	s_delay_alu instid0(VALU_DEP_1)
	v_cmp_gt_u32_e64 s6, s10, v20
	s_and_saveexec_b32 s7, s6
	s_cbranch_execz .LBB275_28
; %bb.27:
	v_mad_co_u64_u32 v[4:5], null, s12, v20, s[16:17]
	s_delay_alu instid0(VALU_DEP_1)
	v_mad_co_u64_u32 v[5:6], null, s13, v20, v[5:6]
	global_load_u8 v4, v[4:5], off
	s_wait_loadcnt 0x0
	v_perm_b32 v2, v4, v2, 0x3020104
.LBB275_28:
	s_wait_alu 0xfffe
	s_or_b32 exec_lo, exec_lo, s7
	v_add_nc_u32_e32 v19, 0xa00, v41
	s_delay_alu instid0(VALU_DEP_1)
	v_cmp_gt_u32_e64 s7, s10, v19
	s_and_saveexec_b32 s8, s7
	s_cbranch_execz .LBB275_30
; %bb.29:
	v_mad_co_u64_u32 v[4:5], null, s12, v19, s[16:17]
	s_delay_alu instid0(VALU_DEP_1)
	v_mad_co_u64_u32 v[5:6], null, s13, v19, v[5:6]
	global_load_u8 v4, v[4:5], off
	s_wait_loadcnt 0x0
	v_perm_b32 v2, v2, v4, 0x7060004
.LBB275_30:
	s_wait_alu 0xfffe
	s_or_b32 exec_lo, exec_lo, s8
	v_or_b32_e32 v17, 0xc00, v41
	s_delay_alu instid0(VALU_DEP_1)
	v_cmp_gt_u32_e64 s8, s10, v17
	s_and_saveexec_b32 s9, s8
	s_cbranch_execz .LBB275_32
; %bb.31:
	v_mad_co_u64_u32 v[4:5], null, s12, v17, s[16:17]
	s_delay_alu instid0(VALU_DEP_1)
	v_mad_co_u64_u32 v[5:6], null, s13, v17, v[5:6]
	global_load_u8 v4, v[4:5], off
	s_wait_loadcnt 0x0
	v_perm_b32 v2, v2, v4, 0x7000504
.LBB275_32:
	s_wait_alu 0xfffe
	s_or_b32 exec_lo, exec_lo, s9
	s_clause 0x1
	s_load_b64 s[24:25], s[0:1], 0x288
	s_load_b64 s[22:23], s[0:1], 0x1b8
	v_add_nc_u32_e32 v18, 0xe00, v41
	s_delay_alu instid0(VALU_DEP_1)
	v_cmp_gt_u32_e64 s9, s10, v18
	s_and_saveexec_b32 s10, s9
	s_cbranch_execz .LBB275_34
; %bb.33:
	v_mad_co_u64_u32 v[4:5], null, s12, v18, s[16:17]
	s_delay_alu instid0(VALU_DEP_1)
	v_mad_co_u64_u32 v[5:6], null, s13, v18, v[5:6]
	global_load_u8 v4, v[4:5], off
	s_wait_loadcnt 0x0
	v_perm_b32 v2, v2, v4, 0x60504
.LBB275_34:
	s_wait_alu 0xfffe
	s_or_b32 exec_lo, exec_lo, s10
	v_lshrrev_b32_e32 v63, 5, v41
	v_lshrrev_b32_e32 v25, 5, v22
	;; [unrolled: 1-line block ×5, first 2 shown]
	v_and_b32_e32 v4, 28, v63
	v_lshrrev_b32_e32 v29, 5, v17
	v_and_b32_e32 v7, 0x5c, v27
	v_lshrrev_b32_e32 v28, 5, v19
	v_lshrrev_b32_e32 v30, 5, v18
	v_add_nc_u32_e32 v44, v4, v41
	v_and_b32_e32 v4, 60, v25
	v_and_b32_e32 v5, 60, v24
	v_add_nc_u32_e32 v48, v7, v41
	v_and_b32_e32 v7, 0x7c, v29
	v_and_b32_e32 v9, 0xfc, v30
	v_add_nc_u32_e32 v46, v4, v41
	v_and_b32_e32 v4, 0x7c, v26
	v_lshrrev_b32_e32 v31, 2, v41
	v_lshrrev_b32_e32 v6, 8, v1
	v_add_nc_u32_e32 v45, v5, v41
	v_lshrrev_b32_e32 v5, 24, v1
	v_add_nc_u32_e32 v47, v4, v41
	v_and_b32_e32 v4, 0x7c, v28
	v_dual_mov_b32 v11, 0 :: v_dual_add_nc_u32 v50, v7, v41
	v_lshrrev_b32_e32 v8, 8, v2
	v_add_nc_u32_e32 v51, v9, v41
	s_delay_alu instid0(VALU_DEP_4)
	v_add_nc_u32_e32 v49, v4, v41
	v_lshrrev_b32_e32 v4, 24, v2
	v_dual_mov_b32 v12, 0 :: v_dual_and_b32 v7, 0xfc, v31
	ds_store_b8 v44, v3
	ds_store_b8 v45, v6 offset:512
	ds_store_b8_d16_hi v46, v1 offset:1024
	ds_store_b8 v47, v5 offset:1536
	ds_store_b8 v48, v2 offset:2048
	;; [unrolled: 1-line block ×3, first 2 shown]
	ds_store_b8_d16_hi v50, v2 offset:3072
	ds_store_b8 v51, v4 offset:3584
	v_mov_b32_e32 v1, 0
	v_lshlrev_b32_e32 v61, 3, v41
	s_wait_kmcnt 0x0
	s_mul_u64 s[18:19], s[24:25], s[18:19]
	s_lshl_b64 s[24:25], s[14:15], 3
	s_load_b64 s[14:15], s[0:1], 0x358
	v_mov_b32_e32 v10, v1
	v_add_nc_u32_e32 v52, v7, v61
	s_wait_dscnt 0x0
	s_barrier_signal -1
	s_barrier_wait -1
	global_inv scope:SCOPE_SE
	ds_load_2addr_b32 v[42:43], v52 offset1:1
	s_lshl_b64 s[18:19], s[18:19], 3
	v_dual_mov_b32 v2, v1 :: v_dual_mov_b32 v13, v1
	v_dual_mov_b32 v14, v1 :: v_dual_mov_b32 v15, v1
	;; [unrolled: 1-line block ×6, first 2 shown]
	s_wait_alu 0xfffe
	s_add_nc_u64 s[0:1], s[22:23], s[18:19]
	s_wait_loadcnt_dscnt 0x0
	s_add_nc_u64 s[18:19], s[0:1], s[24:25]
	s_barrier_signal -1
	s_barrier_wait -1
	global_inv scope:SCOPE_SE
	s_and_saveexec_b32 s0, s2
	s_cbranch_execnz .LBB275_67
; %bb.35:
	s_or_b32 exec_lo, exec_lo, s0
	s_and_saveexec_b32 s0, s3
	s_cbranch_execnz .LBB275_68
.LBB275_36:
	s_or_b32 exec_lo, exec_lo, s0
	s_and_saveexec_b32 s0, s4
	s_cbranch_execnz .LBB275_69
.LBB275_37:
	s_or_b32 exec_lo, exec_lo, s0
	s_and_saveexec_b32 s0, s5
	s_cbranch_execnz .LBB275_70
.LBB275_38:
	s_or_b32 exec_lo, exec_lo, s0
	s_and_saveexec_b32 s0, s6
	s_cbranch_execnz .LBB275_71
.LBB275_39:
	s_or_b32 exec_lo, exec_lo, s0
	s_and_saveexec_b32 s0, s7
	s_cbranch_execnz .LBB275_72
.LBB275_40:
	s_or_b32 exec_lo, exec_lo, s0
	s_and_saveexec_b32 s0, s8
	s_cbranch_execnz .LBB275_73
.LBB275_41:
	s_or_b32 exec_lo, exec_lo, s0
	s_and_saveexec_b32 s0, s9
	s_cbranch_execz .LBB275_43
.LBB275_42:
	s_wait_kmcnt 0x0
	v_mad_co_u64_u32 v[9:10], null, s14, v18, 0
	s_wait_loadcnt 0x0
	s_delay_alu instid0(VALU_DEP_1) | instskip(NEXT) | instid1(VALU_DEP_1)
	v_mad_co_u64_u32 v[17:18], null, s15, v18, v[10:11]
	v_mov_b32_e32 v10, v17
	s_delay_alu instid0(VALU_DEP_1) | instskip(SKIP_1) | instid1(VALU_DEP_1)
	v_lshlrev_b64_e32 v[9:10], 3, v[9:10]
	s_wait_alu 0xfffe
	v_add_co_u32 v9, vcc_lo, s18, v9
	s_wait_alu 0xfffd
	s_delay_alu instid0(VALU_DEP_2)
	v_add_co_ci_u32_e64 v10, null, s19, v10, vcc_lo
	global_load_b64 v[9:10], v[9:10], off
.LBB275_43:
	s_or_b32 exec_lo, exec_lo, s0
	v_lshl_add_u32 v53, v63, 3, v61
	v_lshl_add_u32 v54, v24, 3, v61
	;; [unrolled: 1-line block ×5, first 2 shown]
	s_wait_loadcnt 0x0
	ds_store_b64 v53, v[11:12]
	ds_store_b64 v54, v[1:2] offset:4096
	ds_store_b64 v55, v[13:14] offset:8192
	;; [unrolled: 1-line block ×3, first 2 shown]
	v_lshlrev_b32_e32 v1, 3, v61
	v_lshl_add_u32 v58, v28, 3, v61
	v_lshl_add_u32 v59, v29, 3, v61
	;; [unrolled: 1-line block ×3, first 2 shown]
	ds_store_b64 v57, v[3:4] offset:16384
	ds_store_b64 v58, v[5:6] offset:20480
	;; [unrolled: 1-line block ×4, first 2 shown]
	v_lshl_add_u32 v62, v31, 3, v1
	s_wait_dscnt 0x0
	s_barrier_signal -1
	s_barrier_wait -1
	global_inv scope:SCOPE_SE
	ds_load_2addr_b64 v[13:16], v62 offset1:1
	ds_load_2addr_b64 v[9:12], v62 offset0:2 offset1:3
	ds_load_2addr_b64 v[5:8], v62 offset0:4 offset1:5
	;; [unrolled: 1-line block ×3, first 2 shown]
	v_bfe_u32 v67, v0, 10, 10
	v_bfe_u32 v68, v0, 20, 10
	v_mbcnt_lo_u32_b32 v65, -1, 0
	v_and_b32_e32 v66, 0x3e0, v41
	v_lshlrev_b32_e32 v64, 2, v61
	s_and_b32 vcc_lo, exec_lo, s11
	s_wait_loadcnt_dscnt 0x0
	s_barrier_signal -1
	s_barrier_wait -1
	global_inv scope:SCOPE_SE
	s_wait_alu 0xfffe
	s_cbranch_vccz .LBB275_74
; %bb.44:
	s_getpc_b64 s[0:1]
	s_sext_i32_i16 s1, s1
	s_add_co_u32 s0, s0, _ZN7rocprim17ROCPRIM_400000_NS16block_radix_sortIbLj512ELj8ElLj1ELj1ELj0ELNS0_26block_radix_rank_algorithmE1ELNS0_18block_padding_hintE2ELNS0_4arch9wavefront6targetE0EE19radix_bits_per_passE@rel32@lo+8
	s_add_co_ci_u32 s1, s1, _ZN7rocprim17ROCPRIM_400000_NS16block_radix_sortIbLj512ELj8ElLj1ELj1ELj0ELNS0_26block_radix_rank_algorithmE1ELNS0_18block_padding_hintE2ELNS0_4arch9wavefront6targetE0EE19radix_bits_per_passE@rel32@hi+16
	v_or_b32_e32 v17, v65, v66
	s_load_b32 s0, s[0:1], 0x0
	s_mov_b32 s24, 0
	v_and_or_b32 v19, 0x1f00, v61, v65
	s_mov_b32 s25, s24
	s_mov_b32 s26, s24
	;; [unrolled: 1-line block ×3, first 2 shown]
	v_lshlrev_b32_e32 v18, 3, v17
	ds_store_b64 v18, v[42:43]
	; wave barrier
	ds_load_u8 v0, v19
	ds_load_u8 v69, v19 offset:32
	ds_load_u8 v70, v19 offset:64
	;; [unrolled: 1-line block ×7, first 2 shown]
	v_mad_u32_u24 v17, v17, 56, v18
	v_mad_u32_u24 v18, v19, 7, v19
	s_wait_loadcnt_dscnt 0x0
	s_barrier_signal -1
	s_barrier_wait -1
	global_inv scope:SCOPE_SE
	ds_store_b128 v17, v[13:16]
	ds_store_b128 v17, v[9:12] offset:16
	ds_store_b128 v17, v[5:8] offset:32
	;; [unrolled: 1-line block ×3, first 2 shown]
	; wave barrier
	ds_load_2addr_b64 v[29:32], v18 offset1:32
	ds_load_2addr_b64 v[25:28], v18 offset0:64 offset1:96
	ds_load_2addr_b64 v[21:24], v18 offset0:128 offset1:160
	;; [unrolled: 1-line block ×3, first 2 shown]
	s_wait_loadcnt_dscnt 0x0
	s_barrier_signal -1
	s_barrier_wait -1
	global_inv scope:SCOPE_SE
	s_load_b32 s10, s[20:21], 0xc
	s_wait_kmcnt 0x0
	s_min_u32 s0, s0, 8
	s_delay_alu instid0(SALU_CYCLE_1) | instskip(NEXT) | instid1(SALU_CYCLE_1)
	s_lshl_b32 s0, -1, s0
	s_not_b32 s1, s0
	s_delay_alu instid0(SALU_CYCLE_1) | instskip(NEXT) | instid1(VALU_DEP_1)
	v_and_b32_e32 v33, s1, v0
	v_and_b32_e32 v39, 1, v33
	s_delay_alu instid0(VALU_DEP_1)
	v_add_co_u32 v35, s11, v39, -1
	s_wait_alu 0xf1ff
	v_cndmask_b32_e64 v33, 0, 1, s11
	s_lshr_b32 s0, s10, 16
	s_wait_alu 0xfffe
	v_mad_u32_u24 v34, v68, s0, v67
	s_and_b32 s0, s10, 0xffff
	v_cmp_ne_u32_e32 vcc_lo, 0, v33
	s_wait_alu 0xfffe
	s_delay_alu instid0(VALU_DEP_2) | instskip(SKIP_4) | instid1(VALU_DEP_3)
	v_mad_co_u64_u32 v[33:34], null, v34, s0, v[41:42]
	s_wait_alu 0xfffd
	v_xor_b32_e32 v34, vcc_lo, v35
	v_dual_mov_b32 v38, s27 :: v_dual_mov_b32 v35, s24
	v_dual_mov_b32 v37, s26 :: v_dual_mov_b32 v36, s25
	v_and_b32_e32 v34, exec_lo, v34
	v_lshrrev_b32_e32 v33, 3, v33
	ds_store_b128 v64, v[35:38] offset:64
	ds_store_b128 v64, v[35:38] offset:80
	v_mbcnt_lo_u32_b32 v76, v34, 0
	v_lshlrev_b32_e32 v35, 6, v39
	v_and_b32_e32 v33, 0x1ffffffc, v33
	v_cmp_ne_u32_e64 s0, 0, v34
	s_wait_loadcnt_dscnt 0x0
	v_cmp_eq_u32_e32 vcc_lo, 0, v76
	s_barrier_signal -1
	v_add_nc_u32_e32 v79, v33, v35
	s_barrier_wait -1
	global_inv scope:SCOPE_SE
	s_and_b32 s10, s0, vcc_lo
	; wave barrier
	s_wait_alu 0xfffe
	s_and_saveexec_b32 s0, s10
; %bb.45:
	v_bcnt_u32_b32 v34, v34, 0
	ds_store_b32 v79, v34 offset:64
; %bb.46:
	s_wait_alu 0xfffe
	s_or_b32 exec_lo, exec_lo, s0
	v_and_b32_e32 v34, s1, v69
	; wave barrier
	s_delay_alu instid0(VALU_DEP_1) | instskip(NEXT) | instid1(VALU_DEP_1)
	v_and_b32_e32 v34, 0xff, v34
	v_add_co_u32 v35, s0, v34, -1
	s_wait_alu 0xf1ff
	v_cndmask_b32_e64 v36, 0, 1, s0
	v_lshlrev_b32_e32 v34, 6, v34
	s_delay_alu instid0(VALU_DEP_2) | instskip(NEXT) | instid1(VALU_DEP_2)
	v_cmp_ne_u32_e32 vcc_lo, 0, v36
	v_add_nc_u32_e32 v82, v33, v34
	s_wait_alu 0xfffd
	v_xor_b32_e32 v34, vcc_lo, v35
	ds_load_b32 v77, v82 offset:64
	; wave barrier
	v_and_b32_e32 v34, exec_lo, v34
	s_delay_alu instid0(VALU_DEP_1) | instskip(SKIP_1) | instid1(VALU_DEP_2)
	v_mbcnt_lo_u32_b32 v78, v34, 0
	v_cmp_ne_u32_e64 s0, 0, v34
	v_cmp_eq_u32_e32 vcc_lo, 0, v78
	s_and_b32 s10, s0, vcc_lo
	s_wait_alu 0xfffe
	s_and_saveexec_b32 s0, s10
	s_cbranch_execz .LBB275_48
; %bb.47:
	s_wait_dscnt 0x0
	v_bcnt_u32_b32 v34, v34, v77
	ds_store_b32 v82, v34 offset:64
.LBB275_48:
	s_wait_alu 0xfffe
	s_or_b32 exec_lo, exec_lo, s0
	v_and_b32_e32 v34, s1, v70
	; wave barrier
	s_delay_alu instid0(VALU_DEP_1) | instskip(NEXT) | instid1(VALU_DEP_1)
	v_and_b32_e32 v34, 0xff, v34
	v_add_co_u32 v35, s0, v34, -1
	s_wait_alu 0xf1ff
	v_cndmask_b32_e64 v36, 0, 1, s0
	v_lshlrev_b32_e32 v34, 6, v34
	s_delay_alu instid0(VALU_DEP_2) | instskip(NEXT) | instid1(VALU_DEP_2)
	v_cmp_ne_u32_e32 vcc_lo, 0, v36
	v_add_nc_u32_e32 v85, v33, v34
	s_wait_alu 0xfffd
	v_xor_b32_e32 v34, vcc_lo, v35
	ds_load_b32 v80, v85 offset:64
	; wave barrier
	v_and_b32_e32 v34, exec_lo, v34
	s_delay_alu instid0(VALU_DEP_1) | instskip(SKIP_1) | instid1(VALU_DEP_2)
	v_mbcnt_lo_u32_b32 v81, v34, 0
	v_cmp_ne_u32_e64 s0, 0, v34
	v_cmp_eq_u32_e32 vcc_lo, 0, v81
	s_and_b32 s10, s0, vcc_lo
	s_wait_alu 0xfffe
	s_and_saveexec_b32 s0, s10
	s_cbranch_execz .LBB275_50
; %bb.49:
	s_wait_dscnt 0x0
	v_bcnt_u32_b32 v34, v34, v80
	ds_store_b32 v85, v34 offset:64
.LBB275_50:
	;; [unrolled: 31-line block ×7, first 2 shown]
	s_wait_alu 0xfffe
	s_or_b32 exec_lo, exec_lo, s0
	; wave barrier
	s_wait_loadcnt_dscnt 0x0
	s_barrier_signal -1
	s_barrier_wait -1
	global_inv scope:SCOPE_SE
	ds_load_b128 v[37:40], v64 offset:64
	ds_load_b128 v[33:36], v64 offset:80
	v_min_u32_e32 v101, 0x1e0, v66
	s_mov_b32 s22, exec_lo
	s_wait_dscnt 0x1
	v_add_nc_u32_e32 v99, v38, v37
	s_delay_alu instid0(VALU_DEP_1) | instskip(SKIP_1) | instid1(VALU_DEP_1)
	v_add3_u32 v99, v99, v39, v40
	s_wait_dscnt 0x0
	v_add3_u32 v99, v99, v33, v34
	s_delay_alu instid0(VALU_DEP_1) | instskip(SKIP_1) | instid1(VALU_DEP_2)
	v_add3_u32 v36, v99, v35, v36
	v_and_b32_e32 v99, 15, v65
	v_mov_b32_dpp v100, v36 row_shr:1 row_mask:0xf bank_mask:0xf
	s_delay_alu instid0(VALU_DEP_2)
	v_cmp_eq_u32_e32 vcc_lo, 0, v99
	v_cmp_lt_u32_e64 s0, 1, v99
	v_cmp_lt_u32_e64 s1, 3, v99
	;; [unrolled: 1-line block ×3, first 2 shown]
	s_wait_alu 0xfffd
	v_cndmask_b32_e64 v100, v100, 0, vcc_lo
	s_delay_alu instid0(VALU_DEP_1) | instskip(NEXT) | instid1(VALU_DEP_1)
	v_add_nc_u32_e32 v36, v100, v36
	v_mov_b32_dpp v100, v36 row_shr:2 row_mask:0xf bank_mask:0xf
	s_wait_alu 0xf1ff
	s_delay_alu instid0(VALU_DEP_1) | instskip(NEXT) | instid1(VALU_DEP_1)
	v_cndmask_b32_e64 v100, 0, v100, s0
	v_add_nc_u32_e32 v36, v36, v100
	s_delay_alu instid0(VALU_DEP_1) | instskip(NEXT) | instid1(VALU_DEP_1)
	v_mov_b32_dpp v100, v36 row_shr:4 row_mask:0xf bank_mask:0xf
	v_cndmask_b32_e64 v100, 0, v100, s1
	s_delay_alu instid0(VALU_DEP_1) | instskip(NEXT) | instid1(VALU_DEP_1)
	v_add_nc_u32_e32 v36, v36, v100
	v_mov_b32_dpp v100, v36 row_shr:8 row_mask:0xf bank_mask:0xf
	s_delay_alu instid0(VALU_DEP_1) | instskip(SKIP_1) | instid1(VALU_DEP_2)
	v_cndmask_b32_e64 v99, 0, v100, s10
	v_bfe_i32 v100, v65, 4, 1
	v_add_nc_u32_e32 v36, v36, v99
	ds_swizzle_b32 v99, v36 offset:swizzle(BROADCAST,32,15)
	s_wait_dscnt 0x0
	v_and_b32_e32 v99, v100, v99
	v_or_b32_e32 v100, 31, v101
	s_delay_alu instid0(VALU_DEP_2) | instskip(NEXT) | instid1(VALU_DEP_2)
	v_add_nc_u32_e32 v36, v36, v99
	v_cmpx_eq_u32_e64 v41, v100
; %bb.61:
	v_lshlrev_b32_e32 v99, 2, v63
	ds_store_b32 v99, v36
; %bb.62:
	s_wait_alu 0xfffe
	s_or_b32 exec_lo, exec_lo, s22
	s_delay_alu instid0(SALU_CYCLE_1)
	s_mov_b32 s22, exec_lo
	s_wait_loadcnt_dscnt 0x0
	s_barrier_signal -1
	s_barrier_wait -1
	global_inv scope:SCOPE_SE
	v_cmpx_gt_u32_e32 16, v41
	s_cbranch_execz .LBB275_64
; %bb.63:
	v_lshlrev_b32_e32 v99, 2, v41
	ds_load_b32 v100, v99
	s_wait_dscnt 0x0
	v_mov_b32_dpp v101, v100 row_shr:1 row_mask:0xf bank_mask:0xf
	s_delay_alu instid0(VALU_DEP_1) | instskip(NEXT) | instid1(VALU_DEP_1)
	v_cndmask_b32_e64 v101, v101, 0, vcc_lo
	v_add_nc_u32_e32 v100, v101, v100
	s_delay_alu instid0(VALU_DEP_1) | instskip(NEXT) | instid1(VALU_DEP_1)
	v_mov_b32_dpp v101, v100 row_shr:2 row_mask:0xf bank_mask:0xf
	v_cndmask_b32_e64 v101, 0, v101, s0
	s_delay_alu instid0(VALU_DEP_1) | instskip(NEXT) | instid1(VALU_DEP_1)
	v_add_nc_u32_e32 v100, v100, v101
	v_mov_b32_dpp v101, v100 row_shr:4 row_mask:0xf bank_mask:0xf
	s_delay_alu instid0(VALU_DEP_1) | instskip(NEXT) | instid1(VALU_DEP_1)
	v_cndmask_b32_e64 v101, 0, v101, s1
	v_add_nc_u32_e32 v100, v100, v101
	s_delay_alu instid0(VALU_DEP_1) | instskip(NEXT) | instid1(VALU_DEP_1)
	v_mov_b32_dpp v101, v100 row_shr:8 row_mask:0xf bank_mask:0xf
	v_cndmask_b32_e64 v101, 0, v101, s10
	s_delay_alu instid0(VALU_DEP_1)
	v_add_nc_u32_e32 v100, v100, v101
	ds_store_b32 v99, v100
.LBB275_64:
	s_wait_alu 0xfffe
	s_or_b32 exec_lo, exec_lo, s22
	v_mov_b32_e32 v99, 0
	s_mov_b32 s0, exec_lo
	s_wait_loadcnt_dscnt 0x0
	s_barrier_signal -1
	s_barrier_wait -1
	global_inv scope:SCOPE_SE
	v_cmpx_lt_u32_e32 31, v41
; %bb.65:
	v_lshl_add_u32 v99, v63, 2, -4
	ds_load_b32 v99, v99
; %bb.66:
	s_wait_alu 0xfffe
	s_or_b32 exec_lo, exec_lo, s0
	v_sub_co_u32 v100, vcc_lo, v65, 1
	s_wait_dscnt 0x0
	v_add_nc_u32_e32 v36, v99, v36
	s_delay_alu instid0(VALU_DEP_2) | instskip(SKIP_1) | instid1(VALU_DEP_1)
	v_cmp_gt_i32_e64 s0, 0, v100
	s_wait_alu 0xf1ff
	v_cndmask_b32_e64 v100, v100, v65, s0
	s_delay_alu instid0(VALU_DEP_1)
	v_lshlrev_b32_e32 v100, 2, v100
	ds_bpermute_b32 v36, v100, v36
	s_wait_dscnt 0x0
	s_wait_alu 0xfffd
	v_cndmask_b32_e32 v36, v36, v99, vcc_lo
	v_cmp_ne_u32_e32 vcc_lo, 0, v41
	s_wait_alu 0xfffd
	s_delay_alu instid0(VALU_DEP_2) | instskip(NEXT) | instid1(VALU_DEP_1)
	v_cndmask_b32_e32 v36, 0, v36, vcc_lo
	v_add_nc_u32_e32 v37, v36, v37
	s_delay_alu instid0(VALU_DEP_1) | instskip(NEXT) | instid1(VALU_DEP_1)
	v_add_nc_u32_e32 v38, v37, v38
	v_add_nc_u32_e32 v39, v38, v39
	s_delay_alu instid0(VALU_DEP_1) | instskip(NEXT) | instid1(VALU_DEP_1)
	v_add_nc_u32_e32 v99, v39, v40
	;; [unrolled: 3-line block ×3, first 2 shown]
	v_add_nc_u32_e32 v102, v101, v35
	ds_store_b128 v64, v[36:39] offset:64
	ds_store_b128 v64, v[99:102] offset:80
	s_wait_loadcnt_dscnt 0x0
	s_barrier_signal -1
	s_barrier_wait -1
	global_inv scope:SCOPE_SE
	ds_load_b32 v33, v79 offset:64
	ds_load_b32 v34, v82 offset:64
	;; [unrolled: 1-line block ×8, first 2 shown]
	v_mad_u32_u24 v79, v41, 56, v61
	s_wait_loadcnt_dscnt 0x0
	s_barrier_signal -1
	s_barrier_wait -1
	global_inv scope:SCOPE_SE
	v_add_nc_u32_e32 v76, v33, v76
	v_add3_u32 v77, v78, v77, v34
	v_add3_u32 v35, v81, v80, v35
	;; [unrolled: 1-line block ×7, first 2 shown]
	ds_store_b8 v76, v0
	ds_store_b8 v77, v69
	;; [unrolled: 1-line block ×8, first 2 shown]
	v_lshlrev_b32_e32 v0, 3, v76
	v_lshlrev_b32_e32 v69, 3, v77
	;; [unrolled: 1-line block ×5, first 2 shown]
	s_wait_loadcnt_dscnt 0x0
	s_barrier_signal -1
	s_barrier_wait -1
	global_inv scope:SCOPE_SE
	ds_load_b64 v[33:34], v61
	s_wait_loadcnt_dscnt 0x0
	s_barrier_signal -1
	s_barrier_wait -1
	global_inv scope:SCOPE_SE
	v_lshlrev_b32_e32 v38, 3, v38
	v_lshlrev_b32_e32 v39, 3, v39
	;; [unrolled: 1-line block ×3, first 2 shown]
	ds_store_b64 v0, v[29:30]
	ds_store_b64 v69, v[31:32]
	;; [unrolled: 1-line block ×8, first 2 shown]
	s_wait_loadcnt_dscnt 0x0
	s_barrier_signal -1
	s_barrier_wait -1
	global_inv scope:SCOPE_SE
	ds_load_b128 v[29:32], v79
	ds_load_b128 v[25:28], v79 offset:16
	ds_load_b128 v[21:24], v79 offset:32
	;; [unrolled: 1-line block ×3, first 2 shown]
	s_branch .LBB275_98
.LBB275_67:
	s_wait_kmcnt 0x0
	v_mad_co_u64_u32 v[2:3], null, s14, v41, 0
	v_dual_mov_b32 v14, v1 :: v_dual_mov_b32 v15, v1
	v_mov_b32_e32 v16, v1
	v_dual_mov_b32 v6, v1 :: v_dual_mov_b32 v7, v1
	v_dual_mov_b32 v8, v1 :: v_dual_mov_b32 v9, v1
	v_mad_co_u64_u32 v[3:4], null, s15, v41, v[3:4]
	v_dual_mov_b32 v4, v1 :: v_dual_mov_b32 v5, v1
	v_dual_mov_b32 v10, v1 :: v_dual_mov_b32 v13, v1
	s_delay_alu instid0(VALU_DEP_3) | instskip(SKIP_1) | instid1(VALU_DEP_1)
	v_lshlrev_b64_e32 v[2:3], 3, v[2:3]
	s_wait_alu 0xfffe
	v_add_co_u32 v2, vcc_lo, s18, v2
	s_delay_alu instid0(VALU_DEP_1)
	v_add_co_ci_u32_e64 v3, null, s19, v3, vcc_lo
	global_load_b64 v[11:12], v[2:3], off
	v_dual_mov_b32 v2, v1 :: v_dual_mov_b32 v3, v1
	s_or_b32 exec_lo, exec_lo, s0
	s_and_saveexec_b32 s0, s3
	s_cbranch_execz .LBB275_36
.LBB275_68:
	s_wait_kmcnt 0x0
	v_mad_co_u64_u32 v[1:2], null, s14, v23, 0
	s_delay_alu instid0(VALU_DEP_1) | instskip(NEXT) | instid1(VALU_DEP_1)
	v_mad_co_u64_u32 v[32:33], null, s15, v23, v[2:3]
	v_mov_b32_e32 v2, v32
	s_delay_alu instid0(VALU_DEP_1) | instskip(SKIP_1) | instid1(VALU_DEP_1)
	v_lshlrev_b64_e32 v[1:2], 3, v[1:2]
	s_wait_alu 0xfffe
	v_add_co_u32 v1, vcc_lo, s18, v1
	s_wait_alu 0xfffd
	s_delay_alu instid0(VALU_DEP_2)
	v_add_co_ci_u32_e64 v2, null, s19, v2, vcc_lo
	global_load_b64 v[1:2], v[1:2], off
	s_or_b32 exec_lo, exec_lo, s0
	s_and_saveexec_b32 s0, s4
	s_cbranch_execz .LBB275_37
.LBB275_69:
	s_wait_kmcnt 0x0
	v_mad_co_u64_u32 v[13:14], null, s14, v22, 0
	s_delay_alu instid0(VALU_DEP_1) | instskip(NEXT) | instid1(VALU_DEP_1)
	v_mad_co_u64_u32 v[22:23], null, s15, v22, v[14:15]
	v_mov_b32_e32 v14, v22
	s_delay_alu instid0(VALU_DEP_1) | instskip(SKIP_1) | instid1(VALU_DEP_1)
	v_lshlrev_b64_e32 v[13:14], 3, v[13:14]
	s_wait_alu 0xfffe
	v_add_co_u32 v13, vcc_lo, s18, v13
	s_wait_alu 0xfffd
	s_delay_alu instid0(VALU_DEP_2)
	v_add_co_ci_u32_e64 v14, null, s19, v14, vcc_lo
	global_load_b64 v[13:14], v[13:14], off
	s_or_b32 exec_lo, exec_lo, s0
	s_and_saveexec_b32 s0, s5
	s_cbranch_execz .LBB275_38
.LBB275_70:
	s_wait_kmcnt 0x0
	v_mad_co_u64_u32 v[15:16], null, s14, v21, 0
	s_delay_alu instid0(VALU_DEP_1) | instskip(NEXT) | instid1(VALU_DEP_1)
	v_mad_co_u64_u32 v[21:22], null, s15, v21, v[16:17]
	v_mov_b32_e32 v16, v21
	s_delay_alu instid0(VALU_DEP_1) | instskip(SKIP_1) | instid1(VALU_DEP_1)
	v_lshlrev_b64_e32 v[15:16], 3, v[15:16]
	s_wait_alu 0xfffe
	v_add_co_u32 v15, vcc_lo, s18, v15
	s_wait_alu 0xfffd
	s_delay_alu instid0(VALU_DEP_2)
	v_add_co_ci_u32_e64 v16, null, s19, v16, vcc_lo
	global_load_b64 v[15:16], v[15:16], off
	s_or_b32 exec_lo, exec_lo, s0
	s_and_saveexec_b32 s0, s6
	s_cbranch_execz .LBB275_39
.LBB275_71:
	s_wait_kmcnt 0x0
	v_mad_co_u64_u32 v[3:4], null, s14, v20, 0
	s_delay_alu instid0(VALU_DEP_1) | instskip(NEXT) | instid1(VALU_DEP_1)
	v_mad_co_u64_u32 v[20:21], null, s15, v20, v[4:5]
	v_mov_b32_e32 v4, v20
	s_delay_alu instid0(VALU_DEP_1) | instskip(SKIP_1) | instid1(VALU_DEP_1)
	v_lshlrev_b64_e32 v[3:4], 3, v[3:4]
	s_wait_alu 0xfffe
	v_add_co_u32 v3, vcc_lo, s18, v3
	s_wait_alu 0xfffd
	s_delay_alu instid0(VALU_DEP_2)
	v_add_co_ci_u32_e64 v4, null, s19, v4, vcc_lo
	global_load_b64 v[3:4], v[3:4], off
	s_or_b32 exec_lo, exec_lo, s0
	s_and_saveexec_b32 s0, s7
	s_cbranch_execz .LBB275_40
.LBB275_72:
	s_wait_kmcnt 0x0
	v_mad_co_u64_u32 v[5:6], null, s14, v19, 0
	s_delay_alu instid0(VALU_DEP_1) | instskip(NEXT) | instid1(VALU_DEP_1)
	v_mad_co_u64_u32 v[19:20], null, s15, v19, v[6:7]
	v_mov_b32_e32 v6, v19
	s_delay_alu instid0(VALU_DEP_1) | instskip(SKIP_1) | instid1(VALU_DEP_1)
	v_lshlrev_b64_e32 v[5:6], 3, v[5:6]
	s_wait_alu 0xfffe
	v_add_co_u32 v5, vcc_lo, s18, v5
	s_wait_alu 0xfffd
	s_delay_alu instid0(VALU_DEP_2)
	v_add_co_ci_u32_e64 v6, null, s19, v6, vcc_lo
	global_load_b64 v[5:6], v[5:6], off
	s_or_b32 exec_lo, exec_lo, s0
	s_and_saveexec_b32 s0, s8
	s_cbranch_execz .LBB275_41
.LBB275_73:
	s_wait_kmcnt 0x0
	v_mad_co_u64_u32 v[7:8], null, s14, v17, 0
	s_delay_alu instid0(VALU_DEP_1) | instskip(NEXT) | instid1(VALU_DEP_1)
	v_mad_co_u64_u32 v[19:20], null, s15, v17, v[8:9]
	v_mov_b32_e32 v8, v19
	s_delay_alu instid0(VALU_DEP_1) | instskip(SKIP_1) | instid1(VALU_DEP_1)
	v_lshlrev_b64_e32 v[7:8], 3, v[7:8]
	s_wait_alu 0xfffe
	v_add_co_u32 v7, vcc_lo, s18, v7
	s_wait_alu 0xfffd
	s_delay_alu instid0(VALU_DEP_2)
	v_add_co_ci_u32_e64 v8, null, s19, v8, vcc_lo
	global_load_b64 v[7:8], v[7:8], off
	s_or_b32 exec_lo, exec_lo, s0
	s_and_saveexec_b32 s0, s9
	s_cbranch_execnz .LBB275_42
	s_branch .LBB275_43
.LBB275_74:
                                        ; implicit-def: $vgpr19_vgpr20
                                        ; implicit-def: $vgpr23_vgpr24
                                        ; implicit-def: $vgpr27_vgpr28
                                        ; implicit-def: $vgpr31_vgpr32
                                        ; implicit-def: $vgpr34
	s_cbranch_execz .LBB275_98
; %bb.75:
	v_lshrrev_b16 v0, 8, v42
	s_wait_dscnt 0x0
	v_lshrrev_b32_e32 v17, 24, v42
	v_lshrrev_b32_e32 v18, 16, v42
	;; [unrolled: 1-line block ×3, first 2 shown]
	v_lshrrev_b16 v21, 8, v43
	v_and_b32_e32 v0, 1, v0
	v_and_b32_e32 v17, 1, v17
	v_and_b32_e32 v22, 1, v42
	v_lshrrev_b32_e32 v20, 16, v43
	v_and_b32_e32 v19, 1, v19
	v_cmp_eq_u32_e32 vcc_lo, 1, v0
	v_cmp_ne_u32_e64 s0, 1, v17
	v_and_b32_e32 v0, 1, v18
	v_and_b32_e32 v18, 1, v21
	;; [unrolled: 1-line block ×4, first 2 shown]
	v_cndmask_b32_e64 v17, 0, 1, s0
	s_xor_b32 s0, vcc_lo, -1
	v_cmp_ne_u32_e32 vcc_lo, 1, v0
	s_wait_alu 0xfffe
	v_cndmask_b32_e64 v21, 0, 1, s0
	v_cmp_ne_u32_e64 s0, 1, v22
	v_lshlrev_b16 v17, 8, v17
	s_wait_alu 0xfffd
	v_cndmask_b32_e64 v0, 0, 1, vcc_lo
	v_cmp_eq_u32_e32 vcc_lo, 1, v18
	s_wait_alu 0xf1ff
	v_cndmask_b32_e64 v18, 0, 1, s0
	v_cmp_ne_u32_e64 s0, 1, v19
	v_lshlrev_b16 v21, 8, v21
	v_or_b32_e32 v0, v0, v17
	s_wait_alu 0xf1ff
	s_delay_alu instid0(VALU_DEP_3)
	v_cndmask_b32_e64 v19, 0, 1, s0
	s_xor_b32 s0, vcc_lo, -1
	v_cmp_ne_u32_e32 vcc_lo, 1, v20
	s_wait_alu 0xfffe
	v_cndmask_b32_e64 v22, 0, 1, s0
	v_or_b32_e32 v17, v18, v21
	v_lshlrev_b16 v19, 8, v19
	s_getpc_b64 s[0:1]
	s_wait_alu 0xfffe
	s_sext_i32_i16 s1, s1
	s_add_co_u32 s0, s0, _ZN7rocprim17ROCPRIM_400000_NS16block_radix_sortIbLj512ELj8ElLj1ELj1ELj0ELNS0_26block_radix_rank_algorithmE1ELNS0_18block_padding_hintE2ELNS0_4arch9wavefront6targetE0EE19radix_bits_per_passE@rel32@lo+12
	s_wait_alu 0xfffe
	s_add_co_ci_u32 s1, s1, _ZN7rocprim17ROCPRIM_400000_NS16block_radix_sortIbLj512ELj8ElLj1ELj1ELj0ELNS0_26block_radix_rank_algorithmE1ELNS0_18block_padding_hintE2ELNS0_4arch9wavefront6targetE0EE19radix_bits_per_passE@rel32@hi+24
	s_wait_alu 0xfffd
	v_cndmask_b32_e64 v20, 0, 1, vcc_lo
	v_cmp_ne_u32_e32 vcc_lo, 1, v23
	v_lshlrev_b16 v22, 8, v22
	s_load_b32 s0, s[0:1], 0x0
	v_lshlrev_b32_e32 v0, 16, v0
	v_or_b32_e32 v18, v20, v19
	v_cndmask_b32_e64 v23, 0, 1, vcc_lo
	v_or_b32_e32 v20, v65, v66
	v_and_b32_e32 v17, 0xffff, v17
	s_delay_alu instid0(VALU_DEP_4) | instskip(NEXT) | instid1(VALU_DEP_4)
	v_lshlrev_b32_e32 v18, 16, v18
	v_or_b32_e32 v19, v23, v22
	s_delay_alu instid0(VALU_DEP_4) | instskip(NEXT) | instid1(VALU_DEP_4)
	v_lshlrev_b32_e32 v21, 3, v20
	v_or_b32_e32 v17, v17, v0
	v_and_or_b32 v0, 0x1f00, v61, v65
	s_delay_alu instid0(VALU_DEP_4) | instskip(NEXT) | instid1(VALU_DEP_1)
	v_and_b32_e32 v19, 0xffff, v19
	v_or_b32_e32 v18, v19, v18
	s_wait_kmcnt 0x0
	s_min_u32 s0, s0, 8
	s_wait_alu 0xfffe
	s_lshl_b32 s0, -1, s0
	ds_store_b64 v21, v[17:18]
	; wave barrier
	ds_load_u8 v24, v0
	ds_load_u8 v25, v0 offset:32
	ds_load_u8 v26, v0 offset:64
	ds_load_u8 v27, v0 offset:96
	ds_load_u8 v28, v0 offset:128
	ds_load_u8 v29, v0 offset:160
	ds_load_u8 v30, v0 offset:192
	ds_load_u8 v31, v0 offset:224
	v_mad_u32_u24 v17, v20, 56, v21
	v_mad_u32_u24 v0, v0, 7, v0
	s_wait_loadcnt_dscnt 0x0
	s_barrier_signal -1
	s_barrier_wait -1
	global_inv scope:SCOPE_SE
	ds_store_b128 v17, v[13:16]
	ds_store_b128 v17, v[9:12] offset:16
	ds_store_b128 v17, v[5:8] offset:32
	;; [unrolled: 1-line block ×3, first 2 shown]
	; wave barrier
	ds_load_2addr_b64 v[12:15], v0 offset1:32
	ds_load_2addr_b64 v[8:11], v0 offset0:64 offset1:96
	ds_load_2addr_b64 v[4:7], v0 offset0:128 offset1:160
	;; [unrolled: 1-line block ×3, first 2 shown]
	s_wait_loadcnt_dscnt 0x0
	s_barrier_signal -1
	s_barrier_wait -1
	global_inv scope:SCOPE_SE
	s_load_b32 s10, s[20:21], 0xc
	s_not_b32 s1, s0
	s_mov_b32 s20, 0
	s_wait_alu 0xfffe
	v_and_b32_e32 v16, s1, v24
	s_mov_b32 s21, s20
	s_mov_b32 s22, s20
	;; [unrolled: 1-line block ×3, first 2 shown]
	s_delay_alu instid0(VALU_DEP_1) | instskip(NEXT) | instid1(VALU_DEP_1)
	v_and_b32_e32 v22, 1, v16
	v_add_co_u32 v18, s11, v22, -1
	s_wait_alu 0xf1ff
	v_cndmask_b32_e64 v16, 0, 1, s11
	s_wait_kmcnt 0x0
	s_lshr_b32 s0, s10, 16
	s_delay_alu instid0(VALU_DEP_1) | instskip(SKIP_4) | instid1(VALU_DEP_1)
	v_cmp_ne_u32_e32 vcc_lo, 0, v16
	s_wait_alu 0xfffe
	v_mad_u32_u24 v17, v68, s0, v67
	s_and_b32 s0, s10, 0xffff
	s_wait_alu 0xfffe
	v_mad_co_u64_u32 v[16:17], null, v17, s0, v[41:42]
	s_wait_alu 0xfffd
	v_xor_b32_e32 v17, vcc_lo, v18
	v_dual_mov_b32 v18, s20 :: v_dual_mov_b32 v19, s21
	v_dual_mov_b32 v20, s22 :: v_dual_mov_b32 v21, s23
	s_delay_alu instid0(VALU_DEP_3)
	v_and_b32_e32 v17, exec_lo, v17
	v_lshrrev_b32_e32 v16, 3, v16
	ds_store_b128 v64, v[18:21] offset:64
	ds_store_b128 v64, v[18:21] offset:80
	v_mbcnt_lo_u32_b32 v32, v17, 0
	v_and_b32_e32 v16, 0x1ffffffc, v16
	v_lshlrev_b32_e32 v18, 6, v22
	v_cmp_ne_u32_e64 s0, 0, v17
	s_wait_loadcnt_dscnt 0x0
	v_cmp_eq_u32_e32 vcc_lo, 0, v32
	s_barrier_signal -1
	v_add_nc_u32_e32 v35, v16, v18
	s_barrier_wait -1
	global_inv scope:SCOPE_SE
	s_and_b32 s10, s0, vcc_lo
	; wave barrier
	s_wait_alu 0xfffe
	s_and_saveexec_b32 s0, s10
; %bb.76:
	v_bcnt_u32_b32 v17, v17, 0
	ds_store_b32 v35, v17 offset:64
; %bb.77:
	s_wait_alu 0xfffe
	s_or_b32 exec_lo, exec_lo, s0
	v_and_b32_e32 v17, s1, v25
	; wave barrier
	s_delay_alu instid0(VALU_DEP_1) | instskip(NEXT) | instid1(VALU_DEP_1)
	v_and_b32_e32 v17, 0xff, v17
	v_add_co_u32 v18, s0, v17, -1
	s_wait_alu 0xf1ff
	v_cndmask_b32_e64 v19, 0, 1, s0
	v_lshlrev_b32_e32 v17, 6, v17
	s_delay_alu instid0(VALU_DEP_2) | instskip(NEXT) | instid1(VALU_DEP_2)
	v_cmp_ne_u32_e32 vcc_lo, 0, v19
	v_add_nc_u32_e32 v37, v16, v17
	s_wait_alu 0xfffd
	v_xor_b32_e32 v17, vcc_lo, v18
	ds_load_b32 v33, v37 offset:64
	; wave barrier
	v_and_b32_e32 v17, exec_lo, v17
	s_delay_alu instid0(VALU_DEP_1) | instskip(SKIP_1) | instid1(VALU_DEP_2)
	v_mbcnt_lo_u32_b32 v34, v17, 0
	v_cmp_ne_u32_e64 s0, 0, v17
	v_cmp_eq_u32_e32 vcc_lo, 0, v34
	s_and_b32 s10, s0, vcc_lo
	s_wait_alu 0xfffe
	s_and_saveexec_b32 s0, s10
	s_cbranch_execz .LBB275_79
; %bb.78:
	s_wait_dscnt 0x0
	v_bcnt_u32_b32 v17, v17, v33
	ds_store_b32 v37, v17 offset:64
.LBB275_79:
	s_wait_alu 0xfffe
	s_or_b32 exec_lo, exec_lo, s0
	v_and_b32_e32 v17, s1, v26
	; wave barrier
	s_delay_alu instid0(VALU_DEP_1) | instskip(NEXT) | instid1(VALU_DEP_1)
	v_and_b32_e32 v17, 0xff, v17
	v_add_co_u32 v18, s0, v17, -1
	s_wait_alu 0xf1ff
	v_cndmask_b32_e64 v19, 0, 1, s0
	v_lshlrev_b32_e32 v17, 6, v17
	s_delay_alu instid0(VALU_DEP_2) | instskip(NEXT) | instid1(VALU_DEP_2)
	v_cmp_ne_u32_e32 vcc_lo, 0, v19
	v_add_nc_u32_e32 v39, v16, v17
	s_wait_alu 0xfffd
	v_xor_b32_e32 v17, vcc_lo, v18
	ds_load_b32 v36, v39 offset:64
	; wave barrier
	v_and_b32_e32 v17, exec_lo, v17
	s_delay_alu instid0(VALU_DEP_1) | instskip(SKIP_1) | instid1(VALU_DEP_2)
	v_mbcnt_lo_u32_b32 v38, v17, 0
	v_cmp_ne_u32_e64 s0, 0, v17
	v_cmp_eq_u32_e32 vcc_lo, 0, v38
	s_and_b32 s10, s0, vcc_lo
	s_wait_alu 0xfffe
	s_and_saveexec_b32 s0, s10
	s_cbranch_execz .LBB275_81
; %bb.80:
	s_wait_dscnt 0x0
	v_bcnt_u32_b32 v17, v17, v36
	ds_store_b32 v39, v17 offset:64
.LBB275_81:
	;; [unrolled: 31-line block ×7, first 2 shown]
	s_wait_alu 0xfffe
	s_or_b32 exec_lo, exec_lo, s0
	; wave barrier
	s_wait_loadcnt_dscnt 0x0
	s_barrier_signal -1
	s_barrier_wait -1
	global_inv scope:SCOPE_SE
	ds_load_b128 v[20:23], v64 offset:64
	ds_load_b128 v[16:19], v64 offset:80
	v_min_u32_e32 v66, 0x1e0, v66
	s_mov_b32 s20, exec_lo
	s_delay_alu instid0(VALU_DEP_1) | instskip(SKIP_2) | instid1(VALU_DEP_1)
	v_or_b32_e32 v66, 31, v66
	s_wait_dscnt 0x1
	v_add_nc_u32_e32 v79, v21, v20
	v_add3_u32 v79, v79, v22, v23
	s_wait_dscnt 0x0
	s_delay_alu instid0(VALU_DEP_1) | instskip(NEXT) | instid1(VALU_DEP_1)
	v_add3_u32 v79, v79, v16, v17
	v_add3_u32 v19, v79, v18, v19
	v_and_b32_e32 v79, 15, v65
	s_delay_alu instid0(VALU_DEP_2) | instskip(NEXT) | instid1(VALU_DEP_2)
	v_mov_b32_dpp v80, v19 row_shr:1 row_mask:0xf bank_mask:0xf
	v_cmp_eq_u32_e32 vcc_lo, 0, v79
	v_cmp_lt_u32_e64 s0, 1, v79
	v_cmp_lt_u32_e64 s1, 3, v79
	;; [unrolled: 1-line block ×3, first 2 shown]
	s_wait_alu 0xfffd
	v_cndmask_b32_e64 v80, v80, 0, vcc_lo
	s_delay_alu instid0(VALU_DEP_1) | instskip(NEXT) | instid1(VALU_DEP_1)
	v_add_nc_u32_e32 v19, v80, v19
	v_mov_b32_dpp v80, v19 row_shr:2 row_mask:0xf bank_mask:0xf
	s_wait_alu 0xf1ff
	s_delay_alu instid0(VALU_DEP_1) | instskip(NEXT) | instid1(VALU_DEP_1)
	v_cndmask_b32_e64 v80, 0, v80, s0
	v_add_nc_u32_e32 v19, v19, v80
	s_delay_alu instid0(VALU_DEP_1) | instskip(NEXT) | instid1(VALU_DEP_1)
	v_mov_b32_dpp v80, v19 row_shr:4 row_mask:0xf bank_mask:0xf
	v_cndmask_b32_e64 v80, 0, v80, s1
	s_delay_alu instid0(VALU_DEP_1) | instskip(NEXT) | instid1(VALU_DEP_1)
	v_add_nc_u32_e32 v19, v19, v80
	v_mov_b32_dpp v80, v19 row_shr:8 row_mask:0xf bank_mask:0xf
	s_delay_alu instid0(VALU_DEP_1) | instskip(SKIP_1) | instid1(VALU_DEP_2)
	v_cndmask_b32_e64 v79, 0, v80, s10
	v_bfe_i32 v80, v65, 4, 1
	v_add_nc_u32_e32 v19, v19, v79
	ds_swizzle_b32 v79, v19 offset:swizzle(BROADCAST,32,15)
	s_wait_dscnt 0x0
	v_and_b32_e32 v79, v80, v79
	s_delay_alu instid0(VALU_DEP_1)
	v_add_nc_u32_e32 v19, v19, v79
	v_cmpx_eq_u32_e64 v41, v66
; %bb.92:
	v_lshlrev_b32_e32 v66, 2, v63
	ds_store_b32 v66, v19
; %bb.93:
	s_wait_alu 0xfffe
	s_or_b32 exec_lo, exec_lo, s20
	s_delay_alu instid0(SALU_CYCLE_1)
	s_mov_b32 s20, exec_lo
	s_wait_loadcnt_dscnt 0x0
	s_barrier_signal -1
	s_barrier_wait -1
	global_inv scope:SCOPE_SE
	v_cmpx_gt_u32_e32 16, v41
	s_cbranch_execz .LBB275_95
; %bb.94:
	v_lshlrev_b32_e32 v66, 2, v41
	ds_load_b32 v79, v66
	s_wait_dscnt 0x0
	v_mov_b32_dpp v80, v79 row_shr:1 row_mask:0xf bank_mask:0xf
	s_delay_alu instid0(VALU_DEP_1) | instskip(NEXT) | instid1(VALU_DEP_1)
	v_cndmask_b32_e64 v80, v80, 0, vcc_lo
	v_add_nc_u32_e32 v79, v80, v79
	s_delay_alu instid0(VALU_DEP_1) | instskip(NEXT) | instid1(VALU_DEP_1)
	v_mov_b32_dpp v80, v79 row_shr:2 row_mask:0xf bank_mask:0xf
	v_cndmask_b32_e64 v80, 0, v80, s0
	s_delay_alu instid0(VALU_DEP_1) | instskip(NEXT) | instid1(VALU_DEP_1)
	v_add_nc_u32_e32 v79, v79, v80
	v_mov_b32_dpp v80, v79 row_shr:4 row_mask:0xf bank_mask:0xf
	s_delay_alu instid0(VALU_DEP_1) | instskip(NEXT) | instid1(VALU_DEP_1)
	v_cndmask_b32_e64 v80, 0, v80, s1
	v_add_nc_u32_e32 v79, v79, v80
	s_delay_alu instid0(VALU_DEP_1) | instskip(NEXT) | instid1(VALU_DEP_1)
	v_mov_b32_dpp v80, v79 row_shr:8 row_mask:0xf bank_mask:0xf
	v_cndmask_b32_e64 v80, 0, v80, s10
	s_delay_alu instid0(VALU_DEP_1)
	v_add_nc_u32_e32 v79, v79, v80
	ds_store_b32 v66, v79
.LBB275_95:
	s_wait_alu 0xfffe
	s_or_b32 exec_lo, exec_lo, s20
	v_mov_b32_e32 v66, 0
	s_mov_b32 s0, exec_lo
	s_wait_loadcnt_dscnt 0x0
	s_barrier_signal -1
	s_barrier_wait -1
	global_inv scope:SCOPE_SE
	v_cmpx_lt_u32_e32 31, v41
; %bb.96:
	v_lshl_add_u32 v63, v63, 2, -4
	ds_load_b32 v66, v63
; %bb.97:
	s_wait_alu 0xfffe
	s_or_b32 exec_lo, exec_lo, s0
	v_sub_co_u32 v63, vcc_lo, v65, 1
	s_wait_dscnt 0x0
	v_add_nc_u32_e32 v19, v66, v19
	s_delay_alu instid0(VALU_DEP_2) | instskip(SKIP_1) | instid1(VALU_DEP_1)
	v_cmp_gt_i32_e64 s0, 0, v63
	s_wait_alu 0xf1ff
	v_cndmask_b32_e64 v63, v63, v65, s0
	s_delay_alu instid0(VALU_DEP_1)
	v_lshlrev_b32_e32 v63, 2, v63
	ds_bpermute_b32 v19, v63, v19
	s_wait_dscnt 0x0
	s_wait_alu 0xfffd
	v_cndmask_b32_e32 v19, v19, v66, vcc_lo
	v_cmp_ne_u32_e32 vcc_lo, 0, v41
	s_wait_alu 0xfffd
	s_delay_alu instid0(VALU_DEP_2) | instskip(NEXT) | instid1(VALU_DEP_1)
	v_cndmask_b32_e32 v19, 0, v19, vcc_lo
	v_add_nc_u32_e32 v20, v19, v20
	s_delay_alu instid0(VALU_DEP_1) | instskip(NEXT) | instid1(VALU_DEP_1)
	v_add_nc_u32_e32 v21, v20, v21
	v_add_nc_u32_e32 v22, v21, v22
	s_delay_alu instid0(VALU_DEP_1) | instskip(NEXT) | instid1(VALU_DEP_1)
	v_add_nc_u32_e32 v79, v22, v23
	;; [unrolled: 3-line block ×3, first 2 shown]
	v_add_nc_u32_e32 v82, v81, v18
	ds_store_b128 v64, v[19:22] offset:64
	ds_store_b128 v64, v[79:82] offset:80
	s_wait_loadcnt_dscnt 0x0
	s_barrier_signal -1
	s_barrier_wait -1
	global_inv scope:SCOPE_SE
	ds_load_b32 v16, v35 offset:64
	ds_load_b32 v17, v37 offset:64
	;; [unrolled: 1-line block ×8, first 2 shown]
	s_wait_loadcnt_dscnt 0x0
	s_barrier_signal -1
	s_barrier_wait -1
	global_inv scope:SCOPE_SE
	v_mad_u32_u24 v35, v41, 56, v61
	v_add_nc_u32_e32 v16, v16, v32
	v_add3_u32 v17, v34, v33, v17
	v_add3_u32 v18, v38, v36, v18
	;; [unrolled: 1-line block ×7, first 2 shown]
	ds_store_b8 v16, v24
	ds_store_b8 v17, v25
	;; [unrolled: 1-line block ×8, first 2 shown]
	s_wait_loadcnt_dscnt 0x0
	s_barrier_signal -1
	s_barrier_wait -1
	global_inv scope:SCOPE_SE
	ds_load_b64 v[33:34], v61
	v_lshlrev_b32_e32 v16, 3, v16
	v_lshlrev_b32_e32 v17, 3, v17
	;; [unrolled: 1-line block ×8, first 2 shown]
	s_wait_loadcnt_dscnt 0x0
	s_barrier_signal -1
	s_barrier_wait -1
	global_inv scope:SCOPE_SE
	ds_store_b64 v16, v[12:13]
	ds_store_b64 v17, v[14:15]
	;; [unrolled: 1-line block ×8, first 2 shown]
	s_wait_loadcnt_dscnt 0x0
	s_barrier_signal -1
	s_barrier_wait -1
	global_inv scope:SCOPE_SE
	ds_load_b128 v[29:32], v35
	ds_load_b128 v[25:28], v35 offset:16
	ds_load_b128 v[21:24], v35 offset:32
	;; [unrolled: 1-line block ×3, first 2 shown]
	v_lshrrev_b32_e32 v0, 16, v33
	v_lshrrev_b32_e32 v3, 16, v34
	v_and_b32_e32 v1, 0xffffff00, v33
	v_xor_b32_e32 v2, 1, v33
	v_and_b32_e32 v4, 0xffffff00, v34
	v_xor_b32_e32 v5, 1, v34
	;; [unrolled: 2-line block ×4, first 2 shown]
	v_xor_b32_e32 v1, 0x100, v1
	v_and_b32_e32 v2, 0xff, v2
	v_xor_b32_e32 v4, 0x100, v4
	v_and_b32_e32 v5, 0xff, v5
	;; [unrolled: 2-line block ×4, first 2 shown]
	v_or_b32_e32 v1, v2, v1
	v_or_b32_e32 v2, v5, v4
	;; [unrolled: 1-line block ×3, first 2 shown]
	s_delay_alu instid0(VALU_DEP_4) | instskip(NEXT) | instid1(VALU_DEP_4)
	v_or_b32_e32 v3, v3, v7
	v_and_b32_e32 v1, 0xffff, v1
	s_delay_alu instid0(VALU_DEP_4) | instskip(NEXT) | instid1(VALU_DEP_4)
	v_and_b32_e32 v2, 0xffff, v2
	v_lshlrev_b32_e32 v0, 16, v0
	s_delay_alu instid0(VALU_DEP_4) | instskip(NEXT) | instid1(VALU_DEP_2)
	v_lshlrev_b32_e32 v3, 16, v3
	v_or_b32_e32 v33, v1, v0
	s_delay_alu instid0(VALU_DEP_2)
	v_or_b32_e32 v34, v2, v3
.LBB275_98:
	s_wait_loadcnt_dscnt 0x0
	s_barrier_signal -1
	s_barrier_wait -1
	global_inv scope:SCOPE_SE
	ds_store_2addr_b32 v52, v33, v34 offset1:1
	s_wait_loadcnt_dscnt 0x0
	s_barrier_signal -1
	s_barrier_wait -1
	global_inv scope:SCOPE_SE
	ds_load_u8 v8, v45 offset:512
	ds_load_u8 v7, v46 offset:1024
	;; [unrolled: 1-line block ×7, first 2 shown]
	v_mad_co_u64_u32 v[0:1], null, s12, v41, s[16:17]
	s_wait_dscnt 0x0
	s_delay_alu instid0(VALU_DEP_1) | instskip(NEXT) | instid1(VALU_DEP_1)
	v_mad_co_u64_u32 v[9:10], null, s13, v41, v[1:2]
	v_mov_b32_e32 v1, v9
	s_and_saveexec_b32 s0, s2
	s_cbranch_execnz .LBB275_117
; %bb.99:
	s_wait_alu 0xfffe
	s_or_b32 exec_lo, exec_lo, s0
	s_and_saveexec_b32 s0, s3
	s_cbranch_execnz .LBB275_118
.LBB275_100:
	s_wait_alu 0xfffe
	s_or_b32 exec_lo, exec_lo, s0
	s_and_saveexec_b32 s0, s4
	s_cbranch_execnz .LBB275_119
.LBB275_101:
	s_wait_alu 0xfffe
	s_or_b32 exec_lo, exec_lo, s0
	s_and_saveexec_b32 s0, s5
	s_cbranch_execnz .LBB275_120
.LBB275_102:
	s_wait_alu 0xfffe
	s_or_b32 exec_lo, exec_lo, s0
	s_and_saveexec_b32 s0, s6
	s_cbranch_execnz .LBB275_121
.LBB275_103:
	s_wait_alu 0xfffe
	s_or_b32 exec_lo, exec_lo, s0
	s_and_saveexec_b32 s0, s7
	s_cbranch_execnz .LBB275_122
.LBB275_104:
	s_wait_alu 0xfffe
	s_or_b32 exec_lo, exec_lo, s0
	s_and_saveexec_b32 s0, s8
	s_cbranch_execnz .LBB275_123
.LBB275_105:
	s_wait_alu 0xfffe
	s_or_b32 exec_lo, exec_lo, s0
	s_and_saveexec_b32 s0, s9
	s_cbranch_execz .LBB275_107
.LBB275_106:
	v_mad_co_u64_u32 v[0:1], null, 0xe00, s12, v[0:1]
	s_delay_alu instid0(VALU_DEP_1) | instskip(NEXT) | instid1(VALU_DEP_1)
	v_mad_co_u64_u32 v[3:4], null, 0xe00, s13, v[1:2]
	v_mov_b32_e32 v1, v3
	global_store_b8 v[0:1], v2, off
.LBB275_107:
	s_wait_alu 0xfffe
	s_or_b32 exec_lo, exec_lo, s0
	s_wait_kmcnt 0x0
	v_mad_co_u64_u32 v[2:3], null, s14, v41, 0
	s_wait_loadcnt 0x0
	s_wait_storecnt 0x0
	s_barrier_signal -1
	s_barrier_wait -1
	global_inv scope:SCOPE_SE
	ds_store_2addr_b64 v62, v[29:30], v[31:32] offset1:1
	ds_store_2addr_b64 v62, v[25:26], v[27:28] offset0:2 offset1:3
	ds_store_2addr_b64 v62, v[21:22], v[23:24] offset0:4 offset1:5
	;; [unrolled: 1-line block ×3, first 2 shown]
	s_wait_loadcnt_dscnt 0x0
	v_mov_b32_e32 v0, v3
	s_barrier_signal -1
	s_barrier_wait -1
	global_inv scope:SCOPE_SE
	v_mad_co_u64_u32 v[3:4], null, s15, v41, v[0:1]
	ds_load_b64 v[14:15], v54 offset:4096
	ds_load_b64 v[12:13], v55 offset:8192
	;; [unrolled: 1-line block ×7, first 2 shown]
	v_lshlrev_b64_e32 v[2:3], 3, v[2:3]
	s_delay_alu instid0(VALU_DEP_1) | instskip(SKIP_1) | instid1(VALU_DEP_2)
	v_add_co_u32 v2, vcc_lo, s18, v2
	s_wait_alu 0xfffd
	v_add_co_ci_u32_e64 v3, null, s19, v3, vcc_lo
	s_and_saveexec_b32 s0, s2
	s_cbranch_execnz .LBB275_124
; %bb.108:
	s_wait_alu 0xfffe
	s_or_b32 exec_lo, exec_lo, s0
	s_and_saveexec_b32 s0, s3
	s_cbranch_execnz .LBB275_125
.LBB275_109:
	s_wait_alu 0xfffe
	s_or_b32 exec_lo, exec_lo, s0
	s_and_saveexec_b32 s0, s4
	s_cbranch_execnz .LBB275_126
.LBB275_110:
	s_wait_alu 0xfffe
	s_or_b32 exec_lo, exec_lo, s0
	s_and_saveexec_b32 s0, s5
	s_cbranch_execnz .LBB275_127
.LBB275_111:
	s_wait_alu 0xfffe
	s_or_b32 exec_lo, exec_lo, s0
	s_and_saveexec_b32 s0, s6
	s_cbranch_execnz .LBB275_128
.LBB275_112:
	s_wait_alu 0xfffe
	s_or_b32 exec_lo, exec_lo, s0
	s_and_saveexec_b32 s0, s7
	s_cbranch_execnz .LBB275_129
.LBB275_113:
	s_wait_alu 0xfffe
	s_or_b32 exec_lo, exec_lo, s0
	s_and_saveexec_b32 s0, s8
	s_cbranch_execnz .LBB275_130
.LBB275_114:
	s_wait_alu 0xfffe
	s_or_b32 exec_lo, exec_lo, s0
	s_and_saveexec_b32 s0, s9
	s_cbranch_execz .LBB275_116
.LBB275_115:
	v_mad_co_u64_u32 v[2:3], null, 0x7000, s14, v[2:3]
	s_wait_dscnt 0x1
	s_delay_alu instid0(VALU_DEP_1)
	v_mad_co_u64_u32 v[3:4], null, 0x7000, s15, v[3:4]
	s_wait_dscnt 0x0
	global_store_b64 v[2:3], v[0:1], off
.LBB275_116:
	s_nop 0
	s_sendmsg sendmsg(MSG_DEALLOC_VGPRS)
	s_endpgm
.LBB275_117:
	ds_load_u8 v9, v44
	s_wait_dscnt 0x0
	global_store_b8 v[0:1], v9, off
	s_wait_alu 0xfffe
	s_or_b32 exec_lo, exec_lo, s0
	s_and_saveexec_b32 s0, s3
	s_cbranch_execz .LBB275_100
.LBB275_118:
	s_lshl_b64 s[10:11], s[12:13], 9
	s_wait_alu 0xfffe
	v_add_co_u32 v9, vcc_lo, v0, s10
	s_wait_alu 0xfffd
	v_add_co_ci_u32_e64 v10, null, s11, v1, vcc_lo
	global_store_b8 v[9:10], v8, off
	s_or_b32 exec_lo, exec_lo, s0
	s_and_saveexec_b32 s0, s4
	s_cbranch_execz .LBB275_101
.LBB275_119:
	s_lshl_b64 s[10:11], s[12:13], 10
	s_wait_alu 0xfffe
	v_add_co_u32 v8, vcc_lo, v0, s10
	s_wait_alu 0xfffd
	v_add_co_ci_u32_e64 v9, null, s11, v1, vcc_lo
	global_store_b8 v[8:9], v7, off
	s_or_b32 exec_lo, exec_lo, s0
	s_and_saveexec_b32 s0, s5
	s_cbranch_execz .LBB275_102
.LBB275_120:
	v_mad_co_u64_u32 v[7:8], null, 0x600, s12, v[0:1]
	s_delay_alu instid0(VALU_DEP_1)
	v_mad_co_u64_u32 v[8:9], null, 0x600, s13, v[8:9]
	global_store_b8 v[7:8], v6, off
	s_wait_alu 0xfffe
	s_or_b32 exec_lo, exec_lo, s0
	s_and_saveexec_b32 s0, s6
	s_cbranch_execz .LBB275_103
.LBB275_121:
	s_lshl_b64 s[10:11], s[12:13], 11
	s_wait_alu 0xfffe
	v_add_co_u32 v6, vcc_lo, v0, s10
	s_wait_alu 0xfffd
	v_add_co_ci_u32_e64 v7, null, s11, v1, vcc_lo
	global_store_b8 v[6:7], v5, off
	s_or_b32 exec_lo, exec_lo, s0
	s_and_saveexec_b32 s0, s7
	s_cbranch_execz .LBB275_104
.LBB275_122:
	v_mad_co_u64_u32 v[5:6], null, 0xa00, s12, v[0:1]
	s_delay_alu instid0(VALU_DEP_1)
	v_mad_co_u64_u32 v[6:7], null, 0xa00, s13, v[6:7]
	global_store_b8 v[5:6], v4, off
	s_wait_alu 0xfffe
	s_or_b32 exec_lo, exec_lo, s0
	s_and_saveexec_b32 s0, s8
	s_cbranch_execz .LBB275_105
.LBB275_123:
	v_mad_co_u64_u32 v[4:5], null, 0xc00, s12, v[0:1]
	s_delay_alu instid0(VALU_DEP_1)
	v_mad_co_u64_u32 v[5:6], null, 0xc00, s13, v[5:6]
	global_store_b8 v[4:5], v3, off
	s_wait_alu 0xfffe
	s_or_b32 exec_lo, exec_lo, s0
	s_and_saveexec_b32 s0, s9
	s_cbranch_execnz .LBB275_106
	s_branch .LBB275_107
.LBB275_124:
	ds_load_b64 v[16:17], v53
	s_wait_dscnt 0x0
	global_store_b64 v[2:3], v[16:17], off
	s_wait_alu 0xfffe
	s_or_b32 exec_lo, exec_lo, s0
	s_and_saveexec_b32 s0, s3
	s_cbranch_execz .LBB275_109
.LBB275_125:
	s_lshl_b64 s[2:3], s[14:15], 12
	s_wait_alu 0xfffe
	v_add_co_u32 v16, vcc_lo, v2, s2
	s_wait_alu 0xfffd
	v_add_co_ci_u32_e64 v17, null, s3, v3, vcc_lo
	s_wait_dscnt 0x6
	global_store_b64 v[16:17], v[14:15], off
	s_or_b32 exec_lo, exec_lo, s0
	s_and_saveexec_b32 s0, s4
	s_cbranch_execz .LBB275_110
.LBB275_126:
	s_lshl_b64 s[2:3], s[14:15], 13
	s_wait_dscnt 0x6
	s_wait_alu 0xfffe
	v_add_co_u32 v14, vcc_lo, v2, s2
	s_wait_alu 0xfffd
	v_add_co_ci_u32_e64 v15, null, s3, v3, vcc_lo
	s_wait_dscnt 0x5
	global_store_b64 v[14:15], v[12:13], off
	s_or_b32 exec_lo, exec_lo, s0
	s_and_saveexec_b32 s0, s5
	s_cbranch_execz .LBB275_111
.LBB275_127:
	s_wait_dscnt 0x5
	v_mad_co_u64_u32 v[12:13], null, 0x3000, s14, v[2:3]
	s_delay_alu instid0(VALU_DEP_1)
	v_mad_co_u64_u32 v[13:14], null, 0x3000, s15, v[13:14]
	s_wait_dscnt 0x4
	global_store_b64 v[12:13], v[10:11], off
	s_wait_alu 0xfffe
	s_or_b32 exec_lo, exec_lo, s0
	s_and_saveexec_b32 s0, s6
	s_cbranch_execz .LBB275_112
.LBB275_128:
	s_lshl_b64 s[2:3], s[14:15], 14
	s_wait_dscnt 0x4
	s_wait_alu 0xfffe
	v_add_co_u32 v10, vcc_lo, v2, s2
	s_wait_alu 0xfffd
	v_add_co_ci_u32_e64 v11, null, s3, v3, vcc_lo
	s_wait_dscnt 0x3
	global_store_b64 v[10:11], v[8:9], off
	s_or_b32 exec_lo, exec_lo, s0
	s_and_saveexec_b32 s0, s7
	s_cbranch_execz .LBB275_113
.LBB275_129:
	s_wait_dscnt 0x3
	v_mad_co_u64_u32 v[8:9], null, 0x5000, s14, v[2:3]
	s_delay_alu instid0(VALU_DEP_1)
	v_mad_co_u64_u32 v[9:10], null, 0x5000, s15, v[9:10]
	s_wait_dscnt 0x2
	global_store_b64 v[8:9], v[6:7], off
	s_wait_alu 0xfffe
	s_or_b32 exec_lo, exec_lo, s0
	s_and_saveexec_b32 s0, s8
	s_cbranch_execz .LBB275_114
.LBB275_130:
	s_wait_dscnt 0x2
	v_mad_co_u64_u32 v[6:7], null, 0x6000, s14, v[2:3]
	s_delay_alu instid0(VALU_DEP_1)
	v_mad_co_u64_u32 v[7:8], null, 0x6000, s15, v[7:8]
	s_wait_dscnt 0x1
	global_store_b64 v[6:7], v[4:5], off
	s_wait_alu 0xfffe
	s_or_b32 exec_lo, exec_lo, s0
	s_and_saveexec_b32 s0, s9
	s_cbranch_execnz .LBB275_115
	s_branch .LBB275_116
	.section	.rodata,"a",@progbits
	.p2align	6, 0x0
	.amdhsa_kernel _ZN2at6native18radixSortKVInPlaceILin1ELin1ELi512ELi8EblmEEvNS_4cuda6detail10TensorInfoIT3_T5_EES6_S6_S6_NS4_IT4_S6_EES6_b
		.amdhsa_group_segment_fixed_size 33792
		.amdhsa_private_segment_fixed_size 0
		.amdhsa_kernarg_size 1128
		.amdhsa_user_sgpr_count 2
		.amdhsa_user_sgpr_dispatch_ptr 0
		.amdhsa_user_sgpr_queue_ptr 0
		.amdhsa_user_sgpr_kernarg_segment_ptr 1
		.amdhsa_user_sgpr_dispatch_id 0
		.amdhsa_user_sgpr_private_segment_size 0
		.amdhsa_wavefront_size32 1
		.amdhsa_uses_dynamic_stack 0
		.amdhsa_enable_private_segment 0
		.amdhsa_system_sgpr_workgroup_id_x 1
		.amdhsa_system_sgpr_workgroup_id_y 1
		.amdhsa_system_sgpr_workgroup_id_z 1
		.amdhsa_system_sgpr_workgroup_info 0
		.amdhsa_system_vgpr_workitem_id 2
		.amdhsa_next_free_vgpr 103
		.amdhsa_next_free_sgpr 36
		.amdhsa_reserve_vcc 1
		.amdhsa_float_round_mode_32 0
		.amdhsa_float_round_mode_16_64 0
		.amdhsa_float_denorm_mode_32 3
		.amdhsa_float_denorm_mode_16_64 3
		.amdhsa_fp16_overflow 0
		.amdhsa_workgroup_processor_mode 1
		.amdhsa_memory_ordered 1
		.amdhsa_forward_progress 1
		.amdhsa_inst_pref_size 89
		.amdhsa_round_robin_scheduling 0
		.amdhsa_exception_fp_ieee_invalid_op 0
		.amdhsa_exception_fp_denorm_src 0
		.amdhsa_exception_fp_ieee_div_zero 0
		.amdhsa_exception_fp_ieee_overflow 0
		.amdhsa_exception_fp_ieee_underflow 0
		.amdhsa_exception_fp_ieee_inexact 0
		.amdhsa_exception_int_div_zero 0
	.end_amdhsa_kernel
	.section	.text._ZN2at6native18radixSortKVInPlaceILin1ELin1ELi512ELi8EblmEEvNS_4cuda6detail10TensorInfoIT3_T5_EES6_S6_S6_NS4_IT4_S6_EES6_b,"axG",@progbits,_ZN2at6native18radixSortKVInPlaceILin1ELin1ELi512ELi8EblmEEvNS_4cuda6detail10TensorInfoIT3_T5_EES6_S6_S6_NS4_IT4_S6_EES6_b,comdat
.Lfunc_end275:
	.size	_ZN2at6native18radixSortKVInPlaceILin1ELin1ELi512ELi8EblmEEvNS_4cuda6detail10TensorInfoIT3_T5_EES6_S6_S6_NS4_IT4_S6_EES6_b, .Lfunc_end275-_ZN2at6native18radixSortKVInPlaceILin1ELin1ELi512ELi8EblmEEvNS_4cuda6detail10TensorInfoIT3_T5_EES6_S6_S6_NS4_IT4_S6_EES6_b
                                        ; -- End function
	.set _ZN2at6native18radixSortKVInPlaceILin1ELin1ELi512ELi8EblmEEvNS_4cuda6detail10TensorInfoIT3_T5_EES6_S6_S6_NS4_IT4_S6_EES6_b.num_vgpr, 103
	.set _ZN2at6native18radixSortKVInPlaceILin1ELin1ELi512ELi8EblmEEvNS_4cuda6detail10TensorInfoIT3_T5_EES6_S6_S6_NS4_IT4_S6_EES6_b.num_agpr, 0
	.set _ZN2at6native18radixSortKVInPlaceILin1ELin1ELi512ELi8EblmEEvNS_4cuda6detail10TensorInfoIT3_T5_EES6_S6_S6_NS4_IT4_S6_EES6_b.numbered_sgpr, 36
	.set _ZN2at6native18radixSortKVInPlaceILin1ELin1ELi512ELi8EblmEEvNS_4cuda6detail10TensorInfoIT3_T5_EES6_S6_S6_NS4_IT4_S6_EES6_b.num_named_barrier, 0
	.set _ZN2at6native18radixSortKVInPlaceILin1ELin1ELi512ELi8EblmEEvNS_4cuda6detail10TensorInfoIT3_T5_EES6_S6_S6_NS4_IT4_S6_EES6_b.private_seg_size, 0
	.set _ZN2at6native18radixSortKVInPlaceILin1ELin1ELi512ELi8EblmEEvNS_4cuda6detail10TensorInfoIT3_T5_EES6_S6_S6_NS4_IT4_S6_EES6_b.uses_vcc, 1
	.set _ZN2at6native18radixSortKVInPlaceILin1ELin1ELi512ELi8EblmEEvNS_4cuda6detail10TensorInfoIT3_T5_EES6_S6_S6_NS4_IT4_S6_EES6_b.uses_flat_scratch, 0
	.set _ZN2at6native18radixSortKVInPlaceILin1ELin1ELi512ELi8EblmEEvNS_4cuda6detail10TensorInfoIT3_T5_EES6_S6_S6_NS4_IT4_S6_EES6_b.has_dyn_sized_stack, 0
	.set _ZN2at6native18radixSortKVInPlaceILin1ELin1ELi512ELi8EblmEEvNS_4cuda6detail10TensorInfoIT3_T5_EES6_S6_S6_NS4_IT4_S6_EES6_b.has_recursion, 0
	.set _ZN2at6native18radixSortKVInPlaceILin1ELin1ELi512ELi8EblmEEvNS_4cuda6detail10TensorInfoIT3_T5_EES6_S6_S6_NS4_IT4_S6_EES6_b.has_indirect_call, 0
	.section	.AMDGPU.csdata,"",@progbits
; Kernel info:
; codeLenInByte = 11336
; TotalNumSgprs: 38
; NumVgprs: 103
; ScratchSize: 0
; MemoryBound: 0
; FloatMode: 240
; IeeeMode: 1
; LDSByteSize: 33792 bytes/workgroup (compile time only)
; SGPRBlocks: 0
; VGPRBlocks: 12
; NumSGPRsForWavesPerEU: 38
; NumVGPRsForWavesPerEU: 103
; Occupancy: 12
; WaveLimiterHint : 1
; COMPUTE_PGM_RSRC2:SCRATCH_EN: 0
; COMPUTE_PGM_RSRC2:USER_SGPR: 2
; COMPUTE_PGM_RSRC2:TRAP_HANDLER: 0
; COMPUTE_PGM_RSRC2:TGID_X_EN: 1
; COMPUTE_PGM_RSRC2:TGID_Y_EN: 1
; COMPUTE_PGM_RSRC2:TGID_Z_EN: 1
; COMPUTE_PGM_RSRC2:TIDIG_COMP_CNT: 2
	.section	.text._ZN2at6native18radixSortKVInPlaceILin1ELin1ELi256ELi8EblmEEvNS_4cuda6detail10TensorInfoIT3_T5_EES6_S6_S6_NS4_IT4_S6_EES6_b,"axG",@progbits,_ZN2at6native18radixSortKVInPlaceILin1ELin1ELi256ELi8EblmEEvNS_4cuda6detail10TensorInfoIT3_T5_EES6_S6_S6_NS4_IT4_S6_EES6_b,comdat
	.protected	_ZN2at6native18radixSortKVInPlaceILin1ELin1ELi256ELi8EblmEEvNS_4cuda6detail10TensorInfoIT3_T5_EES6_S6_S6_NS4_IT4_S6_EES6_b ; -- Begin function _ZN2at6native18radixSortKVInPlaceILin1ELin1ELi256ELi8EblmEEvNS_4cuda6detail10TensorInfoIT3_T5_EES6_S6_S6_NS4_IT4_S6_EES6_b
	.globl	_ZN2at6native18radixSortKVInPlaceILin1ELin1ELi256ELi8EblmEEvNS_4cuda6detail10TensorInfoIT3_T5_EES6_S6_S6_NS4_IT4_S6_EES6_b
	.p2align	8
	.type	_ZN2at6native18radixSortKVInPlaceILin1ELin1ELi256ELi8EblmEEvNS_4cuda6detail10TensorInfoIT3_T5_EES6_S6_S6_NS4_IT4_S6_EES6_b,@function
_ZN2at6native18radixSortKVInPlaceILin1ELin1ELi256ELi8EblmEEvNS_4cuda6detail10TensorInfoIT3_T5_EES6_S6_S6_NS4_IT4_S6_EES6_b: ; @_ZN2at6native18radixSortKVInPlaceILin1ELin1ELi256ELi8EblmEEvNS_4cuda6detail10TensorInfoIT3_T5_EES6_S6_S6_NS4_IT4_S6_EES6_b
; %bb.0:
	s_clause 0x1
	s_load_b64 s[2:3], s[0:1], 0x368
	s_load_b128 s[8:11], s[0:1], 0x1a0
	s_lshr_b32 s4, ttmp7, 16
	s_and_b32 s5, ttmp7, 0xffff
	s_wait_kmcnt 0x0
	s_mul_i32 s3, s3, s4
	s_delay_alu instid0(SALU_CYCLE_1) | instskip(NEXT) | instid1(SALU_CYCLE_1)
	s_add_co_i32 s3, s3, s5
	s_mul_i32 s2, s3, s2
	s_mov_b32 s3, 0
	s_add_co_i32 s2, s2, ttmp9
	s_delay_alu instid0(SALU_CYCLE_1)
	v_cmp_le_u64_e64 s4, s[8:9], s[2:3]
	s_and_b32 vcc_lo, exec_lo, s4
	s_cbranch_vccnz .LBB276_116
; %bb.1:
	s_clause 0x1
	s_load_b32 s9, s[0:1], 0x198
	s_load_b64 s[12:13], s[0:1], 0x1b0
	s_mov_b64 s[4:5], 0
	s_mov_b64 s[6:7], s[2:3]
	s_wait_kmcnt 0x0
	s_cmp_lt_i32 s9, 2
	s_cbranch_scc1 .LBB276_9
; %bb.2:
	s_mov_b32 s8, 0
	s_add_co_i32 s4, s9, -1
	s_wait_alu 0xfffe
	s_mov_b32 s5, s8
	s_add_co_i32 s11, s9, 1
	s_lshl_b64 s[4:5], s[4:5], 3
	s_mov_b64 s[16:17], s[2:3]
	s_add_nc_u64 s[6:7], s[0:1], s[4:5]
	s_mov_b64 s[4:5], 0
	s_add_nc_u64 s[14:15], s[6:7], 8
.LBB276_3:                              ; =>This Inner Loop Header: Depth=1
	s_load_b64 s[18:19], s[14:15], 0x0
	s_wait_kmcnt 0x0
	s_or_b64 s[6:7], s[16:17], s[18:19]
	s_wait_alu 0xfffe
	s_mov_b32 s9, s7
                                        ; implicit-def: $sgpr6_sgpr7
	s_wait_alu 0xfffe
	s_cmp_lg_u64 s[8:9], 0
	s_mov_b32 s9, -1
	s_cbranch_scc0 .LBB276_5
; %bb.4:                                ;   in Loop: Header=BB276_3 Depth=1
	s_cvt_f32_u32 s6, s18
	s_cvt_f32_u32 s7, s19
	s_sub_nc_u64 s[20:21], 0, s[18:19]
	s_mov_b32 s23, s8
	s_mov_b32 s27, s8
	s_wait_alu 0xfffe
	s_fmamk_f32 s6, s7, 0x4f800000, s6
	s_wait_alu 0xfffe
	s_delay_alu instid0(SALU_CYCLE_2) | instskip(NEXT) | instid1(TRANS32_DEP_1)
	v_s_rcp_f32 s6, s6
	s_mul_f32 s6, s6, 0x5f7ffffc
	s_wait_alu 0xfffe
	s_delay_alu instid0(SALU_CYCLE_2) | instskip(SKIP_1) | instid1(SALU_CYCLE_2)
	s_mul_f32 s7, s6, 0x2f800000
	s_wait_alu 0xfffe
	s_trunc_f32 s7, s7
	s_wait_alu 0xfffe
	s_delay_alu instid0(SALU_CYCLE_2) | instskip(SKIP_2) | instid1(SALU_CYCLE_1)
	s_fmamk_f32 s6, s7, 0xcf800000, s6
	s_cvt_u32_f32 s7, s7
	s_wait_alu 0xfffe
	s_cvt_u32_f32 s6, s6
	s_wait_alu 0xfffe
	s_delay_alu instid0(SALU_CYCLE_2) | instskip(NEXT) | instid1(SALU_CYCLE_1)
	s_mul_u64 s[24:25], s[20:21], s[6:7]
	s_mul_hi_u32 s29, s6, s25
	s_mul_i32 s28, s6, s25
	s_mul_hi_u32 s22, s6, s24
	s_mul_i32 s26, s7, s24
	s_add_nc_u64 s[22:23], s[22:23], s[28:29]
	s_mul_hi_u32 s9, s7, s24
	s_mul_hi_u32 s30, s7, s25
	s_add_co_u32 s22, s22, s26
	s_wait_alu 0xfffe
	s_add_co_ci_u32 s26, s23, s9
	s_mul_i32 s24, s7, s25
	s_add_co_ci_u32 s25, s30, 0
	s_delay_alu instid0(SALU_CYCLE_1)
	s_add_nc_u64 s[22:23], s[26:27], s[24:25]
	s_mov_b32 s25, s8
	s_add_co_u32 s6, s6, s22
	s_cselect_b32 s9, -1, 0
	s_wait_alu 0xfffe
	s_cmp_lg_u32 s9, 0
	s_add_co_ci_u32 s7, s7, s23
	s_mov_b32 s23, s8
	s_wait_alu 0xfffe
	s_mul_u64 s[20:21], s[20:21], s[6:7]
	s_delay_alu instid0(SALU_CYCLE_1)
	s_mul_hi_u32 s27, s6, s21
	s_mul_i32 s26, s6, s21
	s_mul_hi_u32 s22, s6, s20
	s_mul_i32 s24, s7, s20
	s_add_nc_u64 s[22:23], s[22:23], s[26:27]
	s_mul_hi_u32 s9, s7, s20
	s_mul_hi_u32 s28, s7, s21
	s_mul_i32 s20, s7, s21
	s_add_co_u32 s21, s22, s24
	s_wait_alu 0xfffe
	s_add_co_ci_u32 s24, s23, s9
	s_add_co_ci_u32 s21, s28, 0
	s_mov_b32 s23, s8
	s_add_nc_u64 s[20:21], s[24:25], s[20:21]
	s_delay_alu instid0(SALU_CYCLE_1)
	s_add_co_u32 s6, s6, s20
	s_cselect_b32 s9, -1, 0
	s_wait_alu 0xfffe
	s_mul_hi_u32 s22, s16, s6
	s_cmp_lg_u32 s9, 0
	s_mul_hi_u32 s9, s17, s6
	s_add_co_ci_u32 s20, s7, s21
	s_mul_i32 s21, s17, s6
	s_mul_hi_u32 s7, s16, s20
	s_mul_i32 s6, s16, s20
	s_mul_hi_u32 s26, s17, s20
	s_wait_alu 0xfffe
	s_add_nc_u64 s[6:7], s[22:23], s[6:7]
	s_mul_i32 s20, s17, s20
	s_wait_alu 0xfffe
	s_add_co_u32 s6, s6, s21
	s_add_co_ci_u32 s24, s7, s9
	s_add_co_ci_u32 s21, s26, 0
	s_delay_alu instid0(SALU_CYCLE_1) | instskip(SKIP_2) | instid1(SALU_CYCLE_1)
	s_add_nc_u64 s[6:7], s[24:25], s[20:21]
	s_wait_alu 0xfffe
	s_mul_u64 s[20:21], s[18:19], s[6:7]
	s_sub_co_u32 s9, s16, s20
	s_cselect_b32 s20, -1, 0
	s_sub_co_i32 s22, s17, s21
	s_cmp_lg_u32 s20, 0
	s_sub_co_ci_u32 s22, s22, s19
	s_wait_alu 0xfffe
	s_sub_co_u32 s23, s9, s18
	s_cselect_b32 s24, -1, 0
	s_delay_alu instid0(SALU_CYCLE_1) | instskip(SKIP_1) | instid1(SALU_CYCLE_1)
	s_cmp_lg_u32 s24, 0
	s_sub_co_ci_u32 s22, s22, 0
	s_cmp_ge_u32 s22, s19
	s_cselect_b32 s24, -1, 0
	s_cmp_ge_u32 s23, s18
	s_cselect_b32 s25, -1, 0
	s_cmp_eq_u32 s22, s19
	s_add_nc_u64 s[22:23], s[6:7], 1
	s_cselect_b32 s26, s25, s24
	s_add_nc_u64 s[24:25], s[6:7], 2
	s_cmp_lg_u32 s26, 0
	s_cselect_b32 s22, s24, s22
	s_cselect_b32 s23, s25, s23
	s_cmp_lg_u32 s20, 0
	s_sub_co_ci_u32 s20, s17, s21
	s_delay_alu instid0(SALU_CYCLE_1)
	s_cmp_ge_u32 s20, s19
	s_cselect_b32 s21, -1, 0
	s_cmp_ge_u32 s9, s18
	s_cselect_b32 s9, -1, 0
	s_cmp_eq_u32 s20, s19
	s_wait_alu 0xfffe
	s_cselect_b32 s9, s9, s21
	s_wait_alu 0xfffe
	s_cmp_lg_u32 s9, 0
	s_mov_b32 s9, 0
	s_cselect_b32 s7, s23, s7
	s_cselect_b32 s6, s22, s6
.LBB276_5:                              ;   in Loop: Header=BB276_3 Depth=1
	s_wait_alu 0xfffe
	s_and_not1_b32 vcc_lo, exec_lo, s9
	s_cbranch_vccnz .LBB276_7
; %bb.6:                                ;   in Loop: Header=BB276_3 Depth=1
	v_cvt_f32_u32_e32 v1, s18
	s_sub_co_i32 s7, 0, s18
	s_delay_alu instid0(VALU_DEP_1) | instskip(NEXT) | instid1(TRANS32_DEP_1)
	v_rcp_iflag_f32_e32 v1, v1
	v_mul_f32_e32 v1, 0x4f7ffffe, v1
	s_delay_alu instid0(VALU_DEP_1) | instskip(NEXT) | instid1(VALU_DEP_1)
	v_cvt_u32_f32_e32 v1, v1
	v_readfirstlane_b32 s6, v1
	s_wait_alu 0xfffe
	s_mul_i32 s7, s7, s6
	s_wait_alu 0xfffe
	s_mul_hi_u32 s7, s6, s7
	s_wait_alu 0xfffe
	s_add_co_i32 s6, s6, s7
	s_wait_alu 0xfffe
	s_mul_hi_u32 s6, s16, s6
	s_wait_alu 0xfffe
	s_mul_i32 s7, s6, s18
	s_add_co_i32 s9, s6, 1
	s_wait_alu 0xfffe
	s_sub_co_i32 s7, s16, s7
	s_wait_alu 0xfffe
	s_sub_co_i32 s20, s7, s18
	s_cmp_ge_u32 s7, s18
	s_cselect_b32 s6, s9, s6
	s_cselect_b32 s7, s20, s7
	s_wait_alu 0xfffe
	s_add_co_i32 s9, s6, 1
	s_cmp_ge_u32 s7, s18
	s_mov_b32 s7, s8
	s_wait_alu 0xfffe
	s_cselect_b32 s6, s9, s6
.LBB276_7:                              ;   in Loop: Header=BB276_3 Depth=1
	s_load_b64 s[20:21], s[14:15], 0xc8
	s_mul_u64 s[18:19], s[6:7], s[18:19]
	s_add_co_i32 s11, s11, -1
	s_wait_alu 0xfffe
	s_sub_nc_u64 s[16:17], s[16:17], s[18:19]
	s_cmp_gt_u32 s11, 2
	s_add_nc_u64 s[14:15], s[14:15], -8
	s_wait_kmcnt 0x0
	s_mul_u64 s[16:17], s[20:21], s[16:17]
	s_delay_alu instid0(SALU_CYCLE_1)
	s_add_nc_u64 s[4:5], s[16:17], s[4:5]
	s_cbranch_scc0 .LBB276_9
; %bb.8:                                ;   in Loop: Header=BB276_3 Depth=1
	s_mov_b64 s[16:17], s[6:7]
	s_branch .LBB276_3
.LBB276_9:
	s_load_b32 s9, s[0:1], 0x350
	s_add_nc_u64 s[18:19], s[0:1], 0x368
	s_mov_b64 s[16:17], 0
	s_wait_kmcnt 0x0
	s_cmp_lt_i32 s9, 2
	s_cbranch_scc1 .LBB276_17
; %bb.10:
	s_mov_b32 s8, 0
	s_add_co_i32 s14, s9, -1
	s_wait_alu 0xfffe
	s_mov_b32 s15, s8
	s_add_co_i32 s11, s9, 1
	s_lshl_b64 s[14:15], s[14:15], 3
	s_delay_alu instid0(SALU_CYCLE_1) | instskip(NEXT) | instid1(SALU_CYCLE_1)
	s_add_nc_u64 s[14:15], s[0:1], s[14:15]
	s_add_nc_u64 s[14:15], s[14:15], 0x1c0
.LBB276_11:                             ; =>This Inner Loop Header: Depth=1
	s_load_b64 s[22:23], s[14:15], 0x0
	s_wait_kmcnt 0x0
	s_or_b64 s[20:21], s[2:3], s[22:23]
	s_delay_alu instid0(SALU_CYCLE_1)
	s_mov_b32 s9, s21
                                        ; implicit-def: $sgpr20_sgpr21
	s_wait_alu 0xfffe
	s_cmp_lg_u64 s[8:9], 0
	s_mov_b32 s9, -1
	s_cbranch_scc0 .LBB276_13
; %bb.12:                               ;   in Loop: Header=BB276_11 Depth=1
	s_cvt_f32_u32 s9, s22
	s_cvt_f32_u32 s20, s23
	s_sub_nc_u64 s[24:25], 0, s[22:23]
	s_mov_b32 s27, s8
	s_mov_b32 s31, s8
	s_wait_alu 0xfffe
	s_fmamk_f32 s9, s20, 0x4f800000, s9
	s_wait_alu 0xfffe
	s_delay_alu instid0(SALU_CYCLE_2) | instskip(NEXT) | instid1(TRANS32_DEP_1)
	v_s_rcp_f32 s9, s9
	s_mul_f32 s9, s9, 0x5f7ffffc
	s_wait_alu 0xfffe
	s_delay_alu instid0(SALU_CYCLE_2) | instskip(NEXT) | instid1(SALU_CYCLE_3)
	s_mul_f32 s20, s9, 0x2f800000
	s_trunc_f32 s20, s20
	s_delay_alu instid0(SALU_CYCLE_3) | instskip(SKIP_2) | instid1(SALU_CYCLE_1)
	s_fmamk_f32 s9, s20, 0xcf800000, s9
	s_cvt_u32_f32 s21, s20
	s_wait_alu 0xfffe
	s_cvt_u32_f32 s20, s9
	s_delay_alu instid0(SALU_CYCLE_3) | instskip(NEXT) | instid1(SALU_CYCLE_1)
	s_mul_u64 s[28:29], s[24:25], s[20:21]
	s_mul_hi_u32 s35, s20, s29
	s_mul_i32 s34, s20, s29
	s_mul_hi_u32 s26, s20, s28
	s_mul_i32 s30, s21, s28
	s_add_nc_u64 s[26:27], s[26:27], s[34:35]
	s_mul_hi_u32 s9, s21, s28
	s_mul_hi_u32 s33, s21, s29
	s_add_co_u32 s26, s26, s30
	s_wait_alu 0xfffe
	s_add_co_ci_u32 s30, s27, s9
	s_mul_i32 s28, s21, s29
	s_add_co_ci_u32 s29, s33, 0
	s_delay_alu instid0(SALU_CYCLE_1)
	s_add_nc_u64 s[26:27], s[30:31], s[28:29]
	s_mov_b32 s29, s8
	s_add_co_u32 s20, s20, s26
	s_cselect_b32 s9, -1, 0
	s_wait_alu 0xfffe
	s_cmp_lg_u32 s9, 0
	s_add_co_ci_u32 s21, s21, s27
	s_mov_b32 s27, s8
	s_mul_u64 s[24:25], s[24:25], s[20:21]
	s_delay_alu instid0(SALU_CYCLE_1)
	s_mul_hi_u32 s31, s20, s25
	s_mul_i32 s30, s20, s25
	s_mul_hi_u32 s26, s20, s24
	s_mul_i32 s28, s21, s24
	s_add_nc_u64 s[26:27], s[26:27], s[30:31]
	s_mul_hi_u32 s9, s21, s24
	s_mul_hi_u32 s33, s21, s25
	s_mul_i32 s24, s21, s25
	s_add_co_u32 s25, s26, s28
	s_wait_alu 0xfffe
	s_add_co_ci_u32 s28, s27, s9
	s_add_co_ci_u32 s25, s33, 0
	s_mov_b32 s27, s8
	s_add_nc_u64 s[24:25], s[28:29], s[24:25]
	s_delay_alu instid0(SALU_CYCLE_1)
	s_add_co_u32 s9, s20, s24
	s_cselect_b32 s20, -1, 0
	s_wait_alu 0xfffe
	s_mul_hi_u32 s26, s2, s9
	s_cmp_lg_u32 s20, 0
	s_mul_hi_u32 s28, s3, s9
	s_add_co_ci_u32 s24, s21, s25
	s_mul_i32 s9, s3, s9
	s_mul_hi_u32 s21, s2, s24
	s_mul_i32 s20, s2, s24
	s_mul_hi_u32 s25, s3, s24
	s_add_nc_u64 s[20:21], s[26:27], s[20:21]
	s_mul_i32 s24, s3, s24
	s_wait_alu 0xfffe
	s_add_co_u32 s9, s20, s9
	s_add_co_ci_u32 s28, s21, s28
	s_add_co_ci_u32 s25, s25, 0
	s_delay_alu instid0(SALU_CYCLE_1) | instskip(NEXT) | instid1(SALU_CYCLE_1)
	s_add_nc_u64 s[20:21], s[28:29], s[24:25]
	s_mul_u64 s[24:25], s[22:23], s[20:21]
	s_delay_alu instid0(SALU_CYCLE_1)
	s_sub_co_u32 s9, s2, s24
	s_cselect_b32 s24, -1, 0
	s_sub_co_i32 s26, s3, s25
	s_cmp_lg_u32 s24, 0
	s_sub_co_ci_u32 s26, s26, s23
	s_wait_alu 0xfffe
	s_sub_co_u32 s27, s9, s22
	s_cselect_b32 s28, -1, 0
	s_delay_alu instid0(SALU_CYCLE_1) | instskip(SKIP_1) | instid1(SALU_CYCLE_1)
	s_cmp_lg_u32 s28, 0
	s_sub_co_ci_u32 s26, s26, 0
	s_cmp_ge_u32 s26, s23
	s_cselect_b32 s28, -1, 0
	s_cmp_ge_u32 s27, s22
	s_cselect_b32 s29, -1, 0
	s_cmp_eq_u32 s26, s23
	s_add_nc_u64 s[26:27], s[20:21], 1
	s_cselect_b32 s30, s29, s28
	s_add_nc_u64 s[28:29], s[20:21], 2
	s_cmp_lg_u32 s30, 0
	s_cselect_b32 s26, s28, s26
	s_cselect_b32 s27, s29, s27
	s_cmp_lg_u32 s24, 0
	s_sub_co_ci_u32 s24, s3, s25
	s_delay_alu instid0(SALU_CYCLE_1)
	s_cmp_ge_u32 s24, s23
	s_cselect_b32 s25, -1, 0
	s_cmp_ge_u32 s9, s22
	s_cselect_b32 s9, -1, 0
	s_cmp_eq_u32 s24, s23
	s_wait_alu 0xfffe
	s_cselect_b32 s9, s9, s25
	s_wait_alu 0xfffe
	s_cmp_lg_u32 s9, 0
	s_mov_b32 s9, 0
	s_cselect_b32 s21, s27, s21
	s_cselect_b32 s20, s26, s20
.LBB276_13:                             ;   in Loop: Header=BB276_11 Depth=1
	s_wait_alu 0xfffe
	s_and_not1_b32 vcc_lo, exec_lo, s9
	s_cbranch_vccnz .LBB276_15
; %bb.14:                               ;   in Loop: Header=BB276_11 Depth=1
	v_cvt_f32_u32_e32 v1, s22
	s_sub_co_i32 s20, 0, s22
	s_delay_alu instid0(VALU_DEP_1) | instskip(NEXT) | instid1(TRANS32_DEP_1)
	v_rcp_iflag_f32_e32 v1, v1
	v_mul_f32_e32 v1, 0x4f7ffffe, v1
	s_delay_alu instid0(VALU_DEP_1) | instskip(NEXT) | instid1(VALU_DEP_1)
	v_cvt_u32_f32_e32 v1, v1
	v_readfirstlane_b32 s9, v1
	s_mul_i32 s20, s20, s9
	s_delay_alu instid0(SALU_CYCLE_1) | instskip(NEXT) | instid1(SALU_CYCLE_1)
	s_mul_hi_u32 s20, s9, s20
	s_add_co_i32 s9, s9, s20
	s_wait_alu 0xfffe
	s_mul_hi_u32 s9, s2, s9
	s_wait_alu 0xfffe
	s_mul_i32 s20, s9, s22
	s_add_co_i32 s21, s9, 1
	s_sub_co_i32 s20, s2, s20
	s_delay_alu instid0(SALU_CYCLE_1)
	s_sub_co_i32 s24, s20, s22
	s_cmp_ge_u32 s20, s22
	s_cselect_b32 s9, s21, s9
	s_cselect_b32 s20, s24, s20
	s_wait_alu 0xfffe
	s_add_co_i32 s21, s9, 1
	s_cmp_ge_u32 s20, s22
	s_cselect_b32 s20, s21, s9
	s_mov_b32 s21, s8
.LBB276_15:                             ;   in Loop: Header=BB276_11 Depth=1
	s_load_b64 s[24:25], s[14:15], 0xc8
	s_mul_u64 s[22:23], s[20:21], s[22:23]
	s_add_co_i32 s11, s11, -1
	s_wait_alu 0xfffe
	s_sub_nc_u64 s[2:3], s[2:3], s[22:23]
	s_cmp_gt_u32 s11, 2
	s_add_nc_u64 s[14:15], s[14:15], -8
	s_wait_kmcnt 0x0
	s_wait_alu 0xfffe
	s_mul_u64 s[2:3], s[24:25], s[2:3]
	s_wait_alu 0xfffe
	s_add_nc_u64 s[16:17], s[2:3], s[16:17]
	s_cbranch_scc0 .LBB276_18
; %bb.16:                               ;   in Loop: Header=BB276_11 Depth=1
	s_mov_b64 s[2:3], s[20:21]
	s_branch .LBB276_11
.LBB276_17:
	s_mov_b64 s[20:21], s[2:3]
.LBB276_18:
	s_clause 0x2
	s_load_b64 s[2:3], s[0:1], 0xd0
	s_load_b32 s11, s[0:1], 0x360
	s_load_b64 s[8:9], s[0:1], 0x0
	s_wait_kmcnt 0x0
	s_mul_u64 s[6:7], s[2:3], s[6:7]
	s_bitcmp1_b32 s11, 0
	s_wait_alu 0xfffe
	s_add_nc_u64 s[6:7], s[8:9], s[6:7]
	s_cselect_b32 s11, -1, 0
	s_wait_alu 0xfffe
	s_add_nc_u64 s[14:15], s[6:7], s[4:5]
	s_xor_b32 s26, s11, -1
	s_delay_alu instid0(SALU_CYCLE_1) | instskip(SKIP_1) | instid1(VALU_DEP_2)
	v_cndmask_b32_e64 v1, 0, 1, s26
	v_cndmask_b32_e64 v3, 0, 1, s26
	v_lshlrev_b32_e32 v2, 8, v1
	s_delay_alu instid0(VALU_DEP_1) | instskip(NEXT) | instid1(VALU_DEP_1)
	v_or_b32_e32 v1, v1, v2
	v_and_b32_e32 v2, 0x101, v1
	v_lshlrev_b32_e32 v1, 16, v1
	s_delay_alu instid0(VALU_DEP_1) | instskip(NEXT) | instid1(VALU_DEP_1)
	v_or_b32_e32 v1, v2, v1
	v_dual_mov_b32 v2, v1 :: v_dual_and_b32 v41, 0x3ff, v0
	s_delay_alu instid0(VALU_DEP_1)
	v_cmp_gt_u32_e64 s2, s10, v41
	s_and_saveexec_b32 s3, s2
	s_cbranch_execz .LBB276_20
; %bb.19:
	v_mad_co_u64_u32 v[2:3], null, s12, v41, s[14:15]
	v_mov_b32_e32 v5, v1
	s_delay_alu instid0(VALU_DEP_2) | instskip(SKIP_3) | instid1(VALU_DEP_1)
	v_mad_co_u64_u32 v[3:4], null, s13, v41, v[3:4]
	global_load_u8 v3, v[2:3], off
	s_wait_loadcnt 0x0
	v_perm_b32 v4, v3, v1, 0x3020104
	v_dual_mov_b32 v1, v4 :: v_dual_mov_b32 v2, v5
.LBB276_20:
	s_wait_alu 0xfffe
	s_or_b32 exec_lo, exec_lo, s3
	v_add_nc_u32_e32 v23, 0x100, v41
	s_delay_alu instid0(VALU_DEP_1)
	v_cmp_gt_u32_e64 s3, s10, v23
	s_and_saveexec_b32 s4, s3
	s_cbranch_execz .LBB276_22
; %bb.21:
	v_mad_co_u64_u32 v[4:5], null, s12, v23, s[14:15]
	s_delay_alu instid0(VALU_DEP_1)
	v_mad_co_u64_u32 v[5:6], null, s13, v23, v[5:6]
	global_load_u8 v4, v[4:5], off
	s_wait_loadcnt 0x0
	v_perm_b32 v1, v1, v4, 0x7060004
.LBB276_22:
	s_or_b32 exec_lo, exec_lo, s4
	v_add_nc_u32_e32 v22, 0x200, v41
	s_delay_alu instid0(VALU_DEP_1)
	v_cmp_gt_u32_e64 s4, s10, v22
	s_and_saveexec_b32 s5, s4
	s_cbranch_execz .LBB276_24
; %bb.23:
	v_mad_co_u64_u32 v[4:5], null, s12, v22, s[14:15]
	s_delay_alu instid0(VALU_DEP_1) | instskip(SKIP_3) | instid1(VALU_DEP_1)
	v_mad_co_u64_u32 v[5:6], null, s13, v22, v[5:6]
	global_load_u8 v4, v[4:5], off
	s_wait_loadcnt 0x0
	v_perm_b32 v4, v4, v1, 0xc0c0304
	v_lshlrev_b32_e32 v4, 16, v4
	s_delay_alu instid0(VALU_DEP_1)
	v_and_or_b32 v1, 0xffff, v1, v4
.LBB276_24:
	s_or_b32 exec_lo, exec_lo, s5
	v_add_nc_u32_e32 v21, 0x300, v41
	s_delay_alu instid0(VALU_DEP_1)
	v_cmp_gt_u32_e64 s5, s10, v21
	s_and_saveexec_b32 s6, s5
	s_cbranch_execz .LBB276_26
; %bb.25:
	v_mad_co_u64_u32 v[4:5], null, s12, v21, s[14:15]
	s_delay_alu instid0(VALU_DEP_1) | instskip(SKIP_3) | instid1(VALU_DEP_1)
	v_mad_co_u64_u32 v[5:6], null, s13, v21, v[5:6]
	global_load_u8 v4, v[4:5], off
	s_wait_loadcnt 0x0
	v_perm_b32 v4, v1, v4, 0xc0c0006
	v_lshlrev_b32_e32 v4, 16, v4
	s_delay_alu instid0(VALU_DEP_1)
	v_and_or_b32 v1, 0xffff, v1, v4
.LBB276_26:
	s_wait_alu 0xfffe
	s_or_b32 exec_lo, exec_lo, s6
	v_or_b32_e32 v20, 0x400, v41
	s_delay_alu instid0(VALU_DEP_1)
	v_cmp_gt_u32_e64 s6, s10, v20
	s_and_saveexec_b32 s7, s6
	s_cbranch_execz .LBB276_28
; %bb.27:
	v_mad_co_u64_u32 v[4:5], null, s12, v20, s[14:15]
	s_delay_alu instid0(VALU_DEP_1)
	v_mad_co_u64_u32 v[5:6], null, s13, v20, v[5:6]
	global_load_u8 v4, v[4:5], off
	s_wait_loadcnt 0x0
	v_perm_b32 v2, v4, v2, 0x3020104
.LBB276_28:
	s_wait_alu 0xfffe
	s_or_b32 exec_lo, exec_lo, s7
	v_add_nc_u32_e32 v19, 0x500, v41
	s_delay_alu instid0(VALU_DEP_1)
	v_cmp_gt_u32_e64 s7, s10, v19
	s_and_saveexec_b32 s8, s7
	s_cbranch_execz .LBB276_30
; %bb.29:
	v_mad_co_u64_u32 v[4:5], null, s12, v19, s[14:15]
	s_delay_alu instid0(VALU_DEP_1)
	v_mad_co_u64_u32 v[5:6], null, s13, v19, v[5:6]
	global_load_u8 v4, v[4:5], off
	s_wait_loadcnt 0x0
	v_perm_b32 v2, v2, v4, 0x7060004
.LBB276_30:
	s_wait_alu 0xfffe
	s_or_b32 exec_lo, exec_lo, s8
	v_add_nc_u32_e32 v17, 0x600, v41
	s_delay_alu instid0(VALU_DEP_1)
	v_cmp_gt_u32_e64 s8, s10, v17
	s_and_saveexec_b32 s9, s8
	s_cbranch_execz .LBB276_32
; %bb.31:
	v_mad_co_u64_u32 v[4:5], null, s12, v17, s[14:15]
	s_delay_alu instid0(VALU_DEP_1)
	v_mad_co_u64_u32 v[5:6], null, s13, v17, v[5:6]
	global_load_u8 v4, v[4:5], off
	s_wait_loadcnt 0x0
	v_perm_b32 v2, v2, v4, 0x7000504
.LBB276_32:
	s_wait_alu 0xfffe
	s_or_b32 exec_lo, exec_lo, s9
	s_clause 0x1
	s_load_b64 s[24:25], s[0:1], 0x288
	s_load_b64 s[22:23], s[0:1], 0x1b8
	v_add_nc_u32_e32 v18, 0x700, v41
	s_delay_alu instid0(VALU_DEP_1)
	v_cmp_gt_u32_e64 s9, s10, v18
	s_and_saveexec_b32 s10, s9
	s_cbranch_execz .LBB276_34
; %bb.33:
	v_mad_co_u64_u32 v[4:5], null, s12, v18, s[14:15]
	s_delay_alu instid0(VALU_DEP_1)
	v_mad_co_u64_u32 v[5:6], null, s13, v18, v[5:6]
	global_load_u8 v4, v[4:5], off
	s_wait_loadcnt 0x0
	v_perm_b32 v2, v2, v4, 0x60504
.LBB276_34:
	s_wait_alu 0xfffe
	s_or_b32 exec_lo, exec_lo, s10
	v_lshrrev_b32_e32 v63, 5, v41
	v_lshrrev_b32_e32 v25, 5, v22
	;; [unrolled: 1-line block ×5, first 2 shown]
	v_and_b32_e32 v4, 28, v63
	v_lshrrev_b32_e32 v29, 5, v17
	v_and_b32_e32 v7, 60, v27
	v_lshrrev_b32_e32 v28, 5, v19
	v_lshrrev_b32_e32 v30, 5, v18
	v_add_nc_u32_e32 v44, v4, v41
	v_and_b32_e32 v4, 60, v25
	v_and_b32_e32 v5, 60, v24
	v_add_nc_u32_e32 v48, v7, v41
	v_and_b32_e32 v7, 0x7c, v29
	v_and_b32_e32 v9, 0x7c, v30
	v_add_nc_u32_e32 v46, v4, v41
	v_and_b32_e32 v4, 60, v26
	v_lshrrev_b32_e32 v31, 2, v41
	v_lshrrev_b32_e32 v6, 8, v1
	v_add_nc_u32_e32 v45, v5, v41
	v_lshrrev_b32_e32 v5, 24, v1
	v_add_nc_u32_e32 v47, v4, v41
	v_and_b32_e32 v4, 0x7c, v28
	v_dual_mov_b32 v11, 0 :: v_dual_add_nc_u32 v50, v7, v41
	v_lshrrev_b32_e32 v8, 8, v2
	v_add_nc_u32_e32 v51, v9, v41
	s_delay_alu instid0(VALU_DEP_4)
	v_add_nc_u32_e32 v49, v4, v41
	v_lshrrev_b32_e32 v4, 24, v2
	v_dual_mov_b32 v12, 0 :: v_dual_and_b32 v7, 0xfc, v31
	ds_store_b8 v44, v3
	ds_store_b8 v45, v6 offset:256
	ds_store_b8_d16_hi v46, v1 offset:512
	ds_store_b8 v47, v5 offset:768
	ds_store_b8 v48, v2 offset:1024
	;; [unrolled: 1-line block ×3, first 2 shown]
	ds_store_b8_d16_hi v50, v2 offset:1536
	ds_store_b8 v51, v4 offset:1792
	v_mov_b32_e32 v1, 0
	v_lshlrev_b32_e32 v61, 3, v41
	s_wait_kmcnt 0x0
	s_mul_u64 s[10:11], s[24:25], s[20:21]
	s_wait_dscnt 0x0
	s_wait_alu 0xfffe
	s_lshl_b64 s[20:21], s[10:11], 3
	v_mov_b32_e32 v10, v1
	v_add_nc_u32_e32 v52, v7, v61
	s_load_b64 s[10:11], s[0:1], 0x358
	s_barrier_signal -1
	s_barrier_wait -1
	global_inv scope:SCOPE_SE
	ds_load_2addr_b32 v[42:43], v52 offset1:1
	v_dual_mov_b32 v2, v1 :: v_dual_mov_b32 v13, v1
	v_dual_mov_b32 v14, v1 :: v_dual_mov_b32 v15, v1
	;; [unrolled: 1-line block ×6, first 2 shown]
	s_lshl_b64 s[16:17], s[16:17], 3
	s_add_nc_u64 s[0:1], s[22:23], s[20:21]
	s_wait_loadcnt_dscnt 0x0
	s_add_nc_u64 s[16:17], s[0:1], s[16:17]
	s_barrier_signal -1
	s_barrier_wait -1
	global_inv scope:SCOPE_SE
	s_and_saveexec_b32 s0, s2
	s_cbranch_execnz .LBB276_67
; %bb.35:
	s_or_b32 exec_lo, exec_lo, s0
	s_and_saveexec_b32 s0, s3
	s_cbranch_execnz .LBB276_68
.LBB276_36:
	s_or_b32 exec_lo, exec_lo, s0
	s_and_saveexec_b32 s0, s4
	s_cbranch_execnz .LBB276_69
.LBB276_37:
	s_or_b32 exec_lo, exec_lo, s0
	s_and_saveexec_b32 s0, s5
	s_cbranch_execnz .LBB276_70
.LBB276_38:
	s_or_b32 exec_lo, exec_lo, s0
	s_and_saveexec_b32 s0, s6
	s_cbranch_execnz .LBB276_71
.LBB276_39:
	s_or_b32 exec_lo, exec_lo, s0
	s_and_saveexec_b32 s0, s7
	s_cbranch_execnz .LBB276_72
.LBB276_40:
	s_or_b32 exec_lo, exec_lo, s0
	s_and_saveexec_b32 s0, s8
	s_cbranch_execnz .LBB276_73
.LBB276_41:
	s_or_b32 exec_lo, exec_lo, s0
	s_and_saveexec_b32 s0, s9
	s_cbranch_execz .LBB276_43
.LBB276_42:
	s_wait_kmcnt 0x0
	v_mad_co_u64_u32 v[9:10], null, s10, v18, 0
	s_wait_loadcnt 0x0
	s_delay_alu instid0(VALU_DEP_1) | instskip(NEXT) | instid1(VALU_DEP_1)
	v_mad_co_u64_u32 v[17:18], null, s11, v18, v[10:11]
	v_mov_b32_e32 v10, v17
	s_delay_alu instid0(VALU_DEP_1) | instskip(NEXT) | instid1(VALU_DEP_1)
	v_lshlrev_b64_e32 v[9:10], 3, v[9:10]
	v_add_co_u32 v9, vcc_lo, s16, v9
	s_wait_alu 0xfffd
	s_delay_alu instid0(VALU_DEP_2)
	v_add_co_ci_u32_e64 v10, null, s17, v10, vcc_lo
	global_load_b64 v[9:10], v[9:10], off
.LBB276_43:
	s_or_b32 exec_lo, exec_lo, s0
	v_lshl_add_u32 v53, v63, 3, v61
	v_lshl_add_u32 v54, v24, 3, v61
	;; [unrolled: 1-line block ×5, first 2 shown]
	s_wait_loadcnt 0x0
	ds_store_b64 v53, v[11:12]
	ds_store_b64 v54, v[1:2] offset:2048
	ds_store_b64 v55, v[13:14] offset:4096
	;; [unrolled: 1-line block ×3, first 2 shown]
	v_lshlrev_b32_e32 v1, 3, v61
	v_lshl_add_u32 v58, v28, 3, v61
	v_lshl_add_u32 v59, v29, 3, v61
	;; [unrolled: 1-line block ×3, first 2 shown]
	ds_store_b64 v57, v[3:4] offset:8192
	ds_store_b64 v58, v[5:6] offset:10240
	;; [unrolled: 1-line block ×4, first 2 shown]
	v_lshl_add_u32 v62, v31, 3, v1
	s_wait_dscnt 0x0
	s_barrier_signal -1
	s_barrier_wait -1
	global_inv scope:SCOPE_SE
	ds_load_2addr_b64 v[13:16], v62 offset1:1
	ds_load_2addr_b64 v[9:12], v62 offset0:2 offset1:3
	ds_load_2addr_b64 v[5:8], v62 offset0:4 offset1:5
	;; [unrolled: 1-line block ×3, first 2 shown]
	v_bfe_u32 v67, v0, 10, 10
	v_bfe_u32 v68, v0, 20, 10
	v_mbcnt_lo_u32_b32 v65, -1, 0
	v_and_b32_e32 v66, 0x3e0, v41
	v_lshlrev_b32_e32 v64, 2, v61
	s_and_b32 vcc_lo, exec_lo, s26
	s_wait_loadcnt_dscnt 0x0
	s_barrier_signal -1
	s_barrier_wait -1
	global_inv scope:SCOPE_SE
	s_wait_alu 0xfffe
	s_cbranch_vccz .LBB276_74
; %bb.44:
	s_getpc_b64 s[0:1]
	s_sext_i32_i16 s1, s1
	s_add_co_u32 s0, s0, _ZN7rocprim17ROCPRIM_400000_NS16block_radix_sortIbLj256ELj8ElLj1ELj1ELj0ELNS0_26block_radix_rank_algorithmE1ELNS0_18block_padding_hintE2ELNS0_4arch9wavefront6targetE0EE19radix_bits_per_passE@rel32@lo+8
	s_add_co_ci_u32 s1, s1, _ZN7rocprim17ROCPRIM_400000_NS16block_radix_sortIbLj256ELj8ElLj1ELj1ELj0ELNS0_26block_radix_rank_algorithmE1ELNS0_18block_padding_hintE2ELNS0_4arch9wavefront6targetE0EE19radix_bits_per_passE@rel32@hi+16
	v_or_b32_e32 v17, v65, v66
	s_load_b32 s0, s[0:1], 0x0
	v_and_or_b32 v19, 0x1f00, v61, v65
	s_delay_alu instid0(VALU_DEP_2)
	v_lshlrev_b32_e32 v18, 3, v17
	ds_store_b64 v18, v[42:43]
	; wave barrier
	ds_load_u8 v0, v19
	ds_load_u8 v69, v19 offset:32
	ds_load_u8 v70, v19 offset:64
	;; [unrolled: 1-line block ×7, first 2 shown]
	v_mad_u32_u24 v17, v17, 56, v18
	v_mad_u32_u24 v18, v19, 7, v19
	s_wait_loadcnt_dscnt 0x0
	s_barrier_signal -1
	s_barrier_wait -1
	global_inv scope:SCOPE_SE
	ds_store_b128 v17, v[13:16]
	ds_store_b128 v17, v[9:12] offset:16
	ds_store_b128 v17, v[5:8] offset:32
	;; [unrolled: 1-line block ×3, first 2 shown]
	; wave barrier
	ds_load_2addr_b64 v[29:32], v18 offset1:32
	ds_load_2addr_b64 v[25:28], v18 offset0:64 offset1:96
	ds_load_2addr_b64 v[21:24], v18 offset0:128 offset1:160
	;; [unrolled: 1-line block ×3, first 2 shown]
	s_wait_loadcnt_dscnt 0x0
	s_barrier_signal -1
	s_barrier_wait -1
	global_inv scope:SCOPE_SE
	s_load_b32 s21, s[18:19], 0xc
	s_wait_kmcnt 0x0
	s_min_u32 s0, s0, 8
	s_delay_alu instid0(SALU_CYCLE_1) | instskip(NEXT) | instid1(SALU_CYCLE_1)
	s_lshl_b32 s0, -1, s0
	s_not_b32 s1, s0
	s_delay_alu instid0(SALU_CYCLE_1) | instskip(NEXT) | instid1(VALU_DEP_1)
	v_and_b32_e32 v33, s1, v0
	v_and_b32_e32 v39, 1, v33
	s_delay_alu instid0(VALU_DEP_1) | instskip(NEXT) | instid1(VALU_DEP_1)
	v_add_co_u32 v35, s20, v39, -1
	v_cndmask_b32_e64 v33, 0, 1, s20
	s_lshr_b32 s0, s21, 16
	s_mov_b32 s20, 0
	s_wait_alu 0xfffe
	v_mad_u32_u24 v34, v68, s0, v67
	s_and_b32 s0, s21, 0xffff
	v_cmp_ne_u32_e32 vcc_lo, 0, v33
	s_mov_b32 s23, s20
	s_mov_b32 s21, s20
	s_wait_alu 0xfffe
	v_mad_co_u64_u32 v[33:34], null, v34, s0, v[41:42]
	s_wait_alu 0xfffd
	v_xor_b32_e32 v34, vcc_lo, v35
	s_mov_b32 s22, s20
	v_dual_mov_b32 v38, s23 :: v_dual_mov_b32 v35, s20
	s_wait_alu 0xfffe
	s_delay_alu instid0(VALU_DEP_2)
	v_dual_mov_b32 v37, s22 :: v_dual_and_b32 v34, exec_lo, v34
	v_mov_b32_e32 v36, s21
	v_lshrrev_b32_e32 v33, 3, v33
	ds_store_b128 v64, v[35:38] offset:32
	ds_store_b128 v64, v[35:38] offset:48
	v_mbcnt_lo_u32_b32 v76, v34, 0
	v_lshlrev_b32_e32 v35, 5, v39
	v_and_b32_e32 v33, 0x1ffffffc, v33
	v_cmp_ne_u32_e64 s0, 0, v34
	s_wait_loadcnt_dscnt 0x0
	v_cmp_eq_u32_e32 vcc_lo, 0, v76
	s_barrier_signal -1
	v_add_nc_u32_e32 v79, v33, v35
	s_barrier_wait -1
	global_inv scope:SCOPE_SE
	s_and_b32 s20, s0, vcc_lo
	; wave barrier
	s_wait_alu 0xfffe
	s_and_saveexec_b32 s0, s20
; %bb.45:
	v_bcnt_u32_b32 v34, v34, 0
	ds_store_b32 v79, v34 offset:32
; %bb.46:
	s_wait_alu 0xfffe
	s_or_b32 exec_lo, exec_lo, s0
	v_and_b32_e32 v34, s1, v69
	; wave barrier
	s_delay_alu instid0(VALU_DEP_1) | instskip(NEXT) | instid1(VALU_DEP_1)
	v_and_b32_e32 v34, 0xff, v34
	v_add_co_u32 v35, s0, v34, -1
	s_wait_alu 0xf1ff
	v_cndmask_b32_e64 v36, 0, 1, s0
	v_lshlrev_b32_e32 v34, 5, v34
	s_delay_alu instid0(VALU_DEP_2) | instskip(NEXT) | instid1(VALU_DEP_2)
	v_cmp_ne_u32_e32 vcc_lo, 0, v36
	v_add_nc_u32_e32 v82, v33, v34
	s_wait_alu 0xfffd
	v_xor_b32_e32 v34, vcc_lo, v35
	ds_load_b32 v77, v82 offset:32
	; wave barrier
	v_and_b32_e32 v34, exec_lo, v34
	s_delay_alu instid0(VALU_DEP_1) | instskip(SKIP_1) | instid1(VALU_DEP_2)
	v_mbcnt_lo_u32_b32 v78, v34, 0
	v_cmp_ne_u32_e64 s0, 0, v34
	v_cmp_eq_u32_e32 vcc_lo, 0, v78
	s_and_b32 s20, s0, vcc_lo
	s_wait_alu 0xfffe
	s_and_saveexec_b32 s0, s20
	s_cbranch_execz .LBB276_48
; %bb.47:
	s_wait_dscnt 0x0
	v_bcnt_u32_b32 v34, v34, v77
	ds_store_b32 v82, v34 offset:32
.LBB276_48:
	s_wait_alu 0xfffe
	s_or_b32 exec_lo, exec_lo, s0
	v_and_b32_e32 v34, s1, v70
	; wave barrier
	s_delay_alu instid0(VALU_DEP_1) | instskip(NEXT) | instid1(VALU_DEP_1)
	v_and_b32_e32 v34, 0xff, v34
	v_add_co_u32 v35, s0, v34, -1
	s_wait_alu 0xf1ff
	v_cndmask_b32_e64 v36, 0, 1, s0
	v_lshlrev_b32_e32 v34, 5, v34
	s_delay_alu instid0(VALU_DEP_2) | instskip(NEXT) | instid1(VALU_DEP_2)
	v_cmp_ne_u32_e32 vcc_lo, 0, v36
	v_add_nc_u32_e32 v85, v33, v34
	s_wait_alu 0xfffd
	v_xor_b32_e32 v34, vcc_lo, v35
	ds_load_b32 v80, v85 offset:32
	; wave barrier
	v_and_b32_e32 v34, exec_lo, v34
	s_delay_alu instid0(VALU_DEP_1) | instskip(SKIP_1) | instid1(VALU_DEP_2)
	v_mbcnt_lo_u32_b32 v81, v34, 0
	v_cmp_ne_u32_e64 s0, 0, v34
	v_cmp_eq_u32_e32 vcc_lo, 0, v81
	s_and_b32 s20, s0, vcc_lo
	s_wait_alu 0xfffe
	s_and_saveexec_b32 s0, s20
	s_cbranch_execz .LBB276_50
; %bb.49:
	s_wait_dscnt 0x0
	v_bcnt_u32_b32 v34, v34, v80
	ds_store_b32 v85, v34 offset:32
.LBB276_50:
	s_wait_alu 0xfffe
	s_or_b32 exec_lo, exec_lo, s0
	v_and_b32_e32 v34, s1, v71
	; wave barrier
	s_delay_alu instid0(VALU_DEP_1) | instskip(NEXT) | instid1(VALU_DEP_1)
	v_and_b32_e32 v34, 0xff, v34
	v_add_co_u32 v35, s0, v34, -1
	s_wait_alu 0xf1ff
	v_cndmask_b32_e64 v36, 0, 1, s0
	v_lshlrev_b32_e32 v34, 5, v34
	s_delay_alu instid0(VALU_DEP_2) | instskip(NEXT) | instid1(VALU_DEP_2)
	v_cmp_ne_u32_e32 vcc_lo, 0, v36
	v_add_nc_u32_e32 v88, v33, v34
	s_wait_alu 0xfffd
	v_xor_b32_e32 v34, vcc_lo, v35
	ds_load_b32 v83, v88 offset:32
	; wave barrier
	v_and_b32_e32 v34, exec_lo, v34
	s_delay_alu instid0(VALU_DEP_1) | instskip(SKIP_1) | instid1(VALU_DEP_2)
	v_mbcnt_lo_u32_b32 v84, v34, 0
	v_cmp_ne_u32_e64 s0, 0, v34
	v_cmp_eq_u32_e32 vcc_lo, 0, v84
	s_and_b32 s20, s0, vcc_lo
	s_wait_alu 0xfffe
	s_and_saveexec_b32 s0, s20
	s_cbranch_execz .LBB276_52
; %bb.51:
	s_wait_dscnt 0x0
	v_bcnt_u32_b32 v34, v34, v83
	ds_store_b32 v88, v34 offset:32
.LBB276_52:
	s_wait_alu 0xfffe
	s_or_b32 exec_lo, exec_lo, s0
	v_and_b32_e32 v34, s1, v72
	; wave barrier
	s_delay_alu instid0(VALU_DEP_1) | instskip(NEXT) | instid1(VALU_DEP_1)
	v_and_b32_e32 v34, 0xff, v34
	v_add_co_u32 v35, s0, v34, -1
	s_wait_alu 0xf1ff
	v_cndmask_b32_e64 v36, 0, 1, s0
	v_lshlrev_b32_e32 v34, 5, v34
	s_delay_alu instid0(VALU_DEP_2) | instskip(NEXT) | instid1(VALU_DEP_2)
	v_cmp_ne_u32_e32 vcc_lo, 0, v36
	v_add_nc_u32_e32 v91, v33, v34
	s_wait_alu 0xfffd
	v_xor_b32_e32 v34, vcc_lo, v35
	ds_load_b32 v86, v91 offset:32
	; wave barrier
	v_and_b32_e32 v34, exec_lo, v34
	s_delay_alu instid0(VALU_DEP_1) | instskip(SKIP_1) | instid1(VALU_DEP_2)
	v_mbcnt_lo_u32_b32 v87, v34, 0
	v_cmp_ne_u32_e64 s0, 0, v34
	v_cmp_eq_u32_e32 vcc_lo, 0, v87
	s_and_b32 s20, s0, vcc_lo
	s_wait_alu 0xfffe
	s_and_saveexec_b32 s0, s20
	s_cbranch_execz .LBB276_54
; %bb.53:
	s_wait_dscnt 0x0
	v_bcnt_u32_b32 v34, v34, v86
	ds_store_b32 v91, v34 offset:32
.LBB276_54:
	s_wait_alu 0xfffe
	s_or_b32 exec_lo, exec_lo, s0
	v_and_b32_e32 v34, s1, v73
	; wave barrier
	s_delay_alu instid0(VALU_DEP_1) | instskip(NEXT) | instid1(VALU_DEP_1)
	v_and_b32_e32 v34, 0xff, v34
	v_add_co_u32 v35, s0, v34, -1
	s_wait_alu 0xf1ff
	v_cndmask_b32_e64 v36, 0, 1, s0
	v_lshlrev_b32_e32 v34, 5, v34
	s_delay_alu instid0(VALU_DEP_2) | instskip(NEXT) | instid1(VALU_DEP_2)
	v_cmp_ne_u32_e32 vcc_lo, 0, v36
	v_add_nc_u32_e32 v94, v33, v34
	s_wait_alu 0xfffd
	v_xor_b32_e32 v34, vcc_lo, v35
	ds_load_b32 v89, v94 offset:32
	; wave barrier
	v_and_b32_e32 v34, exec_lo, v34
	s_delay_alu instid0(VALU_DEP_1) | instskip(SKIP_1) | instid1(VALU_DEP_2)
	v_mbcnt_lo_u32_b32 v90, v34, 0
	v_cmp_ne_u32_e64 s0, 0, v34
	v_cmp_eq_u32_e32 vcc_lo, 0, v90
	s_and_b32 s20, s0, vcc_lo
	s_wait_alu 0xfffe
	s_and_saveexec_b32 s0, s20
	s_cbranch_execz .LBB276_56
; %bb.55:
	s_wait_dscnt 0x0
	v_bcnt_u32_b32 v34, v34, v89
	ds_store_b32 v94, v34 offset:32
.LBB276_56:
	s_wait_alu 0xfffe
	s_or_b32 exec_lo, exec_lo, s0
	v_and_b32_e32 v34, s1, v74
	; wave barrier
	s_delay_alu instid0(VALU_DEP_1) | instskip(NEXT) | instid1(VALU_DEP_1)
	v_and_b32_e32 v34, 0xff, v34
	v_add_co_u32 v35, s0, v34, -1
	s_wait_alu 0xf1ff
	v_cndmask_b32_e64 v36, 0, 1, s0
	v_lshlrev_b32_e32 v34, 5, v34
	s_delay_alu instid0(VALU_DEP_2) | instskip(NEXT) | instid1(VALU_DEP_2)
	v_cmp_ne_u32_e32 vcc_lo, 0, v36
	v_add_nc_u32_e32 v97, v33, v34
	s_wait_alu 0xfffd
	v_xor_b32_e32 v34, vcc_lo, v35
	ds_load_b32 v92, v97 offset:32
	; wave barrier
	v_and_b32_e32 v34, exec_lo, v34
	s_delay_alu instid0(VALU_DEP_1) | instskip(SKIP_1) | instid1(VALU_DEP_2)
	v_mbcnt_lo_u32_b32 v93, v34, 0
	v_cmp_ne_u32_e64 s0, 0, v34
	v_cmp_eq_u32_e32 vcc_lo, 0, v93
	s_and_b32 s20, s0, vcc_lo
	s_wait_alu 0xfffe
	s_and_saveexec_b32 s0, s20
	s_cbranch_execz .LBB276_58
; %bb.57:
	s_wait_dscnt 0x0
	v_bcnt_u32_b32 v34, v34, v92
	ds_store_b32 v97, v34 offset:32
.LBB276_58:
	s_wait_alu 0xfffe
	s_or_b32 exec_lo, exec_lo, s0
	v_and_b32_e32 v34, s1, v75
	; wave barrier
	s_delay_alu instid0(VALU_DEP_1) | instskip(NEXT) | instid1(VALU_DEP_1)
	v_and_b32_e32 v34, 0xff, v34
	v_add_co_u32 v35, s0, v34, -1
	s_wait_alu 0xf1ff
	v_cndmask_b32_e64 v36, 0, 1, s0
	v_lshlrev_b32_e32 v34, 5, v34
	s_delay_alu instid0(VALU_DEP_2) | instskip(NEXT) | instid1(VALU_DEP_2)
	v_cmp_ne_u32_e32 vcc_lo, 0, v36
	v_add_nc_u32_e32 v98, v33, v34
	s_wait_alu 0xfffd
	v_xor_b32_e32 v33, vcc_lo, v35
	ds_load_b32 v95, v98 offset:32
	; wave barrier
	v_and_b32_e32 v33, exec_lo, v33
	s_delay_alu instid0(VALU_DEP_1) | instskip(SKIP_1) | instid1(VALU_DEP_2)
	v_mbcnt_lo_u32_b32 v96, v33, 0
	v_cmp_ne_u32_e64 s0, 0, v33
	v_cmp_eq_u32_e32 vcc_lo, 0, v96
	s_and_b32 s1, s0, vcc_lo
	s_wait_alu 0xfffe
	s_and_saveexec_b32 s0, s1
	s_cbranch_execz .LBB276_60
; %bb.59:
	s_wait_dscnt 0x0
	v_bcnt_u32_b32 v33, v33, v95
	ds_store_b32 v98, v33 offset:32
.LBB276_60:
	s_wait_alu 0xfffe
	s_or_b32 exec_lo, exec_lo, s0
	; wave barrier
	s_wait_loadcnt_dscnt 0x0
	s_barrier_signal -1
	s_barrier_wait -1
	global_inv scope:SCOPE_SE
	ds_load_b128 v[37:40], v64 offset:32
	ds_load_b128 v[33:36], v64 offset:48
	v_min_u32_e32 v101, 0xe0, v66
	s_mov_b32 s0, exec_lo
	s_wait_dscnt 0x1
	v_add_nc_u32_e32 v99, v38, v37
	s_delay_alu instid0(VALU_DEP_1) | instskip(SKIP_1) | instid1(VALU_DEP_1)
	v_add3_u32 v99, v99, v39, v40
	s_wait_dscnt 0x0
	v_add3_u32 v99, v99, v33, v34
	s_delay_alu instid0(VALU_DEP_1) | instskip(SKIP_1) | instid1(VALU_DEP_2)
	v_add3_u32 v36, v99, v35, v36
	v_and_b32_e32 v99, 15, v65
	v_mov_b32_dpp v100, v36 row_shr:1 row_mask:0xf bank_mask:0xf
	s_delay_alu instid0(VALU_DEP_2) | instskip(SKIP_1) | instid1(VALU_DEP_2)
	v_cmp_ne_u32_e32 vcc_lo, 0, v99
	s_wait_alu 0xfffd
	v_cndmask_b32_e32 v100, 0, v100, vcc_lo
	v_cmp_lt_u32_e32 vcc_lo, 1, v99
	s_delay_alu instid0(VALU_DEP_2) | instskip(NEXT) | instid1(VALU_DEP_1)
	v_add_nc_u32_e32 v36, v100, v36
	v_mov_b32_dpp v100, v36 row_shr:2 row_mask:0xf bank_mask:0xf
	s_wait_alu 0xfffd
	s_delay_alu instid0(VALU_DEP_1) | instskip(SKIP_1) | instid1(VALU_DEP_2)
	v_cndmask_b32_e32 v100, 0, v100, vcc_lo
	v_cmp_lt_u32_e32 vcc_lo, 3, v99
	v_add_nc_u32_e32 v36, v36, v100
	s_delay_alu instid0(VALU_DEP_1) | instskip(SKIP_1) | instid1(VALU_DEP_1)
	v_mov_b32_dpp v100, v36 row_shr:4 row_mask:0xf bank_mask:0xf
	s_wait_alu 0xfffd
	v_cndmask_b32_e32 v100, 0, v100, vcc_lo
	v_cmp_lt_u32_e32 vcc_lo, 7, v99
	s_delay_alu instid0(VALU_DEP_2) | instskip(NEXT) | instid1(VALU_DEP_1)
	v_add_nc_u32_e32 v36, v36, v100
	v_mov_b32_dpp v100, v36 row_shr:8 row_mask:0xf bank_mask:0xf
	s_wait_alu 0xfffd
	s_delay_alu instid0(VALU_DEP_1) | instskip(SKIP_1) | instid1(VALU_DEP_2)
	v_cndmask_b32_e32 v99, 0, v100, vcc_lo
	v_bfe_i32 v100, v65, 4, 1
	v_add_nc_u32_e32 v36, v36, v99
	ds_swizzle_b32 v99, v36 offset:swizzle(BROADCAST,32,15)
	s_wait_dscnt 0x0
	v_and_b32_e32 v99, v100, v99
	v_or_b32_e32 v100, 31, v101
	s_delay_alu instid0(VALU_DEP_2) | instskip(NEXT) | instid1(VALU_DEP_2)
	v_add_nc_u32_e32 v36, v36, v99
	v_cmpx_eq_u32_e64 v41, v100
; %bb.61:
	v_lshlrev_b32_e32 v99, 2, v63
	ds_store_b32 v99, v36
; %bb.62:
	s_wait_alu 0xfffe
	s_or_b32 exec_lo, exec_lo, s0
	s_delay_alu instid0(SALU_CYCLE_1)
	s_mov_b32 s0, exec_lo
	s_wait_loadcnt_dscnt 0x0
	s_barrier_signal -1
	s_barrier_wait -1
	global_inv scope:SCOPE_SE
	v_cmpx_gt_u32_e32 8, v41
	s_cbranch_execz .LBB276_64
; %bb.63:
	v_and_b32_e32 v101, 7, v65
	s_delay_alu instid0(VALU_DEP_1)
	v_cmp_ne_u32_e32 vcc_lo, 0, v101
	v_lshlrev_b32_e32 v99, 2, v41
	ds_load_b32 v100, v99
	s_wait_dscnt 0x0
	v_mov_b32_dpp v102, v100 row_shr:1 row_mask:0xf bank_mask:0xf
	s_wait_alu 0xfffd
	s_delay_alu instid0(VALU_DEP_1) | instskip(SKIP_1) | instid1(VALU_DEP_2)
	v_cndmask_b32_e32 v102, 0, v102, vcc_lo
	v_cmp_lt_u32_e32 vcc_lo, 1, v101
	v_add_nc_u32_e32 v100, v102, v100
	s_delay_alu instid0(VALU_DEP_1) | instskip(SKIP_1) | instid1(VALU_DEP_1)
	v_mov_b32_dpp v102, v100 row_shr:2 row_mask:0xf bank_mask:0xf
	s_wait_alu 0xfffd
	v_cndmask_b32_e32 v102, 0, v102, vcc_lo
	v_cmp_lt_u32_e32 vcc_lo, 3, v101
	s_delay_alu instid0(VALU_DEP_2) | instskip(NEXT) | instid1(VALU_DEP_1)
	v_add_nc_u32_e32 v100, v100, v102
	v_mov_b32_dpp v102, v100 row_shr:4 row_mask:0xf bank_mask:0xf
	s_wait_alu 0xfffd
	s_delay_alu instid0(VALU_DEP_1) | instskip(NEXT) | instid1(VALU_DEP_1)
	v_cndmask_b32_e32 v101, 0, v102, vcc_lo
	v_add_nc_u32_e32 v100, v100, v101
	ds_store_b32 v99, v100
.LBB276_64:
	s_wait_alu 0xfffe
	s_or_b32 exec_lo, exec_lo, s0
	v_mov_b32_e32 v99, 0
	s_mov_b32 s0, exec_lo
	s_wait_loadcnt_dscnt 0x0
	s_barrier_signal -1
	s_barrier_wait -1
	global_inv scope:SCOPE_SE
	v_cmpx_lt_u32_e32 31, v41
; %bb.65:
	v_lshl_add_u32 v99, v63, 2, -4
	ds_load_b32 v99, v99
; %bb.66:
	s_wait_alu 0xfffe
	s_or_b32 exec_lo, exec_lo, s0
	v_sub_co_u32 v100, vcc_lo, v65, 1
	s_wait_dscnt 0x0
	v_add_nc_u32_e32 v36, v99, v36
	s_delay_alu instid0(VALU_DEP_2) | instskip(SKIP_1) | instid1(VALU_DEP_1)
	v_cmp_gt_i32_e64 s0, 0, v100
	s_wait_alu 0xf1ff
	v_cndmask_b32_e64 v100, v100, v65, s0
	s_delay_alu instid0(VALU_DEP_1)
	v_lshlrev_b32_e32 v100, 2, v100
	ds_bpermute_b32 v36, v100, v36
	s_wait_dscnt 0x0
	s_wait_alu 0xfffd
	v_cndmask_b32_e32 v36, v36, v99, vcc_lo
	v_cmp_ne_u32_e32 vcc_lo, 0, v41
	s_wait_alu 0xfffd
	s_delay_alu instid0(VALU_DEP_2) | instskip(NEXT) | instid1(VALU_DEP_1)
	v_cndmask_b32_e32 v36, 0, v36, vcc_lo
	v_add_nc_u32_e32 v37, v36, v37
	s_delay_alu instid0(VALU_DEP_1) | instskip(NEXT) | instid1(VALU_DEP_1)
	v_add_nc_u32_e32 v38, v37, v38
	v_add_nc_u32_e32 v39, v38, v39
	s_delay_alu instid0(VALU_DEP_1) | instskip(NEXT) | instid1(VALU_DEP_1)
	v_add_nc_u32_e32 v99, v39, v40
	v_add_nc_u32_e32 v100, v99, v33
	s_delay_alu instid0(VALU_DEP_1) | instskip(NEXT) | instid1(VALU_DEP_1)
	v_add_nc_u32_e32 v101, v100, v34
	v_add_nc_u32_e32 v102, v101, v35
	ds_store_b128 v64, v[36:39] offset:32
	ds_store_b128 v64, v[99:102] offset:48
	s_wait_loadcnt_dscnt 0x0
	s_barrier_signal -1
	s_barrier_wait -1
	global_inv scope:SCOPE_SE
	ds_load_b32 v33, v79 offset:32
	ds_load_b32 v34, v82 offset:32
	;; [unrolled: 1-line block ×8, first 2 shown]
	v_mad_u32_u24 v79, v41, 56, v61
	s_wait_loadcnt_dscnt 0x0
	s_barrier_signal -1
	s_barrier_wait -1
	global_inv scope:SCOPE_SE
	v_add_nc_u32_e32 v76, v33, v76
	v_add3_u32 v77, v78, v77, v34
	v_add3_u32 v35, v81, v80, v35
	;; [unrolled: 1-line block ×7, first 2 shown]
	ds_store_b8 v76, v0
	ds_store_b8 v77, v69
	ds_store_b8 v35, v70
	ds_store_b8 v36, v71
	ds_store_b8 v37, v72
	ds_store_b8 v38, v73
	ds_store_b8 v39, v74
	ds_store_b8 v40, v75
	v_lshlrev_b32_e32 v0, 3, v76
	v_lshlrev_b32_e32 v69, 3, v77
	;; [unrolled: 1-line block ×5, first 2 shown]
	s_wait_loadcnt_dscnt 0x0
	s_barrier_signal -1
	s_barrier_wait -1
	global_inv scope:SCOPE_SE
	ds_load_b64 v[33:34], v61
	s_wait_loadcnt_dscnt 0x0
	s_barrier_signal -1
	s_barrier_wait -1
	global_inv scope:SCOPE_SE
	v_lshlrev_b32_e32 v38, 3, v38
	v_lshlrev_b32_e32 v39, 3, v39
	;; [unrolled: 1-line block ×3, first 2 shown]
	ds_store_b64 v0, v[29:30]
	ds_store_b64 v69, v[31:32]
	;; [unrolled: 1-line block ×8, first 2 shown]
	s_wait_loadcnt_dscnt 0x0
	s_barrier_signal -1
	s_barrier_wait -1
	global_inv scope:SCOPE_SE
	ds_load_b128 v[29:32], v79
	ds_load_b128 v[25:28], v79 offset:16
	ds_load_b128 v[21:24], v79 offset:32
	;; [unrolled: 1-line block ×3, first 2 shown]
	s_branch .LBB276_98
.LBB276_67:
	s_wait_kmcnt 0x0
	v_mad_co_u64_u32 v[2:3], null, s10, v41, 0
	v_dual_mov_b32 v14, v1 :: v_dual_mov_b32 v15, v1
	v_mov_b32_e32 v16, v1
	v_dual_mov_b32 v6, v1 :: v_dual_mov_b32 v7, v1
	v_dual_mov_b32 v8, v1 :: v_dual_mov_b32 v9, v1
	v_mad_co_u64_u32 v[3:4], null, s11, v41, v[3:4]
	v_dual_mov_b32 v4, v1 :: v_dual_mov_b32 v5, v1
	v_dual_mov_b32 v10, v1 :: v_dual_mov_b32 v13, v1
	s_delay_alu instid0(VALU_DEP_3) | instskip(NEXT) | instid1(VALU_DEP_1)
	v_lshlrev_b64_e32 v[2:3], 3, v[2:3]
	v_add_co_u32 v2, vcc_lo, s16, v2
	s_delay_alu instid0(VALU_DEP_1)
	v_add_co_ci_u32_e64 v3, null, s17, v3, vcc_lo
	global_load_b64 v[11:12], v[2:3], off
	v_dual_mov_b32 v2, v1 :: v_dual_mov_b32 v3, v1
	s_or_b32 exec_lo, exec_lo, s0
	s_and_saveexec_b32 s0, s3
	s_cbranch_execz .LBB276_36
.LBB276_68:
	s_wait_kmcnt 0x0
	v_mad_co_u64_u32 v[1:2], null, s10, v23, 0
	s_delay_alu instid0(VALU_DEP_1) | instskip(NEXT) | instid1(VALU_DEP_1)
	v_mad_co_u64_u32 v[32:33], null, s11, v23, v[2:3]
	v_mov_b32_e32 v2, v32
	s_delay_alu instid0(VALU_DEP_1) | instskip(NEXT) | instid1(VALU_DEP_1)
	v_lshlrev_b64_e32 v[1:2], 3, v[1:2]
	v_add_co_u32 v1, vcc_lo, s16, v1
	s_wait_alu 0xfffd
	s_delay_alu instid0(VALU_DEP_2)
	v_add_co_ci_u32_e64 v2, null, s17, v2, vcc_lo
	global_load_b64 v[1:2], v[1:2], off
	s_or_b32 exec_lo, exec_lo, s0
	s_and_saveexec_b32 s0, s4
	s_cbranch_execz .LBB276_37
.LBB276_69:
	s_wait_kmcnt 0x0
	v_mad_co_u64_u32 v[13:14], null, s10, v22, 0
	s_delay_alu instid0(VALU_DEP_1) | instskip(NEXT) | instid1(VALU_DEP_1)
	v_mad_co_u64_u32 v[22:23], null, s11, v22, v[14:15]
	v_mov_b32_e32 v14, v22
	s_delay_alu instid0(VALU_DEP_1) | instskip(NEXT) | instid1(VALU_DEP_1)
	v_lshlrev_b64_e32 v[13:14], 3, v[13:14]
	v_add_co_u32 v13, vcc_lo, s16, v13
	s_wait_alu 0xfffd
	s_delay_alu instid0(VALU_DEP_2)
	v_add_co_ci_u32_e64 v14, null, s17, v14, vcc_lo
	global_load_b64 v[13:14], v[13:14], off
	s_or_b32 exec_lo, exec_lo, s0
	s_and_saveexec_b32 s0, s5
	s_cbranch_execz .LBB276_38
.LBB276_70:
	s_wait_kmcnt 0x0
	v_mad_co_u64_u32 v[15:16], null, s10, v21, 0
	s_delay_alu instid0(VALU_DEP_1) | instskip(NEXT) | instid1(VALU_DEP_1)
	v_mad_co_u64_u32 v[21:22], null, s11, v21, v[16:17]
	v_mov_b32_e32 v16, v21
	s_delay_alu instid0(VALU_DEP_1) | instskip(NEXT) | instid1(VALU_DEP_1)
	v_lshlrev_b64_e32 v[15:16], 3, v[15:16]
	v_add_co_u32 v15, vcc_lo, s16, v15
	s_wait_alu 0xfffd
	s_delay_alu instid0(VALU_DEP_2)
	v_add_co_ci_u32_e64 v16, null, s17, v16, vcc_lo
	global_load_b64 v[15:16], v[15:16], off
	s_or_b32 exec_lo, exec_lo, s0
	s_and_saveexec_b32 s0, s6
	s_cbranch_execz .LBB276_39
.LBB276_71:
	s_wait_kmcnt 0x0
	v_mad_co_u64_u32 v[3:4], null, s10, v20, 0
	s_delay_alu instid0(VALU_DEP_1) | instskip(NEXT) | instid1(VALU_DEP_1)
	v_mad_co_u64_u32 v[20:21], null, s11, v20, v[4:5]
	v_mov_b32_e32 v4, v20
	s_delay_alu instid0(VALU_DEP_1) | instskip(NEXT) | instid1(VALU_DEP_1)
	v_lshlrev_b64_e32 v[3:4], 3, v[3:4]
	v_add_co_u32 v3, vcc_lo, s16, v3
	s_wait_alu 0xfffd
	s_delay_alu instid0(VALU_DEP_2)
	v_add_co_ci_u32_e64 v4, null, s17, v4, vcc_lo
	global_load_b64 v[3:4], v[3:4], off
	s_or_b32 exec_lo, exec_lo, s0
	s_and_saveexec_b32 s0, s7
	s_cbranch_execz .LBB276_40
.LBB276_72:
	s_wait_kmcnt 0x0
	v_mad_co_u64_u32 v[5:6], null, s10, v19, 0
	s_delay_alu instid0(VALU_DEP_1) | instskip(NEXT) | instid1(VALU_DEP_1)
	v_mad_co_u64_u32 v[19:20], null, s11, v19, v[6:7]
	v_mov_b32_e32 v6, v19
	s_delay_alu instid0(VALU_DEP_1) | instskip(NEXT) | instid1(VALU_DEP_1)
	v_lshlrev_b64_e32 v[5:6], 3, v[5:6]
	v_add_co_u32 v5, vcc_lo, s16, v5
	s_wait_alu 0xfffd
	s_delay_alu instid0(VALU_DEP_2)
	v_add_co_ci_u32_e64 v6, null, s17, v6, vcc_lo
	global_load_b64 v[5:6], v[5:6], off
	s_or_b32 exec_lo, exec_lo, s0
	s_and_saveexec_b32 s0, s8
	s_cbranch_execz .LBB276_41
.LBB276_73:
	s_wait_kmcnt 0x0
	v_mad_co_u64_u32 v[7:8], null, s10, v17, 0
	s_delay_alu instid0(VALU_DEP_1) | instskip(NEXT) | instid1(VALU_DEP_1)
	v_mad_co_u64_u32 v[19:20], null, s11, v17, v[8:9]
	v_mov_b32_e32 v8, v19
	s_delay_alu instid0(VALU_DEP_1) | instskip(NEXT) | instid1(VALU_DEP_1)
	v_lshlrev_b64_e32 v[7:8], 3, v[7:8]
	v_add_co_u32 v7, vcc_lo, s16, v7
	s_wait_alu 0xfffd
	s_delay_alu instid0(VALU_DEP_2)
	v_add_co_ci_u32_e64 v8, null, s17, v8, vcc_lo
	global_load_b64 v[7:8], v[7:8], off
	s_or_b32 exec_lo, exec_lo, s0
	s_and_saveexec_b32 s0, s9
	s_cbranch_execnz .LBB276_42
	s_branch .LBB276_43
.LBB276_74:
                                        ; implicit-def: $vgpr19_vgpr20
                                        ; implicit-def: $vgpr23_vgpr24
                                        ; implicit-def: $vgpr27_vgpr28
                                        ; implicit-def: $vgpr31_vgpr32
                                        ; implicit-def: $vgpr34
	s_cbranch_execz .LBB276_98
; %bb.75:
	v_lshrrev_b16 v0, 8, v42
	s_wait_dscnt 0x0
	v_lshrrev_b32_e32 v17, 24, v42
	s_mov_b32 s20, 0
	v_lshrrev_b32_e32 v18, 16, v42
	s_mov_b32 s21, s20
	s_mov_b32 s22, s20
	s_mov_b32 s23, s20
	v_and_b32_e32 v0, 1, v0
	v_and_b32_e32 v17, 1, v17
	v_lshrrev_b32_e32 v19, 24, v43
	v_lshrrev_b16 v21, 8, v43
	v_and_b32_e32 v22, 1, v42
	v_cmp_eq_u32_e32 vcc_lo, 1, v0
	v_cmp_ne_u32_e64 s0, 1, v17
	v_and_b32_e32 v0, 1, v18
	v_lshrrev_b32_e32 v20, 16, v43
	v_and_b32_e32 v18, 1, v21
	v_and_b32_e32 v19, 1, v19
	v_cndmask_b32_e64 v17, 0, 1, s0
	s_xor_b32 s0, vcc_lo, -1
	v_cmp_ne_u32_e32 vcc_lo, 1, v0
	s_wait_alu 0xfffe
	v_cndmask_b32_e64 v21, 0, 1, s0
	v_cmp_ne_u32_e64 s0, 1, v22
	v_and_b32_e32 v20, 1, v20
	v_and_b32_e32 v23, 1, v43
	s_wait_alu 0xfffd
	v_cndmask_b32_e64 v0, 0, 1, vcc_lo
	v_cmp_eq_u32_e32 vcc_lo, 1, v18
	s_wait_alu 0xf1ff
	v_cndmask_b32_e64 v18, 0, 1, s0
	v_cmp_ne_u32_e64 s0, 1, v19
	v_lshlrev_b16 v17, 8, v17
	v_lshlrev_b16 v21, 8, v21
	s_wait_alu 0xf1ff
	s_delay_alu instid0(VALU_DEP_3)
	v_cndmask_b32_e64 v19, 0, 1, s0
	s_xor_b32 s0, vcc_lo, -1
	v_cmp_ne_u32_e32 vcc_lo, 1, v20
	s_wait_alu 0xfffe
	v_cndmask_b32_e64 v22, 0, 1, s0
	v_or_b32_e32 v0, v0, v17
	v_lshlrev_b16 v19, 8, v19
	v_or_b32_e32 v17, v18, v21
	s_wait_alu 0xfffd
	v_cndmask_b32_e64 v20, 0, 1, vcc_lo
	v_cmp_ne_u32_e32 vcc_lo, 1, v23
	v_lshlrev_b16 v22, 8, v22
	s_getpc_b64 s[0:1]
	s_wait_alu 0xfffe
	s_sext_i32_i16 s1, s1
	s_add_co_u32 s0, s0, _ZN7rocprim17ROCPRIM_400000_NS16block_radix_sortIbLj256ELj8ElLj1ELj1ELj0ELNS0_26block_radix_rank_algorithmE1ELNS0_18block_padding_hintE2ELNS0_4arch9wavefront6targetE0EE19radix_bits_per_passE@rel32@lo+12
	s_wait_alu 0xfffe
	s_add_co_ci_u32 s1, s1, _ZN7rocprim17ROCPRIM_400000_NS16block_radix_sortIbLj256ELj8ElLj1ELj1ELj0ELNS0_26block_radix_rank_algorithmE1ELNS0_18block_padding_hintE2ELNS0_4arch9wavefront6targetE0EE19radix_bits_per_passE@rel32@hi+24
	v_lshlrev_b32_e32 v0, 16, v0
	v_or_b32_e32 v18, v20, v19
	s_wait_alu 0xfffd
	v_cndmask_b32_e64 v23, 0, 1, vcc_lo
	s_load_b32 s0, s[0:1], 0x0
	v_or_b32_e32 v20, v65, v66
	v_and_b32_e32 v17, 0xffff, v17
	v_lshlrev_b32_e32 v18, 16, v18
	v_or_b32_e32 v19, v23, v22
	s_delay_alu instid0(VALU_DEP_4) | instskip(NEXT) | instid1(VALU_DEP_4)
	v_lshlrev_b32_e32 v21, 3, v20
	v_or_b32_e32 v17, v17, v0
	v_and_or_b32 v0, 0x1f00, v61, v65
	s_delay_alu instid0(VALU_DEP_4) | instskip(NEXT) | instid1(VALU_DEP_1)
	v_and_b32_e32 v19, 0xffff, v19
	v_or_b32_e32 v18, v19, v18
	ds_store_b64 v21, v[17:18]
	; wave barrier
	ds_load_u8 v24, v0
	ds_load_u8 v25, v0 offset:32
	ds_load_u8 v26, v0 offset:64
	;; [unrolled: 1-line block ×7, first 2 shown]
	v_mad_u32_u24 v17, v20, 56, v21
	v_mad_u32_u24 v0, v0, 7, v0
	s_wait_loadcnt_dscnt 0x0
	s_barrier_signal -1
	s_barrier_wait -1
	global_inv scope:SCOPE_SE
	ds_store_b128 v17, v[13:16]
	ds_store_b128 v17, v[9:12] offset:16
	ds_store_b128 v17, v[5:8] offset:32
	;; [unrolled: 1-line block ×3, first 2 shown]
	; wave barrier
	ds_load_2addr_b64 v[12:15], v0 offset1:32
	ds_load_2addr_b64 v[8:11], v0 offset0:64 offset1:96
	ds_load_2addr_b64 v[4:7], v0 offset0:128 offset1:160
	;; [unrolled: 1-line block ×3, first 2 shown]
	s_wait_loadcnt_dscnt 0x0
	s_barrier_signal -1
	s_barrier_wait -1
	global_inv scope:SCOPE_SE
	s_load_b32 s18, s[18:19], 0xc
	s_wait_kmcnt 0x0
	s_min_u32 s0, s0, 8
	s_wait_alu 0xfffe
	s_lshl_b32 s0, -1, s0
	s_wait_alu 0xfffe
	s_not_b32 s1, s0
	s_wait_alu 0xfffe
	v_and_b32_e32 v16, s1, v24
	s_delay_alu instid0(VALU_DEP_1) | instskip(NEXT) | instid1(VALU_DEP_1)
	v_and_b32_e32 v22, 1, v16
	v_add_co_u32 v18, s19, v22, -1
	s_wait_alu 0xf1ff
	v_cndmask_b32_e64 v16, 0, 1, s19
	s_lshr_b32 s0, s18, 16
	s_wait_alu 0xfffe
	v_mad_u32_u24 v17, v68, s0, v67
	s_and_b32 s0, s18, 0xffff
	v_cmp_ne_u32_e32 vcc_lo, 0, v16
	s_wait_alu 0xfffe
	s_delay_alu instid0(VALU_DEP_2) | instskip(SKIP_4) | instid1(VALU_DEP_3)
	v_mad_co_u64_u32 v[16:17], null, v17, s0, v[41:42]
	s_wait_alu 0xfffd
	v_xor_b32_e32 v17, vcc_lo, v18
	v_dual_mov_b32 v18, s20 :: v_dual_mov_b32 v19, s21
	v_dual_mov_b32 v20, s22 :: v_dual_mov_b32 v21, s23
	v_and_b32_e32 v17, exec_lo, v17
	v_lshrrev_b32_e32 v16, 3, v16
	ds_store_b128 v64, v[18:21] offset:32
	ds_store_b128 v64, v[18:21] offset:48
	v_mbcnt_lo_u32_b32 v32, v17, 0
	v_and_b32_e32 v16, 0x1ffffffc, v16
	v_lshlrev_b32_e32 v18, 5, v22
	v_cmp_ne_u32_e64 s0, 0, v17
	s_wait_loadcnt_dscnt 0x0
	v_cmp_eq_u32_e32 vcc_lo, 0, v32
	s_barrier_signal -1
	v_add_nc_u32_e32 v35, v16, v18
	s_barrier_wait -1
	global_inv scope:SCOPE_SE
	s_and_b32 s18, s0, vcc_lo
	; wave barrier
	s_wait_alu 0xfffe
	s_and_saveexec_b32 s0, s18
; %bb.76:
	v_bcnt_u32_b32 v17, v17, 0
	ds_store_b32 v35, v17 offset:32
; %bb.77:
	s_wait_alu 0xfffe
	s_or_b32 exec_lo, exec_lo, s0
	v_and_b32_e32 v17, s1, v25
	; wave barrier
	s_delay_alu instid0(VALU_DEP_1) | instskip(NEXT) | instid1(VALU_DEP_1)
	v_and_b32_e32 v17, 0xff, v17
	v_add_co_u32 v18, s0, v17, -1
	s_wait_alu 0xf1ff
	v_cndmask_b32_e64 v19, 0, 1, s0
	v_lshlrev_b32_e32 v17, 5, v17
	s_delay_alu instid0(VALU_DEP_2) | instskip(NEXT) | instid1(VALU_DEP_2)
	v_cmp_ne_u32_e32 vcc_lo, 0, v19
	v_add_nc_u32_e32 v37, v16, v17
	s_wait_alu 0xfffd
	v_xor_b32_e32 v17, vcc_lo, v18
	ds_load_b32 v33, v37 offset:32
	; wave barrier
	v_and_b32_e32 v17, exec_lo, v17
	s_delay_alu instid0(VALU_DEP_1) | instskip(SKIP_1) | instid1(VALU_DEP_2)
	v_mbcnt_lo_u32_b32 v34, v17, 0
	v_cmp_ne_u32_e64 s0, 0, v17
	v_cmp_eq_u32_e32 vcc_lo, 0, v34
	s_and_b32 s18, s0, vcc_lo
	s_wait_alu 0xfffe
	s_and_saveexec_b32 s0, s18
	s_cbranch_execz .LBB276_79
; %bb.78:
	s_wait_dscnt 0x0
	v_bcnt_u32_b32 v17, v17, v33
	ds_store_b32 v37, v17 offset:32
.LBB276_79:
	s_wait_alu 0xfffe
	s_or_b32 exec_lo, exec_lo, s0
	v_and_b32_e32 v17, s1, v26
	; wave barrier
	s_delay_alu instid0(VALU_DEP_1) | instskip(NEXT) | instid1(VALU_DEP_1)
	v_and_b32_e32 v17, 0xff, v17
	v_add_co_u32 v18, s0, v17, -1
	s_wait_alu 0xf1ff
	v_cndmask_b32_e64 v19, 0, 1, s0
	v_lshlrev_b32_e32 v17, 5, v17
	s_delay_alu instid0(VALU_DEP_2) | instskip(NEXT) | instid1(VALU_DEP_2)
	v_cmp_ne_u32_e32 vcc_lo, 0, v19
	v_add_nc_u32_e32 v39, v16, v17
	s_wait_alu 0xfffd
	v_xor_b32_e32 v17, vcc_lo, v18
	ds_load_b32 v36, v39 offset:32
	; wave barrier
	v_and_b32_e32 v17, exec_lo, v17
	s_delay_alu instid0(VALU_DEP_1) | instskip(SKIP_1) | instid1(VALU_DEP_2)
	v_mbcnt_lo_u32_b32 v38, v17, 0
	v_cmp_ne_u32_e64 s0, 0, v17
	v_cmp_eq_u32_e32 vcc_lo, 0, v38
	s_and_b32 s18, s0, vcc_lo
	s_wait_alu 0xfffe
	s_and_saveexec_b32 s0, s18
	s_cbranch_execz .LBB276_81
; %bb.80:
	s_wait_dscnt 0x0
	v_bcnt_u32_b32 v17, v17, v36
	ds_store_b32 v39, v17 offset:32
.LBB276_81:
	;; [unrolled: 31-line block ×7, first 2 shown]
	s_wait_alu 0xfffe
	s_or_b32 exec_lo, exec_lo, s0
	; wave barrier
	s_wait_loadcnt_dscnt 0x0
	s_barrier_signal -1
	s_barrier_wait -1
	global_inv scope:SCOPE_SE
	ds_load_b128 v[20:23], v64 offset:32
	ds_load_b128 v[16:19], v64 offset:48
	v_min_u32_e32 v66, 0xe0, v66
	s_mov_b32 s0, exec_lo
	s_delay_alu instid0(VALU_DEP_1) | instskip(SKIP_2) | instid1(VALU_DEP_1)
	v_or_b32_e32 v66, 31, v66
	s_wait_dscnt 0x1
	v_add_nc_u32_e32 v79, v21, v20
	v_add3_u32 v79, v79, v22, v23
	s_wait_dscnt 0x0
	s_delay_alu instid0(VALU_DEP_1) | instskip(NEXT) | instid1(VALU_DEP_1)
	v_add3_u32 v79, v79, v16, v17
	v_add3_u32 v19, v79, v18, v19
	s_delay_alu instid0(VALU_DEP_1) | instskip(SKIP_1) | instid1(VALU_DEP_1)
	v_mov_b32_dpp v80, v19 row_shr:1 row_mask:0xf bank_mask:0xf
	v_and_b32_e32 v79, 15, v65
	v_cmp_ne_u32_e32 vcc_lo, 0, v79
	s_wait_alu 0xfffd
	s_delay_alu instid0(VALU_DEP_3) | instskip(SKIP_1) | instid1(VALU_DEP_2)
	v_cndmask_b32_e32 v80, 0, v80, vcc_lo
	v_cmp_lt_u32_e32 vcc_lo, 1, v79
	v_add_nc_u32_e32 v19, v80, v19
	s_delay_alu instid0(VALU_DEP_1) | instskip(SKIP_1) | instid1(VALU_DEP_1)
	v_mov_b32_dpp v80, v19 row_shr:2 row_mask:0xf bank_mask:0xf
	s_wait_alu 0xfffd
	v_cndmask_b32_e32 v80, 0, v80, vcc_lo
	v_cmp_lt_u32_e32 vcc_lo, 3, v79
	s_delay_alu instid0(VALU_DEP_2) | instskip(NEXT) | instid1(VALU_DEP_1)
	v_add_nc_u32_e32 v19, v19, v80
	v_mov_b32_dpp v80, v19 row_shr:4 row_mask:0xf bank_mask:0xf
	s_wait_alu 0xfffd
	s_delay_alu instid0(VALU_DEP_1) | instskip(SKIP_1) | instid1(VALU_DEP_2)
	v_cndmask_b32_e32 v80, 0, v80, vcc_lo
	v_cmp_lt_u32_e32 vcc_lo, 7, v79
	v_add_nc_u32_e32 v19, v19, v80
	s_delay_alu instid0(VALU_DEP_1) | instskip(SKIP_1) | instid1(VALU_DEP_1)
	v_mov_b32_dpp v80, v19 row_shr:8 row_mask:0xf bank_mask:0xf
	s_wait_alu 0xfffd
	v_cndmask_b32_e32 v79, 0, v80, vcc_lo
	v_bfe_i32 v80, v65, 4, 1
	s_delay_alu instid0(VALU_DEP_2) | instskip(SKIP_3) | instid1(VALU_DEP_1)
	v_add_nc_u32_e32 v19, v19, v79
	ds_swizzle_b32 v79, v19 offset:swizzle(BROADCAST,32,15)
	s_wait_dscnt 0x0
	v_and_b32_e32 v79, v80, v79
	v_add_nc_u32_e32 v19, v19, v79
	v_cmpx_eq_u32_e64 v41, v66
; %bb.92:
	v_lshlrev_b32_e32 v66, 2, v63
	ds_store_b32 v66, v19
; %bb.93:
	s_wait_alu 0xfffe
	s_or_b32 exec_lo, exec_lo, s0
	s_delay_alu instid0(SALU_CYCLE_1)
	s_mov_b32 s0, exec_lo
	s_wait_loadcnt_dscnt 0x0
	s_barrier_signal -1
	s_barrier_wait -1
	global_inv scope:SCOPE_SE
	v_cmpx_gt_u32_e32 8, v41
	s_cbranch_execz .LBB276_95
; %bb.94:
	v_lshlrev_b32_e32 v66, 2, v41
	v_and_b32_e32 v80, 7, v65
	ds_load_b32 v79, v66
	v_cmp_ne_u32_e32 vcc_lo, 0, v80
	s_wait_dscnt 0x0
	v_mov_b32_dpp v81, v79 row_shr:1 row_mask:0xf bank_mask:0xf
	s_wait_alu 0xfffd
	s_delay_alu instid0(VALU_DEP_1) | instskip(SKIP_1) | instid1(VALU_DEP_2)
	v_cndmask_b32_e32 v81, 0, v81, vcc_lo
	v_cmp_lt_u32_e32 vcc_lo, 1, v80
	v_add_nc_u32_e32 v79, v81, v79
	s_delay_alu instid0(VALU_DEP_1) | instskip(SKIP_1) | instid1(VALU_DEP_1)
	v_mov_b32_dpp v81, v79 row_shr:2 row_mask:0xf bank_mask:0xf
	s_wait_alu 0xfffd
	v_cndmask_b32_e32 v81, 0, v81, vcc_lo
	v_cmp_lt_u32_e32 vcc_lo, 3, v80
	s_delay_alu instid0(VALU_DEP_2) | instskip(NEXT) | instid1(VALU_DEP_1)
	v_add_nc_u32_e32 v79, v79, v81
	v_mov_b32_dpp v81, v79 row_shr:4 row_mask:0xf bank_mask:0xf
	s_wait_alu 0xfffd
	s_delay_alu instid0(VALU_DEP_1) | instskip(NEXT) | instid1(VALU_DEP_1)
	v_cndmask_b32_e32 v80, 0, v81, vcc_lo
	v_add_nc_u32_e32 v79, v79, v80
	ds_store_b32 v66, v79
.LBB276_95:
	s_wait_alu 0xfffe
	s_or_b32 exec_lo, exec_lo, s0
	v_mov_b32_e32 v66, 0
	s_mov_b32 s0, exec_lo
	s_wait_loadcnt_dscnt 0x0
	s_barrier_signal -1
	s_barrier_wait -1
	global_inv scope:SCOPE_SE
	v_cmpx_lt_u32_e32 31, v41
; %bb.96:
	v_lshl_add_u32 v63, v63, 2, -4
	ds_load_b32 v66, v63
; %bb.97:
	s_wait_alu 0xfffe
	s_or_b32 exec_lo, exec_lo, s0
	v_sub_co_u32 v63, vcc_lo, v65, 1
	s_wait_dscnt 0x0
	v_add_nc_u32_e32 v19, v66, v19
	s_delay_alu instid0(VALU_DEP_2) | instskip(SKIP_1) | instid1(VALU_DEP_1)
	v_cmp_gt_i32_e64 s0, 0, v63
	s_wait_alu 0xf1ff
	v_cndmask_b32_e64 v63, v63, v65, s0
	s_delay_alu instid0(VALU_DEP_1)
	v_lshlrev_b32_e32 v63, 2, v63
	ds_bpermute_b32 v19, v63, v19
	s_wait_dscnt 0x0
	s_wait_alu 0xfffd
	v_cndmask_b32_e32 v19, v19, v66, vcc_lo
	v_cmp_ne_u32_e32 vcc_lo, 0, v41
	s_wait_alu 0xfffd
	s_delay_alu instid0(VALU_DEP_2) | instskip(NEXT) | instid1(VALU_DEP_1)
	v_cndmask_b32_e32 v19, 0, v19, vcc_lo
	v_add_nc_u32_e32 v20, v19, v20
	s_delay_alu instid0(VALU_DEP_1) | instskip(NEXT) | instid1(VALU_DEP_1)
	v_add_nc_u32_e32 v21, v20, v21
	v_add_nc_u32_e32 v22, v21, v22
	s_delay_alu instid0(VALU_DEP_1) | instskip(NEXT) | instid1(VALU_DEP_1)
	v_add_nc_u32_e32 v79, v22, v23
	;; [unrolled: 3-line block ×3, first 2 shown]
	v_add_nc_u32_e32 v82, v81, v18
	ds_store_b128 v64, v[19:22] offset:32
	ds_store_b128 v64, v[79:82] offset:48
	s_wait_loadcnt_dscnt 0x0
	s_barrier_signal -1
	s_barrier_wait -1
	global_inv scope:SCOPE_SE
	ds_load_b32 v16, v35 offset:32
	ds_load_b32 v17, v37 offset:32
	;; [unrolled: 1-line block ×8, first 2 shown]
	s_wait_loadcnt_dscnt 0x0
	s_barrier_signal -1
	s_barrier_wait -1
	global_inv scope:SCOPE_SE
	v_mad_u32_u24 v35, v41, 56, v61
	v_add_nc_u32_e32 v16, v16, v32
	v_add3_u32 v17, v34, v33, v17
	v_add3_u32 v18, v38, v36, v18
	;; [unrolled: 1-line block ×7, first 2 shown]
	ds_store_b8 v16, v24
	ds_store_b8 v17, v25
	;; [unrolled: 1-line block ×8, first 2 shown]
	s_wait_loadcnt_dscnt 0x0
	s_barrier_signal -1
	s_barrier_wait -1
	global_inv scope:SCOPE_SE
	ds_load_b64 v[33:34], v61
	v_lshlrev_b32_e32 v16, 3, v16
	v_lshlrev_b32_e32 v17, 3, v17
	;; [unrolled: 1-line block ×8, first 2 shown]
	s_wait_loadcnt_dscnt 0x0
	s_barrier_signal -1
	s_barrier_wait -1
	global_inv scope:SCOPE_SE
	ds_store_b64 v16, v[12:13]
	ds_store_b64 v17, v[14:15]
	;; [unrolled: 1-line block ×8, first 2 shown]
	s_wait_loadcnt_dscnt 0x0
	s_barrier_signal -1
	s_barrier_wait -1
	global_inv scope:SCOPE_SE
	ds_load_b128 v[29:32], v35
	ds_load_b128 v[25:28], v35 offset:16
	ds_load_b128 v[21:24], v35 offset:32
	;; [unrolled: 1-line block ×3, first 2 shown]
	v_lshrrev_b32_e32 v0, 16, v33
	v_lshrrev_b32_e32 v3, 16, v34
	v_and_b32_e32 v1, 0xffffff00, v33
	v_xor_b32_e32 v2, 1, v33
	v_and_b32_e32 v4, 0xffffff00, v34
	v_xor_b32_e32 v5, 1, v34
	;; [unrolled: 2-line block ×4, first 2 shown]
	v_xor_b32_e32 v1, 0x100, v1
	v_and_b32_e32 v2, 0xff, v2
	v_xor_b32_e32 v4, 0x100, v4
	v_and_b32_e32 v5, 0xff, v5
	;; [unrolled: 2-line block ×4, first 2 shown]
	v_or_b32_e32 v1, v2, v1
	v_or_b32_e32 v2, v5, v4
	;; [unrolled: 1-line block ×3, first 2 shown]
	s_delay_alu instid0(VALU_DEP_4) | instskip(NEXT) | instid1(VALU_DEP_4)
	v_or_b32_e32 v3, v3, v7
	v_and_b32_e32 v1, 0xffff, v1
	s_delay_alu instid0(VALU_DEP_4) | instskip(NEXT) | instid1(VALU_DEP_4)
	v_and_b32_e32 v2, 0xffff, v2
	v_lshlrev_b32_e32 v0, 16, v0
	s_delay_alu instid0(VALU_DEP_4) | instskip(NEXT) | instid1(VALU_DEP_2)
	v_lshlrev_b32_e32 v3, 16, v3
	v_or_b32_e32 v33, v1, v0
	s_delay_alu instid0(VALU_DEP_2)
	v_or_b32_e32 v34, v2, v3
.LBB276_98:
	s_wait_loadcnt_dscnt 0x0
	s_barrier_signal -1
	s_barrier_wait -1
	global_inv scope:SCOPE_SE
	ds_store_2addr_b32 v52, v33, v34 offset1:1
	s_wait_loadcnt_dscnt 0x0
	s_barrier_signal -1
	s_barrier_wait -1
	global_inv scope:SCOPE_SE
	ds_load_u8 v8, v45 offset:256
	ds_load_u8 v7, v46 offset:512
	;; [unrolled: 1-line block ×7, first 2 shown]
	v_mad_co_u64_u32 v[0:1], null, s12, v41, s[14:15]
	s_wait_dscnt 0x0
	s_delay_alu instid0(VALU_DEP_1) | instskip(NEXT) | instid1(VALU_DEP_1)
	v_mad_co_u64_u32 v[9:10], null, s13, v41, v[1:2]
	v_mov_b32_e32 v1, v9
	s_and_saveexec_b32 s0, s2
	s_cbranch_execnz .LBB276_117
; %bb.99:
	s_wait_alu 0xfffe
	s_or_b32 exec_lo, exec_lo, s0
	s_and_saveexec_b32 s0, s3
	s_cbranch_execnz .LBB276_118
.LBB276_100:
	s_wait_alu 0xfffe
	s_or_b32 exec_lo, exec_lo, s0
	s_and_saveexec_b32 s0, s4
	s_cbranch_execnz .LBB276_119
.LBB276_101:
	s_wait_alu 0xfffe
	s_or_b32 exec_lo, exec_lo, s0
	s_and_saveexec_b32 s0, s5
	s_cbranch_execnz .LBB276_120
.LBB276_102:
	s_wait_alu 0xfffe
	s_or_b32 exec_lo, exec_lo, s0
	s_and_saveexec_b32 s0, s6
	s_cbranch_execnz .LBB276_121
.LBB276_103:
	s_wait_alu 0xfffe
	s_or_b32 exec_lo, exec_lo, s0
	s_and_saveexec_b32 s0, s7
	s_cbranch_execnz .LBB276_122
.LBB276_104:
	s_wait_alu 0xfffe
	s_or_b32 exec_lo, exec_lo, s0
	s_and_saveexec_b32 s0, s8
	s_cbranch_execnz .LBB276_123
.LBB276_105:
	s_wait_alu 0xfffe
	s_or_b32 exec_lo, exec_lo, s0
	s_and_saveexec_b32 s0, s9
	s_cbranch_execz .LBB276_107
.LBB276_106:
	v_mad_co_u64_u32 v[0:1], null, 0x700, s12, v[0:1]
	s_delay_alu instid0(VALU_DEP_1) | instskip(NEXT) | instid1(VALU_DEP_1)
	v_mad_co_u64_u32 v[3:4], null, 0x700, s13, v[1:2]
	v_mov_b32_e32 v1, v3
	global_store_b8 v[0:1], v2, off
.LBB276_107:
	s_wait_alu 0xfffe
	s_or_b32 exec_lo, exec_lo, s0
	s_wait_kmcnt 0x0
	v_mad_co_u64_u32 v[2:3], null, s10, v41, 0
	s_wait_loadcnt 0x0
	s_wait_storecnt 0x0
	s_barrier_signal -1
	s_barrier_wait -1
	global_inv scope:SCOPE_SE
	ds_store_2addr_b64 v62, v[29:30], v[31:32] offset1:1
	ds_store_2addr_b64 v62, v[25:26], v[27:28] offset0:2 offset1:3
	ds_store_2addr_b64 v62, v[21:22], v[23:24] offset0:4 offset1:5
	;; [unrolled: 1-line block ×3, first 2 shown]
	s_wait_loadcnt_dscnt 0x0
	v_mov_b32_e32 v0, v3
	s_barrier_signal -1
	s_barrier_wait -1
	global_inv scope:SCOPE_SE
	v_mad_co_u64_u32 v[3:4], null, s11, v41, v[0:1]
	ds_load_b64 v[14:15], v54 offset:2048
	ds_load_b64 v[12:13], v55 offset:4096
	;; [unrolled: 1-line block ×7, first 2 shown]
	v_lshlrev_b64_e32 v[2:3], 3, v[2:3]
	s_delay_alu instid0(VALU_DEP_1) | instskip(SKIP_1) | instid1(VALU_DEP_2)
	v_add_co_u32 v2, vcc_lo, s16, v2
	s_wait_alu 0xfffd
	v_add_co_ci_u32_e64 v3, null, s17, v3, vcc_lo
	s_and_saveexec_b32 s0, s2
	s_cbranch_execnz .LBB276_124
; %bb.108:
	s_wait_alu 0xfffe
	s_or_b32 exec_lo, exec_lo, s0
	s_and_saveexec_b32 s0, s3
	s_cbranch_execnz .LBB276_125
.LBB276_109:
	s_wait_alu 0xfffe
	s_or_b32 exec_lo, exec_lo, s0
	s_and_saveexec_b32 s0, s4
	s_cbranch_execnz .LBB276_126
.LBB276_110:
	s_wait_alu 0xfffe
	s_or_b32 exec_lo, exec_lo, s0
	s_and_saveexec_b32 s0, s5
	s_cbranch_execnz .LBB276_127
.LBB276_111:
	s_wait_alu 0xfffe
	s_or_b32 exec_lo, exec_lo, s0
	s_and_saveexec_b32 s0, s6
	s_cbranch_execnz .LBB276_128
.LBB276_112:
	s_wait_alu 0xfffe
	s_or_b32 exec_lo, exec_lo, s0
	s_and_saveexec_b32 s0, s7
	s_cbranch_execnz .LBB276_129
.LBB276_113:
	s_wait_alu 0xfffe
	s_or_b32 exec_lo, exec_lo, s0
	s_and_saveexec_b32 s0, s8
	s_cbranch_execnz .LBB276_130
.LBB276_114:
	s_wait_alu 0xfffe
	s_or_b32 exec_lo, exec_lo, s0
	s_and_saveexec_b32 s0, s9
	s_cbranch_execz .LBB276_116
.LBB276_115:
	v_mad_co_u64_u32 v[2:3], null, 0x3800, s10, v[2:3]
	s_wait_dscnt 0x1
	s_delay_alu instid0(VALU_DEP_1)
	v_mad_co_u64_u32 v[3:4], null, 0x3800, s11, v[3:4]
	s_wait_dscnt 0x0
	global_store_b64 v[2:3], v[0:1], off
.LBB276_116:
	s_nop 0
	s_sendmsg sendmsg(MSG_DEALLOC_VGPRS)
	s_endpgm
.LBB276_117:
	ds_load_u8 v9, v44
	s_wait_dscnt 0x0
	global_store_b8 v[0:1], v9, off
	s_wait_alu 0xfffe
	s_or_b32 exec_lo, exec_lo, s0
	s_and_saveexec_b32 s0, s3
	s_cbranch_execz .LBB276_100
.LBB276_118:
	s_lshl_b64 s[14:15], s[12:13], 8
	s_wait_alu 0xfffe
	v_add_co_u32 v9, vcc_lo, v0, s14
	s_wait_alu 0xfffd
	v_add_co_ci_u32_e64 v10, null, s15, v1, vcc_lo
	global_store_b8 v[9:10], v8, off
	s_or_b32 exec_lo, exec_lo, s0
	s_and_saveexec_b32 s0, s4
	s_cbranch_execz .LBB276_101
.LBB276_119:
	s_lshl_b64 s[14:15], s[12:13], 9
	s_wait_alu 0xfffe
	v_add_co_u32 v8, vcc_lo, v0, s14
	s_wait_alu 0xfffd
	v_add_co_ci_u32_e64 v9, null, s15, v1, vcc_lo
	global_store_b8 v[8:9], v7, off
	s_or_b32 exec_lo, exec_lo, s0
	s_and_saveexec_b32 s0, s5
	s_cbranch_execz .LBB276_102
.LBB276_120:
	v_mad_co_u64_u32 v[7:8], null, 0x300, s12, v[0:1]
	s_delay_alu instid0(VALU_DEP_1)
	v_mad_co_u64_u32 v[8:9], null, 0x300, s13, v[8:9]
	global_store_b8 v[7:8], v6, off
	s_wait_alu 0xfffe
	s_or_b32 exec_lo, exec_lo, s0
	s_and_saveexec_b32 s0, s6
	s_cbranch_execz .LBB276_103
.LBB276_121:
	s_lshl_b64 s[14:15], s[12:13], 10
	s_wait_alu 0xfffe
	v_add_co_u32 v6, vcc_lo, v0, s14
	s_wait_alu 0xfffd
	v_add_co_ci_u32_e64 v7, null, s15, v1, vcc_lo
	global_store_b8 v[6:7], v5, off
	s_or_b32 exec_lo, exec_lo, s0
	s_and_saveexec_b32 s0, s7
	s_cbranch_execz .LBB276_104
.LBB276_122:
	v_mad_co_u64_u32 v[5:6], null, 0x500, s12, v[0:1]
	s_delay_alu instid0(VALU_DEP_1)
	v_mad_co_u64_u32 v[6:7], null, 0x500, s13, v[6:7]
	global_store_b8 v[5:6], v4, off
	s_wait_alu 0xfffe
	s_or_b32 exec_lo, exec_lo, s0
	s_and_saveexec_b32 s0, s8
	s_cbranch_execz .LBB276_105
.LBB276_123:
	v_mad_co_u64_u32 v[4:5], null, 0x600, s12, v[0:1]
	s_delay_alu instid0(VALU_DEP_1)
	v_mad_co_u64_u32 v[5:6], null, 0x600, s13, v[5:6]
	global_store_b8 v[4:5], v3, off
	s_wait_alu 0xfffe
	s_or_b32 exec_lo, exec_lo, s0
	s_and_saveexec_b32 s0, s9
	s_cbranch_execnz .LBB276_106
	s_branch .LBB276_107
.LBB276_124:
	ds_load_b64 v[16:17], v53
	s_wait_dscnt 0x0
	global_store_b64 v[2:3], v[16:17], off
	s_wait_alu 0xfffe
	s_or_b32 exec_lo, exec_lo, s0
	s_and_saveexec_b32 s0, s3
	s_cbranch_execz .LBB276_109
.LBB276_125:
	s_lshl_b64 s[2:3], s[10:11], 11
	s_wait_alu 0xfffe
	v_add_co_u32 v16, vcc_lo, v2, s2
	s_wait_alu 0xfffd
	v_add_co_ci_u32_e64 v17, null, s3, v3, vcc_lo
	s_wait_dscnt 0x6
	global_store_b64 v[16:17], v[14:15], off
	s_or_b32 exec_lo, exec_lo, s0
	s_and_saveexec_b32 s0, s4
	s_cbranch_execz .LBB276_110
.LBB276_126:
	s_lshl_b64 s[2:3], s[10:11], 12
	s_wait_dscnt 0x6
	s_wait_alu 0xfffe
	v_add_co_u32 v14, vcc_lo, v2, s2
	s_wait_alu 0xfffd
	v_add_co_ci_u32_e64 v15, null, s3, v3, vcc_lo
	s_wait_dscnt 0x5
	global_store_b64 v[14:15], v[12:13], off
	s_or_b32 exec_lo, exec_lo, s0
	s_and_saveexec_b32 s0, s5
	s_cbranch_execz .LBB276_111
.LBB276_127:
	s_wait_dscnt 0x5
	v_mad_co_u64_u32 v[12:13], null, 0x1800, s10, v[2:3]
	s_delay_alu instid0(VALU_DEP_1)
	v_mad_co_u64_u32 v[13:14], null, 0x1800, s11, v[13:14]
	s_wait_dscnt 0x4
	global_store_b64 v[12:13], v[10:11], off
	s_wait_alu 0xfffe
	s_or_b32 exec_lo, exec_lo, s0
	s_and_saveexec_b32 s0, s6
	s_cbranch_execz .LBB276_112
.LBB276_128:
	s_lshl_b64 s[2:3], s[10:11], 13
	s_wait_dscnt 0x4
	s_wait_alu 0xfffe
	v_add_co_u32 v10, vcc_lo, v2, s2
	s_wait_alu 0xfffd
	v_add_co_ci_u32_e64 v11, null, s3, v3, vcc_lo
	s_wait_dscnt 0x3
	global_store_b64 v[10:11], v[8:9], off
	s_or_b32 exec_lo, exec_lo, s0
	s_and_saveexec_b32 s0, s7
	s_cbranch_execz .LBB276_113
.LBB276_129:
	s_wait_dscnt 0x3
	v_mad_co_u64_u32 v[8:9], null, 0x2800, s10, v[2:3]
	s_delay_alu instid0(VALU_DEP_1)
	v_mad_co_u64_u32 v[9:10], null, 0x2800, s11, v[9:10]
	s_wait_dscnt 0x2
	global_store_b64 v[8:9], v[6:7], off
	s_wait_alu 0xfffe
	s_or_b32 exec_lo, exec_lo, s0
	s_and_saveexec_b32 s0, s8
	s_cbranch_execz .LBB276_114
.LBB276_130:
	s_wait_dscnt 0x2
	v_mad_co_u64_u32 v[6:7], null, 0x3000, s10, v[2:3]
	s_delay_alu instid0(VALU_DEP_1)
	v_mad_co_u64_u32 v[7:8], null, 0x3000, s11, v[7:8]
	s_wait_dscnt 0x1
	global_store_b64 v[6:7], v[4:5], off
	s_wait_alu 0xfffe
	s_or_b32 exec_lo, exec_lo, s0
	s_and_saveexec_b32 s0, s9
	s_cbranch_execnz .LBB276_115
	s_branch .LBB276_116
	.section	.rodata,"a",@progbits
	.p2align	6, 0x0
	.amdhsa_kernel _ZN2at6native18radixSortKVInPlaceILin1ELin1ELi256ELi8EblmEEvNS_4cuda6detail10TensorInfoIT3_T5_EES6_S6_S6_NS4_IT4_S6_EES6_b
		.amdhsa_group_segment_fixed_size 16896
		.amdhsa_private_segment_fixed_size 0
		.amdhsa_kernarg_size 1128
		.amdhsa_user_sgpr_count 2
		.amdhsa_user_sgpr_dispatch_ptr 0
		.amdhsa_user_sgpr_queue_ptr 0
		.amdhsa_user_sgpr_kernarg_segment_ptr 1
		.amdhsa_user_sgpr_dispatch_id 0
		.amdhsa_user_sgpr_private_segment_size 0
		.amdhsa_wavefront_size32 1
		.amdhsa_uses_dynamic_stack 0
		.amdhsa_enable_private_segment 0
		.amdhsa_system_sgpr_workgroup_id_x 1
		.amdhsa_system_sgpr_workgroup_id_y 1
		.amdhsa_system_sgpr_workgroup_id_z 1
		.amdhsa_system_sgpr_workgroup_info 0
		.amdhsa_system_vgpr_workitem_id 2
		.amdhsa_next_free_vgpr 103
		.amdhsa_next_free_sgpr 36
		.amdhsa_reserve_vcc 1
		.amdhsa_float_round_mode_32 0
		.amdhsa_float_round_mode_16_64 0
		.amdhsa_float_denorm_mode_32 3
		.amdhsa_float_denorm_mode_16_64 3
		.amdhsa_fp16_overflow 0
		.amdhsa_workgroup_processor_mode 1
		.amdhsa_memory_ordered 1
		.amdhsa_forward_progress 1
		.amdhsa_inst_pref_size 88
		.amdhsa_round_robin_scheduling 0
		.amdhsa_exception_fp_ieee_invalid_op 0
		.amdhsa_exception_fp_denorm_src 0
		.amdhsa_exception_fp_ieee_div_zero 0
		.amdhsa_exception_fp_ieee_overflow 0
		.amdhsa_exception_fp_ieee_underflow 0
		.amdhsa_exception_fp_ieee_inexact 0
		.amdhsa_exception_int_div_zero 0
	.end_amdhsa_kernel
	.section	.text._ZN2at6native18radixSortKVInPlaceILin1ELin1ELi256ELi8EblmEEvNS_4cuda6detail10TensorInfoIT3_T5_EES6_S6_S6_NS4_IT4_S6_EES6_b,"axG",@progbits,_ZN2at6native18radixSortKVInPlaceILin1ELin1ELi256ELi8EblmEEvNS_4cuda6detail10TensorInfoIT3_T5_EES6_S6_S6_NS4_IT4_S6_EES6_b,comdat
.Lfunc_end276:
	.size	_ZN2at6native18radixSortKVInPlaceILin1ELin1ELi256ELi8EblmEEvNS_4cuda6detail10TensorInfoIT3_T5_EES6_S6_S6_NS4_IT4_S6_EES6_b, .Lfunc_end276-_ZN2at6native18radixSortKVInPlaceILin1ELin1ELi256ELi8EblmEEvNS_4cuda6detail10TensorInfoIT3_T5_EES6_S6_S6_NS4_IT4_S6_EES6_b
                                        ; -- End function
	.set _ZN2at6native18radixSortKVInPlaceILin1ELin1ELi256ELi8EblmEEvNS_4cuda6detail10TensorInfoIT3_T5_EES6_S6_S6_NS4_IT4_S6_EES6_b.num_vgpr, 103
	.set _ZN2at6native18radixSortKVInPlaceILin1ELin1ELi256ELi8EblmEEvNS_4cuda6detail10TensorInfoIT3_T5_EES6_S6_S6_NS4_IT4_S6_EES6_b.num_agpr, 0
	.set _ZN2at6native18radixSortKVInPlaceILin1ELin1ELi256ELi8EblmEEvNS_4cuda6detail10TensorInfoIT3_T5_EES6_S6_S6_NS4_IT4_S6_EES6_b.numbered_sgpr, 36
	.set _ZN2at6native18radixSortKVInPlaceILin1ELin1ELi256ELi8EblmEEvNS_4cuda6detail10TensorInfoIT3_T5_EES6_S6_S6_NS4_IT4_S6_EES6_b.num_named_barrier, 0
	.set _ZN2at6native18radixSortKVInPlaceILin1ELin1ELi256ELi8EblmEEvNS_4cuda6detail10TensorInfoIT3_T5_EES6_S6_S6_NS4_IT4_S6_EES6_b.private_seg_size, 0
	.set _ZN2at6native18radixSortKVInPlaceILin1ELin1ELi256ELi8EblmEEvNS_4cuda6detail10TensorInfoIT3_T5_EES6_S6_S6_NS4_IT4_S6_EES6_b.uses_vcc, 1
	.set _ZN2at6native18radixSortKVInPlaceILin1ELin1ELi256ELi8EblmEEvNS_4cuda6detail10TensorInfoIT3_T5_EES6_S6_S6_NS4_IT4_S6_EES6_b.uses_flat_scratch, 0
	.set _ZN2at6native18radixSortKVInPlaceILin1ELin1ELi256ELi8EblmEEvNS_4cuda6detail10TensorInfoIT3_T5_EES6_S6_S6_NS4_IT4_S6_EES6_b.has_dyn_sized_stack, 0
	.set _ZN2at6native18radixSortKVInPlaceILin1ELin1ELi256ELi8EblmEEvNS_4cuda6detail10TensorInfoIT3_T5_EES6_S6_S6_NS4_IT4_S6_EES6_b.has_recursion, 0
	.set _ZN2at6native18radixSortKVInPlaceILin1ELin1ELi256ELi8EblmEEvNS_4cuda6detail10TensorInfoIT3_T5_EES6_S6_S6_NS4_IT4_S6_EES6_b.has_indirect_call, 0
	.section	.AMDGPU.csdata,"",@progbits
; Kernel info:
; codeLenInByte = 11196
; TotalNumSgprs: 38
; NumVgprs: 103
; ScratchSize: 0
; MemoryBound: 0
; FloatMode: 240
; IeeeMode: 1
; LDSByteSize: 16896 bytes/workgroup (compile time only)
; SGPRBlocks: 0
; VGPRBlocks: 12
; NumSGPRsForWavesPerEU: 38
; NumVGPRsForWavesPerEU: 103
; Occupancy: 12
; WaveLimiterHint : 1
; COMPUTE_PGM_RSRC2:SCRATCH_EN: 0
; COMPUTE_PGM_RSRC2:USER_SGPR: 2
; COMPUTE_PGM_RSRC2:TRAP_HANDLER: 0
; COMPUTE_PGM_RSRC2:TGID_X_EN: 1
; COMPUTE_PGM_RSRC2:TGID_Y_EN: 1
; COMPUTE_PGM_RSRC2:TGID_Z_EN: 1
; COMPUTE_PGM_RSRC2:TIDIG_COMP_CNT: 2
	.section	.text._ZN2at6native18radixSortKVInPlaceILin1ELin1ELi128ELi8EblmEEvNS_4cuda6detail10TensorInfoIT3_T5_EES6_S6_S6_NS4_IT4_S6_EES6_b,"axG",@progbits,_ZN2at6native18radixSortKVInPlaceILin1ELin1ELi128ELi8EblmEEvNS_4cuda6detail10TensorInfoIT3_T5_EES6_S6_S6_NS4_IT4_S6_EES6_b,comdat
	.protected	_ZN2at6native18radixSortKVInPlaceILin1ELin1ELi128ELi8EblmEEvNS_4cuda6detail10TensorInfoIT3_T5_EES6_S6_S6_NS4_IT4_S6_EES6_b ; -- Begin function _ZN2at6native18radixSortKVInPlaceILin1ELin1ELi128ELi8EblmEEvNS_4cuda6detail10TensorInfoIT3_T5_EES6_S6_S6_NS4_IT4_S6_EES6_b
	.globl	_ZN2at6native18radixSortKVInPlaceILin1ELin1ELi128ELi8EblmEEvNS_4cuda6detail10TensorInfoIT3_T5_EES6_S6_S6_NS4_IT4_S6_EES6_b
	.p2align	8
	.type	_ZN2at6native18radixSortKVInPlaceILin1ELin1ELi128ELi8EblmEEvNS_4cuda6detail10TensorInfoIT3_T5_EES6_S6_S6_NS4_IT4_S6_EES6_b,@function
_ZN2at6native18radixSortKVInPlaceILin1ELin1ELi128ELi8EblmEEvNS_4cuda6detail10TensorInfoIT3_T5_EES6_S6_S6_NS4_IT4_S6_EES6_b: ; @_ZN2at6native18radixSortKVInPlaceILin1ELin1ELi128ELi8EblmEEvNS_4cuda6detail10TensorInfoIT3_T5_EES6_S6_S6_NS4_IT4_S6_EES6_b
; %bb.0:
	s_clause 0x1
	s_load_b64 s[2:3], s[0:1], 0x368
	s_load_b128 s[8:11], s[0:1], 0x1a0
	s_lshr_b32 s4, ttmp7, 16
	s_and_b32 s5, ttmp7, 0xffff
	s_wait_kmcnt 0x0
	s_mul_i32 s3, s3, s4
	s_delay_alu instid0(SALU_CYCLE_1) | instskip(NEXT) | instid1(SALU_CYCLE_1)
	s_add_co_i32 s3, s3, s5
	s_mul_i32 s2, s3, s2
	s_mov_b32 s3, 0
	s_add_co_i32 s2, s2, ttmp9
	s_delay_alu instid0(SALU_CYCLE_1)
	v_cmp_le_u64_e64 s4, s[8:9], s[2:3]
	s_and_b32 vcc_lo, exec_lo, s4
	s_cbranch_vccnz .LBB277_116
; %bb.1:
	s_clause 0x1
	s_load_b32 s9, s[0:1], 0x198
	s_load_b64 s[12:13], s[0:1], 0x1b0
	s_mov_b64 s[4:5], 0
	s_mov_b64 s[6:7], s[2:3]
	s_wait_kmcnt 0x0
	s_cmp_lt_i32 s9, 2
	s_cbranch_scc1 .LBB277_9
; %bb.2:
	s_mov_b32 s8, 0
	s_add_co_i32 s4, s9, -1
	s_wait_alu 0xfffe
	s_mov_b32 s5, s8
	s_add_co_i32 s11, s9, 1
	s_lshl_b64 s[4:5], s[4:5], 3
	s_mov_b64 s[16:17], s[2:3]
	s_add_nc_u64 s[6:7], s[0:1], s[4:5]
	s_mov_b64 s[4:5], 0
	s_add_nc_u64 s[14:15], s[6:7], 8
.LBB277_3:                              ; =>This Inner Loop Header: Depth=1
	s_load_b64 s[18:19], s[14:15], 0x0
	s_wait_kmcnt 0x0
	s_or_b64 s[6:7], s[16:17], s[18:19]
	s_wait_alu 0xfffe
	s_mov_b32 s9, s7
                                        ; implicit-def: $sgpr6_sgpr7
	s_wait_alu 0xfffe
	s_cmp_lg_u64 s[8:9], 0
	s_mov_b32 s9, -1
	s_cbranch_scc0 .LBB277_5
; %bb.4:                                ;   in Loop: Header=BB277_3 Depth=1
	s_cvt_f32_u32 s6, s18
	s_cvt_f32_u32 s7, s19
	s_sub_nc_u64 s[20:21], 0, s[18:19]
	s_mov_b32 s23, s8
	s_mov_b32 s27, s8
	s_wait_alu 0xfffe
	s_fmamk_f32 s6, s7, 0x4f800000, s6
	s_wait_alu 0xfffe
	s_delay_alu instid0(SALU_CYCLE_2) | instskip(NEXT) | instid1(TRANS32_DEP_1)
	v_s_rcp_f32 s6, s6
	s_mul_f32 s6, s6, 0x5f7ffffc
	s_wait_alu 0xfffe
	s_delay_alu instid0(SALU_CYCLE_2) | instskip(SKIP_1) | instid1(SALU_CYCLE_2)
	s_mul_f32 s7, s6, 0x2f800000
	s_wait_alu 0xfffe
	s_trunc_f32 s7, s7
	s_wait_alu 0xfffe
	s_delay_alu instid0(SALU_CYCLE_2) | instskip(SKIP_2) | instid1(SALU_CYCLE_1)
	s_fmamk_f32 s6, s7, 0xcf800000, s6
	s_cvt_u32_f32 s7, s7
	s_wait_alu 0xfffe
	s_cvt_u32_f32 s6, s6
	s_wait_alu 0xfffe
	s_delay_alu instid0(SALU_CYCLE_2) | instskip(NEXT) | instid1(SALU_CYCLE_1)
	s_mul_u64 s[24:25], s[20:21], s[6:7]
	s_mul_hi_u32 s29, s6, s25
	s_mul_i32 s28, s6, s25
	s_mul_hi_u32 s22, s6, s24
	s_mul_i32 s26, s7, s24
	s_add_nc_u64 s[22:23], s[22:23], s[28:29]
	s_mul_hi_u32 s9, s7, s24
	s_mul_hi_u32 s30, s7, s25
	s_add_co_u32 s22, s22, s26
	s_wait_alu 0xfffe
	s_add_co_ci_u32 s26, s23, s9
	s_mul_i32 s24, s7, s25
	s_add_co_ci_u32 s25, s30, 0
	s_delay_alu instid0(SALU_CYCLE_1)
	s_add_nc_u64 s[22:23], s[26:27], s[24:25]
	s_mov_b32 s25, s8
	s_add_co_u32 s6, s6, s22
	s_cselect_b32 s9, -1, 0
	s_wait_alu 0xfffe
	s_cmp_lg_u32 s9, 0
	s_add_co_ci_u32 s7, s7, s23
	s_mov_b32 s23, s8
	s_wait_alu 0xfffe
	s_mul_u64 s[20:21], s[20:21], s[6:7]
	s_delay_alu instid0(SALU_CYCLE_1)
	s_mul_hi_u32 s27, s6, s21
	s_mul_i32 s26, s6, s21
	s_mul_hi_u32 s22, s6, s20
	s_mul_i32 s24, s7, s20
	s_add_nc_u64 s[22:23], s[22:23], s[26:27]
	s_mul_hi_u32 s9, s7, s20
	s_mul_hi_u32 s28, s7, s21
	s_mul_i32 s20, s7, s21
	s_add_co_u32 s21, s22, s24
	s_wait_alu 0xfffe
	s_add_co_ci_u32 s24, s23, s9
	s_add_co_ci_u32 s21, s28, 0
	s_mov_b32 s23, s8
	s_add_nc_u64 s[20:21], s[24:25], s[20:21]
	s_delay_alu instid0(SALU_CYCLE_1)
	s_add_co_u32 s6, s6, s20
	s_cselect_b32 s9, -1, 0
	s_wait_alu 0xfffe
	s_mul_hi_u32 s22, s16, s6
	s_cmp_lg_u32 s9, 0
	s_mul_hi_u32 s9, s17, s6
	s_add_co_ci_u32 s20, s7, s21
	s_mul_i32 s21, s17, s6
	s_mul_hi_u32 s7, s16, s20
	s_mul_i32 s6, s16, s20
	s_mul_hi_u32 s26, s17, s20
	s_wait_alu 0xfffe
	s_add_nc_u64 s[6:7], s[22:23], s[6:7]
	s_mul_i32 s20, s17, s20
	s_wait_alu 0xfffe
	s_add_co_u32 s6, s6, s21
	s_add_co_ci_u32 s24, s7, s9
	s_add_co_ci_u32 s21, s26, 0
	s_delay_alu instid0(SALU_CYCLE_1) | instskip(SKIP_2) | instid1(SALU_CYCLE_1)
	s_add_nc_u64 s[6:7], s[24:25], s[20:21]
	s_wait_alu 0xfffe
	s_mul_u64 s[20:21], s[18:19], s[6:7]
	s_sub_co_u32 s9, s16, s20
	s_cselect_b32 s20, -1, 0
	s_sub_co_i32 s22, s17, s21
	s_cmp_lg_u32 s20, 0
	s_sub_co_ci_u32 s22, s22, s19
	s_wait_alu 0xfffe
	s_sub_co_u32 s23, s9, s18
	s_cselect_b32 s24, -1, 0
	s_delay_alu instid0(SALU_CYCLE_1) | instskip(SKIP_1) | instid1(SALU_CYCLE_1)
	s_cmp_lg_u32 s24, 0
	s_sub_co_ci_u32 s22, s22, 0
	s_cmp_ge_u32 s22, s19
	s_cselect_b32 s24, -1, 0
	s_cmp_ge_u32 s23, s18
	s_cselect_b32 s25, -1, 0
	s_cmp_eq_u32 s22, s19
	s_add_nc_u64 s[22:23], s[6:7], 1
	s_cselect_b32 s26, s25, s24
	s_add_nc_u64 s[24:25], s[6:7], 2
	s_cmp_lg_u32 s26, 0
	s_cselect_b32 s22, s24, s22
	s_cselect_b32 s23, s25, s23
	s_cmp_lg_u32 s20, 0
	s_sub_co_ci_u32 s20, s17, s21
	s_delay_alu instid0(SALU_CYCLE_1)
	s_cmp_ge_u32 s20, s19
	s_cselect_b32 s21, -1, 0
	s_cmp_ge_u32 s9, s18
	s_cselect_b32 s9, -1, 0
	s_cmp_eq_u32 s20, s19
	s_wait_alu 0xfffe
	s_cselect_b32 s9, s9, s21
	s_wait_alu 0xfffe
	s_cmp_lg_u32 s9, 0
	s_mov_b32 s9, 0
	s_cselect_b32 s7, s23, s7
	s_cselect_b32 s6, s22, s6
.LBB277_5:                              ;   in Loop: Header=BB277_3 Depth=1
	s_wait_alu 0xfffe
	s_and_not1_b32 vcc_lo, exec_lo, s9
	s_cbranch_vccnz .LBB277_7
; %bb.6:                                ;   in Loop: Header=BB277_3 Depth=1
	v_cvt_f32_u32_e32 v1, s18
	s_sub_co_i32 s7, 0, s18
	s_delay_alu instid0(VALU_DEP_1) | instskip(NEXT) | instid1(TRANS32_DEP_1)
	v_rcp_iflag_f32_e32 v1, v1
	v_mul_f32_e32 v1, 0x4f7ffffe, v1
	s_delay_alu instid0(VALU_DEP_1) | instskip(NEXT) | instid1(VALU_DEP_1)
	v_cvt_u32_f32_e32 v1, v1
	v_readfirstlane_b32 s6, v1
	s_wait_alu 0xfffe
	s_mul_i32 s7, s7, s6
	s_wait_alu 0xfffe
	s_mul_hi_u32 s7, s6, s7
	s_wait_alu 0xfffe
	s_add_co_i32 s6, s6, s7
	s_wait_alu 0xfffe
	s_mul_hi_u32 s6, s16, s6
	s_wait_alu 0xfffe
	s_mul_i32 s7, s6, s18
	s_add_co_i32 s9, s6, 1
	s_wait_alu 0xfffe
	s_sub_co_i32 s7, s16, s7
	s_wait_alu 0xfffe
	s_sub_co_i32 s20, s7, s18
	s_cmp_ge_u32 s7, s18
	s_cselect_b32 s6, s9, s6
	s_cselect_b32 s7, s20, s7
	s_wait_alu 0xfffe
	s_add_co_i32 s9, s6, 1
	s_cmp_ge_u32 s7, s18
	s_mov_b32 s7, s8
	s_wait_alu 0xfffe
	s_cselect_b32 s6, s9, s6
.LBB277_7:                              ;   in Loop: Header=BB277_3 Depth=1
	s_load_b64 s[20:21], s[14:15], 0xc8
	s_mul_u64 s[18:19], s[6:7], s[18:19]
	s_add_co_i32 s11, s11, -1
	s_wait_alu 0xfffe
	s_sub_nc_u64 s[16:17], s[16:17], s[18:19]
	s_cmp_gt_u32 s11, 2
	s_add_nc_u64 s[14:15], s[14:15], -8
	s_wait_kmcnt 0x0
	s_mul_u64 s[16:17], s[20:21], s[16:17]
	s_delay_alu instid0(SALU_CYCLE_1)
	s_add_nc_u64 s[4:5], s[16:17], s[4:5]
	s_cbranch_scc0 .LBB277_9
; %bb.8:                                ;   in Loop: Header=BB277_3 Depth=1
	s_mov_b64 s[16:17], s[6:7]
	s_branch .LBB277_3
.LBB277_9:
	s_load_b32 s9, s[0:1], 0x350
	s_add_nc_u64 s[18:19], s[0:1], 0x368
	s_mov_b64 s[16:17], 0
	s_wait_kmcnt 0x0
	s_cmp_lt_i32 s9, 2
	s_cbranch_scc1 .LBB277_17
; %bb.10:
	s_mov_b32 s8, 0
	s_add_co_i32 s14, s9, -1
	s_wait_alu 0xfffe
	s_mov_b32 s15, s8
	s_add_co_i32 s11, s9, 1
	s_lshl_b64 s[14:15], s[14:15], 3
	s_delay_alu instid0(SALU_CYCLE_1) | instskip(NEXT) | instid1(SALU_CYCLE_1)
	s_add_nc_u64 s[14:15], s[0:1], s[14:15]
	s_add_nc_u64 s[14:15], s[14:15], 0x1c0
.LBB277_11:                             ; =>This Inner Loop Header: Depth=1
	s_load_b64 s[22:23], s[14:15], 0x0
	s_wait_kmcnt 0x0
	s_or_b64 s[20:21], s[2:3], s[22:23]
	s_delay_alu instid0(SALU_CYCLE_1)
	s_mov_b32 s9, s21
                                        ; implicit-def: $sgpr20_sgpr21
	s_wait_alu 0xfffe
	s_cmp_lg_u64 s[8:9], 0
	s_mov_b32 s9, -1
	s_cbranch_scc0 .LBB277_13
; %bb.12:                               ;   in Loop: Header=BB277_11 Depth=1
	s_cvt_f32_u32 s9, s22
	s_cvt_f32_u32 s20, s23
	s_sub_nc_u64 s[24:25], 0, s[22:23]
	s_mov_b32 s27, s8
	s_mov_b32 s31, s8
	s_wait_alu 0xfffe
	s_fmamk_f32 s9, s20, 0x4f800000, s9
	s_wait_alu 0xfffe
	s_delay_alu instid0(SALU_CYCLE_2) | instskip(NEXT) | instid1(TRANS32_DEP_1)
	v_s_rcp_f32 s9, s9
	s_mul_f32 s9, s9, 0x5f7ffffc
	s_wait_alu 0xfffe
	s_delay_alu instid0(SALU_CYCLE_2) | instskip(NEXT) | instid1(SALU_CYCLE_3)
	s_mul_f32 s20, s9, 0x2f800000
	s_trunc_f32 s20, s20
	s_delay_alu instid0(SALU_CYCLE_3) | instskip(SKIP_2) | instid1(SALU_CYCLE_1)
	s_fmamk_f32 s9, s20, 0xcf800000, s9
	s_cvt_u32_f32 s21, s20
	s_wait_alu 0xfffe
	s_cvt_u32_f32 s20, s9
	s_delay_alu instid0(SALU_CYCLE_3) | instskip(NEXT) | instid1(SALU_CYCLE_1)
	s_mul_u64 s[28:29], s[24:25], s[20:21]
	s_mul_hi_u32 s35, s20, s29
	s_mul_i32 s34, s20, s29
	s_mul_hi_u32 s26, s20, s28
	s_mul_i32 s30, s21, s28
	s_add_nc_u64 s[26:27], s[26:27], s[34:35]
	s_mul_hi_u32 s9, s21, s28
	s_mul_hi_u32 s33, s21, s29
	s_add_co_u32 s26, s26, s30
	s_wait_alu 0xfffe
	s_add_co_ci_u32 s30, s27, s9
	s_mul_i32 s28, s21, s29
	s_add_co_ci_u32 s29, s33, 0
	s_delay_alu instid0(SALU_CYCLE_1)
	s_add_nc_u64 s[26:27], s[30:31], s[28:29]
	s_mov_b32 s29, s8
	s_add_co_u32 s20, s20, s26
	s_cselect_b32 s9, -1, 0
	s_wait_alu 0xfffe
	s_cmp_lg_u32 s9, 0
	s_add_co_ci_u32 s21, s21, s27
	s_mov_b32 s27, s8
	s_mul_u64 s[24:25], s[24:25], s[20:21]
	s_delay_alu instid0(SALU_CYCLE_1)
	s_mul_hi_u32 s31, s20, s25
	s_mul_i32 s30, s20, s25
	s_mul_hi_u32 s26, s20, s24
	s_mul_i32 s28, s21, s24
	s_add_nc_u64 s[26:27], s[26:27], s[30:31]
	s_mul_hi_u32 s9, s21, s24
	s_mul_hi_u32 s33, s21, s25
	s_mul_i32 s24, s21, s25
	s_add_co_u32 s25, s26, s28
	s_wait_alu 0xfffe
	s_add_co_ci_u32 s28, s27, s9
	s_add_co_ci_u32 s25, s33, 0
	s_mov_b32 s27, s8
	s_add_nc_u64 s[24:25], s[28:29], s[24:25]
	s_delay_alu instid0(SALU_CYCLE_1)
	s_add_co_u32 s9, s20, s24
	s_cselect_b32 s20, -1, 0
	s_wait_alu 0xfffe
	s_mul_hi_u32 s26, s2, s9
	s_cmp_lg_u32 s20, 0
	s_mul_hi_u32 s28, s3, s9
	s_add_co_ci_u32 s24, s21, s25
	s_mul_i32 s9, s3, s9
	s_mul_hi_u32 s21, s2, s24
	s_mul_i32 s20, s2, s24
	s_mul_hi_u32 s25, s3, s24
	s_add_nc_u64 s[20:21], s[26:27], s[20:21]
	s_mul_i32 s24, s3, s24
	s_wait_alu 0xfffe
	s_add_co_u32 s9, s20, s9
	s_add_co_ci_u32 s28, s21, s28
	s_add_co_ci_u32 s25, s25, 0
	s_delay_alu instid0(SALU_CYCLE_1) | instskip(NEXT) | instid1(SALU_CYCLE_1)
	s_add_nc_u64 s[20:21], s[28:29], s[24:25]
	s_mul_u64 s[24:25], s[22:23], s[20:21]
	s_delay_alu instid0(SALU_CYCLE_1)
	s_sub_co_u32 s9, s2, s24
	s_cselect_b32 s24, -1, 0
	s_sub_co_i32 s26, s3, s25
	s_cmp_lg_u32 s24, 0
	s_sub_co_ci_u32 s26, s26, s23
	s_wait_alu 0xfffe
	s_sub_co_u32 s27, s9, s22
	s_cselect_b32 s28, -1, 0
	s_delay_alu instid0(SALU_CYCLE_1) | instskip(SKIP_1) | instid1(SALU_CYCLE_1)
	s_cmp_lg_u32 s28, 0
	s_sub_co_ci_u32 s26, s26, 0
	s_cmp_ge_u32 s26, s23
	s_cselect_b32 s28, -1, 0
	s_cmp_ge_u32 s27, s22
	s_cselect_b32 s29, -1, 0
	s_cmp_eq_u32 s26, s23
	s_add_nc_u64 s[26:27], s[20:21], 1
	s_cselect_b32 s30, s29, s28
	s_add_nc_u64 s[28:29], s[20:21], 2
	s_cmp_lg_u32 s30, 0
	s_cselect_b32 s26, s28, s26
	s_cselect_b32 s27, s29, s27
	s_cmp_lg_u32 s24, 0
	s_sub_co_ci_u32 s24, s3, s25
	s_delay_alu instid0(SALU_CYCLE_1)
	s_cmp_ge_u32 s24, s23
	s_cselect_b32 s25, -1, 0
	s_cmp_ge_u32 s9, s22
	s_cselect_b32 s9, -1, 0
	s_cmp_eq_u32 s24, s23
	s_wait_alu 0xfffe
	s_cselect_b32 s9, s9, s25
	s_wait_alu 0xfffe
	s_cmp_lg_u32 s9, 0
	s_mov_b32 s9, 0
	s_cselect_b32 s21, s27, s21
	s_cselect_b32 s20, s26, s20
.LBB277_13:                             ;   in Loop: Header=BB277_11 Depth=1
	s_wait_alu 0xfffe
	s_and_not1_b32 vcc_lo, exec_lo, s9
	s_cbranch_vccnz .LBB277_15
; %bb.14:                               ;   in Loop: Header=BB277_11 Depth=1
	v_cvt_f32_u32_e32 v1, s22
	s_sub_co_i32 s20, 0, s22
	s_delay_alu instid0(VALU_DEP_1) | instskip(NEXT) | instid1(TRANS32_DEP_1)
	v_rcp_iflag_f32_e32 v1, v1
	v_mul_f32_e32 v1, 0x4f7ffffe, v1
	s_delay_alu instid0(VALU_DEP_1) | instskip(NEXT) | instid1(VALU_DEP_1)
	v_cvt_u32_f32_e32 v1, v1
	v_readfirstlane_b32 s9, v1
	s_mul_i32 s20, s20, s9
	s_delay_alu instid0(SALU_CYCLE_1) | instskip(NEXT) | instid1(SALU_CYCLE_1)
	s_mul_hi_u32 s20, s9, s20
	s_add_co_i32 s9, s9, s20
	s_wait_alu 0xfffe
	s_mul_hi_u32 s9, s2, s9
	s_wait_alu 0xfffe
	s_mul_i32 s20, s9, s22
	s_add_co_i32 s21, s9, 1
	s_sub_co_i32 s20, s2, s20
	s_delay_alu instid0(SALU_CYCLE_1)
	s_sub_co_i32 s24, s20, s22
	s_cmp_ge_u32 s20, s22
	s_cselect_b32 s9, s21, s9
	s_cselect_b32 s20, s24, s20
	s_wait_alu 0xfffe
	s_add_co_i32 s21, s9, 1
	s_cmp_ge_u32 s20, s22
	s_cselect_b32 s20, s21, s9
	s_mov_b32 s21, s8
.LBB277_15:                             ;   in Loop: Header=BB277_11 Depth=1
	s_load_b64 s[24:25], s[14:15], 0xc8
	s_mul_u64 s[22:23], s[20:21], s[22:23]
	s_add_co_i32 s11, s11, -1
	s_wait_alu 0xfffe
	s_sub_nc_u64 s[2:3], s[2:3], s[22:23]
	s_cmp_gt_u32 s11, 2
	s_add_nc_u64 s[14:15], s[14:15], -8
	s_wait_kmcnt 0x0
	s_wait_alu 0xfffe
	s_mul_u64 s[2:3], s[24:25], s[2:3]
	s_wait_alu 0xfffe
	s_add_nc_u64 s[16:17], s[2:3], s[16:17]
	s_cbranch_scc0 .LBB277_18
; %bb.16:                               ;   in Loop: Header=BB277_11 Depth=1
	s_mov_b64 s[2:3], s[20:21]
	s_branch .LBB277_11
.LBB277_17:
	s_mov_b64 s[20:21], s[2:3]
.LBB277_18:
	s_clause 0x2
	s_load_b64 s[2:3], s[0:1], 0xd0
	s_load_b32 s11, s[0:1], 0x360
	s_load_b64 s[8:9], s[0:1], 0x0
	s_wait_kmcnt 0x0
	s_mul_u64 s[6:7], s[2:3], s[6:7]
	s_bitcmp1_b32 s11, 0
	s_wait_alu 0xfffe
	s_add_nc_u64 s[6:7], s[8:9], s[6:7]
	s_cselect_b32 s11, -1, 0
	s_wait_alu 0xfffe
	s_add_nc_u64 s[14:15], s[6:7], s[4:5]
	s_xor_b32 s26, s11, -1
	s_delay_alu instid0(SALU_CYCLE_1) | instskip(SKIP_1) | instid1(VALU_DEP_2)
	v_cndmask_b32_e64 v1, 0, 1, s26
	v_cndmask_b32_e64 v3, 0, 1, s26
	v_lshlrev_b32_e32 v2, 8, v1
	s_delay_alu instid0(VALU_DEP_1) | instskip(NEXT) | instid1(VALU_DEP_1)
	v_or_b32_e32 v1, v1, v2
	v_and_b32_e32 v2, 0x101, v1
	v_lshlrev_b32_e32 v1, 16, v1
	s_delay_alu instid0(VALU_DEP_1) | instskip(NEXT) | instid1(VALU_DEP_1)
	v_or_b32_e32 v1, v2, v1
	v_dual_mov_b32 v2, v1 :: v_dual_and_b32 v41, 0x3ff, v0
	s_delay_alu instid0(VALU_DEP_1)
	v_cmp_gt_u32_e64 s2, s10, v41
	s_and_saveexec_b32 s3, s2
	s_cbranch_execz .LBB277_20
; %bb.19:
	v_mad_co_u64_u32 v[2:3], null, s12, v41, s[14:15]
	v_mov_b32_e32 v5, v1
	s_delay_alu instid0(VALU_DEP_2) | instskip(SKIP_3) | instid1(VALU_DEP_1)
	v_mad_co_u64_u32 v[3:4], null, s13, v41, v[3:4]
	global_load_u8 v3, v[2:3], off
	s_wait_loadcnt 0x0
	v_perm_b32 v4, v3, v1, 0x3020104
	v_dual_mov_b32 v1, v4 :: v_dual_mov_b32 v2, v5
.LBB277_20:
	s_wait_alu 0xfffe
	s_or_b32 exec_lo, exec_lo, s3
	v_add_nc_u32_e32 v23, 0x80, v41
	s_delay_alu instid0(VALU_DEP_1)
	v_cmp_gt_u32_e64 s3, s10, v23
	s_and_saveexec_b32 s4, s3
	s_cbranch_execz .LBB277_22
; %bb.21:
	v_mad_co_u64_u32 v[4:5], null, s12, v23, s[14:15]
	s_delay_alu instid0(VALU_DEP_1)
	v_mad_co_u64_u32 v[5:6], null, s13, v23, v[5:6]
	global_load_u8 v4, v[4:5], off
	s_wait_loadcnt 0x0
	v_perm_b32 v1, v1, v4, 0x7060004
.LBB277_22:
	s_or_b32 exec_lo, exec_lo, s4
	v_add_nc_u32_e32 v22, 0x100, v41
	s_delay_alu instid0(VALU_DEP_1)
	v_cmp_gt_u32_e64 s4, s10, v22
	s_and_saveexec_b32 s5, s4
	s_cbranch_execz .LBB277_24
; %bb.23:
	v_mad_co_u64_u32 v[4:5], null, s12, v22, s[14:15]
	s_delay_alu instid0(VALU_DEP_1) | instskip(SKIP_3) | instid1(VALU_DEP_1)
	v_mad_co_u64_u32 v[5:6], null, s13, v22, v[5:6]
	global_load_u8 v4, v[4:5], off
	s_wait_loadcnt 0x0
	v_perm_b32 v4, v4, v1, 0xc0c0304
	v_lshlrev_b32_e32 v4, 16, v4
	s_delay_alu instid0(VALU_DEP_1)
	v_and_or_b32 v1, 0xffff, v1, v4
.LBB277_24:
	s_or_b32 exec_lo, exec_lo, s5
	v_add_nc_u32_e32 v21, 0x180, v41
	s_delay_alu instid0(VALU_DEP_1)
	v_cmp_gt_u32_e64 s5, s10, v21
	s_and_saveexec_b32 s6, s5
	s_cbranch_execz .LBB277_26
; %bb.25:
	v_mad_co_u64_u32 v[4:5], null, s12, v21, s[14:15]
	s_delay_alu instid0(VALU_DEP_1) | instskip(SKIP_3) | instid1(VALU_DEP_1)
	v_mad_co_u64_u32 v[5:6], null, s13, v21, v[5:6]
	global_load_u8 v4, v[4:5], off
	s_wait_loadcnt 0x0
	v_perm_b32 v4, v1, v4, 0xc0c0006
	v_lshlrev_b32_e32 v4, 16, v4
	s_delay_alu instid0(VALU_DEP_1)
	v_and_or_b32 v1, 0xffff, v1, v4
.LBB277_26:
	s_wait_alu 0xfffe
	s_or_b32 exec_lo, exec_lo, s6
	v_add_nc_u32_e32 v20, 0x200, v41
	s_delay_alu instid0(VALU_DEP_1)
	v_cmp_gt_u32_e64 s6, s10, v20
	s_and_saveexec_b32 s7, s6
	s_cbranch_execz .LBB277_28
; %bb.27:
	v_mad_co_u64_u32 v[4:5], null, s12, v20, s[14:15]
	s_delay_alu instid0(VALU_DEP_1)
	v_mad_co_u64_u32 v[5:6], null, s13, v20, v[5:6]
	global_load_u8 v4, v[4:5], off
	s_wait_loadcnt 0x0
	v_perm_b32 v2, v4, v2, 0x3020104
.LBB277_28:
	s_wait_alu 0xfffe
	s_or_b32 exec_lo, exec_lo, s7
	v_add_nc_u32_e32 v19, 0x280, v41
	s_delay_alu instid0(VALU_DEP_1)
	v_cmp_gt_u32_e64 s7, s10, v19
	s_and_saveexec_b32 s8, s7
	s_cbranch_execz .LBB277_30
; %bb.29:
	v_mad_co_u64_u32 v[4:5], null, s12, v19, s[14:15]
	s_delay_alu instid0(VALU_DEP_1)
	v_mad_co_u64_u32 v[5:6], null, s13, v19, v[5:6]
	global_load_u8 v4, v[4:5], off
	s_wait_loadcnt 0x0
	v_perm_b32 v2, v2, v4, 0x7060004
.LBB277_30:
	s_wait_alu 0xfffe
	s_or_b32 exec_lo, exec_lo, s8
	v_add_nc_u32_e32 v17, 0x300, v41
	s_delay_alu instid0(VALU_DEP_1)
	v_cmp_gt_u32_e64 s8, s10, v17
	s_and_saveexec_b32 s9, s8
	s_cbranch_execz .LBB277_32
; %bb.31:
	v_mad_co_u64_u32 v[4:5], null, s12, v17, s[14:15]
	s_delay_alu instid0(VALU_DEP_1)
	v_mad_co_u64_u32 v[5:6], null, s13, v17, v[5:6]
	global_load_u8 v4, v[4:5], off
	s_wait_loadcnt 0x0
	v_perm_b32 v2, v2, v4, 0x7000504
.LBB277_32:
	s_wait_alu 0xfffe
	s_or_b32 exec_lo, exec_lo, s9
	s_clause 0x1
	s_load_b64 s[24:25], s[0:1], 0x288
	s_load_b64 s[22:23], s[0:1], 0x1b8
	v_add_nc_u32_e32 v18, 0x380, v41
	s_delay_alu instid0(VALU_DEP_1)
	v_cmp_gt_u32_e64 s9, s10, v18
	s_and_saveexec_b32 s10, s9
	s_cbranch_execz .LBB277_34
; %bb.33:
	v_mad_co_u64_u32 v[4:5], null, s12, v18, s[14:15]
	s_delay_alu instid0(VALU_DEP_1)
	v_mad_co_u64_u32 v[5:6], null, s13, v18, v[5:6]
	global_load_u8 v4, v[4:5], off
	s_wait_loadcnt 0x0
	v_perm_b32 v2, v2, v4, 0x60504
.LBB277_34:
	s_wait_alu 0xfffe
	s_or_b32 exec_lo, exec_lo, s10
	v_lshrrev_b32_e32 v63, 5, v41
	v_lshrrev_b32_e32 v25, 5, v22
	;; [unrolled: 1-line block ×5, first 2 shown]
	v_and_b32_e32 v4, 28, v63
	v_lshrrev_b32_e32 v29, 5, v17
	v_and_b32_e32 v7, 60, v27
	v_lshrrev_b32_e32 v28, 5, v19
	v_lshrrev_b32_e32 v30, 5, v18
	v_add_nc_u32_e32 v44, v4, v41
	v_and_b32_e32 v4, 60, v25
	v_and_b32_e32 v5, 60, v24
	v_add_nc_u32_e32 v48, v7, v41
	v_and_b32_e32 v7, 60, v29
	v_and_b32_e32 v9, 60, v30
	v_add_nc_u32_e32 v46, v4, v41
	v_and_b32_e32 v4, 60, v26
	v_lshrrev_b32_e32 v31, 2, v41
	v_lshrrev_b32_e32 v6, 8, v1
	v_add_nc_u32_e32 v45, v5, v41
	v_lshrrev_b32_e32 v5, 24, v1
	v_add_nc_u32_e32 v47, v4, v41
	v_and_b32_e32 v4, 60, v28
	v_dual_mov_b32 v11, 0 :: v_dual_add_nc_u32 v50, v7, v41
	v_lshrrev_b32_e32 v8, 8, v2
	v_add_nc_u32_e32 v51, v9, v41
	s_delay_alu instid0(VALU_DEP_4)
	v_add_nc_u32_e32 v49, v4, v41
	v_lshrrev_b32_e32 v4, 24, v2
	v_dual_mov_b32 v12, 0 :: v_dual_and_b32 v7, 0xfc, v31
	ds_store_b8 v44, v3
	ds_store_b8 v45, v6 offset:128
	ds_store_b8_d16_hi v46, v1 offset:256
	ds_store_b8 v47, v5 offset:384
	ds_store_b8 v48, v2 offset:512
	;; [unrolled: 1-line block ×3, first 2 shown]
	ds_store_b8_d16_hi v50, v2 offset:768
	ds_store_b8 v51, v4 offset:896
	v_mov_b32_e32 v1, 0
	v_lshlrev_b32_e32 v61, 3, v41
	s_wait_kmcnt 0x0
	s_mul_u64 s[10:11], s[24:25], s[20:21]
	s_wait_dscnt 0x0
	s_wait_alu 0xfffe
	s_lshl_b64 s[20:21], s[10:11], 3
	v_mov_b32_e32 v10, v1
	v_add_nc_u32_e32 v52, v7, v61
	s_load_b64 s[10:11], s[0:1], 0x358
	s_barrier_signal -1
	s_barrier_wait -1
	global_inv scope:SCOPE_SE
	ds_load_2addr_b32 v[42:43], v52 offset1:1
	v_dual_mov_b32 v2, v1 :: v_dual_mov_b32 v13, v1
	v_dual_mov_b32 v14, v1 :: v_dual_mov_b32 v15, v1
	;; [unrolled: 1-line block ×6, first 2 shown]
	s_lshl_b64 s[16:17], s[16:17], 3
	s_add_nc_u64 s[0:1], s[22:23], s[20:21]
	s_wait_loadcnt_dscnt 0x0
	s_add_nc_u64 s[16:17], s[0:1], s[16:17]
	s_barrier_signal -1
	s_barrier_wait -1
	global_inv scope:SCOPE_SE
	s_and_saveexec_b32 s0, s2
	s_cbranch_execnz .LBB277_67
; %bb.35:
	s_or_b32 exec_lo, exec_lo, s0
	s_and_saveexec_b32 s0, s3
	s_cbranch_execnz .LBB277_68
.LBB277_36:
	s_or_b32 exec_lo, exec_lo, s0
	s_and_saveexec_b32 s0, s4
	s_cbranch_execnz .LBB277_69
.LBB277_37:
	s_or_b32 exec_lo, exec_lo, s0
	s_and_saveexec_b32 s0, s5
	s_cbranch_execnz .LBB277_70
.LBB277_38:
	s_or_b32 exec_lo, exec_lo, s0
	s_and_saveexec_b32 s0, s6
	s_cbranch_execnz .LBB277_71
.LBB277_39:
	s_or_b32 exec_lo, exec_lo, s0
	s_and_saveexec_b32 s0, s7
	s_cbranch_execnz .LBB277_72
.LBB277_40:
	s_or_b32 exec_lo, exec_lo, s0
	s_and_saveexec_b32 s0, s8
	s_cbranch_execnz .LBB277_73
.LBB277_41:
	s_or_b32 exec_lo, exec_lo, s0
	s_and_saveexec_b32 s0, s9
	s_cbranch_execz .LBB277_43
.LBB277_42:
	s_wait_kmcnt 0x0
	v_mad_co_u64_u32 v[9:10], null, s10, v18, 0
	s_wait_loadcnt 0x0
	s_delay_alu instid0(VALU_DEP_1) | instskip(NEXT) | instid1(VALU_DEP_1)
	v_mad_co_u64_u32 v[17:18], null, s11, v18, v[10:11]
	v_mov_b32_e32 v10, v17
	s_delay_alu instid0(VALU_DEP_1) | instskip(NEXT) | instid1(VALU_DEP_1)
	v_lshlrev_b64_e32 v[9:10], 3, v[9:10]
	v_add_co_u32 v9, vcc_lo, s16, v9
	s_wait_alu 0xfffd
	s_delay_alu instid0(VALU_DEP_2)
	v_add_co_ci_u32_e64 v10, null, s17, v10, vcc_lo
	global_load_b64 v[9:10], v[9:10], off
.LBB277_43:
	s_or_b32 exec_lo, exec_lo, s0
	v_lshl_add_u32 v53, v63, 3, v61
	v_lshl_add_u32 v54, v24, 3, v61
	;; [unrolled: 1-line block ×5, first 2 shown]
	s_wait_loadcnt 0x0
	ds_store_b64 v53, v[11:12]
	ds_store_b64 v54, v[1:2] offset:1024
	ds_store_b64 v55, v[13:14] offset:2048
	;; [unrolled: 1-line block ×3, first 2 shown]
	v_lshlrev_b32_e32 v1, 3, v61
	v_lshl_add_u32 v58, v28, 3, v61
	v_lshl_add_u32 v59, v29, 3, v61
	;; [unrolled: 1-line block ×3, first 2 shown]
	ds_store_b64 v57, v[3:4] offset:4096
	ds_store_b64 v58, v[5:6] offset:5120
	;; [unrolled: 1-line block ×4, first 2 shown]
	v_lshl_add_u32 v62, v31, 3, v1
	s_wait_dscnt 0x0
	s_barrier_signal -1
	s_barrier_wait -1
	global_inv scope:SCOPE_SE
	ds_load_2addr_b64 v[13:16], v62 offset1:1
	ds_load_2addr_b64 v[9:12], v62 offset0:2 offset1:3
	ds_load_2addr_b64 v[5:8], v62 offset0:4 offset1:5
	;; [unrolled: 1-line block ×3, first 2 shown]
	v_bfe_u32 v67, v0, 10, 10
	v_bfe_u32 v68, v0, 20, 10
	v_mbcnt_lo_u32_b32 v65, -1, 0
	v_and_b32_e32 v66, 0x3e0, v41
	v_lshlrev_b32_e32 v64, 2, v61
	s_and_b32 vcc_lo, exec_lo, s26
	s_wait_loadcnt_dscnt 0x0
	s_barrier_signal -1
	s_barrier_wait -1
	global_inv scope:SCOPE_SE
	s_wait_alu 0xfffe
	s_cbranch_vccz .LBB277_74
; %bb.44:
	s_getpc_b64 s[0:1]
	s_sext_i32_i16 s1, s1
	s_add_co_u32 s0, s0, _ZN7rocprim17ROCPRIM_400000_NS16block_radix_sortIbLj128ELj8ElLj1ELj1ELj0ELNS0_26block_radix_rank_algorithmE1ELNS0_18block_padding_hintE2ELNS0_4arch9wavefront6targetE0EE19radix_bits_per_passE@rel32@lo+8
	s_add_co_ci_u32 s1, s1, _ZN7rocprim17ROCPRIM_400000_NS16block_radix_sortIbLj128ELj8ElLj1ELj1ELj0ELNS0_26block_radix_rank_algorithmE1ELNS0_18block_padding_hintE2ELNS0_4arch9wavefront6targetE0EE19radix_bits_per_passE@rel32@hi+16
	v_or_b32_e32 v17, v65, v66
	s_load_b32 s0, s[0:1], 0x0
	v_and_or_b32 v19, 0x1f00, v61, v65
	s_delay_alu instid0(VALU_DEP_2)
	v_lshlrev_b32_e32 v18, 3, v17
	ds_store_b64 v18, v[42:43]
	; wave barrier
	ds_load_u8 v0, v19
	ds_load_u8 v69, v19 offset:32
	ds_load_u8 v70, v19 offset:64
	;; [unrolled: 1-line block ×7, first 2 shown]
	v_mad_u32_u24 v17, v17, 56, v18
	v_mad_u32_u24 v18, v19, 7, v19
	s_wait_loadcnt_dscnt 0x0
	s_barrier_signal -1
	s_barrier_wait -1
	global_inv scope:SCOPE_SE
	ds_store_b128 v17, v[13:16]
	ds_store_b128 v17, v[9:12] offset:16
	ds_store_b128 v17, v[5:8] offset:32
	;; [unrolled: 1-line block ×3, first 2 shown]
	; wave barrier
	ds_load_2addr_b64 v[29:32], v18 offset1:32
	ds_load_2addr_b64 v[25:28], v18 offset0:64 offset1:96
	ds_load_2addr_b64 v[21:24], v18 offset0:128 offset1:160
	;; [unrolled: 1-line block ×3, first 2 shown]
	s_wait_loadcnt_dscnt 0x0
	s_barrier_signal -1
	s_barrier_wait -1
	global_inv scope:SCOPE_SE
	s_load_b32 s21, s[18:19], 0xc
	s_wait_kmcnt 0x0
	s_min_u32 s0, s0, 8
	s_delay_alu instid0(SALU_CYCLE_1) | instskip(NEXT) | instid1(SALU_CYCLE_1)
	s_lshl_b32 s0, -1, s0
	s_not_b32 s1, s0
	s_delay_alu instid0(SALU_CYCLE_1) | instskip(NEXT) | instid1(VALU_DEP_1)
	v_and_b32_e32 v33, s1, v0
	v_and_b32_e32 v39, 1, v33
	s_delay_alu instid0(VALU_DEP_1) | instskip(NEXT) | instid1(VALU_DEP_1)
	v_add_co_u32 v35, s20, v39, -1
	v_cndmask_b32_e64 v33, 0, 1, s20
	s_lshr_b32 s0, s21, 16
	s_mov_b32 s20, 0
	s_wait_alu 0xfffe
	v_mad_u32_u24 v34, v68, s0, v67
	s_and_b32 s0, s21, 0xffff
	v_cmp_ne_u32_e32 vcc_lo, 0, v33
	s_mov_b32 s23, s20
	s_mov_b32 s21, s20
	s_wait_alu 0xfffe
	v_mad_co_u64_u32 v[33:34], null, v34, s0, v[41:42]
	s_wait_alu 0xfffd
	v_xor_b32_e32 v34, vcc_lo, v35
	s_mov_b32 s22, s20
	v_dual_mov_b32 v38, s23 :: v_dual_mov_b32 v35, s20
	s_wait_alu 0xfffe
	s_delay_alu instid0(VALU_DEP_2)
	v_dual_mov_b32 v37, s22 :: v_dual_and_b32 v34, exec_lo, v34
	v_mov_b32_e32 v36, s21
	v_lshrrev_b32_e32 v33, 3, v33
	ds_store_b128 v64, v[35:38] offset:16
	ds_store_b128 v64, v[35:38] offset:32
	v_mbcnt_lo_u32_b32 v76, v34, 0
	v_lshlrev_b32_e32 v35, 4, v39
	v_and_b32_e32 v33, 0x1ffffffc, v33
	v_cmp_ne_u32_e64 s0, 0, v34
	s_wait_loadcnt_dscnt 0x0
	v_cmp_eq_u32_e32 vcc_lo, 0, v76
	s_barrier_signal -1
	v_add_nc_u32_e32 v79, v33, v35
	s_barrier_wait -1
	global_inv scope:SCOPE_SE
	s_and_b32 s20, s0, vcc_lo
	; wave barrier
	s_wait_alu 0xfffe
	s_and_saveexec_b32 s0, s20
; %bb.45:
	v_bcnt_u32_b32 v34, v34, 0
	ds_store_b32 v79, v34 offset:16
; %bb.46:
	s_wait_alu 0xfffe
	s_or_b32 exec_lo, exec_lo, s0
	v_and_b32_e32 v34, s1, v69
	; wave barrier
	s_delay_alu instid0(VALU_DEP_1) | instskip(NEXT) | instid1(VALU_DEP_1)
	v_and_b32_e32 v34, 0xff, v34
	v_add_co_u32 v35, s0, v34, -1
	s_wait_alu 0xf1ff
	v_cndmask_b32_e64 v36, 0, 1, s0
	v_lshlrev_b32_e32 v34, 4, v34
	s_delay_alu instid0(VALU_DEP_2) | instskip(NEXT) | instid1(VALU_DEP_2)
	v_cmp_ne_u32_e32 vcc_lo, 0, v36
	v_add_nc_u32_e32 v82, v33, v34
	s_wait_alu 0xfffd
	v_xor_b32_e32 v34, vcc_lo, v35
	ds_load_b32 v77, v82 offset:16
	; wave barrier
	v_and_b32_e32 v34, exec_lo, v34
	s_delay_alu instid0(VALU_DEP_1) | instskip(SKIP_1) | instid1(VALU_DEP_2)
	v_mbcnt_lo_u32_b32 v78, v34, 0
	v_cmp_ne_u32_e64 s0, 0, v34
	v_cmp_eq_u32_e32 vcc_lo, 0, v78
	s_and_b32 s20, s0, vcc_lo
	s_wait_alu 0xfffe
	s_and_saveexec_b32 s0, s20
	s_cbranch_execz .LBB277_48
; %bb.47:
	s_wait_dscnt 0x0
	v_bcnt_u32_b32 v34, v34, v77
	ds_store_b32 v82, v34 offset:16
.LBB277_48:
	s_wait_alu 0xfffe
	s_or_b32 exec_lo, exec_lo, s0
	v_and_b32_e32 v34, s1, v70
	; wave barrier
	s_delay_alu instid0(VALU_DEP_1) | instskip(NEXT) | instid1(VALU_DEP_1)
	v_and_b32_e32 v34, 0xff, v34
	v_add_co_u32 v35, s0, v34, -1
	s_wait_alu 0xf1ff
	v_cndmask_b32_e64 v36, 0, 1, s0
	v_lshlrev_b32_e32 v34, 4, v34
	s_delay_alu instid0(VALU_DEP_2) | instskip(NEXT) | instid1(VALU_DEP_2)
	v_cmp_ne_u32_e32 vcc_lo, 0, v36
	v_add_nc_u32_e32 v85, v33, v34
	s_wait_alu 0xfffd
	v_xor_b32_e32 v34, vcc_lo, v35
	ds_load_b32 v80, v85 offset:16
	; wave barrier
	v_and_b32_e32 v34, exec_lo, v34
	s_delay_alu instid0(VALU_DEP_1) | instskip(SKIP_1) | instid1(VALU_DEP_2)
	v_mbcnt_lo_u32_b32 v81, v34, 0
	v_cmp_ne_u32_e64 s0, 0, v34
	v_cmp_eq_u32_e32 vcc_lo, 0, v81
	s_and_b32 s20, s0, vcc_lo
	s_wait_alu 0xfffe
	s_and_saveexec_b32 s0, s20
	s_cbranch_execz .LBB277_50
; %bb.49:
	s_wait_dscnt 0x0
	v_bcnt_u32_b32 v34, v34, v80
	ds_store_b32 v85, v34 offset:16
.LBB277_50:
	;; [unrolled: 31-line block ×7, first 2 shown]
	s_wait_alu 0xfffe
	s_or_b32 exec_lo, exec_lo, s0
	; wave barrier
	s_wait_loadcnt_dscnt 0x0
	s_barrier_signal -1
	s_barrier_wait -1
	global_inv scope:SCOPE_SE
	ds_load_b128 v[37:40], v64 offset:16
	ds_load_b128 v[33:36], v64 offset:32
	v_min_u32_e32 v101, 0x60, v66
	s_mov_b32 s0, exec_lo
	s_wait_dscnt 0x1
	v_add_nc_u32_e32 v99, v38, v37
	s_delay_alu instid0(VALU_DEP_1) | instskip(SKIP_1) | instid1(VALU_DEP_1)
	v_add3_u32 v99, v99, v39, v40
	s_wait_dscnt 0x0
	v_add3_u32 v99, v99, v33, v34
	s_delay_alu instid0(VALU_DEP_1) | instskip(SKIP_1) | instid1(VALU_DEP_2)
	v_add3_u32 v36, v99, v35, v36
	v_and_b32_e32 v99, 15, v65
	v_mov_b32_dpp v100, v36 row_shr:1 row_mask:0xf bank_mask:0xf
	s_delay_alu instid0(VALU_DEP_2) | instskip(SKIP_1) | instid1(VALU_DEP_2)
	v_cmp_ne_u32_e32 vcc_lo, 0, v99
	s_wait_alu 0xfffd
	v_cndmask_b32_e32 v100, 0, v100, vcc_lo
	v_cmp_lt_u32_e32 vcc_lo, 1, v99
	s_delay_alu instid0(VALU_DEP_2) | instskip(NEXT) | instid1(VALU_DEP_1)
	v_add_nc_u32_e32 v36, v100, v36
	v_mov_b32_dpp v100, v36 row_shr:2 row_mask:0xf bank_mask:0xf
	s_wait_alu 0xfffd
	s_delay_alu instid0(VALU_DEP_1) | instskip(SKIP_1) | instid1(VALU_DEP_2)
	v_cndmask_b32_e32 v100, 0, v100, vcc_lo
	v_cmp_lt_u32_e32 vcc_lo, 3, v99
	v_add_nc_u32_e32 v36, v36, v100
	s_delay_alu instid0(VALU_DEP_1) | instskip(SKIP_1) | instid1(VALU_DEP_1)
	v_mov_b32_dpp v100, v36 row_shr:4 row_mask:0xf bank_mask:0xf
	s_wait_alu 0xfffd
	v_cndmask_b32_e32 v100, 0, v100, vcc_lo
	v_cmp_lt_u32_e32 vcc_lo, 7, v99
	s_delay_alu instid0(VALU_DEP_2) | instskip(NEXT) | instid1(VALU_DEP_1)
	v_add_nc_u32_e32 v36, v36, v100
	v_mov_b32_dpp v100, v36 row_shr:8 row_mask:0xf bank_mask:0xf
	s_wait_alu 0xfffd
	s_delay_alu instid0(VALU_DEP_1) | instskip(SKIP_1) | instid1(VALU_DEP_2)
	v_cndmask_b32_e32 v99, 0, v100, vcc_lo
	v_bfe_i32 v100, v65, 4, 1
	v_add_nc_u32_e32 v36, v36, v99
	ds_swizzle_b32 v99, v36 offset:swizzle(BROADCAST,32,15)
	s_wait_dscnt 0x0
	v_and_b32_e32 v99, v100, v99
	v_or_b32_e32 v100, 31, v101
	s_delay_alu instid0(VALU_DEP_2) | instskip(NEXT) | instid1(VALU_DEP_2)
	v_add_nc_u32_e32 v36, v36, v99
	v_cmpx_eq_u32_e64 v41, v100
; %bb.61:
	v_lshlrev_b32_e32 v99, 2, v63
	ds_store_b32 v99, v36
; %bb.62:
	s_wait_alu 0xfffe
	s_or_b32 exec_lo, exec_lo, s0
	s_delay_alu instid0(SALU_CYCLE_1)
	s_mov_b32 s0, exec_lo
	s_wait_loadcnt_dscnt 0x0
	s_barrier_signal -1
	s_barrier_wait -1
	global_inv scope:SCOPE_SE
	v_cmpx_gt_u32_e32 4, v41
	s_cbranch_execz .LBB277_64
; %bb.63:
	v_and_b32_e32 v101, 3, v65
	s_delay_alu instid0(VALU_DEP_1)
	v_cmp_ne_u32_e32 vcc_lo, 0, v101
	v_lshlrev_b32_e32 v99, 2, v41
	ds_load_b32 v100, v99
	s_wait_dscnt 0x0
	v_mov_b32_dpp v102, v100 row_shr:1 row_mask:0xf bank_mask:0xf
	s_wait_alu 0xfffd
	s_delay_alu instid0(VALU_DEP_1) | instskip(SKIP_1) | instid1(VALU_DEP_2)
	v_cndmask_b32_e32 v102, 0, v102, vcc_lo
	v_cmp_lt_u32_e32 vcc_lo, 1, v101
	v_add_nc_u32_e32 v100, v102, v100
	s_delay_alu instid0(VALU_DEP_1) | instskip(SKIP_1) | instid1(VALU_DEP_1)
	v_mov_b32_dpp v102, v100 row_shr:2 row_mask:0xf bank_mask:0xf
	s_wait_alu 0xfffd
	v_cndmask_b32_e32 v101, 0, v102, vcc_lo
	s_delay_alu instid0(VALU_DEP_1)
	v_add_nc_u32_e32 v100, v100, v101
	ds_store_b32 v99, v100
.LBB277_64:
	s_wait_alu 0xfffe
	s_or_b32 exec_lo, exec_lo, s0
	v_mov_b32_e32 v99, 0
	s_mov_b32 s0, exec_lo
	s_wait_loadcnt_dscnt 0x0
	s_barrier_signal -1
	s_barrier_wait -1
	global_inv scope:SCOPE_SE
	v_cmpx_lt_u32_e32 31, v41
; %bb.65:
	v_lshl_add_u32 v99, v63, 2, -4
	ds_load_b32 v99, v99
; %bb.66:
	s_wait_alu 0xfffe
	s_or_b32 exec_lo, exec_lo, s0
	v_sub_co_u32 v100, vcc_lo, v65, 1
	s_wait_dscnt 0x0
	v_add_nc_u32_e32 v36, v99, v36
	s_delay_alu instid0(VALU_DEP_2) | instskip(SKIP_1) | instid1(VALU_DEP_1)
	v_cmp_gt_i32_e64 s0, 0, v100
	s_wait_alu 0xf1ff
	v_cndmask_b32_e64 v100, v100, v65, s0
	s_delay_alu instid0(VALU_DEP_1)
	v_lshlrev_b32_e32 v100, 2, v100
	ds_bpermute_b32 v36, v100, v36
	s_wait_dscnt 0x0
	s_wait_alu 0xfffd
	v_cndmask_b32_e32 v36, v36, v99, vcc_lo
	v_cmp_ne_u32_e32 vcc_lo, 0, v41
	s_wait_alu 0xfffd
	s_delay_alu instid0(VALU_DEP_2) | instskip(NEXT) | instid1(VALU_DEP_1)
	v_cndmask_b32_e32 v36, 0, v36, vcc_lo
	v_add_nc_u32_e32 v37, v36, v37
	s_delay_alu instid0(VALU_DEP_1) | instskip(NEXT) | instid1(VALU_DEP_1)
	v_add_nc_u32_e32 v38, v37, v38
	v_add_nc_u32_e32 v39, v38, v39
	s_delay_alu instid0(VALU_DEP_1) | instskip(NEXT) | instid1(VALU_DEP_1)
	v_add_nc_u32_e32 v99, v39, v40
	;; [unrolled: 3-line block ×3, first 2 shown]
	v_add_nc_u32_e32 v102, v101, v35
	ds_store_b128 v64, v[36:39] offset:16
	ds_store_b128 v64, v[99:102] offset:32
	s_wait_loadcnt_dscnt 0x0
	s_barrier_signal -1
	s_barrier_wait -1
	global_inv scope:SCOPE_SE
	ds_load_b32 v33, v79 offset:16
	ds_load_b32 v34, v82 offset:16
	;; [unrolled: 1-line block ×8, first 2 shown]
	v_mad_u32_u24 v79, v41, 56, v61
	s_wait_loadcnt_dscnt 0x0
	s_barrier_signal -1
	s_barrier_wait -1
	global_inv scope:SCOPE_SE
	v_add_nc_u32_e32 v76, v33, v76
	v_add3_u32 v77, v78, v77, v34
	v_add3_u32 v35, v81, v80, v35
	;; [unrolled: 1-line block ×7, first 2 shown]
	ds_store_b8 v76, v0
	ds_store_b8 v77, v69
	ds_store_b8 v35, v70
	ds_store_b8 v36, v71
	ds_store_b8 v37, v72
	ds_store_b8 v38, v73
	ds_store_b8 v39, v74
	ds_store_b8 v40, v75
	v_lshlrev_b32_e32 v0, 3, v76
	v_lshlrev_b32_e32 v69, 3, v77
	;; [unrolled: 1-line block ×5, first 2 shown]
	s_wait_loadcnt_dscnt 0x0
	s_barrier_signal -1
	s_barrier_wait -1
	global_inv scope:SCOPE_SE
	ds_load_b64 v[33:34], v61
	s_wait_loadcnt_dscnt 0x0
	s_barrier_signal -1
	s_barrier_wait -1
	global_inv scope:SCOPE_SE
	v_lshlrev_b32_e32 v38, 3, v38
	v_lshlrev_b32_e32 v39, 3, v39
	;; [unrolled: 1-line block ×3, first 2 shown]
	ds_store_b64 v0, v[29:30]
	ds_store_b64 v69, v[31:32]
	;; [unrolled: 1-line block ×8, first 2 shown]
	s_wait_loadcnt_dscnt 0x0
	s_barrier_signal -1
	s_barrier_wait -1
	global_inv scope:SCOPE_SE
	ds_load_b128 v[29:32], v79
	ds_load_b128 v[25:28], v79 offset:16
	ds_load_b128 v[21:24], v79 offset:32
	;; [unrolled: 1-line block ×3, first 2 shown]
	s_branch .LBB277_98
.LBB277_67:
	s_wait_kmcnt 0x0
	v_mad_co_u64_u32 v[2:3], null, s10, v41, 0
	v_dual_mov_b32 v14, v1 :: v_dual_mov_b32 v15, v1
	v_mov_b32_e32 v16, v1
	v_dual_mov_b32 v6, v1 :: v_dual_mov_b32 v7, v1
	v_dual_mov_b32 v8, v1 :: v_dual_mov_b32 v9, v1
	v_mad_co_u64_u32 v[3:4], null, s11, v41, v[3:4]
	v_dual_mov_b32 v4, v1 :: v_dual_mov_b32 v5, v1
	v_dual_mov_b32 v10, v1 :: v_dual_mov_b32 v13, v1
	s_delay_alu instid0(VALU_DEP_3) | instskip(NEXT) | instid1(VALU_DEP_1)
	v_lshlrev_b64_e32 v[2:3], 3, v[2:3]
	v_add_co_u32 v2, vcc_lo, s16, v2
	s_delay_alu instid0(VALU_DEP_1)
	v_add_co_ci_u32_e64 v3, null, s17, v3, vcc_lo
	global_load_b64 v[11:12], v[2:3], off
	v_dual_mov_b32 v2, v1 :: v_dual_mov_b32 v3, v1
	s_or_b32 exec_lo, exec_lo, s0
	s_and_saveexec_b32 s0, s3
	s_cbranch_execz .LBB277_36
.LBB277_68:
	s_wait_kmcnt 0x0
	v_mad_co_u64_u32 v[1:2], null, s10, v23, 0
	s_delay_alu instid0(VALU_DEP_1) | instskip(NEXT) | instid1(VALU_DEP_1)
	v_mad_co_u64_u32 v[32:33], null, s11, v23, v[2:3]
	v_mov_b32_e32 v2, v32
	s_delay_alu instid0(VALU_DEP_1) | instskip(NEXT) | instid1(VALU_DEP_1)
	v_lshlrev_b64_e32 v[1:2], 3, v[1:2]
	v_add_co_u32 v1, vcc_lo, s16, v1
	s_wait_alu 0xfffd
	s_delay_alu instid0(VALU_DEP_2)
	v_add_co_ci_u32_e64 v2, null, s17, v2, vcc_lo
	global_load_b64 v[1:2], v[1:2], off
	s_or_b32 exec_lo, exec_lo, s0
	s_and_saveexec_b32 s0, s4
	s_cbranch_execz .LBB277_37
.LBB277_69:
	s_wait_kmcnt 0x0
	v_mad_co_u64_u32 v[13:14], null, s10, v22, 0
	s_delay_alu instid0(VALU_DEP_1) | instskip(NEXT) | instid1(VALU_DEP_1)
	v_mad_co_u64_u32 v[22:23], null, s11, v22, v[14:15]
	v_mov_b32_e32 v14, v22
	s_delay_alu instid0(VALU_DEP_1) | instskip(NEXT) | instid1(VALU_DEP_1)
	v_lshlrev_b64_e32 v[13:14], 3, v[13:14]
	v_add_co_u32 v13, vcc_lo, s16, v13
	s_wait_alu 0xfffd
	s_delay_alu instid0(VALU_DEP_2)
	v_add_co_ci_u32_e64 v14, null, s17, v14, vcc_lo
	global_load_b64 v[13:14], v[13:14], off
	s_or_b32 exec_lo, exec_lo, s0
	s_and_saveexec_b32 s0, s5
	s_cbranch_execz .LBB277_38
.LBB277_70:
	s_wait_kmcnt 0x0
	v_mad_co_u64_u32 v[15:16], null, s10, v21, 0
	s_delay_alu instid0(VALU_DEP_1) | instskip(NEXT) | instid1(VALU_DEP_1)
	v_mad_co_u64_u32 v[21:22], null, s11, v21, v[16:17]
	v_mov_b32_e32 v16, v21
	s_delay_alu instid0(VALU_DEP_1) | instskip(NEXT) | instid1(VALU_DEP_1)
	v_lshlrev_b64_e32 v[15:16], 3, v[15:16]
	v_add_co_u32 v15, vcc_lo, s16, v15
	s_wait_alu 0xfffd
	s_delay_alu instid0(VALU_DEP_2)
	v_add_co_ci_u32_e64 v16, null, s17, v16, vcc_lo
	global_load_b64 v[15:16], v[15:16], off
	s_or_b32 exec_lo, exec_lo, s0
	s_and_saveexec_b32 s0, s6
	s_cbranch_execz .LBB277_39
.LBB277_71:
	s_wait_kmcnt 0x0
	v_mad_co_u64_u32 v[3:4], null, s10, v20, 0
	s_delay_alu instid0(VALU_DEP_1) | instskip(NEXT) | instid1(VALU_DEP_1)
	v_mad_co_u64_u32 v[20:21], null, s11, v20, v[4:5]
	v_mov_b32_e32 v4, v20
	s_delay_alu instid0(VALU_DEP_1) | instskip(NEXT) | instid1(VALU_DEP_1)
	v_lshlrev_b64_e32 v[3:4], 3, v[3:4]
	v_add_co_u32 v3, vcc_lo, s16, v3
	s_wait_alu 0xfffd
	s_delay_alu instid0(VALU_DEP_2)
	v_add_co_ci_u32_e64 v4, null, s17, v4, vcc_lo
	global_load_b64 v[3:4], v[3:4], off
	s_or_b32 exec_lo, exec_lo, s0
	s_and_saveexec_b32 s0, s7
	s_cbranch_execz .LBB277_40
.LBB277_72:
	s_wait_kmcnt 0x0
	v_mad_co_u64_u32 v[5:6], null, s10, v19, 0
	s_delay_alu instid0(VALU_DEP_1) | instskip(NEXT) | instid1(VALU_DEP_1)
	v_mad_co_u64_u32 v[19:20], null, s11, v19, v[6:7]
	v_mov_b32_e32 v6, v19
	s_delay_alu instid0(VALU_DEP_1) | instskip(NEXT) | instid1(VALU_DEP_1)
	v_lshlrev_b64_e32 v[5:6], 3, v[5:6]
	v_add_co_u32 v5, vcc_lo, s16, v5
	s_wait_alu 0xfffd
	s_delay_alu instid0(VALU_DEP_2)
	v_add_co_ci_u32_e64 v6, null, s17, v6, vcc_lo
	global_load_b64 v[5:6], v[5:6], off
	s_or_b32 exec_lo, exec_lo, s0
	s_and_saveexec_b32 s0, s8
	s_cbranch_execz .LBB277_41
.LBB277_73:
	s_wait_kmcnt 0x0
	v_mad_co_u64_u32 v[7:8], null, s10, v17, 0
	s_delay_alu instid0(VALU_DEP_1) | instskip(NEXT) | instid1(VALU_DEP_1)
	v_mad_co_u64_u32 v[19:20], null, s11, v17, v[8:9]
	v_mov_b32_e32 v8, v19
	s_delay_alu instid0(VALU_DEP_1) | instskip(NEXT) | instid1(VALU_DEP_1)
	v_lshlrev_b64_e32 v[7:8], 3, v[7:8]
	v_add_co_u32 v7, vcc_lo, s16, v7
	s_wait_alu 0xfffd
	s_delay_alu instid0(VALU_DEP_2)
	v_add_co_ci_u32_e64 v8, null, s17, v8, vcc_lo
	global_load_b64 v[7:8], v[7:8], off
	s_or_b32 exec_lo, exec_lo, s0
	s_and_saveexec_b32 s0, s9
	s_cbranch_execnz .LBB277_42
	s_branch .LBB277_43
.LBB277_74:
                                        ; implicit-def: $vgpr19_vgpr20
                                        ; implicit-def: $vgpr23_vgpr24
                                        ; implicit-def: $vgpr27_vgpr28
                                        ; implicit-def: $vgpr31_vgpr32
                                        ; implicit-def: $vgpr34
	s_cbranch_execz .LBB277_98
; %bb.75:
	v_lshrrev_b16 v0, 8, v42
	s_wait_dscnt 0x0
	v_lshrrev_b32_e32 v17, 24, v42
	s_mov_b32 s20, 0
	v_lshrrev_b32_e32 v18, 16, v42
	s_mov_b32 s21, s20
	s_mov_b32 s22, s20
	;; [unrolled: 1-line block ×3, first 2 shown]
	v_and_b32_e32 v0, 1, v0
	v_and_b32_e32 v17, 1, v17
	v_lshrrev_b32_e32 v19, 24, v43
	v_lshrrev_b16 v21, 8, v43
	v_and_b32_e32 v22, 1, v42
	v_cmp_eq_u32_e32 vcc_lo, 1, v0
	v_cmp_ne_u32_e64 s0, 1, v17
	v_and_b32_e32 v0, 1, v18
	v_lshrrev_b32_e32 v20, 16, v43
	v_and_b32_e32 v18, 1, v21
	v_and_b32_e32 v19, 1, v19
	v_cndmask_b32_e64 v17, 0, 1, s0
	s_xor_b32 s0, vcc_lo, -1
	v_cmp_ne_u32_e32 vcc_lo, 1, v0
	s_wait_alu 0xfffe
	v_cndmask_b32_e64 v21, 0, 1, s0
	v_cmp_ne_u32_e64 s0, 1, v22
	v_and_b32_e32 v20, 1, v20
	v_and_b32_e32 v23, 1, v43
	s_wait_alu 0xfffd
	v_cndmask_b32_e64 v0, 0, 1, vcc_lo
	v_cmp_eq_u32_e32 vcc_lo, 1, v18
	s_wait_alu 0xf1ff
	v_cndmask_b32_e64 v18, 0, 1, s0
	v_cmp_ne_u32_e64 s0, 1, v19
	v_lshlrev_b16 v17, 8, v17
	v_lshlrev_b16 v21, 8, v21
	s_wait_alu 0xf1ff
	s_delay_alu instid0(VALU_DEP_3)
	v_cndmask_b32_e64 v19, 0, 1, s0
	s_xor_b32 s0, vcc_lo, -1
	v_cmp_ne_u32_e32 vcc_lo, 1, v20
	s_wait_alu 0xfffe
	v_cndmask_b32_e64 v22, 0, 1, s0
	v_or_b32_e32 v0, v0, v17
	v_lshlrev_b16 v19, 8, v19
	v_or_b32_e32 v17, v18, v21
	s_wait_alu 0xfffd
	v_cndmask_b32_e64 v20, 0, 1, vcc_lo
	v_cmp_ne_u32_e32 vcc_lo, 1, v23
	v_lshlrev_b16 v22, 8, v22
	s_getpc_b64 s[0:1]
	s_wait_alu 0xfffe
	s_sext_i32_i16 s1, s1
	s_add_co_u32 s0, s0, _ZN7rocprim17ROCPRIM_400000_NS16block_radix_sortIbLj128ELj8ElLj1ELj1ELj0ELNS0_26block_radix_rank_algorithmE1ELNS0_18block_padding_hintE2ELNS0_4arch9wavefront6targetE0EE19radix_bits_per_passE@rel32@lo+12
	s_wait_alu 0xfffe
	s_add_co_ci_u32 s1, s1, _ZN7rocprim17ROCPRIM_400000_NS16block_radix_sortIbLj128ELj8ElLj1ELj1ELj0ELNS0_26block_radix_rank_algorithmE1ELNS0_18block_padding_hintE2ELNS0_4arch9wavefront6targetE0EE19radix_bits_per_passE@rel32@hi+24
	v_lshlrev_b32_e32 v0, 16, v0
	v_or_b32_e32 v18, v20, v19
	s_wait_alu 0xfffd
	v_cndmask_b32_e64 v23, 0, 1, vcc_lo
	s_load_b32 s0, s[0:1], 0x0
	v_or_b32_e32 v20, v65, v66
	v_and_b32_e32 v17, 0xffff, v17
	v_lshlrev_b32_e32 v18, 16, v18
	v_or_b32_e32 v19, v23, v22
	s_delay_alu instid0(VALU_DEP_4) | instskip(NEXT) | instid1(VALU_DEP_4)
	v_lshlrev_b32_e32 v21, 3, v20
	v_or_b32_e32 v17, v17, v0
	v_and_or_b32 v0, 0x1f00, v61, v65
	s_delay_alu instid0(VALU_DEP_4) | instskip(NEXT) | instid1(VALU_DEP_1)
	v_and_b32_e32 v19, 0xffff, v19
	v_or_b32_e32 v18, v19, v18
	ds_store_b64 v21, v[17:18]
	; wave barrier
	ds_load_u8 v24, v0
	ds_load_u8 v25, v0 offset:32
	ds_load_u8 v26, v0 offset:64
	;; [unrolled: 1-line block ×7, first 2 shown]
	v_mad_u32_u24 v17, v20, 56, v21
	v_mad_u32_u24 v0, v0, 7, v0
	s_wait_loadcnt_dscnt 0x0
	s_barrier_signal -1
	s_barrier_wait -1
	global_inv scope:SCOPE_SE
	ds_store_b128 v17, v[13:16]
	ds_store_b128 v17, v[9:12] offset:16
	ds_store_b128 v17, v[5:8] offset:32
	;; [unrolled: 1-line block ×3, first 2 shown]
	; wave barrier
	ds_load_2addr_b64 v[12:15], v0 offset1:32
	ds_load_2addr_b64 v[8:11], v0 offset0:64 offset1:96
	ds_load_2addr_b64 v[4:7], v0 offset0:128 offset1:160
	;; [unrolled: 1-line block ×3, first 2 shown]
	s_wait_loadcnt_dscnt 0x0
	s_barrier_signal -1
	s_barrier_wait -1
	global_inv scope:SCOPE_SE
	s_load_b32 s18, s[18:19], 0xc
	s_wait_kmcnt 0x0
	s_min_u32 s0, s0, 8
	s_wait_alu 0xfffe
	s_lshl_b32 s0, -1, s0
	s_wait_alu 0xfffe
	s_not_b32 s1, s0
	s_wait_alu 0xfffe
	v_and_b32_e32 v16, s1, v24
	s_delay_alu instid0(VALU_DEP_1) | instskip(NEXT) | instid1(VALU_DEP_1)
	v_and_b32_e32 v22, 1, v16
	v_add_co_u32 v18, s19, v22, -1
	s_wait_alu 0xf1ff
	v_cndmask_b32_e64 v16, 0, 1, s19
	s_lshr_b32 s0, s18, 16
	s_wait_alu 0xfffe
	v_mad_u32_u24 v17, v68, s0, v67
	s_and_b32 s0, s18, 0xffff
	v_cmp_ne_u32_e32 vcc_lo, 0, v16
	s_wait_alu 0xfffe
	s_delay_alu instid0(VALU_DEP_2) | instskip(SKIP_4) | instid1(VALU_DEP_3)
	v_mad_co_u64_u32 v[16:17], null, v17, s0, v[41:42]
	s_wait_alu 0xfffd
	v_xor_b32_e32 v17, vcc_lo, v18
	v_dual_mov_b32 v18, s20 :: v_dual_mov_b32 v19, s21
	v_dual_mov_b32 v20, s22 :: v_dual_mov_b32 v21, s23
	v_and_b32_e32 v17, exec_lo, v17
	v_lshrrev_b32_e32 v16, 3, v16
	ds_store_b128 v64, v[18:21] offset:16
	ds_store_b128 v64, v[18:21] offset:32
	v_mbcnt_lo_u32_b32 v32, v17, 0
	v_and_b32_e32 v16, 0x1ffffffc, v16
	v_lshlrev_b32_e32 v18, 4, v22
	v_cmp_ne_u32_e64 s0, 0, v17
	s_wait_loadcnt_dscnt 0x0
	v_cmp_eq_u32_e32 vcc_lo, 0, v32
	s_barrier_signal -1
	v_add_nc_u32_e32 v35, v16, v18
	s_barrier_wait -1
	global_inv scope:SCOPE_SE
	s_and_b32 s18, s0, vcc_lo
	; wave barrier
	s_wait_alu 0xfffe
	s_and_saveexec_b32 s0, s18
; %bb.76:
	v_bcnt_u32_b32 v17, v17, 0
	ds_store_b32 v35, v17 offset:16
; %bb.77:
	s_wait_alu 0xfffe
	s_or_b32 exec_lo, exec_lo, s0
	v_and_b32_e32 v17, s1, v25
	; wave barrier
	s_delay_alu instid0(VALU_DEP_1) | instskip(NEXT) | instid1(VALU_DEP_1)
	v_and_b32_e32 v17, 0xff, v17
	v_add_co_u32 v18, s0, v17, -1
	s_wait_alu 0xf1ff
	v_cndmask_b32_e64 v19, 0, 1, s0
	v_lshlrev_b32_e32 v17, 4, v17
	s_delay_alu instid0(VALU_DEP_2) | instskip(NEXT) | instid1(VALU_DEP_2)
	v_cmp_ne_u32_e32 vcc_lo, 0, v19
	v_add_nc_u32_e32 v37, v16, v17
	s_wait_alu 0xfffd
	v_xor_b32_e32 v17, vcc_lo, v18
	ds_load_b32 v33, v37 offset:16
	; wave barrier
	v_and_b32_e32 v17, exec_lo, v17
	s_delay_alu instid0(VALU_DEP_1) | instskip(SKIP_1) | instid1(VALU_DEP_2)
	v_mbcnt_lo_u32_b32 v34, v17, 0
	v_cmp_ne_u32_e64 s0, 0, v17
	v_cmp_eq_u32_e32 vcc_lo, 0, v34
	s_and_b32 s18, s0, vcc_lo
	s_wait_alu 0xfffe
	s_and_saveexec_b32 s0, s18
	s_cbranch_execz .LBB277_79
; %bb.78:
	s_wait_dscnt 0x0
	v_bcnt_u32_b32 v17, v17, v33
	ds_store_b32 v37, v17 offset:16
.LBB277_79:
	s_wait_alu 0xfffe
	s_or_b32 exec_lo, exec_lo, s0
	v_and_b32_e32 v17, s1, v26
	; wave barrier
	s_delay_alu instid0(VALU_DEP_1) | instskip(NEXT) | instid1(VALU_DEP_1)
	v_and_b32_e32 v17, 0xff, v17
	v_add_co_u32 v18, s0, v17, -1
	s_wait_alu 0xf1ff
	v_cndmask_b32_e64 v19, 0, 1, s0
	v_lshlrev_b32_e32 v17, 4, v17
	s_delay_alu instid0(VALU_DEP_2) | instskip(NEXT) | instid1(VALU_DEP_2)
	v_cmp_ne_u32_e32 vcc_lo, 0, v19
	v_add_nc_u32_e32 v39, v16, v17
	s_wait_alu 0xfffd
	v_xor_b32_e32 v17, vcc_lo, v18
	ds_load_b32 v36, v39 offset:16
	; wave barrier
	v_and_b32_e32 v17, exec_lo, v17
	s_delay_alu instid0(VALU_DEP_1) | instskip(SKIP_1) | instid1(VALU_DEP_2)
	v_mbcnt_lo_u32_b32 v38, v17, 0
	v_cmp_ne_u32_e64 s0, 0, v17
	v_cmp_eq_u32_e32 vcc_lo, 0, v38
	s_and_b32 s18, s0, vcc_lo
	s_wait_alu 0xfffe
	s_and_saveexec_b32 s0, s18
	s_cbranch_execz .LBB277_81
; %bb.80:
	s_wait_dscnt 0x0
	v_bcnt_u32_b32 v17, v17, v36
	ds_store_b32 v39, v17 offset:16
.LBB277_81:
	;; [unrolled: 31-line block ×7, first 2 shown]
	s_wait_alu 0xfffe
	s_or_b32 exec_lo, exec_lo, s0
	; wave barrier
	s_wait_loadcnt_dscnt 0x0
	s_barrier_signal -1
	s_barrier_wait -1
	global_inv scope:SCOPE_SE
	ds_load_b128 v[20:23], v64 offset:16
	ds_load_b128 v[16:19], v64 offset:32
	v_min_u32_e32 v66, 0x60, v66
	s_mov_b32 s0, exec_lo
	s_delay_alu instid0(VALU_DEP_1) | instskip(SKIP_2) | instid1(VALU_DEP_1)
	v_or_b32_e32 v66, 31, v66
	s_wait_dscnt 0x1
	v_add_nc_u32_e32 v79, v21, v20
	v_add3_u32 v79, v79, v22, v23
	s_wait_dscnt 0x0
	s_delay_alu instid0(VALU_DEP_1) | instskip(NEXT) | instid1(VALU_DEP_1)
	v_add3_u32 v79, v79, v16, v17
	v_add3_u32 v19, v79, v18, v19
	s_delay_alu instid0(VALU_DEP_1) | instskip(SKIP_1) | instid1(VALU_DEP_1)
	v_mov_b32_dpp v80, v19 row_shr:1 row_mask:0xf bank_mask:0xf
	v_and_b32_e32 v79, 15, v65
	v_cmp_ne_u32_e32 vcc_lo, 0, v79
	s_wait_alu 0xfffd
	s_delay_alu instid0(VALU_DEP_3) | instskip(SKIP_1) | instid1(VALU_DEP_2)
	v_cndmask_b32_e32 v80, 0, v80, vcc_lo
	v_cmp_lt_u32_e32 vcc_lo, 1, v79
	v_add_nc_u32_e32 v19, v80, v19
	s_delay_alu instid0(VALU_DEP_1) | instskip(SKIP_1) | instid1(VALU_DEP_1)
	v_mov_b32_dpp v80, v19 row_shr:2 row_mask:0xf bank_mask:0xf
	s_wait_alu 0xfffd
	v_cndmask_b32_e32 v80, 0, v80, vcc_lo
	v_cmp_lt_u32_e32 vcc_lo, 3, v79
	s_delay_alu instid0(VALU_DEP_2) | instskip(NEXT) | instid1(VALU_DEP_1)
	v_add_nc_u32_e32 v19, v19, v80
	v_mov_b32_dpp v80, v19 row_shr:4 row_mask:0xf bank_mask:0xf
	s_wait_alu 0xfffd
	s_delay_alu instid0(VALU_DEP_1) | instskip(SKIP_1) | instid1(VALU_DEP_2)
	v_cndmask_b32_e32 v80, 0, v80, vcc_lo
	v_cmp_lt_u32_e32 vcc_lo, 7, v79
	v_add_nc_u32_e32 v19, v19, v80
	s_delay_alu instid0(VALU_DEP_1) | instskip(SKIP_1) | instid1(VALU_DEP_1)
	v_mov_b32_dpp v80, v19 row_shr:8 row_mask:0xf bank_mask:0xf
	s_wait_alu 0xfffd
	v_cndmask_b32_e32 v79, 0, v80, vcc_lo
	v_bfe_i32 v80, v65, 4, 1
	s_delay_alu instid0(VALU_DEP_2) | instskip(SKIP_3) | instid1(VALU_DEP_1)
	v_add_nc_u32_e32 v19, v19, v79
	ds_swizzle_b32 v79, v19 offset:swizzle(BROADCAST,32,15)
	s_wait_dscnt 0x0
	v_and_b32_e32 v79, v80, v79
	v_add_nc_u32_e32 v19, v19, v79
	v_cmpx_eq_u32_e64 v41, v66
; %bb.92:
	v_lshlrev_b32_e32 v66, 2, v63
	ds_store_b32 v66, v19
; %bb.93:
	s_wait_alu 0xfffe
	s_or_b32 exec_lo, exec_lo, s0
	s_delay_alu instid0(SALU_CYCLE_1)
	s_mov_b32 s0, exec_lo
	s_wait_loadcnt_dscnt 0x0
	s_barrier_signal -1
	s_barrier_wait -1
	global_inv scope:SCOPE_SE
	v_cmpx_gt_u32_e32 4, v41
	s_cbranch_execz .LBB277_95
; %bb.94:
	v_lshlrev_b32_e32 v66, 2, v41
	v_and_b32_e32 v80, 3, v65
	ds_load_b32 v79, v66
	v_cmp_ne_u32_e32 vcc_lo, 0, v80
	s_wait_dscnt 0x0
	v_mov_b32_dpp v81, v79 row_shr:1 row_mask:0xf bank_mask:0xf
	s_wait_alu 0xfffd
	s_delay_alu instid0(VALU_DEP_1) | instskip(SKIP_1) | instid1(VALU_DEP_2)
	v_cndmask_b32_e32 v81, 0, v81, vcc_lo
	v_cmp_lt_u32_e32 vcc_lo, 1, v80
	v_add_nc_u32_e32 v79, v81, v79
	s_delay_alu instid0(VALU_DEP_1) | instskip(SKIP_1) | instid1(VALU_DEP_1)
	v_mov_b32_dpp v81, v79 row_shr:2 row_mask:0xf bank_mask:0xf
	s_wait_alu 0xfffd
	v_cndmask_b32_e32 v80, 0, v81, vcc_lo
	s_delay_alu instid0(VALU_DEP_1)
	v_add_nc_u32_e32 v79, v79, v80
	ds_store_b32 v66, v79
.LBB277_95:
	s_wait_alu 0xfffe
	s_or_b32 exec_lo, exec_lo, s0
	v_mov_b32_e32 v66, 0
	s_mov_b32 s0, exec_lo
	s_wait_loadcnt_dscnt 0x0
	s_barrier_signal -1
	s_barrier_wait -1
	global_inv scope:SCOPE_SE
	v_cmpx_lt_u32_e32 31, v41
; %bb.96:
	v_lshl_add_u32 v63, v63, 2, -4
	ds_load_b32 v66, v63
; %bb.97:
	s_wait_alu 0xfffe
	s_or_b32 exec_lo, exec_lo, s0
	v_sub_co_u32 v63, vcc_lo, v65, 1
	s_wait_dscnt 0x0
	v_add_nc_u32_e32 v19, v66, v19
	s_delay_alu instid0(VALU_DEP_2) | instskip(SKIP_1) | instid1(VALU_DEP_1)
	v_cmp_gt_i32_e64 s0, 0, v63
	s_wait_alu 0xf1ff
	v_cndmask_b32_e64 v63, v63, v65, s0
	s_delay_alu instid0(VALU_DEP_1)
	v_lshlrev_b32_e32 v63, 2, v63
	ds_bpermute_b32 v19, v63, v19
	s_wait_dscnt 0x0
	s_wait_alu 0xfffd
	v_cndmask_b32_e32 v19, v19, v66, vcc_lo
	v_cmp_ne_u32_e32 vcc_lo, 0, v41
	s_wait_alu 0xfffd
	s_delay_alu instid0(VALU_DEP_2) | instskip(NEXT) | instid1(VALU_DEP_1)
	v_cndmask_b32_e32 v19, 0, v19, vcc_lo
	v_add_nc_u32_e32 v20, v19, v20
	s_delay_alu instid0(VALU_DEP_1) | instskip(NEXT) | instid1(VALU_DEP_1)
	v_add_nc_u32_e32 v21, v20, v21
	v_add_nc_u32_e32 v22, v21, v22
	s_delay_alu instid0(VALU_DEP_1) | instskip(NEXT) | instid1(VALU_DEP_1)
	v_add_nc_u32_e32 v79, v22, v23
	;; [unrolled: 3-line block ×3, first 2 shown]
	v_add_nc_u32_e32 v82, v81, v18
	ds_store_b128 v64, v[19:22] offset:16
	ds_store_b128 v64, v[79:82] offset:32
	s_wait_loadcnt_dscnt 0x0
	s_barrier_signal -1
	s_barrier_wait -1
	global_inv scope:SCOPE_SE
	ds_load_b32 v16, v35 offset:16
	ds_load_b32 v17, v37 offset:16
	;; [unrolled: 1-line block ×8, first 2 shown]
	s_wait_loadcnt_dscnt 0x0
	s_barrier_signal -1
	s_barrier_wait -1
	global_inv scope:SCOPE_SE
	v_mad_u32_u24 v35, v41, 56, v61
	v_add_nc_u32_e32 v16, v16, v32
	v_add3_u32 v17, v34, v33, v17
	v_add3_u32 v18, v38, v36, v18
	;; [unrolled: 1-line block ×7, first 2 shown]
	ds_store_b8 v16, v24
	ds_store_b8 v17, v25
	;; [unrolled: 1-line block ×8, first 2 shown]
	s_wait_loadcnt_dscnt 0x0
	s_barrier_signal -1
	s_barrier_wait -1
	global_inv scope:SCOPE_SE
	ds_load_b64 v[33:34], v61
	v_lshlrev_b32_e32 v16, 3, v16
	v_lshlrev_b32_e32 v17, 3, v17
	;; [unrolled: 1-line block ×8, first 2 shown]
	s_wait_loadcnt_dscnt 0x0
	s_barrier_signal -1
	s_barrier_wait -1
	global_inv scope:SCOPE_SE
	ds_store_b64 v16, v[12:13]
	ds_store_b64 v17, v[14:15]
	;; [unrolled: 1-line block ×8, first 2 shown]
	s_wait_loadcnt_dscnt 0x0
	s_barrier_signal -1
	s_barrier_wait -1
	global_inv scope:SCOPE_SE
	ds_load_b128 v[29:32], v35
	ds_load_b128 v[25:28], v35 offset:16
	ds_load_b128 v[21:24], v35 offset:32
	;; [unrolled: 1-line block ×3, first 2 shown]
	v_lshrrev_b32_e32 v0, 16, v33
	v_lshrrev_b32_e32 v3, 16, v34
	v_and_b32_e32 v1, 0xffffff00, v33
	v_xor_b32_e32 v2, 1, v33
	v_and_b32_e32 v4, 0xffffff00, v34
	v_xor_b32_e32 v5, 1, v34
	;; [unrolled: 2-line block ×4, first 2 shown]
	v_xor_b32_e32 v1, 0x100, v1
	v_and_b32_e32 v2, 0xff, v2
	v_xor_b32_e32 v4, 0x100, v4
	v_and_b32_e32 v5, 0xff, v5
	;; [unrolled: 2-line block ×4, first 2 shown]
	v_or_b32_e32 v1, v2, v1
	v_or_b32_e32 v2, v5, v4
	;; [unrolled: 1-line block ×3, first 2 shown]
	s_delay_alu instid0(VALU_DEP_4) | instskip(NEXT) | instid1(VALU_DEP_4)
	v_or_b32_e32 v3, v3, v7
	v_and_b32_e32 v1, 0xffff, v1
	s_delay_alu instid0(VALU_DEP_4) | instskip(NEXT) | instid1(VALU_DEP_4)
	v_and_b32_e32 v2, 0xffff, v2
	v_lshlrev_b32_e32 v0, 16, v0
	s_delay_alu instid0(VALU_DEP_4) | instskip(NEXT) | instid1(VALU_DEP_2)
	v_lshlrev_b32_e32 v3, 16, v3
	v_or_b32_e32 v33, v1, v0
	s_delay_alu instid0(VALU_DEP_2)
	v_or_b32_e32 v34, v2, v3
.LBB277_98:
	s_wait_loadcnt_dscnt 0x0
	s_barrier_signal -1
	s_barrier_wait -1
	global_inv scope:SCOPE_SE
	ds_store_2addr_b32 v52, v33, v34 offset1:1
	s_wait_loadcnt_dscnt 0x0
	s_barrier_signal -1
	s_barrier_wait -1
	global_inv scope:SCOPE_SE
	ds_load_u8 v8, v45 offset:128
	ds_load_u8 v7, v46 offset:256
	;; [unrolled: 1-line block ×7, first 2 shown]
	v_mad_co_u64_u32 v[0:1], null, s12, v41, s[14:15]
	s_wait_dscnt 0x0
	s_delay_alu instid0(VALU_DEP_1) | instskip(NEXT) | instid1(VALU_DEP_1)
	v_mad_co_u64_u32 v[9:10], null, s13, v41, v[1:2]
	v_mov_b32_e32 v1, v9
	s_and_saveexec_b32 s0, s2
	s_cbranch_execnz .LBB277_117
; %bb.99:
	s_wait_alu 0xfffe
	s_or_b32 exec_lo, exec_lo, s0
	s_and_saveexec_b32 s0, s3
	s_cbranch_execnz .LBB277_118
.LBB277_100:
	s_wait_alu 0xfffe
	s_or_b32 exec_lo, exec_lo, s0
	s_and_saveexec_b32 s0, s4
	s_cbranch_execnz .LBB277_119
.LBB277_101:
	s_wait_alu 0xfffe
	s_or_b32 exec_lo, exec_lo, s0
	s_and_saveexec_b32 s0, s5
	s_cbranch_execnz .LBB277_120
.LBB277_102:
	s_wait_alu 0xfffe
	s_or_b32 exec_lo, exec_lo, s0
	s_and_saveexec_b32 s0, s6
	s_cbranch_execnz .LBB277_121
.LBB277_103:
	s_wait_alu 0xfffe
	s_or_b32 exec_lo, exec_lo, s0
	s_and_saveexec_b32 s0, s7
	s_cbranch_execnz .LBB277_122
.LBB277_104:
	s_wait_alu 0xfffe
	s_or_b32 exec_lo, exec_lo, s0
	s_and_saveexec_b32 s0, s8
	s_cbranch_execnz .LBB277_123
.LBB277_105:
	s_wait_alu 0xfffe
	s_or_b32 exec_lo, exec_lo, s0
	s_and_saveexec_b32 s0, s9
	s_cbranch_execz .LBB277_107
.LBB277_106:
	v_mad_co_u64_u32 v[0:1], null, 0x380, s12, v[0:1]
	s_delay_alu instid0(VALU_DEP_1) | instskip(NEXT) | instid1(VALU_DEP_1)
	v_mad_co_u64_u32 v[3:4], null, 0x380, s13, v[1:2]
	v_mov_b32_e32 v1, v3
	global_store_b8 v[0:1], v2, off
.LBB277_107:
	s_wait_alu 0xfffe
	s_or_b32 exec_lo, exec_lo, s0
	s_wait_kmcnt 0x0
	v_mad_co_u64_u32 v[2:3], null, s10, v41, 0
	s_wait_loadcnt 0x0
	s_wait_storecnt 0x0
	s_barrier_signal -1
	s_barrier_wait -1
	global_inv scope:SCOPE_SE
	ds_store_2addr_b64 v62, v[29:30], v[31:32] offset1:1
	ds_store_2addr_b64 v62, v[25:26], v[27:28] offset0:2 offset1:3
	ds_store_2addr_b64 v62, v[21:22], v[23:24] offset0:4 offset1:5
	;; [unrolled: 1-line block ×3, first 2 shown]
	s_wait_loadcnt_dscnt 0x0
	v_mov_b32_e32 v0, v3
	s_barrier_signal -1
	s_barrier_wait -1
	global_inv scope:SCOPE_SE
	v_mad_co_u64_u32 v[3:4], null, s11, v41, v[0:1]
	ds_load_b64 v[14:15], v54 offset:1024
	ds_load_b64 v[12:13], v55 offset:2048
	;; [unrolled: 1-line block ×7, first 2 shown]
	v_lshlrev_b64_e32 v[2:3], 3, v[2:3]
	s_delay_alu instid0(VALU_DEP_1) | instskip(SKIP_1) | instid1(VALU_DEP_2)
	v_add_co_u32 v2, vcc_lo, s16, v2
	s_wait_alu 0xfffd
	v_add_co_ci_u32_e64 v3, null, s17, v3, vcc_lo
	s_and_saveexec_b32 s0, s2
	s_cbranch_execnz .LBB277_124
; %bb.108:
	s_wait_alu 0xfffe
	s_or_b32 exec_lo, exec_lo, s0
	s_and_saveexec_b32 s0, s3
	s_cbranch_execnz .LBB277_125
.LBB277_109:
	s_wait_alu 0xfffe
	s_or_b32 exec_lo, exec_lo, s0
	s_and_saveexec_b32 s0, s4
	s_cbranch_execnz .LBB277_126
.LBB277_110:
	s_wait_alu 0xfffe
	s_or_b32 exec_lo, exec_lo, s0
	s_and_saveexec_b32 s0, s5
	s_cbranch_execnz .LBB277_127
.LBB277_111:
	s_wait_alu 0xfffe
	s_or_b32 exec_lo, exec_lo, s0
	s_and_saveexec_b32 s0, s6
	s_cbranch_execnz .LBB277_128
.LBB277_112:
	s_wait_alu 0xfffe
	s_or_b32 exec_lo, exec_lo, s0
	s_and_saveexec_b32 s0, s7
	s_cbranch_execnz .LBB277_129
.LBB277_113:
	s_wait_alu 0xfffe
	s_or_b32 exec_lo, exec_lo, s0
	s_and_saveexec_b32 s0, s8
	s_cbranch_execnz .LBB277_130
.LBB277_114:
	s_wait_alu 0xfffe
	s_or_b32 exec_lo, exec_lo, s0
	s_and_saveexec_b32 s0, s9
	s_cbranch_execz .LBB277_116
.LBB277_115:
	v_mad_co_u64_u32 v[2:3], null, 0x1c00, s10, v[2:3]
	s_wait_dscnt 0x1
	s_delay_alu instid0(VALU_DEP_1)
	v_mad_co_u64_u32 v[3:4], null, 0x1c00, s11, v[3:4]
	s_wait_dscnt 0x0
	global_store_b64 v[2:3], v[0:1], off
.LBB277_116:
	s_nop 0
	s_sendmsg sendmsg(MSG_DEALLOC_VGPRS)
	s_endpgm
.LBB277_117:
	ds_load_u8 v9, v44
	s_wait_dscnt 0x0
	global_store_b8 v[0:1], v9, off
	s_wait_alu 0xfffe
	s_or_b32 exec_lo, exec_lo, s0
	s_and_saveexec_b32 s0, s3
	s_cbranch_execz .LBB277_100
.LBB277_118:
	s_lshl_b64 s[14:15], s[12:13], 7
	s_wait_alu 0xfffe
	v_add_co_u32 v9, vcc_lo, v0, s14
	s_wait_alu 0xfffd
	v_add_co_ci_u32_e64 v10, null, s15, v1, vcc_lo
	global_store_b8 v[9:10], v8, off
	s_or_b32 exec_lo, exec_lo, s0
	s_and_saveexec_b32 s0, s4
	s_cbranch_execz .LBB277_101
.LBB277_119:
	s_lshl_b64 s[14:15], s[12:13], 8
	s_wait_alu 0xfffe
	v_add_co_u32 v8, vcc_lo, v0, s14
	s_wait_alu 0xfffd
	v_add_co_ci_u32_e64 v9, null, s15, v1, vcc_lo
	global_store_b8 v[8:9], v7, off
	s_or_b32 exec_lo, exec_lo, s0
	s_and_saveexec_b32 s0, s5
	s_cbranch_execz .LBB277_102
.LBB277_120:
	v_mad_co_u64_u32 v[7:8], null, 0x180, s12, v[0:1]
	s_delay_alu instid0(VALU_DEP_1)
	v_mad_co_u64_u32 v[8:9], null, 0x180, s13, v[8:9]
	global_store_b8 v[7:8], v6, off
	s_wait_alu 0xfffe
	s_or_b32 exec_lo, exec_lo, s0
	s_and_saveexec_b32 s0, s6
	s_cbranch_execz .LBB277_103
.LBB277_121:
	s_lshl_b64 s[14:15], s[12:13], 9
	s_wait_alu 0xfffe
	v_add_co_u32 v6, vcc_lo, v0, s14
	s_wait_alu 0xfffd
	v_add_co_ci_u32_e64 v7, null, s15, v1, vcc_lo
	global_store_b8 v[6:7], v5, off
	s_or_b32 exec_lo, exec_lo, s0
	s_and_saveexec_b32 s0, s7
	s_cbranch_execz .LBB277_104
.LBB277_122:
	v_mad_co_u64_u32 v[5:6], null, 0x280, s12, v[0:1]
	s_delay_alu instid0(VALU_DEP_1)
	v_mad_co_u64_u32 v[6:7], null, 0x280, s13, v[6:7]
	global_store_b8 v[5:6], v4, off
	s_wait_alu 0xfffe
	s_or_b32 exec_lo, exec_lo, s0
	s_and_saveexec_b32 s0, s8
	s_cbranch_execz .LBB277_105
.LBB277_123:
	v_mad_co_u64_u32 v[4:5], null, 0x300, s12, v[0:1]
	s_delay_alu instid0(VALU_DEP_1)
	v_mad_co_u64_u32 v[5:6], null, 0x300, s13, v[5:6]
	global_store_b8 v[4:5], v3, off
	s_wait_alu 0xfffe
	s_or_b32 exec_lo, exec_lo, s0
	s_and_saveexec_b32 s0, s9
	s_cbranch_execnz .LBB277_106
	s_branch .LBB277_107
.LBB277_124:
	ds_load_b64 v[16:17], v53
	s_wait_dscnt 0x0
	global_store_b64 v[2:3], v[16:17], off
	s_wait_alu 0xfffe
	s_or_b32 exec_lo, exec_lo, s0
	s_and_saveexec_b32 s0, s3
	s_cbranch_execz .LBB277_109
.LBB277_125:
	s_lshl_b64 s[2:3], s[10:11], 10
	s_wait_alu 0xfffe
	v_add_co_u32 v16, vcc_lo, v2, s2
	s_wait_alu 0xfffd
	v_add_co_ci_u32_e64 v17, null, s3, v3, vcc_lo
	s_wait_dscnt 0x6
	global_store_b64 v[16:17], v[14:15], off
	s_or_b32 exec_lo, exec_lo, s0
	s_and_saveexec_b32 s0, s4
	s_cbranch_execz .LBB277_110
.LBB277_126:
	s_lshl_b64 s[2:3], s[10:11], 11
	s_wait_dscnt 0x6
	s_wait_alu 0xfffe
	v_add_co_u32 v14, vcc_lo, v2, s2
	s_wait_alu 0xfffd
	v_add_co_ci_u32_e64 v15, null, s3, v3, vcc_lo
	s_wait_dscnt 0x5
	global_store_b64 v[14:15], v[12:13], off
	s_or_b32 exec_lo, exec_lo, s0
	s_and_saveexec_b32 s0, s5
	s_cbranch_execz .LBB277_111
.LBB277_127:
	s_wait_dscnt 0x5
	v_mad_co_u64_u32 v[12:13], null, 0xc00, s10, v[2:3]
	s_delay_alu instid0(VALU_DEP_1)
	v_mad_co_u64_u32 v[13:14], null, 0xc00, s11, v[13:14]
	s_wait_dscnt 0x4
	global_store_b64 v[12:13], v[10:11], off
	s_wait_alu 0xfffe
	s_or_b32 exec_lo, exec_lo, s0
	s_and_saveexec_b32 s0, s6
	s_cbranch_execz .LBB277_112
.LBB277_128:
	s_lshl_b64 s[2:3], s[10:11], 12
	s_wait_dscnt 0x4
	s_wait_alu 0xfffe
	v_add_co_u32 v10, vcc_lo, v2, s2
	s_wait_alu 0xfffd
	v_add_co_ci_u32_e64 v11, null, s3, v3, vcc_lo
	s_wait_dscnt 0x3
	global_store_b64 v[10:11], v[8:9], off
	s_or_b32 exec_lo, exec_lo, s0
	s_and_saveexec_b32 s0, s7
	s_cbranch_execz .LBB277_113
.LBB277_129:
	s_wait_dscnt 0x3
	v_mad_co_u64_u32 v[8:9], null, 0x1400, s10, v[2:3]
	s_delay_alu instid0(VALU_DEP_1)
	v_mad_co_u64_u32 v[9:10], null, 0x1400, s11, v[9:10]
	s_wait_dscnt 0x2
	global_store_b64 v[8:9], v[6:7], off
	s_wait_alu 0xfffe
	s_or_b32 exec_lo, exec_lo, s0
	s_and_saveexec_b32 s0, s8
	s_cbranch_execz .LBB277_114
.LBB277_130:
	s_wait_dscnt 0x2
	v_mad_co_u64_u32 v[6:7], null, 0x1800, s10, v[2:3]
	s_delay_alu instid0(VALU_DEP_1)
	v_mad_co_u64_u32 v[7:8], null, 0x1800, s11, v[7:8]
	s_wait_dscnt 0x1
	global_store_b64 v[6:7], v[4:5], off
	s_wait_alu 0xfffe
	s_or_b32 exec_lo, exec_lo, s0
	s_and_saveexec_b32 s0, s9
	s_cbranch_execnz .LBB277_115
	s_branch .LBB277_116
	.section	.rodata,"a",@progbits
	.p2align	6, 0x0
	.amdhsa_kernel _ZN2at6native18radixSortKVInPlaceILin1ELin1ELi128ELi8EblmEEvNS_4cuda6detail10TensorInfoIT3_T5_EES6_S6_S6_NS4_IT4_S6_EES6_b
		.amdhsa_group_segment_fixed_size 8448
		.amdhsa_private_segment_fixed_size 0
		.amdhsa_kernarg_size 1128
		.amdhsa_user_sgpr_count 2
		.amdhsa_user_sgpr_dispatch_ptr 0
		.amdhsa_user_sgpr_queue_ptr 0
		.amdhsa_user_sgpr_kernarg_segment_ptr 1
		.amdhsa_user_sgpr_dispatch_id 0
		.amdhsa_user_sgpr_private_segment_size 0
		.amdhsa_wavefront_size32 1
		.amdhsa_uses_dynamic_stack 0
		.amdhsa_enable_private_segment 0
		.amdhsa_system_sgpr_workgroup_id_x 1
		.amdhsa_system_sgpr_workgroup_id_y 1
		.amdhsa_system_sgpr_workgroup_id_z 1
		.amdhsa_system_sgpr_workgroup_info 0
		.amdhsa_system_vgpr_workitem_id 2
		.amdhsa_next_free_vgpr 103
		.amdhsa_next_free_sgpr 36
		.amdhsa_reserve_vcc 1
		.amdhsa_float_round_mode_32 0
		.amdhsa_float_round_mode_16_64 0
		.amdhsa_float_denorm_mode_32 3
		.amdhsa_float_denorm_mode_16_64 3
		.amdhsa_fp16_overflow 0
		.amdhsa_workgroup_processor_mode 1
		.amdhsa_memory_ordered 1
		.amdhsa_forward_progress 1
		.amdhsa_inst_pref_size 87
		.amdhsa_round_robin_scheduling 0
		.amdhsa_exception_fp_ieee_invalid_op 0
		.amdhsa_exception_fp_denorm_src 0
		.amdhsa_exception_fp_ieee_div_zero 0
		.amdhsa_exception_fp_ieee_overflow 0
		.amdhsa_exception_fp_ieee_underflow 0
		.amdhsa_exception_fp_ieee_inexact 0
		.amdhsa_exception_int_div_zero 0
	.end_amdhsa_kernel
	.section	.text._ZN2at6native18radixSortKVInPlaceILin1ELin1ELi128ELi8EblmEEvNS_4cuda6detail10TensorInfoIT3_T5_EES6_S6_S6_NS4_IT4_S6_EES6_b,"axG",@progbits,_ZN2at6native18radixSortKVInPlaceILin1ELin1ELi128ELi8EblmEEvNS_4cuda6detail10TensorInfoIT3_T5_EES6_S6_S6_NS4_IT4_S6_EES6_b,comdat
.Lfunc_end277:
	.size	_ZN2at6native18radixSortKVInPlaceILin1ELin1ELi128ELi8EblmEEvNS_4cuda6detail10TensorInfoIT3_T5_EES6_S6_S6_NS4_IT4_S6_EES6_b, .Lfunc_end277-_ZN2at6native18radixSortKVInPlaceILin1ELin1ELi128ELi8EblmEEvNS_4cuda6detail10TensorInfoIT3_T5_EES6_S6_S6_NS4_IT4_S6_EES6_b
                                        ; -- End function
	.set _ZN2at6native18radixSortKVInPlaceILin1ELin1ELi128ELi8EblmEEvNS_4cuda6detail10TensorInfoIT3_T5_EES6_S6_S6_NS4_IT4_S6_EES6_b.num_vgpr, 103
	.set _ZN2at6native18radixSortKVInPlaceILin1ELin1ELi128ELi8EblmEEvNS_4cuda6detail10TensorInfoIT3_T5_EES6_S6_S6_NS4_IT4_S6_EES6_b.num_agpr, 0
	.set _ZN2at6native18radixSortKVInPlaceILin1ELin1ELi128ELi8EblmEEvNS_4cuda6detail10TensorInfoIT3_T5_EES6_S6_S6_NS4_IT4_S6_EES6_b.numbered_sgpr, 36
	.set _ZN2at6native18radixSortKVInPlaceILin1ELin1ELi128ELi8EblmEEvNS_4cuda6detail10TensorInfoIT3_T5_EES6_S6_S6_NS4_IT4_S6_EES6_b.num_named_barrier, 0
	.set _ZN2at6native18radixSortKVInPlaceILin1ELin1ELi128ELi8EblmEEvNS_4cuda6detail10TensorInfoIT3_T5_EES6_S6_S6_NS4_IT4_S6_EES6_b.private_seg_size, 0
	.set _ZN2at6native18radixSortKVInPlaceILin1ELin1ELi128ELi8EblmEEvNS_4cuda6detail10TensorInfoIT3_T5_EES6_S6_S6_NS4_IT4_S6_EES6_b.uses_vcc, 1
	.set _ZN2at6native18radixSortKVInPlaceILin1ELin1ELi128ELi8EblmEEvNS_4cuda6detail10TensorInfoIT3_T5_EES6_S6_S6_NS4_IT4_S6_EES6_b.uses_flat_scratch, 0
	.set _ZN2at6native18radixSortKVInPlaceILin1ELin1ELi128ELi8EblmEEvNS_4cuda6detail10TensorInfoIT3_T5_EES6_S6_S6_NS4_IT4_S6_EES6_b.has_dyn_sized_stack, 0
	.set _ZN2at6native18radixSortKVInPlaceILin1ELin1ELi128ELi8EblmEEvNS_4cuda6detail10TensorInfoIT3_T5_EES6_S6_S6_NS4_IT4_S6_EES6_b.has_recursion, 0
	.set _ZN2at6native18radixSortKVInPlaceILin1ELin1ELi128ELi8EblmEEvNS_4cuda6detail10TensorInfoIT3_T5_EES6_S6_S6_NS4_IT4_S6_EES6_b.has_indirect_call, 0
	.section	.AMDGPU.csdata,"",@progbits
; Kernel info:
; codeLenInByte = 11128
; TotalNumSgprs: 38
; NumVgprs: 103
; ScratchSize: 0
; MemoryBound: 0
; FloatMode: 240
; IeeeMode: 1
; LDSByteSize: 8448 bytes/workgroup (compile time only)
; SGPRBlocks: 0
; VGPRBlocks: 12
; NumSGPRsForWavesPerEU: 38
; NumVGPRsForWavesPerEU: 103
; Occupancy: 12
; WaveLimiterHint : 1
; COMPUTE_PGM_RSRC2:SCRATCH_EN: 0
; COMPUTE_PGM_RSRC2:USER_SGPR: 2
; COMPUTE_PGM_RSRC2:TRAP_HANDLER: 0
; COMPUTE_PGM_RSRC2:TGID_X_EN: 1
; COMPUTE_PGM_RSRC2:TGID_Y_EN: 1
; COMPUTE_PGM_RSRC2:TGID_Z_EN: 1
; COMPUTE_PGM_RSRC2:TIDIG_COMP_CNT: 2
	.section	.text._ZN2at6native18radixSortKVInPlaceILin1ELin1ELi32ELi4EblmEEvNS_4cuda6detail10TensorInfoIT3_T5_EES6_S6_S6_NS4_IT4_S6_EES6_b,"axG",@progbits,_ZN2at6native18radixSortKVInPlaceILin1ELin1ELi32ELi4EblmEEvNS_4cuda6detail10TensorInfoIT3_T5_EES6_S6_S6_NS4_IT4_S6_EES6_b,comdat
	.protected	_ZN2at6native18radixSortKVInPlaceILin1ELin1ELi32ELi4EblmEEvNS_4cuda6detail10TensorInfoIT3_T5_EES6_S6_S6_NS4_IT4_S6_EES6_b ; -- Begin function _ZN2at6native18radixSortKVInPlaceILin1ELin1ELi32ELi4EblmEEvNS_4cuda6detail10TensorInfoIT3_T5_EES6_S6_S6_NS4_IT4_S6_EES6_b
	.globl	_ZN2at6native18radixSortKVInPlaceILin1ELin1ELi32ELi4EblmEEvNS_4cuda6detail10TensorInfoIT3_T5_EES6_S6_S6_NS4_IT4_S6_EES6_b
	.p2align	8
	.type	_ZN2at6native18radixSortKVInPlaceILin1ELin1ELi32ELi4EblmEEvNS_4cuda6detail10TensorInfoIT3_T5_EES6_S6_S6_NS4_IT4_S6_EES6_b,@function
_ZN2at6native18radixSortKVInPlaceILin1ELin1ELi32ELi4EblmEEvNS_4cuda6detail10TensorInfoIT3_T5_EES6_S6_S6_NS4_IT4_S6_EES6_b: ; @_ZN2at6native18radixSortKVInPlaceILin1ELin1ELi32ELi4EblmEEvNS_4cuda6detail10TensorInfoIT3_T5_EES6_S6_S6_NS4_IT4_S6_EES6_b
; %bb.0:
	s_clause 0x1
	s_load_b64 s[2:3], s[0:1], 0x368
	s_load_b128 s[4:7], s[0:1], 0x1a0
	s_wait_kmcnt 0x0
	s_lshr_b32 s7, ttmp7, 16
	s_and_b32 s8, ttmp7, 0xffff
	s_mul_i32 s3, s3, s7
	s_delay_alu instid0(SALU_CYCLE_1) | instskip(NEXT) | instid1(SALU_CYCLE_1)
	s_add_co_i32 s3, s3, s8
	s_mul_i32 s2, s3, s2
	s_mov_b32 s3, 0
	s_add_co_i32 s2, s2, ttmp9
	s_delay_alu instid0(SALU_CYCLE_1)
	v_cmp_le_u64_e64 s4, s[4:5], s[2:3]
	s_and_b32 vcc_lo, exec_lo, s4
	s_cbranch_vccnz .LBB278_68
; %bb.1:
	s_clause 0x1
	s_load_b32 s7, s[0:1], 0x198
	s_load_b64 s[10:11], s[0:1], 0x1b0
	s_mov_b64 s[4:5], 0
	s_mov_b64 s[12:13], s[2:3]
	s_wait_kmcnt 0x0
	s_cmp_lt_i32 s7, 2
	s_cbranch_scc1 .LBB278_9
; %bb.2:
	s_mov_b32 s8, 0
	s_add_co_i32 s4, s7, -1
	s_mov_b32 s5, s8
	s_add_co_i32 s7, s7, 1
	s_wait_alu 0xfffe
	s_lshl_b64 s[4:5], s[4:5], 3
	s_mov_b64 s[16:17], s[2:3]
	s_wait_alu 0xfffe
	s_add_nc_u64 s[12:13], s[0:1], s[4:5]
	s_mov_b64 s[4:5], 0
	s_add_nc_u64 s[14:15], s[12:13], 8
.LBB278_3:                              ; =>This Inner Loop Header: Depth=1
	s_load_b64 s[18:19], s[14:15], 0x0
	s_wait_kmcnt 0x0
	s_or_b64 s[12:13], s[16:17], s[18:19]
	s_delay_alu instid0(SALU_CYCLE_1)
	s_mov_b32 s9, s13
                                        ; implicit-def: $sgpr12_sgpr13
	s_wait_alu 0xfffe
	s_cmp_lg_u64 s[8:9], 0
	s_mov_b32 s9, -1
	s_cbranch_scc0 .LBB278_5
; %bb.4:                                ;   in Loop: Header=BB278_3 Depth=1
	s_cvt_f32_u32 s9, s18
	s_cvt_f32_u32 s12, s19
	s_sub_nc_u64 s[20:21], 0, s[18:19]
	s_mov_b32 s23, s8
	s_mov_b32 s27, s8
	s_wait_alu 0xfffe
	s_fmamk_f32 s9, s12, 0x4f800000, s9
	s_wait_alu 0xfffe
	s_delay_alu instid0(SALU_CYCLE_2) | instskip(NEXT) | instid1(TRANS32_DEP_1)
	v_s_rcp_f32 s9, s9
	s_mul_f32 s9, s9, 0x5f7ffffc
	s_wait_alu 0xfffe
	s_delay_alu instid0(SALU_CYCLE_2) | instskip(NEXT) | instid1(SALU_CYCLE_3)
	s_mul_f32 s12, s9, 0x2f800000
	s_trunc_f32 s12, s12
	s_delay_alu instid0(SALU_CYCLE_3) | instskip(SKIP_2) | instid1(SALU_CYCLE_1)
	s_fmamk_f32 s9, s12, 0xcf800000, s9
	s_cvt_u32_f32 s13, s12
	s_wait_alu 0xfffe
	s_cvt_u32_f32 s12, s9
	s_delay_alu instid0(SALU_CYCLE_3) | instskip(NEXT) | instid1(SALU_CYCLE_1)
	s_mul_u64 s[24:25], s[20:21], s[12:13]
	s_mul_hi_u32 s29, s12, s25
	s_mul_i32 s28, s12, s25
	s_mul_hi_u32 s22, s12, s24
	s_mul_i32 s26, s13, s24
	s_add_nc_u64 s[22:23], s[22:23], s[28:29]
	s_mul_hi_u32 s9, s13, s24
	s_mul_hi_u32 s30, s13, s25
	s_add_co_u32 s22, s22, s26
	s_wait_alu 0xfffe
	s_add_co_ci_u32 s26, s23, s9
	s_mul_i32 s24, s13, s25
	s_add_co_ci_u32 s25, s30, 0
	s_delay_alu instid0(SALU_CYCLE_1)
	s_add_nc_u64 s[22:23], s[26:27], s[24:25]
	s_mov_b32 s25, s8
	s_add_co_u32 s12, s12, s22
	s_cselect_b32 s9, -1, 0
	s_wait_alu 0xfffe
	s_cmp_lg_u32 s9, 0
	s_add_co_ci_u32 s13, s13, s23
	s_mov_b32 s23, s8
	s_mul_u64 s[20:21], s[20:21], s[12:13]
	s_delay_alu instid0(SALU_CYCLE_1)
	s_mul_hi_u32 s27, s12, s21
	s_mul_i32 s26, s12, s21
	s_mul_hi_u32 s22, s12, s20
	s_mul_i32 s24, s13, s20
	s_add_nc_u64 s[22:23], s[22:23], s[26:27]
	s_mul_hi_u32 s9, s13, s20
	s_mul_hi_u32 s28, s13, s21
	s_mul_i32 s20, s13, s21
	s_add_co_u32 s21, s22, s24
	s_wait_alu 0xfffe
	s_add_co_ci_u32 s24, s23, s9
	s_add_co_ci_u32 s21, s28, 0
	s_mov_b32 s23, s8
	s_add_nc_u64 s[20:21], s[24:25], s[20:21]
	s_delay_alu instid0(SALU_CYCLE_1)
	s_add_co_u32 s9, s12, s20
	s_cselect_b32 s12, -1, 0
	s_wait_alu 0xfffe
	s_mul_hi_u32 s22, s16, s9
	s_cmp_lg_u32 s12, 0
	s_mul_hi_u32 s24, s17, s9
	s_add_co_ci_u32 s20, s13, s21
	s_mul_i32 s9, s17, s9
	s_mul_hi_u32 s13, s16, s20
	s_mul_i32 s12, s16, s20
	s_mul_hi_u32 s21, s17, s20
	s_add_nc_u64 s[12:13], s[22:23], s[12:13]
	s_mul_i32 s20, s17, s20
	s_wait_alu 0xfffe
	s_add_co_u32 s9, s12, s9
	s_add_co_ci_u32 s24, s13, s24
	s_add_co_ci_u32 s21, s21, 0
	s_delay_alu instid0(SALU_CYCLE_1) | instskip(NEXT) | instid1(SALU_CYCLE_1)
	s_add_nc_u64 s[12:13], s[24:25], s[20:21]
	s_mul_u64 s[20:21], s[18:19], s[12:13]
	s_delay_alu instid0(SALU_CYCLE_1)
	s_sub_co_u32 s9, s16, s20
	s_cselect_b32 s20, -1, 0
	s_sub_co_i32 s22, s17, s21
	s_cmp_lg_u32 s20, 0
	s_sub_co_ci_u32 s22, s22, s19
	s_wait_alu 0xfffe
	s_sub_co_u32 s23, s9, s18
	s_cselect_b32 s24, -1, 0
	s_delay_alu instid0(SALU_CYCLE_1) | instskip(SKIP_1) | instid1(SALU_CYCLE_1)
	s_cmp_lg_u32 s24, 0
	s_sub_co_ci_u32 s22, s22, 0
	s_cmp_ge_u32 s22, s19
	s_cselect_b32 s24, -1, 0
	s_cmp_ge_u32 s23, s18
	s_cselect_b32 s25, -1, 0
	s_cmp_eq_u32 s22, s19
	s_add_nc_u64 s[22:23], s[12:13], 1
	s_cselect_b32 s26, s25, s24
	s_add_nc_u64 s[24:25], s[12:13], 2
	s_cmp_lg_u32 s26, 0
	s_cselect_b32 s22, s24, s22
	s_cselect_b32 s23, s25, s23
	s_cmp_lg_u32 s20, 0
	s_sub_co_ci_u32 s20, s17, s21
	s_delay_alu instid0(SALU_CYCLE_1)
	s_cmp_ge_u32 s20, s19
	s_cselect_b32 s21, -1, 0
	s_cmp_ge_u32 s9, s18
	s_cselect_b32 s9, -1, 0
	s_cmp_eq_u32 s20, s19
	s_wait_alu 0xfffe
	s_cselect_b32 s9, s9, s21
	s_wait_alu 0xfffe
	s_cmp_lg_u32 s9, 0
	s_mov_b32 s9, 0
	s_cselect_b32 s13, s23, s13
	s_cselect_b32 s12, s22, s12
.LBB278_5:                              ;   in Loop: Header=BB278_3 Depth=1
	s_wait_alu 0xfffe
	s_and_not1_b32 vcc_lo, exec_lo, s9
	s_cbranch_vccnz .LBB278_7
; %bb.6:                                ;   in Loop: Header=BB278_3 Depth=1
	v_cvt_f32_u32_e32 v1, s18
	s_sub_co_i32 s12, 0, s18
	s_delay_alu instid0(VALU_DEP_1) | instskip(NEXT) | instid1(TRANS32_DEP_1)
	v_rcp_iflag_f32_e32 v1, v1
	v_mul_f32_e32 v1, 0x4f7ffffe, v1
	s_delay_alu instid0(VALU_DEP_1) | instskip(NEXT) | instid1(VALU_DEP_1)
	v_cvt_u32_f32_e32 v1, v1
	v_readfirstlane_b32 s9, v1
	s_mul_i32 s12, s12, s9
	s_delay_alu instid0(SALU_CYCLE_1) | instskip(NEXT) | instid1(SALU_CYCLE_1)
	s_mul_hi_u32 s12, s9, s12
	s_add_co_i32 s9, s9, s12
	s_wait_alu 0xfffe
	s_mul_hi_u32 s9, s16, s9
	s_wait_alu 0xfffe
	s_mul_i32 s12, s9, s18
	s_add_co_i32 s13, s9, 1
	s_sub_co_i32 s12, s16, s12
	s_delay_alu instid0(SALU_CYCLE_1)
	s_sub_co_i32 s20, s12, s18
	s_cmp_ge_u32 s12, s18
	s_cselect_b32 s9, s13, s9
	s_cselect_b32 s12, s20, s12
	s_wait_alu 0xfffe
	s_add_co_i32 s13, s9, 1
	s_cmp_ge_u32 s12, s18
	s_cselect_b32 s12, s13, s9
	s_mov_b32 s13, s8
.LBB278_7:                              ;   in Loop: Header=BB278_3 Depth=1
	s_load_b64 s[20:21], s[14:15], 0xc8
	s_mul_u64 s[18:19], s[12:13], s[18:19]
	s_add_co_i32 s7, s7, -1
	s_wait_alu 0xfffe
	s_sub_nc_u64 s[16:17], s[16:17], s[18:19]
	s_cmp_gt_u32 s7, 2
	s_add_nc_u64 s[14:15], s[14:15], -8
	s_wait_kmcnt 0x0
	s_mul_u64 s[16:17], s[20:21], s[16:17]
	s_delay_alu instid0(SALU_CYCLE_1)
	s_add_nc_u64 s[4:5], s[16:17], s[4:5]
	s_cbranch_scc0 .LBB278_9
; %bb.8:                                ;   in Loop: Header=BB278_3 Depth=1
	s_mov_b64 s[16:17], s[12:13]
	s_branch .LBB278_3
.LBB278_9:
	s_load_b32 s7, s[0:1], 0x350
	s_add_nc_u64 s[18:19], s[0:1], 0x368
	s_mov_b64 s[8:9], 0
	s_wait_kmcnt 0x0
	s_cmp_lt_i32 s7, 2
	s_cbranch_scc1 .LBB278_17
; %bb.10:
	s_mov_b32 s14, 0
	s_add_co_i32 s8, s7, -1
	s_mov_b32 s9, s14
	s_add_co_i32 s7, s7, 1
	s_wait_alu 0xfffe
	s_lshl_b64 s[8:9], s[8:9], 3
	s_wait_alu 0xfffe
	s_add_nc_u64 s[8:9], s[0:1], s[8:9]
	s_wait_alu 0xfffe
	s_add_nc_u64 s[16:17], s[8:9], 0x1c0
	s_mov_b64 s[8:9], 0
.LBB278_11:                             ; =>This Inner Loop Header: Depth=1
	s_load_b64 s[20:21], s[16:17], 0x0
	s_wait_kmcnt 0x0
	s_or_b64 s[22:23], s[2:3], s[20:21]
	s_delay_alu instid0(SALU_CYCLE_1)
	s_mov_b32 s15, s23
                                        ; implicit-def: $sgpr22_sgpr23
	s_wait_alu 0xfffe
	s_cmp_lg_u64 s[14:15], 0
	s_mov_b32 s15, -1
	s_cbranch_scc0 .LBB278_13
; %bb.12:                               ;   in Loop: Header=BB278_11 Depth=1
	s_cvt_f32_u32 s15, s20
	s_cvt_f32_u32 s22, s21
	s_sub_nc_u64 s[24:25], 0, s[20:21]
	s_mov_b32 s27, s14
	s_mov_b32 s31, s14
	s_wait_alu 0xfffe
	s_fmamk_f32 s15, s22, 0x4f800000, s15
	s_wait_alu 0xfffe
	s_delay_alu instid0(SALU_CYCLE_2) | instskip(NEXT) | instid1(TRANS32_DEP_1)
	v_s_rcp_f32 s15, s15
	s_mul_f32 s15, s15, 0x5f7ffffc
	s_wait_alu 0xfffe
	s_delay_alu instid0(SALU_CYCLE_2) | instskip(NEXT) | instid1(SALU_CYCLE_3)
	s_mul_f32 s22, s15, 0x2f800000
	s_trunc_f32 s22, s22
	s_delay_alu instid0(SALU_CYCLE_3) | instskip(SKIP_2) | instid1(SALU_CYCLE_1)
	s_fmamk_f32 s15, s22, 0xcf800000, s15
	s_cvt_u32_f32 s23, s22
	s_wait_alu 0xfffe
	s_cvt_u32_f32 s22, s15
	s_delay_alu instid0(SALU_CYCLE_3) | instskip(NEXT) | instid1(SALU_CYCLE_1)
	s_mul_u64 s[28:29], s[24:25], s[22:23]
	s_mul_hi_u32 s35, s22, s29
	s_mul_i32 s34, s22, s29
	s_mul_hi_u32 s26, s22, s28
	s_mul_i32 s30, s23, s28
	s_add_nc_u64 s[26:27], s[26:27], s[34:35]
	s_mul_hi_u32 s15, s23, s28
	s_mul_hi_u32 s33, s23, s29
	s_add_co_u32 s26, s26, s30
	s_wait_alu 0xfffe
	s_add_co_ci_u32 s30, s27, s15
	s_mul_i32 s28, s23, s29
	s_add_co_ci_u32 s29, s33, 0
	s_delay_alu instid0(SALU_CYCLE_1)
	s_add_nc_u64 s[26:27], s[30:31], s[28:29]
	s_mov_b32 s29, s14
	s_add_co_u32 s22, s22, s26
	s_cselect_b32 s15, -1, 0
	s_wait_alu 0xfffe
	s_cmp_lg_u32 s15, 0
	s_add_co_ci_u32 s23, s23, s27
	s_mov_b32 s27, s14
	s_mul_u64 s[24:25], s[24:25], s[22:23]
	s_delay_alu instid0(SALU_CYCLE_1)
	s_mul_hi_u32 s31, s22, s25
	s_mul_i32 s30, s22, s25
	s_mul_hi_u32 s26, s22, s24
	s_mul_i32 s28, s23, s24
	s_add_nc_u64 s[26:27], s[26:27], s[30:31]
	s_mul_hi_u32 s15, s23, s24
	s_mul_hi_u32 s33, s23, s25
	s_mul_i32 s24, s23, s25
	s_add_co_u32 s25, s26, s28
	s_wait_alu 0xfffe
	s_add_co_ci_u32 s28, s27, s15
	s_add_co_ci_u32 s25, s33, 0
	s_mov_b32 s27, s14
	s_add_nc_u64 s[24:25], s[28:29], s[24:25]
	s_delay_alu instid0(SALU_CYCLE_1)
	s_add_co_u32 s15, s22, s24
	s_cselect_b32 s22, -1, 0
	s_wait_alu 0xfffe
	s_mul_hi_u32 s26, s2, s15
	s_cmp_lg_u32 s22, 0
	s_mul_hi_u32 s28, s3, s15
	s_add_co_ci_u32 s24, s23, s25
	s_mul_i32 s15, s3, s15
	s_mul_hi_u32 s23, s2, s24
	s_mul_i32 s22, s2, s24
	s_mul_hi_u32 s25, s3, s24
	s_add_nc_u64 s[22:23], s[26:27], s[22:23]
	s_mul_i32 s24, s3, s24
	s_wait_alu 0xfffe
	s_add_co_u32 s15, s22, s15
	s_add_co_ci_u32 s28, s23, s28
	s_add_co_ci_u32 s25, s25, 0
	s_delay_alu instid0(SALU_CYCLE_1) | instskip(NEXT) | instid1(SALU_CYCLE_1)
	s_add_nc_u64 s[22:23], s[28:29], s[24:25]
	s_mul_u64 s[24:25], s[20:21], s[22:23]
	s_delay_alu instid0(SALU_CYCLE_1)
	s_sub_co_u32 s15, s2, s24
	s_cselect_b32 s24, -1, 0
	s_sub_co_i32 s26, s3, s25
	s_cmp_lg_u32 s24, 0
	s_sub_co_ci_u32 s26, s26, s21
	s_wait_alu 0xfffe
	s_sub_co_u32 s27, s15, s20
	s_cselect_b32 s28, -1, 0
	s_delay_alu instid0(SALU_CYCLE_1) | instskip(SKIP_1) | instid1(SALU_CYCLE_1)
	s_cmp_lg_u32 s28, 0
	s_sub_co_ci_u32 s26, s26, 0
	s_cmp_ge_u32 s26, s21
	s_cselect_b32 s28, -1, 0
	s_cmp_ge_u32 s27, s20
	s_cselect_b32 s29, -1, 0
	s_cmp_eq_u32 s26, s21
	s_add_nc_u64 s[26:27], s[22:23], 1
	s_cselect_b32 s30, s29, s28
	s_add_nc_u64 s[28:29], s[22:23], 2
	s_cmp_lg_u32 s30, 0
	s_cselect_b32 s26, s28, s26
	s_cselect_b32 s27, s29, s27
	s_cmp_lg_u32 s24, 0
	s_sub_co_ci_u32 s24, s3, s25
	s_delay_alu instid0(SALU_CYCLE_1)
	s_cmp_ge_u32 s24, s21
	s_cselect_b32 s25, -1, 0
	s_cmp_ge_u32 s15, s20
	s_cselect_b32 s15, -1, 0
	s_cmp_eq_u32 s24, s21
	s_wait_alu 0xfffe
	s_cselect_b32 s15, s15, s25
	s_wait_alu 0xfffe
	s_cmp_lg_u32 s15, 0
	s_mov_b32 s15, 0
	s_cselect_b32 s23, s27, s23
	s_cselect_b32 s22, s26, s22
.LBB278_13:                             ;   in Loop: Header=BB278_11 Depth=1
	s_wait_alu 0xfffe
	s_and_not1_b32 vcc_lo, exec_lo, s15
	s_cbranch_vccnz .LBB278_15
; %bb.14:                               ;   in Loop: Header=BB278_11 Depth=1
	v_cvt_f32_u32_e32 v1, s20
	s_sub_co_i32 s22, 0, s20
	s_delay_alu instid0(VALU_DEP_1) | instskip(NEXT) | instid1(TRANS32_DEP_1)
	v_rcp_iflag_f32_e32 v1, v1
	v_mul_f32_e32 v1, 0x4f7ffffe, v1
	s_delay_alu instid0(VALU_DEP_1) | instskip(NEXT) | instid1(VALU_DEP_1)
	v_cvt_u32_f32_e32 v1, v1
	v_readfirstlane_b32 s15, v1
	s_mul_i32 s22, s22, s15
	s_delay_alu instid0(SALU_CYCLE_1) | instskip(NEXT) | instid1(SALU_CYCLE_1)
	s_mul_hi_u32 s22, s15, s22
	s_add_co_i32 s15, s15, s22
	s_wait_alu 0xfffe
	s_mul_hi_u32 s15, s2, s15
	s_wait_alu 0xfffe
	s_mul_i32 s22, s15, s20
	s_add_co_i32 s23, s15, 1
	s_sub_co_i32 s22, s2, s22
	s_delay_alu instid0(SALU_CYCLE_1)
	s_sub_co_i32 s24, s22, s20
	s_cmp_ge_u32 s22, s20
	s_cselect_b32 s15, s23, s15
	s_cselect_b32 s22, s24, s22
	s_wait_alu 0xfffe
	s_add_co_i32 s23, s15, 1
	s_cmp_ge_u32 s22, s20
	s_cselect_b32 s22, s23, s15
	s_mov_b32 s23, s14
.LBB278_15:                             ;   in Loop: Header=BB278_11 Depth=1
	s_load_b64 s[24:25], s[16:17], 0xc8
	s_mul_u64 s[20:21], s[22:23], s[20:21]
	s_add_co_i32 s7, s7, -1
	s_wait_alu 0xfffe
	s_sub_nc_u64 s[2:3], s[2:3], s[20:21]
	s_cmp_gt_u32 s7, 2
	s_add_nc_u64 s[16:17], s[16:17], -8
	s_wait_kmcnt 0x0
	s_wait_alu 0xfffe
	s_mul_u64 s[2:3], s[24:25], s[2:3]
	s_wait_alu 0xfffe
	s_add_nc_u64 s[8:9], s[2:3], s[8:9]
	s_cbranch_scc0 .LBB278_18
; %bb.16:                               ;   in Loop: Header=BB278_11 Depth=1
	s_mov_b64 s[2:3], s[22:23]
	s_branch .LBB278_11
.LBB278_17:
	s_mov_b64 s[22:23], s[2:3]
.LBB278_18:
	s_clause 0x2
	s_load_b64 s[2:3], s[0:1], 0xd0
	s_load_b32 s7, s[0:1], 0x360
	s_load_b64 s[14:15], s[0:1], 0x0
	v_and_b32_e32 v9, 0x3ff, v0
	s_wait_kmcnt 0x0
	s_mul_u64 s[12:13], s[2:3], s[12:13]
	s_bitcmp1_b32 s7, 0
	s_delay_alu instid0(VALU_DEP_1)
	v_cmp_gt_u32_e64 s2, s6, v9
	s_cselect_b32 s7, -1, 0
	s_add_nc_u64 s[12:13], s[14:15], s[12:13]
	s_wait_alu 0xfffe
	s_xor_b32 s7, s7, -1
	s_add_nc_u64 s[14:15], s[12:13], s[4:5]
	s_wait_alu 0xfffe
	v_cndmask_b32_e64 v1, 0, 1, s7
	v_cndmask_b32_e64 v2, 0, 1, s7
	s_delay_alu instid0(VALU_DEP_2) | instskip(NEXT) | instid1(VALU_DEP_1)
	v_lshlrev_b32_e32 v3, 8, v1
	v_or_b32_e32 v1, v1, v3
	s_delay_alu instid0(VALU_DEP_1) | instskip(SKIP_1) | instid1(VALU_DEP_1)
	v_and_b32_e32 v3, 0x101, v1
	v_lshlrev_b32_e32 v1, 16, v1
	v_or_b32_e32 v1, v3, v1
	s_and_saveexec_b32 s3, s2
	s_cbranch_execz .LBB278_20
; %bb.19:
	v_mad_co_u64_u32 v[2:3], null, s10, v9, s[14:15]
	s_delay_alu instid0(VALU_DEP_1)
	v_mad_co_u64_u32 v[3:4], null, s11, v9, v[3:4]
	global_load_u8 v2, v[2:3], off
	s_wait_loadcnt 0x0
	v_perm_b32 v1, v2, v1, 0x3020104
.LBB278_20:
	s_wait_alu 0xfffe
	s_or_b32 exec_lo, exec_lo, s3
	v_add_nc_u32_e32 v5, 32, v9
	s_delay_alu instid0(VALU_DEP_1)
	v_cmp_gt_u32_e64 s3, s6, v5
	s_and_saveexec_b32 s4, s3
	s_cbranch_execz .LBB278_22
; %bb.21:
	v_mad_co_u64_u32 v[3:4], null, s10, v5, s[14:15]
	s_delay_alu instid0(VALU_DEP_1) | instskip(NEXT) | instid1(VALU_DEP_1)
	v_mad_co_u64_u32 v[6:7], null, s11, v5, v[4:5]
	v_mov_b32_e32 v4, v6
	global_load_u8 v3, v[3:4], off
	s_wait_loadcnt 0x0
	v_perm_b32 v1, v1, v3, 0x7060004
.LBB278_22:
	s_wait_alu 0xfffe
	s_or_b32 exec_lo, exec_lo, s4
	v_add_nc_u32_e32 v11, 64, v9
	s_delay_alu instid0(VALU_DEP_1)
	v_cmp_gt_u32_e64 s4, s6, v11
	s_and_saveexec_b32 s5, s4
	s_cbranch_execz .LBB278_24
; %bb.23:
	v_mad_co_u64_u32 v[3:4], null, s10, v11, s[14:15]
	s_delay_alu instid0(VALU_DEP_1) | instskip(NEXT) | instid1(VALU_DEP_1)
	v_mad_co_u64_u32 v[6:7], null, s11, v11, v[4:5]
	v_mov_b32_e32 v4, v6
	global_load_u8 v3, v[3:4], off
	s_wait_loadcnt 0x0
	v_perm_b32 v1, v1, v3, 0x7000504
.LBB278_24:
	s_wait_alu 0xfffe
	s_or_b32 exec_lo, exec_lo, s5
	s_clause 0x1
	s_load_b64 s[20:21], s[0:1], 0x288
	s_load_b64 s[16:17], s[0:1], 0x1b8
	v_add_nc_u32_e32 v12, 0x60, v9
	s_delay_alu instid0(VALU_DEP_1)
	v_cmp_gt_u32_e64 s5, s6, v12
	s_and_saveexec_b32 s6, s5
	s_cbranch_execz .LBB278_26
; %bb.25:
	v_mad_co_u64_u32 v[3:4], null, s10, v12, s[14:15]
	s_delay_alu instid0(VALU_DEP_1) | instskip(NEXT) | instid1(VALU_DEP_1)
	v_mad_co_u64_u32 v[6:7], null, s11, v12, v[4:5]
	v_mov_b32_e32 v4, v6
	global_load_u8 v3, v[3:4], off
	s_wait_loadcnt 0x0
	v_perm_b32 v1, v1, v3, 0x60504
.LBB278_26:
	s_wait_alu 0xfffe
	s_or_b32 exec_lo, exec_lo, s6
	v_lshrrev_b32_e32 v13, 5, v5
	v_lshrrev_b32_e32 v10, 5, v9
	;; [unrolled: 1-line block ×5, first 2 shown]
	v_and_b32_e32 v6, 60, v13
	v_and_b32_e32 v4, 28, v10
	;; [unrolled: 1-line block ×3, first 2 shown]
	v_lshlrev_b32_e32 v28, 2, v9
	v_lshrrev_b32_e32 v3, 8, v1
	v_add_nc_u32_e32 v19, v6, v9
	v_and_b32_e32 v6, 0x7c, v16
	v_add_nc_u32_e32 v18, v4, v9
	v_and_b32_e32 v4, 60, v15
	v_add_nc_u32_e32 v20, v7, v9
	v_lshrrev_b32_e32 v7, 24, v1
	v_add_nc_u32_e32 v22, v6, v28
	s_load_b64 s[12:13], s[0:1], 0x358
	v_add_nc_u32_e32 v21, v4, v9
	ds_store_b8 v18, v2
	ds_store_b8 v19, v3 offset:32
	ds_store_b8_d16_hi v20, v1 offset:64
	ds_store_b8 v21, v7 offset:96
	s_wait_dscnt 0x0
	; wave barrier
	global_inv scope:SCOPE_SE
	ds_load_b32 v33, v22
	s_wait_kmcnt 0x0
	s_mul_u64 s[0:1], s[20:21], s[22:23]
	v_mov_b32_e32 v1, 0
	s_lshl_b64 s[0:1], s[0:1], 3
	v_dual_mov_b32 v3, 0 :: v_dual_mov_b32 v2, 0
	v_mov_b32_e32 v4, 0
	s_add_nc_u64 s[0:1], s[16:17], s[0:1]
	s_lshl_b64 s[8:9], s[8:9], 3
	s_wait_loadcnt_dscnt 0x0
	s_wait_alu 0xfffe
	s_add_nc_u64 s[16:17], s[0:1], s[8:9]
	; wave barrier
	global_inv scope:SCOPE_SE
	s_and_saveexec_b32 s0, s2
	s_cbranch_execz .LBB278_28
; %bb.27:
	v_mad_co_u64_u32 v[3:4], null, s12, v9, 0
	s_delay_alu instid0(VALU_DEP_1) | instskip(NEXT) | instid1(VALU_DEP_1)
	v_mad_co_u64_u32 v[6:7], null, s13, v9, v[4:5]
	v_mov_b32_e32 v4, v6
	s_delay_alu instid0(VALU_DEP_1) | instskip(NEXT) | instid1(VALU_DEP_1)
	v_lshlrev_b64_e32 v[3:4], 3, v[3:4]
	v_add_co_u32 v3, vcc_lo, s16, v3
	s_delay_alu instid0(VALU_DEP_1)
	v_add_co_ci_u32_e64 v4, null, s17, v4, vcc_lo
	global_load_b64 v[3:4], v[3:4], off
.LBB278_28:
	s_or_b32 exec_lo, exec_lo, s0
	s_and_saveexec_b32 s0, s3
	s_cbranch_execz .LBB278_30
; %bb.29:
	v_mad_co_u64_u32 v[1:2], null, s12, v5, 0
	s_wait_loadcnt 0x0
	s_delay_alu instid0(VALU_DEP_1) | instskip(NEXT) | instid1(VALU_DEP_1)
	v_mad_co_u64_u32 v[5:6], null, s13, v5, v[2:3]
	v_mov_b32_e32 v2, v5
	s_delay_alu instid0(VALU_DEP_1) | instskip(NEXT) | instid1(VALU_DEP_1)
	v_lshlrev_b64_e32 v[1:2], 3, v[1:2]
	v_add_co_u32 v1, vcc_lo, s16, v1
	s_wait_alu 0xfffd
	s_delay_alu instid0(VALU_DEP_2)
	v_add_co_ci_u32_e64 v2, null, s17, v2, vcc_lo
	global_load_b64 v[1:2], v[1:2], off
.LBB278_30:
	s_or_b32 exec_lo, exec_lo, s0
	v_mov_b32_e32 v5, 0
	v_dual_mov_b32 v6, 0 :: v_dual_mov_b32 v7, 0
	v_mov_b32_e32 v8, 0
	s_and_saveexec_b32 s0, s4
	s_cbranch_execz .LBB278_32
; %bb.31:
	v_mad_co_u64_u32 v[7:8], null, s12, v11, 0
	s_delay_alu instid0(VALU_DEP_1) | instskip(NEXT) | instid1(VALU_DEP_1)
	v_mad_co_u64_u32 v[23:24], null, s13, v11, v[8:9]
	v_mov_b32_e32 v8, v23
	s_delay_alu instid0(VALU_DEP_1) | instskip(NEXT) | instid1(VALU_DEP_1)
	v_lshlrev_b64_e32 v[7:8], 3, v[7:8]
	v_add_co_u32 v7, vcc_lo, s16, v7
	s_wait_alu 0xfffd
	s_delay_alu instid0(VALU_DEP_2)
	v_add_co_ci_u32_e64 v8, null, s17, v8, vcc_lo
	global_load_b64 v[7:8], v[7:8], off
.LBB278_32:
	s_or_b32 exec_lo, exec_lo, s0
	s_and_saveexec_b32 s0, s5
	s_cbranch_execz .LBB278_34
; %bb.33:
	v_mad_co_u64_u32 v[5:6], null, s12, v12, 0
	s_wait_loadcnt 0x0
	s_delay_alu instid0(VALU_DEP_1) | instskip(NEXT) | instid1(VALU_DEP_1)
	v_mad_co_u64_u32 v[11:12], null, s13, v12, v[6:7]
	v_mov_b32_e32 v6, v11
	s_delay_alu instid0(VALU_DEP_1) | instskip(NEXT) | instid1(VALU_DEP_1)
	v_lshlrev_b64_e32 v[5:6], 3, v[5:6]
	v_add_co_u32 v5, vcc_lo, s16, v5
	s_wait_alu 0xfffd
	s_delay_alu instid0(VALU_DEP_2)
	v_add_co_ci_u32_e64 v6, null, s17, v6, vcc_lo
	global_load_b64 v[5:6], v[5:6], off
.LBB278_34:
	s_or_b32 exec_lo, exec_lo, s0
	v_lshlrev_b32_e32 v11, 3, v9
	v_lshlrev_b32_e32 v29, 3, v28
	v_lshrrev_b32_e32 v35, 16, v33
	v_lshrrev_b32_e32 v36, 8, v33
	;; [unrolled: 1-line block ×3, first 2 shown]
	v_lshl_add_u32 v23, v10, 3, v11
	v_lshl_add_u32 v27, v16, 3, v29
	;; [unrolled: 1-line block ×5, first 2 shown]
	s_wait_loadcnt 0x0
	ds_store_b64 v23, v[3:4]
	ds_store_b64 v24, v[1:2] offset:256
	ds_store_b64 v25, v[7:8] offset:512
	;; [unrolled: 1-line block ×3, first 2 shown]
	s_wait_dscnt 0x0
	; wave barrier
	global_inv scope:SCOPE_SE
	ds_load_2addr_b64 v[5:8], v27 offset1:1
	ds_load_2addr_b64 v[1:4], v27 offset0:2 offset1:3
	v_bfe_u32 v32, v0, 10, 10
	v_bfe_u32 v0, v0, 20, 10
	v_mbcnt_lo_u32_b32 v31, -1, 0
	v_lshlrev_b32_e32 v30, 5, v9
	s_and_b32 vcc_lo, exec_lo, s7
	; wave barrier
	s_wait_loadcnt_dscnt 0x0
	global_inv scope:SCOPE_SE
	s_wait_alu 0xfffe
	s_cbranch_vccz .LBB278_46
; %bb.35:
	v_and_b32_e32 v12, 28, v31
	v_and_b32_e32 v13, 0xff, v35
	;; [unrolled: 1-line block ×5, first 2 shown]
	s_getpc_b64 s[8:9]
	s_wait_alu 0xfffe
	s_sext_i32_i16 s9, s9
	s_add_co_u32 s8, s8, _ZN7rocprim17ROCPRIM_400000_NS16block_radix_sortIbLj32ELj4ElLj1ELj1ELj0ELNS0_26block_radix_rank_algorithmE1ELNS0_18block_padding_hintE2ELNS0_4arch9wavefront6targetE0EE19radix_bits_per_passE@rel32@lo+12
	s_wait_alu 0xfffe
	s_add_co_ci_u32 s9, s9, _ZN7rocprim17ROCPRIM_400000_NS16block_radix_sortIbLj32ELj4ElLj1ELj1ELj0ELNS0_26block_radix_rank_algorithmE1ELNS0_18block_padding_hintE2ELNS0_4arch9wavefront6targetE0EE19radix_bits_per_passE@rel32@hi+24
	ds_bpermute_b32 v17, v12, v13
	v_cmp_eq_u32_e32 vcc_lo, 2, v37
	ds_bpermute_b32 v14, v12, v10
	ds_bpermute_b32 v38, v12, v16
	v_cmp_eq_u32_e64 s6, 0, v37
	ds_bpermute_b32 v39, v12, v10 offset:32
	v_cmp_eq_u32_e64 s1, 1, v37
	v_cmp_eq_u32_e64 s0, 3, v37
	s_load_b32 s8, s[8:9], 0x0
	v_cndmask_b32_e64 v40, 0, 1, s6
	; wave barrier
	s_wait_loadcnt_dscnt 0x0
	global_inv scope:SCOPE_SE
	s_load_b32 s7, s[18:19], 0xc
	ds_bpermute_b32 v52, v12, v5
	ds_bpermute_b32 v56, v12, v6
	;; [unrolled: 1-line block ×6, first 2 shown]
	ds_bpermute_b32 v61, v12, v5 offset:32
	v_and_b32_e32 v17, 1, v17
	v_and_b32_e32 v11, 0xff, v36
	;; [unrolled: 1-line block ×3, first 2 shown]
	ds_bpermute_b32 v62, v12, v6 offset:32
	ds_bpermute_b32 v47, v12, v7 offset:32
	;; [unrolled: 1-line block ×3, first 2 shown]
	ds_bpermute_b32 v15, v12, v11
	ds_bpermute_b32 v44, v12, v1 offset:32
	s_wait_kmcnt 0x0
	s_min_u32 s8, s8, 8
	ds_bpermute_b32 v45, v12, v2 offset:32
	s_wait_alu 0xfffe
	s_lshl_b32 s8, -1, s8
	ds_bpermute_b32 v43, v12, v4 offset:32
	s_wait_alu 0xfffe
	s_not_b32 s9, s8
	s_lshr_b32 s8, s7, 16
	ds_bpermute_b32 v67, v12, v5 offset:64
	ds_bpermute_b32 v68, v12, v6 offset:64
	;; [unrolled: 1-line block ×12, first 2 shown]
	s_wait_dscnt 0xf
	v_and_b32_e32 v15, 1, v15
	ds_bpermute_b32 v54, v12, v1 offset:96
	ds_bpermute_b32 v59, v12, v2 offset:96
	;; [unrolled: 1-line block ×4, first 2 shown]
	v_cndmask_b32_e64 v14, v14, v15, s1
	v_and_b32_e32 v15, 1, v38
	v_and_b32_e32 v38, 1, v39
	ds_bpermute_b32 v39, v12, v4
	v_cndmask_b32_e32 v14, v14, v17, vcc_lo
	ds_bpermute_b32 v17, v12, v11 offset:32
	v_cndmask_b32_e64 v14, v14, v15, s0
	v_lshlrev_b16 v15, 8, v38
	ds_bpermute_b32 v38, v12, v3
	v_and_b32_e32 v37, 1, v14
	s_delay_alu instid0(VALU_DEP_1) | instskip(NEXT) | instid1(VALU_DEP_1)
	v_or_b32_e32 v15, v37, v15
	v_and_b32_e32 v15, 0xffff, v15
	s_wait_dscnt 0x1
	v_and_b32_e32 v17, 1, v17
	s_delay_alu instid0(VALU_DEP_2) | instskip(SKIP_3) | instid1(VALU_DEP_1)
	v_cndmask_b32_e64 v14, v14, v15, s6
	ds_bpermute_b32 v15, v12, v13 offset:32
	v_lshlrev_b16 v17, 8, v17
	v_and_b32_e32 v37, 0xff, v14
	v_or_b32_e32 v17, v37, v17
	s_delay_alu instid0(VALU_DEP_1) | instskip(NEXT) | instid1(VALU_DEP_1)
	v_and_b32_e32 v17, 0xffff, v17
	v_and_or_b32 v17, 0xffff0000, v14, v17
	s_wait_dscnt 0x0
	v_and_b32_e32 v15, 1, v15
	s_delay_alu instid0(VALU_DEP_2) | instskip(SKIP_3) | instid1(VALU_DEP_1)
	v_cndmask_b32_e64 v14, v14, v17, s1
	ds_bpermute_b32 v17, v12, v16 offset:32
	v_lshlrev_b16 v15, 8, v15
	v_and_b32_e32 v37, 0xff, v14
	v_or_b32_e32 v15, v37, v15
	ds_bpermute_b32 v37, v12, v3 offset:32
	v_and_b32_e32 v15, 0xffff, v15
	s_delay_alu instid0(VALU_DEP_1) | instskip(SKIP_1) | instid1(VALU_DEP_1)
	v_and_or_b32 v15, 0xffff0000, v14, v15
	s_wait_dscnt 0x1
	v_dual_cndmask_b32 v14, v14, v15 :: v_dual_and_b32 v17, 1, v17
	s_delay_alu instid0(VALU_DEP_1) | instskip(NEXT) | instid1(VALU_DEP_2)
	v_lshlrev_b16 v15, 8, v17
	v_and_b32_e32 v17, 0xff, v14
	s_delay_alu instid0(VALU_DEP_1) | instskip(SKIP_3) | instid1(VALU_DEP_1)
	v_or_b32_e32 v15, v17, v15
	ds_bpermute_b32 v17, v12, v10 offset:64
	ds_bpermute_b32 v10, v12, v10 offset:96
	v_and_b32_e32 v15, 0xffff, v15
	v_and_or_b32 v15, 0xffff0000, v14, v15
	s_delay_alu instid0(VALU_DEP_1) | instskip(NEXT) | instid1(VALU_DEP_1)
	v_cndmask_b32_e64 v14, v14, v15, s0
	v_lshrrev_b32_e32 v15, 16, v14
	s_wait_dscnt 0x1
	v_and_b32_e32 v17, 1, v17
	s_wait_dscnt 0x0
	v_and_b32_e32 v10, 1, v10
	v_and_b32_e32 v15, 0xffffff00, v15
	s_delay_alu instid0(VALU_DEP_2) | instskip(NEXT) | instid1(VALU_DEP_2)
	v_lshlrev_b16 v10, 8, v10
	v_or_b32_e32 v15, v17, v15
	ds_bpermute_b32 v17, v12, v11 offset:64
	ds_bpermute_b32 v11, v12, v11 offset:96
	v_lshlrev_b32_e32 v15, 16, v15
	s_delay_alu instid0(VALU_DEP_1) | instskip(NEXT) | instid1(VALU_DEP_1)
	v_and_or_b32 v15, 0xffff, v14, v15
	v_cndmask_b32_e64 v14, v14, v15, s6
	s_delay_alu instid0(VALU_DEP_1)
	v_lshrrev_b32_e32 v15, 16, v14
	s_wait_dscnt 0x1
	v_and_b32_e32 v17, 1, v17
	s_wait_dscnt 0x0
	v_and_b32_e32 v11, 1, v11
	v_and_b32_e32 v15, 0xffffff00, v15
	s_delay_alu instid0(VALU_DEP_2) | instskip(NEXT) | instid1(VALU_DEP_2)
	v_lshlrev_b16 v11, 8, v11
	v_or_b32_e32 v15, v17, v15
	ds_bpermute_b32 v17, v12, v13 offset:64
	ds_bpermute_b32 v13, v12, v13 offset:96
	v_lshlrev_b32_e32 v15, 16, v15
	s_delay_alu instid0(VALU_DEP_1) | instskip(NEXT) | instid1(VALU_DEP_1)
	v_and_or_b32 v15, 0xffff, v14, v15
	v_cndmask_b32_e64 v14, v14, v15, s1
	s_delay_alu instid0(VALU_DEP_1) | instskip(SKIP_2) | instid1(VALU_DEP_2)
	v_lshrrev_b32_e32 v15, 16, v14
	s_wait_dscnt 0x1
	v_and_b32_e32 v17, 1, v17
	v_and_b32_e32 v15, 0xffffff00, v15
	s_delay_alu instid0(VALU_DEP_1) | instskip(SKIP_2) | instid1(VALU_DEP_1)
	v_or_b32_e32 v15, v17, v15
	ds_bpermute_b32 v17, v12, v16 offset:64
	v_lshlrev_b32_e32 v15, 16, v15
	v_and_or_b32 v15, 0xffff, v14, v15
	s_delay_alu instid0(VALU_DEP_1) | instskip(NEXT) | instid1(VALU_DEP_1)
	v_cndmask_b32_e32 v14, v14, v15, vcc_lo
	v_lshrrev_b32_e32 v15, 16, v14
	s_wait_dscnt 0x0
	v_and_b32_e32 v17, 1, v17
	s_delay_alu instid0(VALU_DEP_2) | instskip(NEXT) | instid1(VALU_DEP_1)
	v_and_b32_e32 v15, 0xffffff00, v15
	v_or_b32_e32 v15, v17, v15
	s_delay_alu instid0(VALU_DEP_1) | instskip(NEXT) | instid1(VALU_DEP_1)
	v_lshlrev_b32_e32 v15, 16, v15
	v_and_or_b32 v15, 0xffff, v14, v15
	s_delay_alu instid0(VALU_DEP_1) | instskip(NEXT) | instid1(VALU_DEP_1)
	v_cndmask_b32_e64 v14, v14, v15, s0
	v_lshrrev_b32_e32 v15, 16, v14
	s_delay_alu instid0(VALU_DEP_1) | instskip(NEXT) | instid1(VALU_DEP_1)
	v_and_b32_e32 v15, 0xff, v15
	v_or_b32_e32 v10, v15, v10
	s_delay_alu instid0(VALU_DEP_1) | instskip(NEXT) | instid1(VALU_DEP_1)
	v_lshlrev_b32_e32 v10, 16, v10
	v_and_or_b32 v10, 0xffff, v14, v10
	s_delay_alu instid0(VALU_DEP_1) | instskip(NEXT) | instid1(VALU_DEP_1)
	v_cndmask_b32_e64 v10, v14, v10, s6
	v_lshrrev_b32_e32 v14, 16, v10
	s_delay_alu instid0(VALU_DEP_1) | instskip(NEXT) | instid1(VALU_DEP_1)
	v_and_b32_e32 v14, 0xff, v14
	v_or_b32_e32 v11, v14, v11
	ds_bpermute_b32 v14, v12, v16 offset:96
	v_mov_b32_e32 v12, 0
	ds_store_2addr_b32 v30, v12, v12 offset0:1 offset1:2
	ds_store_2addr_b32 v30, v12, v12 offset0:3 offset1:4
	;; [unrolled: 1-line block ×4, first 2 shown]
	v_lshlrev_b32_e32 v11, 16, v11
	; wave barrier
	s_wait_loadcnt_dscnt 0x0
	global_inv scope:SCOPE_SE
	; wave barrier
	v_and_or_b32 v11, 0xffff, v10, v11
	s_delay_alu instid0(VALU_DEP_1) | instskip(SKIP_1) | instid1(VALU_DEP_2)
	v_cndmask_b32_e64 v10, v10, v11, s1
	v_and_b32_e32 v11, 1, v13
	v_lshrrev_b32_e32 v13, 16, v10
	s_delay_alu instid0(VALU_DEP_2) | instskip(NEXT) | instid1(VALU_DEP_2)
	v_lshlrev_b16 v11, 8, v11
	v_and_b32_e32 v13, 0xff, v13
	s_delay_alu instid0(VALU_DEP_1) | instskip(NEXT) | instid1(VALU_DEP_1)
	v_or_b32_e32 v11, v13, v11
	v_lshlrev_b32_e32 v11, 16, v11
	s_delay_alu instid0(VALU_DEP_1) | instskip(NEXT) | instid1(VALU_DEP_1)
	v_and_or_b32 v11, 0xffff, v10, v11
	v_dual_cndmask_b32 v10, v10, v11 :: v_dual_and_b32 v11, 1, v14
	s_delay_alu instid0(VALU_DEP_1) | instskip(NEXT) | instid1(VALU_DEP_2)
	v_lshrrev_b32_e32 v13, 16, v10
	v_lshlrev_b16 v11, 8, v11
	s_delay_alu instid0(VALU_DEP_2) | instskip(NEXT) | instid1(VALU_DEP_1)
	v_and_b32_e32 v13, 0xff, v13
	v_or_b32_e32 v11, v13, v11
	s_delay_alu instid0(VALU_DEP_1) | instskip(NEXT) | instid1(VALU_DEP_1)
	v_lshlrev_b32_e32 v11, 16, v11
	v_and_or_b32 v11, 0xffff, v10, v11
	s_delay_alu instid0(VALU_DEP_1) | instskip(SKIP_3) | instid1(VALU_DEP_2)
	v_cndmask_b32_e64 v40, v10, v11, s0
	s_wait_alu 0xfffe
	v_mad_u32_u24 v11, v0, s8, v32
	s_and_b32 s8, s7, 0xffff
	v_and_b32_e32 v10, s9, v40
	s_delay_alu instid0(VALU_DEP_1) | instskip(NEXT) | instid1(VALU_DEP_1)
	v_and_b32_e32 v13, 0xff, v10
	v_add_co_u32 v14, s20, v13, -1
	s_wait_alu 0xf1ff
	v_cndmask_b32_e64 v10, 0, 1, s20
	s_delay_alu instid0(VALU_DEP_1) | instskip(SKIP_3) | instid1(VALU_DEP_2)
	v_cmp_ne_u32_e64 s7, 0, v10
	s_wait_alu 0xfffe
	v_mad_co_u64_u32 v[10:11], null, v11, s8, v[9:10]
	s_wait_alu 0xf1ff
	v_xor_b32_e32 v11, s7, v14
	s_delay_alu instid0(VALU_DEP_2) | instskip(NEXT) | instid1(VALU_DEP_2)
	v_lshrrev_b32_e32 v10, 3, v10
	v_and_b32_e32 v11, exec_lo, v11
	s_delay_alu instid0(VALU_DEP_2) | instskip(NEXT) | instid1(VALU_DEP_2)
	v_and_b32_e32 v10, 0x1ffffffc, v10
	v_mbcnt_lo_u32_b32 v65, v11, 0
	v_cmp_ne_u32_e64 s8, 0, v11
	s_delay_alu instid0(VALU_DEP_3) | instskip(NEXT) | instid1(VALU_DEP_3)
	v_lshl_add_u32 v72, v13, 2, v10
	v_cmp_eq_u32_e64 s7, 0, v65
	s_and_b32 s8, s8, s7
	s_wait_alu 0xfffe
	s_and_saveexec_b32 s7, s8
; %bb.36:
	v_bcnt_u32_b32 v11, v11, 0
	ds_store_b32 v72, v11 offset:4
; %bb.37:
	s_wait_alu 0xfffe
	s_or_b32 exec_lo, exec_lo, s7
	v_lshrrev_b32_e32 v69, 8, v40
	; wave barrier
	s_delay_alu instid0(VALU_DEP_1) | instskip(NEXT) | instid1(VALU_DEP_1)
	v_and_b32_e32 v11, s9, v69
	v_and_b32_e32 v11, 0xff, v11
	s_delay_alu instid0(VALU_DEP_1) | instskip(SKIP_3) | instid1(VALU_DEP_2)
	v_add_co_u32 v12, s7, v11, -1
	s_wait_alu 0xf1ff
	v_cndmask_b32_e64 v13, 0, 1, s7
	v_lshl_add_u32 v76, v11, 2, v10
	v_cmp_ne_u32_e64 s7, 0, v13
	ds_load_b32 v73, v76 offset:4
	; wave barrier
	s_wait_alu 0xf1ff
	v_xor_b32_e32 v11, s7, v12
	s_delay_alu instid0(VALU_DEP_1) | instskip(NEXT) | instid1(VALU_DEP_1)
	v_and_b32_e32 v11, exec_lo, v11
	v_mbcnt_lo_u32_b32 v74, v11, 0
	v_cmp_ne_u32_e64 s8, 0, v11
	s_delay_alu instid0(VALU_DEP_2)
	v_cmp_eq_u32_e64 s7, 0, v74
	s_and_b32 s8, s8, s7
	s_wait_alu 0xfffe
	s_and_saveexec_b32 s7, s8
	s_cbranch_execz .LBB278_39
; %bb.38:
	s_wait_dscnt 0x0
	v_bcnt_u32_b32 v11, v11, v73
	ds_store_b32 v76, v11 offset:4
.LBB278_39:
	s_wait_alu 0xfffe
	s_or_b32 exec_lo, exec_lo, s7
	v_lshrrev_b32_e32 v75, 16, v40
	; wave barrier
	s_delay_alu instid0(VALU_DEP_1) | instskip(NEXT) | instid1(VALU_DEP_1)
	v_and_b32_e32 v11, s9, v75
	v_and_b32_e32 v11, 0xff, v11
	s_delay_alu instid0(VALU_DEP_1) | instskip(SKIP_3) | instid1(VALU_DEP_2)
	v_add_co_u32 v12, s7, v11, -1
	s_wait_alu 0xf1ff
	v_cndmask_b32_e64 v13, 0, 1, s7
	v_lshl_add_u32 v80, v11, 2, v10
	v_cmp_ne_u32_e64 s7, 0, v13
	ds_load_b32 v77, v80 offset:4
	; wave barrier
	s_wait_alu 0xf1ff
	v_xor_b32_e32 v11, s7, v12
	s_delay_alu instid0(VALU_DEP_1) | instskip(NEXT) | instid1(VALU_DEP_1)
	v_and_b32_e32 v11, exec_lo, v11
	v_mbcnt_lo_u32_b32 v78, v11, 0
	v_cmp_ne_u32_e64 s8, 0, v11
	s_delay_alu instid0(VALU_DEP_2)
	v_cmp_eq_u32_e64 s7, 0, v78
	s_and_b32 s8, s8, s7
	s_wait_alu 0xfffe
	s_and_saveexec_b32 s7, s8
	s_cbranch_execz .LBB278_41
; %bb.40:
	s_wait_dscnt 0x0
	v_bcnt_u32_b32 v11, v11, v77
	ds_store_b32 v80, v11 offset:4
.LBB278_41:
	s_wait_alu 0xfffe
	s_or_b32 exec_lo, exec_lo, s7
	v_lshrrev_b32_e32 v79, 24, v40
	; wave barrier
	s_delay_alu instid0(VALU_DEP_1) | instskip(NEXT) | instid1(VALU_DEP_1)
	v_and_b32_e32 v11, s9, v79
	v_add_co_u32 v12, s7, v11, -1
	s_wait_alu 0xf1ff
	v_cndmask_b32_e64 v13, 0, 1, s7
	v_lshl_add_u32 v83, v11, 2, v10
	s_delay_alu instid0(VALU_DEP_2) | instskip(SKIP_3) | instid1(VALU_DEP_1)
	v_cmp_ne_u32_e64 s7, 0, v13
	ds_load_b32 v81, v83 offset:4
	; wave barrier
	s_wait_alu 0xf1ff
	v_xor_b32_e32 v10, s7, v12
	v_and_b32_e32 v10, exec_lo, v10
	s_delay_alu instid0(VALU_DEP_1) | instskip(SKIP_1) | instid1(VALU_DEP_2)
	v_mbcnt_lo_u32_b32 v82, v10, 0
	v_cmp_ne_u32_e64 s8, 0, v10
	v_cmp_eq_u32_e64 s7, 0, v82
	s_and_b32 s8, s8, s7
	s_wait_alu 0xfffe
	s_and_saveexec_b32 s7, s8
	s_cbranch_execz .LBB278_43
; %bb.42:
	s_wait_dscnt 0x0
	v_bcnt_u32_b32 v10, v10, v81
	ds_store_b32 v83, v10 offset:4
.LBB278_43:
	s_wait_alu 0xfffe
	s_or_b32 exec_lo, exec_lo, s7
	; wave barrier
	; wave barrier
	s_wait_loadcnt_dscnt 0x0
	global_inv scope:SCOPE_SE
	ds_load_2addr_b32 v[16:17], v30 offset0:1 offset1:2
	ds_load_2addr_b32 v[14:15], v30 offset0:3 offset1:4
	;; [unrolled: 1-line block ×4, first 2 shown]
	s_mov_b32 s8, 0
	s_mov_b32 s9, exec_lo
	s_wait_dscnt 0x3
	v_add_nc_u32_e32 v84, v17, v16
	s_wait_dscnt 0x2
	s_delay_alu instid0(VALU_DEP_1) | instskip(SKIP_1) | instid1(VALU_DEP_1)
	v_add3_u32 v84, v84, v14, v15
	s_wait_dscnt 0x1
	v_add3_u32 v84, v84, v12, v13
	s_wait_dscnt 0x0
	s_delay_alu instid0(VALU_DEP_1) | instskip(SKIP_1) | instid1(VALU_DEP_2)
	v_add3_u32 v11, v84, v10, v11
	v_and_b32_e32 v84, 15, v31
	v_mov_b32_dpp v85, v11 row_shr:1 row_mask:0xf bank_mask:0xf
	s_delay_alu instid0(VALU_DEP_2) | instskip(SKIP_1) | instid1(VALU_DEP_1)
	v_cmp_ne_u32_e64 s7, 0, v84
	s_wait_alu 0xf1ff
	v_cndmask_b32_e64 v85, 0, v85, s7
	v_cmp_lt_u32_e64 s7, 1, v84
	s_delay_alu instid0(VALU_DEP_2) | instskip(NEXT) | instid1(VALU_DEP_1)
	v_add_nc_u32_e32 v11, v85, v11
	v_mov_b32_dpp v85, v11 row_shr:2 row_mask:0xf bank_mask:0xf
	s_wait_alu 0xf1ff
	s_delay_alu instid0(VALU_DEP_1) | instskip(SKIP_1) | instid1(VALU_DEP_2)
	v_cndmask_b32_e64 v85, 0, v85, s7
	v_cmp_lt_u32_e64 s7, 3, v84
	v_add_nc_u32_e32 v11, v11, v85
	s_delay_alu instid0(VALU_DEP_1) | instskip(SKIP_1) | instid1(VALU_DEP_1)
	v_mov_b32_dpp v85, v11 row_shr:4 row_mask:0xf bank_mask:0xf
	s_wait_alu 0xf1ff
	v_cndmask_b32_e64 v85, 0, v85, s7
	v_cmp_lt_u32_e64 s7, 7, v84
	s_delay_alu instid0(VALU_DEP_2) | instskip(NEXT) | instid1(VALU_DEP_1)
	v_add_nc_u32_e32 v11, v11, v85
	v_mov_b32_dpp v85, v11 row_shr:8 row_mask:0xf bank_mask:0xf
	s_wait_alu 0xf1ff
	s_delay_alu instid0(VALU_DEP_1) | instskip(SKIP_1) | instid1(VALU_DEP_2)
	v_cndmask_b32_e64 v84, 0, v85, s7
	v_bfe_i32 v85, v31, 4, 1
	v_add_nc_u32_e32 v11, v11, v84
	ds_swizzle_b32 v84, v11 offset:swizzle(BROADCAST,32,15)
	s_wait_dscnt 0x0
	v_and_b32_e32 v84, v85, v84
	s_delay_alu instid0(VALU_DEP_1)
	v_add_nc_u32_e32 v11, v11, v84
	v_cmpx_eq_u32_e32 31, v9
; %bb.44:
	v_mov_b32_e32 v84, 0
	ds_store_b32 v84, v11
; %bb.45:
	s_wait_alu 0xfffe
	s_or_b32 exec_lo, exec_lo, s9
	v_sub_co_u32 v84, s9, v31, 1
	v_cndmask_b32_e64 v52, 0, v52, s6
	v_cndmask_b32_e64 v56, 0, v56, s6
	s_wait_loadcnt_dscnt 0x0
	s_delay_alu instid0(VALU_DEP_3)
	v_cmp_gt_i32_e64 s7, 0, v84
	; wave barrier
	global_inv scope:SCOPE_SE
	v_cndmask_b32_e64 v50, v52, v50, s1
	v_cndmask_b32_e64 v51, v56, v51, s1
	;; [unrolled: 1-line block ×3, first 2 shown]
	s_wait_alu 0xf1ff
	v_cndmask_b32_e64 v84, v84, v31, s7
	v_cmp_eq_u32_e64 s7, 0, v9
	v_cndmask_b32_e64 v61, 0, v61, s6
	v_cndmask_b32_e64 v68, 0, v68, s6
	;; [unrolled: 1-line block ×3, first 2 shown]
	v_dual_cndmask_b32 v41, v50, v41 :: v_dual_lshlrev_b32 v84, 2, v84
	s_or_b32 s7, s7, s9
	v_cndmask_b32_e64 v67, 0, v67, s6
	v_cndmask_b32_e64 v70, 0, v70, s6
	ds_bpermute_b32 v11, v84, v11
	v_cndmask_b32_e32 v42, v51, v42, vcc_lo
	s_wait_dscnt 0x0
	s_wait_alu 0xfffe
	v_cndmask_b32_e64 v11, v11, 0, s7
	s_delay_alu instid0(VALU_DEP_1) | instskip(NEXT) | instid1(VALU_DEP_1)
	v_add_nc_u32_e32 v16, v11, v16
	v_add_nc_u32_e32 v17, v16, v17
	s_delay_alu instid0(VALU_DEP_1) | instskip(NEXT) | instid1(VALU_DEP_1)
	v_add_nc_u32_e32 v14, v17, v14
	v_add_nc_u32_e32 v15, v14, v15
	;; [unrolled: 3-line block ×3, first 2 shown]
	s_delay_alu instid0(VALU_DEP_1)
	v_add_nc_u32_e32 v10, v13, v10
	ds_store_2addr_b32 v30, v11, v16 offset0:1 offset1:2
	ds_store_2addr_b32 v30, v17, v14 offset0:3 offset1:4
	;; [unrolled: 1-line block ×4, first 2 shown]
	; wave barrier
	s_wait_loadcnt_dscnt 0x0
	global_inv scope:SCOPE_SE
	ds_load_b32 v12, v72 offset:4
	ds_load_b32 v13, v76 offset:4
	;; [unrolled: 1-line block ×4, first 2 shown]
	v_cndmask_b32_e64 v10, v62, v49, s1
	v_cndmask_b32_e64 v11, v61, v47, s1
	;; [unrolled: 1-line block ×4, first 2 shown]
	s_wait_loadcnt_dscnt 0x0
	s_delay_alu instid0(VALU_DEP_3) | instskip(SKIP_3) | instid1(VALU_DEP_4)
	v_dual_cndmask_b32 v45, v10, v45 :: v_dual_cndmask_b32 v44, v11, v44
	v_cndmask_b32_e64 v11, v42, v39, s0
	v_cndmask_b32_e64 v10, v41, v38, s0
	v_cndmask_b32_e32 v50, v14, v58, vcc_lo
	v_cndmask_b32_e64 v14, v45, v43, s0
	; wave barrier
	global_inv scope:SCOPE_SE
	v_cndmask_b32_e64 v17, v67, v60, s1
	v_cndmask_b32_e32 v38, v47, v59, vcc_lo
	v_cndmask_b32_e64 v49, v70, v64, s1
	v_add_nc_u32_e32 v39, v12, v65
	v_add3_u32 v41, v74, v73, v13
	v_add3_u32 v42, v78, v77, v15
	;; [unrolled: 1-line block ×3, first 2 shown]
	ds_store_b8 v39, v40
	ds_store_b8 v41, v69
	;; [unrolled: 1-line block ×4, first 2 shown]
	; wave barrier
	s_wait_loadcnt_dscnt 0x0
	global_inv scope:SCOPE_SE
	ds_load_b32 v12, v28
	v_cndmask_b32_e32 v17, v17, v57, vcc_lo
	v_cndmask_b32_e32 v40, v49, v54, vcc_lo
	v_cndmask_b32_e64 v13, v44, v37, s0
	v_cndmask_b32_e64 v16, v50, v48, s0
	;; [unrolled: 1-line block ×4, first 2 shown]
	v_lshlrev_b32_e32 v17, 3, v39
	v_lshlrev_b32_e32 v39, 3, v41
	v_cndmask_b32_e64 v37, v40, v53, s0
	v_lshlrev_b32_e32 v40, 3, v42
	v_lshlrev_b32_e32 v41, 3, v43
	; wave barrier
	s_wait_loadcnt_dscnt 0x0
	global_inv scope:SCOPE_SE
	ds_store_b64 v17, v[10:11]
	ds_store_b64 v39, v[13:14]
	;; [unrolled: 1-line block ×4, first 2 shown]
	; wave barrier
	s_wait_loadcnt_dscnt 0x0
	global_inv scope:SCOPE_SE
	s_and_b32 vcc_lo, exec_lo, s8
	s_wait_alu 0xfffe
	s_cbranch_vccnz .LBB278_47
	s_branch .LBB278_58
.LBB278_46:
                                        ; implicit-def: $vgpr12
	s_cbranch_execz .LBB278_58
.LBB278_47:
	v_xor_b32_e32 v10, 1, v33
	v_xor_b32_e32 v11, 1, v36
	v_and_b32_e32 v17, 3, v31
	v_xor_b32_e32 v12, 1, v35
	v_xor_b32_e32 v13, 1, v34
	v_and_b32_e32 v10, 0xff, v10
	v_and_b32_e32 v11, 0xff, v11
	v_cmp_eq_u32_e32 vcc_lo, 3, v17
	v_and_b32_e32 v56, 28, v31
	v_and_b32_e32 v12, 0xff, v12
	v_cmp_eq_u32_e64 s6, 0, v17
	v_cmp_eq_u32_e64 s1, 1, v17
	;; [unrolled: 1-line block ×3, first 2 shown]
	ds_bpermute_b32 v14, v56, v10
	ds_bpermute_b32 v15, v56, v11
	;; [unrolled: 1-line block ×3, first 2 shown]
	s_wait_alu 0xf1ff
	v_cndmask_b32_e64 v35, 0, 1, s6
	ds_bpermute_b32 v34, v56, v10 offset:32
	s_getpc_b64 s[8:9]
	s_wait_alu 0xfffe
	s_sext_i32_i16 s9, s9
	s_add_co_u32 s8, s8, _ZN7rocprim17ROCPRIM_400000_NS16block_radix_sortIbLj32ELj4ElLj1ELj1ELj0ELNS0_26block_radix_rank_algorithmE1ELNS0_18block_padding_hintE2ELNS0_4arch9wavefront6targetE0EE19radix_bits_per_passE@rel32@lo+12
	s_wait_alu 0xfffe
	s_add_co_ci_u32 s9, s9, _ZN7rocprim17ROCPRIM_400000_NS16block_radix_sortIbLj32ELj4ElLj1ELj1ELj0ELNS0_26block_radix_rank_algorithmE1ELNS0_18block_padding_hintE2ELNS0_4arch9wavefront6targetE0EE19radix_bits_per_passE@rel32@hi+24
	s_wait_loadcnt_dscnt 0x0
	s_load_b32 s8, s[8:9], 0x0
	; wave barrier
	global_inv scope:SCOPE_SE
	s_load_b32 s7, s[18:19], 0xc
	v_and_b32_e32 v14, v35, v14
	v_and_b32_e32 v15, 1, v15
	;; [unrolled: 1-line block ×3, first 2 shown]
	s_delay_alu instid0(VALU_DEP_2)
	v_cndmask_b32_e64 v14, v14, v15, s1
	s_wait_kmcnt 0x0
	s_min_u32 s8, s8, 8
	s_wait_alu 0xfffe
	s_lshl_b32 s8, -1, s8
	v_cndmask_b32_e64 v14, v14, v16, s0
	v_and_b32_e32 v13, 0xffff, v13
	ds_bpermute_b32 v16, v56, v11 offset:32
	s_wait_alu 0xfffe
	s_not_b32 s9, s8
	s_lshr_b32 s8, s7, 16
	ds_bpermute_b32 v33, v56, v13
	s_wait_alu 0xfffe
	v_mad_u32_u24 v0, v0, s8, v32
	s_and_b32 s8, s7, 0xffff
	s_wait_dscnt 0x1
	v_and_b32_e32 v16, 1, v16
	s_wait_dscnt 0x0
	v_and_b32_e32 v15, 1, v33
	v_and_b32_e32 v33, 1, v34
	s_delay_alu instid0(VALU_DEP_3) | instskip(NEXT) | instid1(VALU_DEP_3)
	v_lshlrev_b16 v16, 8, v16
	v_cndmask_b32_e32 v14, v14, v15, vcc_lo
	s_delay_alu instid0(VALU_DEP_3) | instskip(NEXT) | instid1(VALU_DEP_2)
	v_lshlrev_b16 v15, 8, v33
	v_and_b32_e32 v17, 1, v14
	s_delay_alu instid0(VALU_DEP_1) | instskip(NEXT) | instid1(VALU_DEP_1)
	v_or_b32_e32 v15, v17, v15
	v_and_b32_e32 v15, 0xffff, v15
	s_delay_alu instid0(VALU_DEP_1) | instskip(SKIP_2) | instid1(VALU_DEP_1)
	v_cndmask_b32_e64 v14, v14, v15, s6
	ds_bpermute_b32 v15, v56, v12 offset:32
	v_and_b32_e32 v17, 0xff, v14
	v_or_b32_e32 v16, v17, v16
	s_delay_alu instid0(VALU_DEP_1) | instskip(NEXT) | instid1(VALU_DEP_1)
	v_and_b32_e32 v16, 0xffff, v16
	v_and_or_b32 v16, 0xffff0000, v14, v16
	s_wait_dscnt 0x0
	v_and_b32_e32 v15, 1, v15
	s_delay_alu instid0(VALU_DEP_2) | instskip(SKIP_3) | instid1(VALU_DEP_1)
	v_cndmask_b32_e64 v14, v14, v16, s1
	ds_bpermute_b32 v16, v56, v13 offset:32
	v_lshlrev_b16 v15, 8, v15
	v_and_b32_e32 v17, 0xff, v14
	v_or_b32_e32 v15, v17, v15
	s_delay_alu instid0(VALU_DEP_1) | instskip(NEXT) | instid1(VALU_DEP_1)
	v_and_b32_e32 v15, 0xffff, v15
	v_and_or_b32 v15, 0xffff0000, v14, v15
	s_wait_dscnt 0x0
	v_and_b32_e32 v16, 1, v16
	s_delay_alu instid0(VALU_DEP_2) | instskip(NEXT) | instid1(VALU_DEP_2)
	v_cndmask_b32_e64 v14, v14, v15, s0
	v_lshlrev_b16 v15, 8, v16
	s_delay_alu instid0(VALU_DEP_2) | instskip(NEXT) | instid1(VALU_DEP_1)
	v_and_b32_e32 v16, 0xff, v14
	v_or_b32_e32 v15, v16, v15
	ds_bpermute_b32 v16, v56, v10 offset:64
	ds_bpermute_b32 v10, v56, v10 offset:96
	v_and_b32_e32 v15, 0xffff, v15
	s_delay_alu instid0(VALU_DEP_1) | instskip(NEXT) | instid1(VALU_DEP_1)
	v_and_or_b32 v15, 0xffff0000, v14, v15
	v_cndmask_b32_e32 v14, v14, v15, vcc_lo
	s_delay_alu instid0(VALU_DEP_1)
	v_lshrrev_b32_e32 v15, 16, v14
	s_wait_dscnt 0x1
	v_and_b32_e32 v16, 1, v16
	s_wait_dscnt 0x0
	v_and_b32_e32 v10, 1, v10
	v_and_b32_e32 v15, 0xffffff00, v15
	s_delay_alu instid0(VALU_DEP_2) | instskip(NEXT) | instid1(VALU_DEP_2)
	v_lshlrev_b16 v10, 8, v10
	v_or_b32_e32 v15, v16, v15
	ds_bpermute_b32 v16, v56, v11 offset:64
	ds_bpermute_b32 v11, v56, v11 offset:96
	v_lshlrev_b32_e32 v15, 16, v15
	s_delay_alu instid0(VALU_DEP_1) | instskip(NEXT) | instid1(VALU_DEP_1)
	v_and_or_b32 v15, 0xffff, v14, v15
	v_cndmask_b32_e64 v14, v14, v15, s6
	s_delay_alu instid0(VALU_DEP_1)
	v_lshrrev_b32_e32 v15, 16, v14
	s_wait_dscnt 0x1
	v_and_b32_e32 v16, 1, v16
	s_wait_dscnt 0x0
	v_and_b32_e32 v11, 1, v11
	v_and_b32_e32 v15, 0xffffff00, v15
	s_delay_alu instid0(VALU_DEP_2) | instskip(NEXT) | instid1(VALU_DEP_2)
	v_lshlrev_b16 v11, 8, v11
	v_or_b32_e32 v15, v16, v15
	ds_bpermute_b32 v16, v56, v12 offset:64
	ds_bpermute_b32 v12, v56, v12 offset:96
	v_lshlrev_b32_e32 v15, 16, v15
	s_delay_alu instid0(VALU_DEP_1) | instskip(NEXT) | instid1(VALU_DEP_1)
	v_and_or_b32 v15, 0xffff, v14, v15
	v_cndmask_b32_e64 v14, v14, v15, s1
	s_delay_alu instid0(VALU_DEP_1) | instskip(SKIP_2) | instid1(VALU_DEP_2)
	v_lshrrev_b32_e32 v15, 16, v14
	s_wait_dscnt 0x1
	v_and_b32_e32 v16, 1, v16
	v_and_b32_e32 v15, 0xffffff00, v15
	s_delay_alu instid0(VALU_DEP_1) | instskip(SKIP_3) | instid1(VALU_DEP_1)
	v_or_b32_e32 v15, v16, v15
	ds_bpermute_b32 v16, v56, v13 offset:64
	ds_bpermute_b32 v13, v56, v13 offset:96
	v_lshlrev_b32_e32 v15, 16, v15
	v_and_or_b32 v15, 0xffff, v14, v15
	s_delay_alu instid0(VALU_DEP_1) | instskip(NEXT) | instid1(VALU_DEP_1)
	v_cndmask_b32_e64 v14, v14, v15, s0
	v_lshrrev_b32_e32 v15, 16, v14
	s_wait_dscnt 0x1
	v_and_b32_e32 v16, 1, v16
	s_delay_alu instid0(VALU_DEP_2) | instskip(NEXT) | instid1(VALU_DEP_1)
	v_and_b32_e32 v15, 0xffffff00, v15
	v_or_b32_e32 v15, v16, v15
	s_delay_alu instid0(VALU_DEP_1) | instskip(NEXT) | instid1(VALU_DEP_1)
	v_lshlrev_b32_e32 v15, 16, v15
	v_and_or_b32 v15, 0xffff, v14, v15
	s_delay_alu instid0(VALU_DEP_1) | instskip(NEXT) | instid1(VALU_DEP_1)
	v_cndmask_b32_e32 v14, v14, v15, vcc_lo
	v_lshrrev_b32_e32 v15, 16, v14
	s_delay_alu instid0(VALU_DEP_1) | instskip(NEXT) | instid1(VALU_DEP_1)
	v_and_b32_e32 v15, 0xff, v15
	v_or_b32_e32 v10, v15, v10
	s_delay_alu instid0(VALU_DEP_1) | instskip(NEXT) | instid1(VALU_DEP_1)
	v_lshlrev_b32_e32 v10, 16, v10
	v_and_or_b32 v10, 0xffff, v14, v10
	s_delay_alu instid0(VALU_DEP_1) | instskip(NEXT) | instid1(VALU_DEP_1)
	v_cndmask_b32_e64 v10, v14, v10, s6
	v_lshrrev_b32_e32 v14, 16, v10
	s_delay_alu instid0(VALU_DEP_1) | instskip(NEXT) | instid1(VALU_DEP_1)
	v_and_b32_e32 v14, 0xff, v14
	v_or_b32_e32 v11, v14, v11
	s_delay_alu instid0(VALU_DEP_1) | instskip(NEXT) | instid1(VALU_DEP_1)
	v_lshlrev_b32_e32 v11, 16, v11
	v_and_or_b32 v11, 0xffff, v10, v11
	s_delay_alu instid0(VALU_DEP_1) | instskip(SKIP_1) | instid1(VALU_DEP_2)
	v_cndmask_b32_e64 v10, v10, v11, s1
	v_and_b32_e32 v11, 1, v12
	v_lshrrev_b32_e32 v12, 16, v10
	s_delay_alu instid0(VALU_DEP_2) | instskip(NEXT) | instid1(VALU_DEP_2)
	v_lshlrev_b16 v11, 8, v11
	v_and_b32_e32 v12, 0xff, v12
	s_delay_alu instid0(VALU_DEP_1) | instskip(NEXT) | instid1(VALU_DEP_1)
	v_or_b32_e32 v11, v12, v11
	v_lshlrev_b32_e32 v11, 16, v11
	s_delay_alu instid0(VALU_DEP_1) | instskip(NEXT) | instid1(VALU_DEP_1)
	v_and_or_b32 v11, 0xffff, v10, v11
	v_cndmask_b32_e64 v33, v10, v11, s0
	s_wait_dscnt 0x0
	v_and_b32_e32 v10, 1, v13
	s_delay_alu instid0(VALU_DEP_2) | instskip(NEXT) | instid1(VALU_DEP_2)
	v_lshrrev_b32_e32 v11, 16, v33
	v_lshlrev_b16 v10, 8, v10
	s_delay_alu instid0(VALU_DEP_2) | instskip(NEXT) | instid1(VALU_DEP_1)
	v_and_b32_e32 v11, 0xff, v11
	v_or_b32_e32 v14, v11, v10
	s_delay_alu instid0(VALU_DEP_1) | instskip(NEXT) | instid1(VALU_DEP_1)
	v_lshlrev_b32_e32 v14, 16, v14
	v_and_or_b32 v38, 0xffff, v33, v14
	s_delay_alu instid0(VALU_DEP_1)
	v_cndmask_b32_e32 v43, v33, v38, vcc_lo
	ds_bpermute_b32 v10, v56, v3
	ds_bpermute_b32 v39, v56, v5
	;; [unrolled: 1-line block ×3, first 2 shown]
	ds_bpermute_b32 v45, v56, v5 offset:32
	v_and_b32_e32 v33, s9, v43
	ds_bpermute_b32 v46, v56, v6 offset:32
	ds_bpermute_b32 v52, v56, v5 offset:64
	;; [unrolled: 1-line block ×4, first 2 shown]
	v_and_b32_e32 v57, 0xff, v33
	ds_bpermute_b32 v55, v56, v6 offset:96
	ds_bpermute_b32 v16, v56, v7
	ds_bpermute_b32 v17, v56, v8
	;; [unrolled: 1-line block ×3, first 2 shown]
	v_add_co_u32 v49, s18, v57, -1
	s_wait_alu 0xf1ff
	v_cndmask_b32_e64 v48, 0, 1, s18
	ds_bpermute_b32 v13, v56, v2
	ds_bpermute_b32 v11, v56, v4
	ds_bpermute_b32 v36, v56, v7 offset:32
	s_wait_dscnt 0xe
	s_wait_alu 0xfffe
	v_mad_co_u64_u32 v[5:6], null, v0, s8, v[9:10]
	v_cmp_ne_u32_e64 s7, 0, v48
	ds_bpermute_b32 v37, v56, v8 offset:32
	ds_bpermute_b32 v34, v56, v1 offset:32
	;; [unrolled: 1-line block ×4, first 2 shown]
	s_wait_alu 0xf1ff
	v_xor_b32_e32 v0, s7, v49
	ds_bpermute_b32 v15, v56, v4 offset:32
	ds_bpermute_b32 v44, v56, v7 offset:64
	;; [unrolled: 1-line block ×13, first 2 shown]
	v_and_b32_e32 v1, exec_lo, v0
	v_lshrrev_b32_e32 v2, 3, v5
	v_mov_b32_e32 v3, 0
	ds_store_2addr_b32 v30, v3, v3 offset0:1 offset1:2
	ds_store_2addr_b32 v30, v3, v3 offset0:3 offset1:4
	;; [unrolled: 1-line block ×4, first 2 shown]
	v_mbcnt_lo_u32_b32 v56, v1, 0
	v_and_b32_e32 v0, 0x1ffffffc, v2
	v_cmp_ne_u32_e64 s8, 0, v1
	; wave barrier
	s_wait_loadcnt_dscnt 0x0
	global_inv scope:SCOPE_SE
	v_cmp_eq_u32_e64 s7, 0, v56
	v_lshl_add_u32 v58, v57, 2, v0
	; wave barrier
	s_and_b32 s8, s8, s7
	s_wait_alu 0xfffe
	s_and_saveexec_b32 s7, s8
; %bb.48:
	v_bcnt_u32_b32 v1, v1, 0
	ds_store_b32 v58, v1 offset:4
; %bb.49:
	s_wait_alu 0xfffe
	s_or_b32 exec_lo, exec_lo, s7
	v_lshrrev_b32_e32 v57, 8, v43
	; wave barrier
	s_delay_alu instid0(VALU_DEP_1) | instskip(NEXT) | instid1(VALU_DEP_1)
	v_and_b32_e32 v1, s9, v57
	v_and_b32_e32 v1, 0xff, v1
	s_delay_alu instid0(VALU_DEP_1) | instskip(SKIP_3) | instid1(VALU_DEP_2)
	v_add_co_u32 v2, s7, v1, -1
	s_wait_alu 0xf1ff
	v_cndmask_b32_e64 v3, 0, 1, s7
	v_lshl_add_u32 v61, v1, 2, v0
	v_cmp_ne_u32_e64 s7, 0, v3
	ds_load_b32 v59, v61 offset:4
	; wave barrier
	s_wait_alu 0xf1ff
	v_xor_b32_e32 v1, s7, v2
	s_delay_alu instid0(VALU_DEP_1) | instskip(NEXT) | instid1(VALU_DEP_1)
	v_and_b32_e32 v1, exec_lo, v1
	v_mbcnt_lo_u32_b32 v60, v1, 0
	v_cmp_ne_u32_e64 s8, 0, v1
	s_delay_alu instid0(VALU_DEP_2)
	v_cmp_eq_u32_e64 s7, 0, v60
	s_and_b32 s8, s8, s7
	s_wait_alu 0xfffe
	s_and_saveexec_b32 s7, s8
	s_cbranch_execz .LBB278_51
; %bb.50:
	s_wait_dscnt 0x0
	v_bcnt_u32_b32 v1, v1, v59
	ds_store_b32 v61, v1 offset:4
.LBB278_51:
	s_wait_alu 0xfffe
	s_or_b32 exec_lo, exec_lo, s7
	v_lshrrev_b32_e32 v62, 16, v43
	; wave barrier
	s_delay_alu instid0(VALU_DEP_1) | instskip(NEXT) | instid1(VALU_DEP_1)
	v_and_b32_e32 v1, s9, v62
	v_and_b32_e32 v1, 0xff, v1
	s_delay_alu instid0(VALU_DEP_1) | instskip(SKIP_3) | instid1(VALU_DEP_2)
	v_add_co_u32 v2, s7, v1, -1
	s_wait_alu 0xf1ff
	v_cndmask_b32_e64 v3, 0, 1, s7
	v_lshl_add_u32 v65, v1, 2, v0
	v_cmp_ne_u32_e64 s7, 0, v3
	ds_load_b32 v63, v65 offset:4
	; wave barrier
	s_wait_alu 0xf1ff
	v_xor_b32_e32 v1, s7, v2
	s_delay_alu instid0(VALU_DEP_1) | instskip(NEXT) | instid1(VALU_DEP_1)
	v_and_b32_e32 v1, exec_lo, v1
	v_mbcnt_lo_u32_b32 v64, v1, 0
	v_cmp_ne_u32_e64 s8, 0, v1
	s_delay_alu instid0(VALU_DEP_2)
	v_cmp_eq_u32_e64 s7, 0, v64
	s_and_b32 s8, s8, s7
	s_wait_alu 0xfffe
	s_and_saveexec_b32 s7, s8
	s_cbranch_execz .LBB278_53
; %bb.52:
	s_wait_dscnt 0x0
	v_bcnt_u32_b32 v1, v1, v63
	ds_store_b32 v65, v1 offset:4
.LBB278_53:
	s_wait_alu 0xfffe
	s_or_b32 exec_lo, exec_lo, s7
	v_lshrrev_b32_e32 v66, 24, v43
	; wave barrier
	s_delay_alu instid0(VALU_DEP_1) | instskip(NEXT) | instid1(VALU_DEP_1)
	v_and_b32_e32 v1, s9, v66
	v_add_co_u32 v2, s7, v1, -1
	s_wait_alu 0xf1ff
	v_cndmask_b32_e64 v3, 0, 1, s7
	v_lshl_add_u32 v69, v1, 2, v0
	s_delay_alu instid0(VALU_DEP_2) | instskip(SKIP_3) | instid1(VALU_DEP_1)
	v_cmp_ne_u32_e64 s7, 0, v3
	ds_load_b32 v67, v69 offset:4
	; wave barrier
	s_wait_alu 0xf1ff
	v_xor_b32_e32 v0, s7, v2
	v_and_b32_e32 v0, exec_lo, v0
	s_delay_alu instid0(VALU_DEP_1) | instskip(SKIP_1) | instid1(VALU_DEP_2)
	v_mbcnt_lo_u32_b32 v68, v0, 0
	v_cmp_ne_u32_e64 s8, 0, v0
	v_cmp_eq_u32_e64 s7, 0, v68
	s_and_b32 s8, s8, s7
	s_wait_alu 0xfffe
	s_and_saveexec_b32 s7, s8
	s_cbranch_execz .LBB278_55
; %bb.54:
	s_wait_dscnt 0x0
	v_bcnt_u32_b32 v0, v0, v67
	ds_store_b32 v69, v0 offset:4
.LBB278_55:
	s_wait_alu 0xfffe
	s_or_b32 exec_lo, exec_lo, s7
	; wave barrier
	; wave barrier
	s_wait_loadcnt_dscnt 0x0
	global_inv scope:SCOPE_SE
	ds_load_2addr_b32 v[6:7], v30 offset0:1 offset1:2
	ds_load_2addr_b32 v[4:5], v30 offset0:3 offset1:4
	;; [unrolled: 1-line block ×4, first 2 shown]
	s_mov_b32 s8, exec_lo
	s_wait_dscnt 0x3
	v_add_nc_u32_e32 v70, v7, v6
	s_wait_dscnt 0x2
	s_delay_alu instid0(VALU_DEP_1) | instskip(SKIP_1) | instid1(VALU_DEP_1)
	v_add3_u32 v70, v70, v4, v5
	s_wait_dscnt 0x1
	v_add3_u32 v70, v70, v2, v3
	s_wait_dscnt 0x0
	s_delay_alu instid0(VALU_DEP_1) | instskip(SKIP_1) | instid1(VALU_DEP_2)
	v_add3_u32 v1, v70, v0, v1
	v_and_b32_e32 v70, 15, v31
	v_mov_b32_dpp v71, v1 row_shr:1 row_mask:0xf bank_mask:0xf
	s_delay_alu instid0(VALU_DEP_2) | instskip(SKIP_1) | instid1(VALU_DEP_1)
	v_cmp_ne_u32_e64 s7, 0, v70
	s_wait_alu 0xf1ff
	v_cndmask_b32_e64 v71, 0, v71, s7
	v_cmp_lt_u32_e64 s7, 1, v70
	s_delay_alu instid0(VALU_DEP_2) | instskip(NEXT) | instid1(VALU_DEP_1)
	v_add_nc_u32_e32 v1, v71, v1
	v_mov_b32_dpp v71, v1 row_shr:2 row_mask:0xf bank_mask:0xf
	s_wait_alu 0xf1ff
	s_delay_alu instid0(VALU_DEP_1) | instskip(SKIP_1) | instid1(VALU_DEP_2)
	v_cndmask_b32_e64 v71, 0, v71, s7
	v_cmp_lt_u32_e64 s7, 3, v70
	v_add_nc_u32_e32 v1, v1, v71
	s_delay_alu instid0(VALU_DEP_1) | instskip(SKIP_1) | instid1(VALU_DEP_1)
	v_mov_b32_dpp v71, v1 row_shr:4 row_mask:0xf bank_mask:0xf
	s_wait_alu 0xf1ff
	v_cndmask_b32_e64 v71, 0, v71, s7
	v_cmp_lt_u32_e64 s7, 7, v70
	s_delay_alu instid0(VALU_DEP_2) | instskip(NEXT) | instid1(VALU_DEP_1)
	v_add_nc_u32_e32 v1, v1, v71
	v_mov_b32_dpp v71, v1 row_shr:8 row_mask:0xf bank_mask:0xf
	s_wait_alu 0xf1ff
	s_delay_alu instid0(VALU_DEP_1) | instskip(SKIP_1) | instid1(VALU_DEP_2)
	v_cndmask_b32_e64 v70, 0, v71, s7
	v_bfe_i32 v71, v31, 4, 1
	v_add_nc_u32_e32 v1, v1, v70
	ds_swizzle_b32 v70, v1 offset:swizzle(BROADCAST,32,15)
	s_wait_dscnt 0x0
	v_and_b32_e32 v70, v71, v70
	s_delay_alu instid0(VALU_DEP_1)
	v_add_nc_u32_e32 v1, v1, v70
	v_cmpx_eq_u32_e32 31, v9
; %bb.56:
	v_mov_b32_e32 v70, 0
	ds_store_b32 v70, v1
; %bb.57:
	s_wait_alu 0xfffe
	s_or_b32 exec_lo, exec_lo, s8
	v_sub_co_u32 v70, s8, v31, 1
	; wave barrier
	s_wait_loadcnt_dscnt 0x0
	global_inv scope:SCOPE_SE
	v_cmp_gt_i32_e64 s7, 0, v70
	s_wait_alu 0xf1ff
	s_delay_alu instid0(VALU_DEP_1) | instskip(SKIP_1) | instid1(VALU_DEP_2)
	v_cndmask_b32_e64 v31, v70, v31, s7
	v_cmp_eq_u32_e64 s7, 0, v9
	v_lshlrev_b32_e32 v31, 2, v31
	s_or_b32 s7, s7, s8
	ds_bpermute_b32 v1, v31, v1
	v_cndmask_b32_e64 v31, 0, v53, s6
	s_wait_dscnt 0x0
	s_wait_alu 0xfffe
	v_cndmask_b32_e64 v1, v1, 0, s7
	s_delay_alu instid0(VALU_DEP_1) | instskip(NEXT) | instid1(VALU_DEP_1)
	v_add_nc_u32_e32 v6, v1, v6
	v_add_nc_u32_e32 v7, v6, v7
	s_delay_alu instid0(VALU_DEP_1) | instskip(NEXT) | instid1(VALU_DEP_1)
	v_add_nc_u32_e32 v4, v7, v4
	v_add_nc_u32_e32 v5, v4, v5
	;; [unrolled: 3-line block ×3, first 2 shown]
	s_delay_alu instid0(VALU_DEP_1)
	v_add_nc_u32_e32 v0, v3, v0
	ds_store_2addr_b32 v30, v1, v6 offset0:1 offset1:2
	ds_store_2addr_b32 v30, v7, v4 offset0:3 offset1:4
	;; [unrolled: 1-line block ×4, first 2 shown]
	; wave barrier
	s_wait_loadcnt_dscnt 0x0
	global_inv scope:SCOPE_SE
	ds_load_b32 v0, v58 offset:4
	ds_load_b32 v1, v61 offset:4
	;; [unrolled: 1-line block ×4, first 2 shown]
	v_cndmask_b32_e64 v6, 0, v45, s6
	v_cndmask_b32_e64 v7, 0, v46, s6
	;; [unrolled: 1-line block ×3, first 2 shown]
	; wave barrier
	s_wait_loadcnt_dscnt 0x0
	global_inv scope:SCOPE_SE
	v_cndmask_b32_e64 v4, 0, v39, s6
	v_cndmask_b32_e64 v5, 0, v40, s6
	;; [unrolled: 1-line block ×4, first 2 shown]
	v_add_nc_u32_e32 v45, v0, v56
	v_add3_u32 v46, v60, v59, v1
	v_add3_u32 v52, v64, v63, v2
	;; [unrolled: 1-line block ×3, first 2 shown]
	ds_store_b8 v45, v43
	ds_store_b8 v46, v57
	;; [unrolled: 1-line block ×4, first 2 shown]
	; wave barrier
	s_wait_loadcnt_dscnt 0x0
	global_inv scope:SCOPE_SE
	ds_load_b32 v28, v28
	v_cndmask_b32_e64 v0, v5, v17, s1
	v_cndmask_b32_e64 v1, v4, v16, s1
	v_cndmask_b32_e64 v2, v7, v37, s1
	v_cndmask_b32_e64 v7, v39, v50, s1
	v_cndmask_b32_e64 v3, v6, v36, s1
	v_cndmask_b32_e64 v0, v0, v13, s0
	v_cndmask_b32_e64 v12, v1, v12, s0
	v_cndmask_b32_e64 v2, v2, v35, s0
	v_cndmask_b32_e64 v17, v7, v48, s0
	v_cndmask_b32_e64 v13, v3, v34, s0
	v_cndmask_b32_e32 v1, v0, v11, vcc_lo
	v_cndmask_b32_e32 v0, v12, v10, vcc_lo
	v_cndmask_b32_e64 v4, v31, v47, s1
	v_cndmask_b32_e64 v5, v30, v44, s1
	;; [unrolled: 1-line block ×3, first 2 shown]
	v_dual_cndmask_b32 v3, v2, v15 :: v_dual_cndmask_b32 v2, v13, v14
	s_delay_alu instid0(VALU_DEP_4) | instskip(NEXT) | instid1(VALU_DEP_4)
	v_cndmask_b32_e64 v4, v4, v42, s0
	v_cndmask_b32_e64 v16, v5, v41, s0
	s_wait_dscnt 0x0
	v_lshrrev_b32_e32 v7, 16, v28
	v_and_b32_e32 v10, 0xffffff00, v28
	v_xor_b32_e32 v11, 1, v28
	v_cndmask_b32_e64 v6, v6, v49, s0
	s_delay_alu instid0(VALU_DEP_4) | instskip(SKIP_3) | instid1(VALU_DEP_4)
	v_dual_cndmask_b32 v5, v4, v38 :: v_dual_and_b32 v12, 0xffffff00, v7
	v_xor_b32_e32 v7, 1, v7
	v_xor_b32_e32 v10, 0x100, v10
	v_dual_cndmask_b32 v4, v16, v33 :: v_dual_and_b32 v11, 0xff, v11
	v_xor_b32_e32 v12, 0x100, v12
	s_delay_alu instid0(VALU_DEP_4) | instskip(SKIP_1) | instid1(VALU_DEP_4)
	v_and_b32_e32 v13, 0xff, v7
	v_cndmask_b32_e32 v7, v6, v32, vcc_lo
	v_or_b32_e32 v10, v11, v10
	v_cndmask_b32_e32 v6, v17, v8, vcc_lo
	v_lshlrev_b32_e32 v8, 3, v45
	v_or_b32_e32 v11, v13, v12
	v_lshlrev_b32_e32 v13, 3, v52
	v_and_b32_e32 v10, 0xffff, v10
	v_lshlrev_b32_e32 v12, 3, v46
	v_lshlrev_b32_e32 v14, 3, v53
	;; [unrolled: 1-line block ×3, first 2 shown]
	s_wait_loadcnt 0x0
	; wave barrier
	global_inv scope:SCOPE_SE
	ds_store_b64 v8, v[0:1]
	ds_store_b64 v12, v[2:3]
	;; [unrolled: 1-line block ×4, first 2 shown]
	v_or_b32_e32 v12, v10, v11
	; wave barrier
	s_wait_loadcnt_dscnt 0x0
	global_inv scope:SCOPE_SE
.LBB278_58:
	ds_load_b128 v[4:7], v29
	ds_load_b128 v[0:3], v29 offset:16
	; wave barrier
	s_wait_loadcnt_dscnt 0x0
	global_inv scope:SCOPE_SE
	ds_store_b32 v22, v12
	; wave barrier
	s_wait_loadcnt_dscnt 0x0
	global_inv scope:SCOPE_SE
	ds_load_u8 v13, v19 offset:32
	ds_load_u8 v12, v20 offset:64
	;; [unrolled: 1-line block ×3, first 2 shown]
	v_mad_co_u64_u32 v[10:11], null, s10, v9, s[14:15]
	s_wait_dscnt 0x1
	s_delay_alu instid0(VALU_DEP_1) | instskip(NEXT) | instid1(VALU_DEP_1)
	v_mad_co_u64_u32 v[14:15], null, s11, v9, v[11:12]
	v_mov_b32_e32 v11, v14
	s_and_saveexec_b32 s0, s2
	s_cbranch_execnz .LBB278_69
; %bb.59:
	s_wait_alu 0xfffe
	s_or_b32 exec_lo, exec_lo, s0
	s_and_saveexec_b32 s0, s3
	s_cbranch_execnz .LBB278_70
.LBB278_60:
	s_wait_alu 0xfffe
	s_or_b32 exec_lo, exec_lo, s0
	s_and_saveexec_b32 s0, s4
	s_cbranch_execnz .LBB278_71
.LBB278_61:
	s_wait_alu 0xfffe
	s_or_b32 exec_lo, exec_lo, s0
	s_and_saveexec_b32 s0, s5
	s_cbranch_execz .LBB278_63
.LBB278_62:
	v_mad_co_u64_u32 v[10:11], null, 0x60, s10, v[10:11]
	s_delay_alu instid0(VALU_DEP_1)
	v_mad_co_u64_u32 v[11:12], null, 0x60, s11, v[11:12]
	s_wait_dscnt 0x0
	global_store_b8 v[10:11], v8, off
.LBB278_63:
	s_wait_alu 0xfffe
	s_or_b32 exec_lo, exec_lo, s0
	v_mad_co_u64_u32 v[10:11], null, s12, v9, 0
	s_wait_storecnt 0x0
	; wave barrier
	s_wait_loadcnt_dscnt 0x0
	global_inv scope:SCOPE_SE
	ds_store_2addr_b64 v27, v[4:5], v[6:7] offset1:1
	ds_store_2addr_b64 v27, v[0:1], v[2:3] offset0:2 offset1:3
	; wave barrier
	s_wait_loadcnt_dscnt 0x0
	global_inv scope:SCOPE_SE
	ds_load_b64 v[6:7], v24 offset:256
	ds_load_b64 v[4:5], v25 offset:512
	;; [unrolled: 1-line block ×3, first 2 shown]
	v_mov_b32_e32 v8, v11
	s_delay_alu instid0(VALU_DEP_1) | instskip(NEXT) | instid1(VALU_DEP_1)
	v_mad_co_u64_u32 v[8:9], null, s13, v9, v[8:9]
	v_mov_b32_e32 v11, v8
	s_delay_alu instid0(VALU_DEP_1) | instskip(NEXT) | instid1(VALU_DEP_1)
	v_lshlrev_b64_e32 v[2:3], 3, v[10:11]
	v_add_co_u32 v2, vcc_lo, s16, v2
	s_wait_alu 0xfffd
	s_delay_alu instid0(VALU_DEP_2)
	v_add_co_ci_u32_e64 v3, null, s17, v3, vcc_lo
	s_and_saveexec_b32 s0, s2
	s_cbranch_execnz .LBB278_72
; %bb.64:
	s_wait_alu 0xfffe
	s_or_b32 exec_lo, exec_lo, s0
	s_and_saveexec_b32 s0, s3
	s_cbranch_execnz .LBB278_73
.LBB278_65:
	s_wait_alu 0xfffe
	s_or_b32 exec_lo, exec_lo, s0
	s_and_saveexec_b32 s0, s4
	s_cbranch_execnz .LBB278_74
.LBB278_66:
	s_wait_alu 0xfffe
	s_or_b32 exec_lo, exec_lo, s0
	s_and_saveexec_b32 s0, s5
	s_cbranch_execz .LBB278_68
.LBB278_67:
	v_mad_co_u64_u32 v[2:3], null, 0x300, s12, v[2:3]
	s_wait_dscnt 0x1
	s_delay_alu instid0(VALU_DEP_1)
	v_mad_co_u64_u32 v[3:4], null, 0x300, s13, v[3:4]
	s_wait_dscnt 0x0
	global_store_b64 v[2:3], v[0:1], off
.LBB278_68:
	s_endpgm
.LBB278_69:
	ds_load_u8 v14, v18
	s_wait_dscnt 0x0
	global_store_b8 v[10:11], v14, off
	s_wait_alu 0xfffe
	s_or_b32 exec_lo, exec_lo, s0
	s_and_saveexec_b32 s0, s3
	s_cbranch_execz .LBB278_60
.LBB278_70:
	s_lshl_b64 s[6:7], s[10:11], 5
	s_wait_alu 0xfffe
	v_add_co_u32 v14, vcc_lo, v10, s6
	s_wait_alu 0xfffd
	v_add_co_ci_u32_e64 v15, null, s7, v11, vcc_lo
	global_store_b8 v[14:15], v13, off
	s_or_b32 exec_lo, exec_lo, s0
	s_and_saveexec_b32 s0, s4
	s_cbranch_execz .LBB278_61
.LBB278_71:
	s_lshl_b64 s[6:7], s[10:11], 6
	s_wait_alu 0xfffe
	v_add_co_u32 v13, vcc_lo, v10, s6
	s_wait_alu 0xfffd
	v_add_co_ci_u32_e64 v14, null, s7, v11, vcc_lo
	global_store_b8 v[13:14], v12, off
	s_or_b32 exec_lo, exec_lo, s0
	s_and_saveexec_b32 s0, s5
	s_cbranch_execnz .LBB278_62
	s_branch .LBB278_63
.LBB278_72:
	ds_load_b64 v[8:9], v23
	s_wait_dscnt 0x0
	global_store_b64 v[2:3], v[8:9], off
	s_wait_alu 0xfffe
	s_or_b32 exec_lo, exec_lo, s0
	s_and_saveexec_b32 s0, s3
	s_cbranch_execz .LBB278_65
.LBB278_73:
	s_lshl_b64 s[2:3], s[12:13], 8
	s_wait_alu 0xfffe
	v_add_co_u32 v8, vcc_lo, v2, s2
	s_wait_alu 0xfffd
	v_add_co_ci_u32_e64 v9, null, s3, v3, vcc_lo
	s_wait_dscnt 0x2
	global_store_b64 v[8:9], v[6:7], off
	s_or_b32 exec_lo, exec_lo, s0
	s_and_saveexec_b32 s0, s4
	s_cbranch_execz .LBB278_66
.LBB278_74:
	s_lshl_b64 s[2:3], s[12:13], 9
	s_wait_dscnt 0x2
	s_wait_alu 0xfffe
	v_add_co_u32 v6, vcc_lo, v2, s2
	s_wait_alu 0xfffd
	v_add_co_ci_u32_e64 v7, null, s3, v3, vcc_lo
	s_wait_dscnt 0x1
	global_store_b64 v[6:7], v[4:5], off
	s_or_b32 exec_lo, exec_lo, s0
	s_and_saveexec_b32 s0, s5
	s_cbranch_execnz .LBB278_67
	s_branch .LBB278_68
	.section	.rodata,"a",@progbits
	.p2align	6, 0x0
	.amdhsa_kernel _ZN2at6native18radixSortKVInPlaceILin1ELin1ELi32ELi4EblmEEvNS_4cuda6detail10TensorInfoIT3_T5_EES6_S6_S6_NS4_IT4_S6_EES6_b
		.amdhsa_group_segment_fixed_size 1056
		.amdhsa_private_segment_fixed_size 0
		.amdhsa_kernarg_size 1128
		.amdhsa_user_sgpr_count 2
		.amdhsa_user_sgpr_dispatch_ptr 0
		.amdhsa_user_sgpr_queue_ptr 0
		.amdhsa_user_sgpr_kernarg_segment_ptr 1
		.amdhsa_user_sgpr_dispatch_id 0
		.amdhsa_user_sgpr_private_segment_size 0
		.amdhsa_wavefront_size32 1
		.amdhsa_uses_dynamic_stack 0
		.amdhsa_enable_private_segment 0
		.amdhsa_system_sgpr_workgroup_id_x 1
		.amdhsa_system_sgpr_workgroup_id_y 1
		.amdhsa_system_sgpr_workgroup_id_z 1
		.amdhsa_system_sgpr_workgroup_info 0
		.amdhsa_system_vgpr_workitem_id 2
		.amdhsa_next_free_vgpr 86
		.amdhsa_next_free_sgpr 36
		.amdhsa_reserve_vcc 1
		.amdhsa_float_round_mode_32 0
		.amdhsa_float_round_mode_16_64 0
		.amdhsa_float_denorm_mode_32 3
		.amdhsa_float_denorm_mode_16_64 3
		.amdhsa_fp16_overflow 0
		.amdhsa_workgroup_processor_mode 1
		.amdhsa_memory_ordered 1
		.amdhsa_forward_progress 1
		.amdhsa_inst_pref_size 76
		.amdhsa_round_robin_scheduling 0
		.amdhsa_exception_fp_ieee_invalid_op 0
		.amdhsa_exception_fp_denorm_src 0
		.amdhsa_exception_fp_ieee_div_zero 0
		.amdhsa_exception_fp_ieee_overflow 0
		.amdhsa_exception_fp_ieee_underflow 0
		.amdhsa_exception_fp_ieee_inexact 0
		.amdhsa_exception_int_div_zero 0
	.end_amdhsa_kernel
	.section	.text._ZN2at6native18radixSortKVInPlaceILin1ELin1ELi32ELi4EblmEEvNS_4cuda6detail10TensorInfoIT3_T5_EES6_S6_S6_NS4_IT4_S6_EES6_b,"axG",@progbits,_ZN2at6native18radixSortKVInPlaceILin1ELin1ELi32ELi4EblmEEvNS_4cuda6detail10TensorInfoIT3_T5_EES6_S6_S6_NS4_IT4_S6_EES6_b,comdat
.Lfunc_end278:
	.size	_ZN2at6native18radixSortKVInPlaceILin1ELin1ELi32ELi4EblmEEvNS_4cuda6detail10TensorInfoIT3_T5_EES6_S6_S6_NS4_IT4_S6_EES6_b, .Lfunc_end278-_ZN2at6native18radixSortKVInPlaceILin1ELin1ELi32ELi4EblmEEvNS_4cuda6detail10TensorInfoIT3_T5_EES6_S6_S6_NS4_IT4_S6_EES6_b
                                        ; -- End function
	.set _ZN2at6native18radixSortKVInPlaceILin1ELin1ELi32ELi4EblmEEvNS_4cuda6detail10TensorInfoIT3_T5_EES6_S6_S6_NS4_IT4_S6_EES6_b.num_vgpr, 86
	.set _ZN2at6native18radixSortKVInPlaceILin1ELin1ELi32ELi4EblmEEvNS_4cuda6detail10TensorInfoIT3_T5_EES6_S6_S6_NS4_IT4_S6_EES6_b.num_agpr, 0
	.set _ZN2at6native18radixSortKVInPlaceILin1ELin1ELi32ELi4EblmEEvNS_4cuda6detail10TensorInfoIT3_T5_EES6_S6_S6_NS4_IT4_S6_EES6_b.numbered_sgpr, 36
	.set _ZN2at6native18radixSortKVInPlaceILin1ELin1ELi32ELi4EblmEEvNS_4cuda6detail10TensorInfoIT3_T5_EES6_S6_S6_NS4_IT4_S6_EES6_b.num_named_barrier, 0
	.set _ZN2at6native18radixSortKVInPlaceILin1ELin1ELi32ELi4EblmEEvNS_4cuda6detail10TensorInfoIT3_T5_EES6_S6_S6_NS4_IT4_S6_EES6_b.private_seg_size, 0
	.set _ZN2at6native18radixSortKVInPlaceILin1ELin1ELi32ELi4EblmEEvNS_4cuda6detail10TensorInfoIT3_T5_EES6_S6_S6_NS4_IT4_S6_EES6_b.uses_vcc, 1
	.set _ZN2at6native18radixSortKVInPlaceILin1ELin1ELi32ELi4EblmEEvNS_4cuda6detail10TensorInfoIT3_T5_EES6_S6_S6_NS4_IT4_S6_EES6_b.uses_flat_scratch, 0
	.set _ZN2at6native18radixSortKVInPlaceILin1ELin1ELi32ELi4EblmEEvNS_4cuda6detail10TensorInfoIT3_T5_EES6_S6_S6_NS4_IT4_S6_EES6_b.has_dyn_sized_stack, 0
	.set _ZN2at6native18radixSortKVInPlaceILin1ELin1ELi32ELi4EblmEEvNS_4cuda6detail10TensorInfoIT3_T5_EES6_S6_S6_NS4_IT4_S6_EES6_b.has_recursion, 0
	.set _ZN2at6native18radixSortKVInPlaceILin1ELin1ELi32ELi4EblmEEvNS_4cuda6detail10TensorInfoIT3_T5_EES6_S6_S6_NS4_IT4_S6_EES6_b.has_indirect_call, 0
	.section	.AMDGPU.csdata,"",@progbits
; Kernel info:
; codeLenInByte = 9692
; TotalNumSgprs: 38
; NumVgprs: 86
; ScratchSize: 0
; MemoryBound: 0
; FloatMode: 240
; IeeeMode: 1
; LDSByteSize: 1056 bytes/workgroup (compile time only)
; SGPRBlocks: 0
; VGPRBlocks: 10
; NumSGPRsForWavesPerEU: 38
; NumVGPRsForWavesPerEU: 86
; Occupancy: 16
; WaveLimiterHint : 1
; COMPUTE_PGM_RSRC2:SCRATCH_EN: 0
; COMPUTE_PGM_RSRC2:USER_SGPR: 2
; COMPUTE_PGM_RSRC2:TRAP_HANDLER: 0
; COMPUTE_PGM_RSRC2:TGID_X_EN: 1
; COMPUTE_PGM_RSRC2:TGID_Y_EN: 1
; COMPUTE_PGM_RSRC2:TGID_Z_EN: 1
; COMPUTE_PGM_RSRC2:TIDIG_COMP_CNT: 2
	.section	.text._ZN2at6native18radixSortKVInPlaceILin1ELin1ELi16ELi2EblmEEvNS_4cuda6detail10TensorInfoIT3_T5_EES6_S6_S6_NS4_IT4_S6_EES6_b,"axG",@progbits,_ZN2at6native18radixSortKVInPlaceILin1ELin1ELi16ELi2EblmEEvNS_4cuda6detail10TensorInfoIT3_T5_EES6_S6_S6_NS4_IT4_S6_EES6_b,comdat
	.protected	_ZN2at6native18radixSortKVInPlaceILin1ELin1ELi16ELi2EblmEEvNS_4cuda6detail10TensorInfoIT3_T5_EES6_S6_S6_NS4_IT4_S6_EES6_b ; -- Begin function _ZN2at6native18radixSortKVInPlaceILin1ELin1ELi16ELi2EblmEEvNS_4cuda6detail10TensorInfoIT3_T5_EES6_S6_S6_NS4_IT4_S6_EES6_b
	.globl	_ZN2at6native18radixSortKVInPlaceILin1ELin1ELi16ELi2EblmEEvNS_4cuda6detail10TensorInfoIT3_T5_EES6_S6_S6_NS4_IT4_S6_EES6_b
	.p2align	8
	.type	_ZN2at6native18radixSortKVInPlaceILin1ELin1ELi16ELi2EblmEEvNS_4cuda6detail10TensorInfoIT3_T5_EES6_S6_S6_NS4_IT4_S6_EES6_b,@function
_ZN2at6native18radixSortKVInPlaceILin1ELin1ELi16ELi2EblmEEvNS_4cuda6detail10TensorInfoIT3_T5_EES6_S6_S6_NS4_IT4_S6_EES6_b: ; @_ZN2at6native18radixSortKVInPlaceILin1ELin1ELi16ELi2EblmEEvNS_4cuda6detail10TensorInfoIT3_T5_EES6_S6_S6_NS4_IT4_S6_EES6_b
; %bb.0:
	s_clause 0x1
	s_load_b64 s[2:3], s[0:1], 0x368
	s_load_b128 s[4:7], s[0:1], 0x1a0
	s_wait_kmcnt 0x0
	s_lshr_b32 s7, ttmp7, 16
	s_and_b32 s8, ttmp7, 0xffff
	s_mul_i32 s3, s3, s7
	s_delay_alu instid0(SALU_CYCLE_1) | instskip(NEXT) | instid1(SALU_CYCLE_1)
	s_add_co_i32 s3, s3, s8
	s_mul_i32 s2, s3, s2
	s_mov_b32 s3, 0
	s_add_co_i32 s2, s2, ttmp9
	s_delay_alu instid0(SALU_CYCLE_1)
	v_cmp_le_u64_e64 s4, s[4:5], s[2:3]
	s_and_b32 vcc_lo, exec_lo, s4
	s_cbranch_vccnz .LBB279_88
; %bb.1:
	s_clause 0x1
	s_load_b32 s7, s[0:1], 0x198
	s_load_b64 s[10:11], s[0:1], 0x1b0
	s_mov_b64 s[4:5], 0
	s_mov_b64 s[12:13], s[2:3]
	s_wait_kmcnt 0x0
	s_cmp_lt_i32 s7, 2
	s_cbranch_scc1 .LBB279_9
; %bb.2:
	s_mov_b32 s8, 0
	s_add_co_i32 s4, s7, -1
	s_mov_b32 s5, s8
	s_add_co_i32 s7, s7, 1
	s_wait_alu 0xfffe
	s_lshl_b64 s[4:5], s[4:5], 3
	s_mov_b64 s[16:17], s[2:3]
	s_wait_alu 0xfffe
	s_add_nc_u64 s[12:13], s[0:1], s[4:5]
	s_mov_b64 s[4:5], 0
	s_add_nc_u64 s[14:15], s[12:13], 8
.LBB279_3:                              ; =>This Inner Loop Header: Depth=1
	s_load_b64 s[18:19], s[14:15], 0x0
	s_wait_kmcnt 0x0
	s_or_b64 s[12:13], s[16:17], s[18:19]
	s_delay_alu instid0(SALU_CYCLE_1)
	s_mov_b32 s9, s13
                                        ; implicit-def: $sgpr12_sgpr13
	s_wait_alu 0xfffe
	s_cmp_lg_u64 s[8:9], 0
	s_mov_b32 s9, -1
	s_cbranch_scc0 .LBB279_5
; %bb.4:                                ;   in Loop: Header=BB279_3 Depth=1
	s_cvt_f32_u32 s9, s18
	s_cvt_f32_u32 s12, s19
	s_sub_nc_u64 s[20:21], 0, s[18:19]
	s_mov_b32 s23, s8
	s_mov_b32 s27, s8
	s_wait_alu 0xfffe
	s_fmamk_f32 s9, s12, 0x4f800000, s9
	s_wait_alu 0xfffe
	s_delay_alu instid0(SALU_CYCLE_2) | instskip(NEXT) | instid1(TRANS32_DEP_1)
	v_s_rcp_f32 s9, s9
	s_mul_f32 s9, s9, 0x5f7ffffc
	s_wait_alu 0xfffe
	s_delay_alu instid0(SALU_CYCLE_2) | instskip(NEXT) | instid1(SALU_CYCLE_3)
	s_mul_f32 s12, s9, 0x2f800000
	s_trunc_f32 s12, s12
	s_delay_alu instid0(SALU_CYCLE_3) | instskip(SKIP_2) | instid1(SALU_CYCLE_1)
	s_fmamk_f32 s9, s12, 0xcf800000, s9
	s_cvt_u32_f32 s13, s12
	s_wait_alu 0xfffe
	s_cvt_u32_f32 s12, s9
	s_delay_alu instid0(SALU_CYCLE_3) | instskip(NEXT) | instid1(SALU_CYCLE_1)
	s_mul_u64 s[24:25], s[20:21], s[12:13]
	s_mul_hi_u32 s29, s12, s25
	s_mul_i32 s28, s12, s25
	s_mul_hi_u32 s22, s12, s24
	s_mul_i32 s26, s13, s24
	s_add_nc_u64 s[22:23], s[22:23], s[28:29]
	s_mul_hi_u32 s9, s13, s24
	s_mul_hi_u32 s30, s13, s25
	s_add_co_u32 s22, s22, s26
	s_wait_alu 0xfffe
	s_add_co_ci_u32 s26, s23, s9
	s_mul_i32 s24, s13, s25
	s_add_co_ci_u32 s25, s30, 0
	s_delay_alu instid0(SALU_CYCLE_1)
	s_add_nc_u64 s[22:23], s[26:27], s[24:25]
	s_mov_b32 s25, s8
	s_add_co_u32 s12, s12, s22
	s_cselect_b32 s9, -1, 0
	s_wait_alu 0xfffe
	s_cmp_lg_u32 s9, 0
	s_add_co_ci_u32 s13, s13, s23
	s_mov_b32 s23, s8
	s_mul_u64 s[20:21], s[20:21], s[12:13]
	s_delay_alu instid0(SALU_CYCLE_1)
	s_mul_hi_u32 s27, s12, s21
	s_mul_i32 s26, s12, s21
	s_mul_hi_u32 s22, s12, s20
	s_mul_i32 s24, s13, s20
	s_add_nc_u64 s[22:23], s[22:23], s[26:27]
	s_mul_hi_u32 s9, s13, s20
	s_mul_hi_u32 s28, s13, s21
	s_mul_i32 s20, s13, s21
	s_add_co_u32 s21, s22, s24
	s_wait_alu 0xfffe
	s_add_co_ci_u32 s24, s23, s9
	s_add_co_ci_u32 s21, s28, 0
	s_mov_b32 s23, s8
	s_add_nc_u64 s[20:21], s[24:25], s[20:21]
	s_delay_alu instid0(SALU_CYCLE_1)
	s_add_co_u32 s9, s12, s20
	s_cselect_b32 s12, -1, 0
	s_wait_alu 0xfffe
	s_mul_hi_u32 s22, s16, s9
	s_cmp_lg_u32 s12, 0
	s_mul_hi_u32 s24, s17, s9
	s_add_co_ci_u32 s20, s13, s21
	s_mul_i32 s9, s17, s9
	s_mul_hi_u32 s13, s16, s20
	s_mul_i32 s12, s16, s20
	s_mul_hi_u32 s21, s17, s20
	s_add_nc_u64 s[12:13], s[22:23], s[12:13]
	s_mul_i32 s20, s17, s20
	s_wait_alu 0xfffe
	s_add_co_u32 s9, s12, s9
	s_add_co_ci_u32 s24, s13, s24
	s_add_co_ci_u32 s21, s21, 0
	s_delay_alu instid0(SALU_CYCLE_1) | instskip(NEXT) | instid1(SALU_CYCLE_1)
	s_add_nc_u64 s[12:13], s[24:25], s[20:21]
	s_mul_u64 s[20:21], s[18:19], s[12:13]
	s_delay_alu instid0(SALU_CYCLE_1)
	s_sub_co_u32 s9, s16, s20
	s_cselect_b32 s20, -1, 0
	s_sub_co_i32 s22, s17, s21
	s_cmp_lg_u32 s20, 0
	s_sub_co_ci_u32 s22, s22, s19
	s_wait_alu 0xfffe
	s_sub_co_u32 s23, s9, s18
	s_cselect_b32 s24, -1, 0
	s_delay_alu instid0(SALU_CYCLE_1) | instskip(SKIP_1) | instid1(SALU_CYCLE_1)
	s_cmp_lg_u32 s24, 0
	s_sub_co_ci_u32 s22, s22, 0
	s_cmp_ge_u32 s22, s19
	s_cselect_b32 s24, -1, 0
	s_cmp_ge_u32 s23, s18
	s_cselect_b32 s25, -1, 0
	s_cmp_eq_u32 s22, s19
	s_add_nc_u64 s[22:23], s[12:13], 1
	s_cselect_b32 s26, s25, s24
	s_add_nc_u64 s[24:25], s[12:13], 2
	s_cmp_lg_u32 s26, 0
	s_cselect_b32 s22, s24, s22
	s_cselect_b32 s23, s25, s23
	s_cmp_lg_u32 s20, 0
	s_sub_co_ci_u32 s20, s17, s21
	s_delay_alu instid0(SALU_CYCLE_1)
	s_cmp_ge_u32 s20, s19
	s_cselect_b32 s21, -1, 0
	s_cmp_ge_u32 s9, s18
	s_cselect_b32 s9, -1, 0
	s_cmp_eq_u32 s20, s19
	s_wait_alu 0xfffe
	s_cselect_b32 s9, s9, s21
	s_wait_alu 0xfffe
	s_cmp_lg_u32 s9, 0
	s_mov_b32 s9, 0
	s_cselect_b32 s13, s23, s13
	s_cselect_b32 s12, s22, s12
.LBB279_5:                              ;   in Loop: Header=BB279_3 Depth=1
	s_wait_alu 0xfffe
	s_and_not1_b32 vcc_lo, exec_lo, s9
	s_cbranch_vccnz .LBB279_7
; %bb.6:                                ;   in Loop: Header=BB279_3 Depth=1
	v_cvt_f32_u32_e32 v1, s18
	s_sub_co_i32 s12, 0, s18
	s_delay_alu instid0(VALU_DEP_1) | instskip(NEXT) | instid1(TRANS32_DEP_1)
	v_rcp_iflag_f32_e32 v1, v1
	v_mul_f32_e32 v1, 0x4f7ffffe, v1
	s_delay_alu instid0(VALU_DEP_1) | instskip(NEXT) | instid1(VALU_DEP_1)
	v_cvt_u32_f32_e32 v1, v1
	v_readfirstlane_b32 s9, v1
	s_mul_i32 s12, s12, s9
	s_delay_alu instid0(SALU_CYCLE_1) | instskip(NEXT) | instid1(SALU_CYCLE_1)
	s_mul_hi_u32 s12, s9, s12
	s_add_co_i32 s9, s9, s12
	s_wait_alu 0xfffe
	s_mul_hi_u32 s9, s16, s9
	s_wait_alu 0xfffe
	s_mul_i32 s12, s9, s18
	s_add_co_i32 s13, s9, 1
	s_sub_co_i32 s12, s16, s12
	s_delay_alu instid0(SALU_CYCLE_1)
	s_sub_co_i32 s20, s12, s18
	s_cmp_ge_u32 s12, s18
	s_cselect_b32 s9, s13, s9
	s_cselect_b32 s12, s20, s12
	s_wait_alu 0xfffe
	s_add_co_i32 s13, s9, 1
	s_cmp_ge_u32 s12, s18
	s_cselect_b32 s12, s13, s9
	s_mov_b32 s13, s8
.LBB279_7:                              ;   in Loop: Header=BB279_3 Depth=1
	s_load_b64 s[20:21], s[14:15], 0xc8
	s_mul_u64 s[18:19], s[12:13], s[18:19]
	s_add_co_i32 s7, s7, -1
	s_wait_alu 0xfffe
	s_sub_nc_u64 s[16:17], s[16:17], s[18:19]
	s_cmp_gt_u32 s7, 2
	s_add_nc_u64 s[14:15], s[14:15], -8
	s_wait_kmcnt 0x0
	s_mul_u64 s[16:17], s[20:21], s[16:17]
	s_delay_alu instid0(SALU_CYCLE_1)
	s_add_nc_u64 s[4:5], s[16:17], s[4:5]
	s_cbranch_scc0 .LBB279_9
; %bb.8:                                ;   in Loop: Header=BB279_3 Depth=1
	s_mov_b64 s[16:17], s[12:13]
	s_branch .LBB279_3
.LBB279_9:
	s_load_b32 s7, s[0:1], 0x350
	s_mov_b64 s[8:9], 0
	s_wait_kmcnt 0x0
	s_cmp_lt_i32 s7, 2
	s_cbranch_scc1 .LBB279_17
; %bb.10:
	s_mov_b32 s14, 0
	s_add_co_i32 s8, s7, -1
	s_mov_b32 s9, s14
	s_add_co_i32 s7, s7, 1
	s_wait_alu 0xfffe
	s_lshl_b64 s[8:9], s[8:9], 3
	s_wait_alu 0xfffe
	s_add_nc_u64 s[8:9], s[0:1], s[8:9]
	s_wait_alu 0xfffe
	s_add_nc_u64 s[16:17], s[8:9], 0x1c0
	s_mov_b64 s[8:9], 0
.LBB279_11:                             ; =>This Inner Loop Header: Depth=1
	s_load_b64 s[18:19], s[16:17], 0x0
	s_wait_kmcnt 0x0
	s_or_b64 s[20:21], s[2:3], s[18:19]
	s_delay_alu instid0(SALU_CYCLE_1)
	s_mov_b32 s15, s21
                                        ; implicit-def: $sgpr20_sgpr21
	s_wait_alu 0xfffe
	s_cmp_lg_u64 s[14:15], 0
	s_mov_b32 s15, -1
	s_cbranch_scc0 .LBB279_13
; %bb.12:                               ;   in Loop: Header=BB279_11 Depth=1
	s_cvt_f32_u32 s15, s18
	s_cvt_f32_u32 s20, s19
	s_sub_nc_u64 s[22:23], 0, s[18:19]
	s_mov_b32 s25, s14
	s_mov_b32 s29, s14
	s_wait_alu 0xfffe
	s_fmamk_f32 s15, s20, 0x4f800000, s15
	s_wait_alu 0xfffe
	s_delay_alu instid0(SALU_CYCLE_2) | instskip(NEXT) | instid1(TRANS32_DEP_1)
	v_s_rcp_f32 s15, s15
	s_mul_f32 s15, s15, 0x5f7ffffc
	s_wait_alu 0xfffe
	s_delay_alu instid0(SALU_CYCLE_2) | instskip(NEXT) | instid1(SALU_CYCLE_3)
	s_mul_f32 s20, s15, 0x2f800000
	s_trunc_f32 s20, s20
	s_delay_alu instid0(SALU_CYCLE_3) | instskip(SKIP_2) | instid1(SALU_CYCLE_1)
	s_fmamk_f32 s15, s20, 0xcf800000, s15
	s_cvt_u32_f32 s21, s20
	s_wait_alu 0xfffe
	s_cvt_u32_f32 s20, s15
	s_delay_alu instid0(SALU_CYCLE_3) | instskip(NEXT) | instid1(SALU_CYCLE_1)
	s_mul_u64 s[26:27], s[22:23], s[20:21]
	s_mul_hi_u32 s31, s20, s27
	s_mul_i32 s30, s20, s27
	s_mul_hi_u32 s24, s20, s26
	s_mul_i32 s28, s21, s26
	s_add_nc_u64 s[24:25], s[24:25], s[30:31]
	s_mul_hi_u32 s15, s21, s26
	s_mul_hi_u32 s33, s21, s27
	s_add_co_u32 s24, s24, s28
	s_wait_alu 0xfffe
	s_add_co_ci_u32 s28, s25, s15
	s_mul_i32 s26, s21, s27
	s_add_co_ci_u32 s27, s33, 0
	s_delay_alu instid0(SALU_CYCLE_1)
	s_add_nc_u64 s[24:25], s[28:29], s[26:27]
	s_mov_b32 s27, s14
	s_add_co_u32 s20, s20, s24
	s_cselect_b32 s15, -1, 0
	s_wait_alu 0xfffe
	s_cmp_lg_u32 s15, 0
	s_add_co_ci_u32 s21, s21, s25
	s_mov_b32 s25, s14
	s_mul_u64 s[22:23], s[22:23], s[20:21]
	s_delay_alu instid0(SALU_CYCLE_1)
	s_mul_hi_u32 s29, s20, s23
	s_mul_i32 s28, s20, s23
	s_mul_hi_u32 s24, s20, s22
	s_mul_i32 s26, s21, s22
	s_add_nc_u64 s[24:25], s[24:25], s[28:29]
	s_mul_hi_u32 s15, s21, s22
	s_mul_hi_u32 s30, s21, s23
	s_mul_i32 s22, s21, s23
	s_add_co_u32 s23, s24, s26
	s_wait_alu 0xfffe
	s_add_co_ci_u32 s26, s25, s15
	s_add_co_ci_u32 s23, s30, 0
	s_mov_b32 s25, s14
	s_add_nc_u64 s[22:23], s[26:27], s[22:23]
	s_delay_alu instid0(SALU_CYCLE_1)
	s_add_co_u32 s15, s20, s22
	s_cselect_b32 s20, -1, 0
	s_wait_alu 0xfffe
	s_mul_hi_u32 s24, s2, s15
	s_cmp_lg_u32 s20, 0
	s_mul_hi_u32 s26, s3, s15
	s_add_co_ci_u32 s22, s21, s23
	s_mul_i32 s15, s3, s15
	s_mul_hi_u32 s21, s2, s22
	s_mul_i32 s20, s2, s22
	s_mul_hi_u32 s23, s3, s22
	s_add_nc_u64 s[20:21], s[24:25], s[20:21]
	s_mul_i32 s22, s3, s22
	s_wait_alu 0xfffe
	s_add_co_u32 s15, s20, s15
	s_add_co_ci_u32 s26, s21, s26
	s_add_co_ci_u32 s23, s23, 0
	s_delay_alu instid0(SALU_CYCLE_1) | instskip(NEXT) | instid1(SALU_CYCLE_1)
	s_add_nc_u64 s[20:21], s[26:27], s[22:23]
	s_mul_u64 s[22:23], s[18:19], s[20:21]
	s_delay_alu instid0(SALU_CYCLE_1)
	s_sub_co_u32 s15, s2, s22
	s_cselect_b32 s22, -1, 0
	s_sub_co_i32 s24, s3, s23
	s_cmp_lg_u32 s22, 0
	s_sub_co_ci_u32 s24, s24, s19
	s_wait_alu 0xfffe
	s_sub_co_u32 s25, s15, s18
	s_cselect_b32 s26, -1, 0
	s_delay_alu instid0(SALU_CYCLE_1) | instskip(SKIP_1) | instid1(SALU_CYCLE_1)
	s_cmp_lg_u32 s26, 0
	s_sub_co_ci_u32 s24, s24, 0
	s_cmp_ge_u32 s24, s19
	s_cselect_b32 s26, -1, 0
	s_cmp_ge_u32 s25, s18
	s_cselect_b32 s27, -1, 0
	s_cmp_eq_u32 s24, s19
	s_add_nc_u64 s[24:25], s[20:21], 1
	s_cselect_b32 s28, s27, s26
	s_add_nc_u64 s[26:27], s[20:21], 2
	s_cmp_lg_u32 s28, 0
	s_cselect_b32 s24, s26, s24
	s_cselect_b32 s25, s27, s25
	s_cmp_lg_u32 s22, 0
	s_sub_co_ci_u32 s22, s3, s23
	s_delay_alu instid0(SALU_CYCLE_1)
	s_cmp_ge_u32 s22, s19
	s_cselect_b32 s23, -1, 0
	s_cmp_ge_u32 s15, s18
	s_cselect_b32 s15, -1, 0
	s_cmp_eq_u32 s22, s19
	s_wait_alu 0xfffe
	s_cselect_b32 s15, s15, s23
	s_wait_alu 0xfffe
	s_cmp_lg_u32 s15, 0
	s_mov_b32 s15, 0
	s_cselect_b32 s21, s25, s21
	s_cselect_b32 s20, s24, s20
.LBB279_13:                             ;   in Loop: Header=BB279_11 Depth=1
	s_wait_alu 0xfffe
	s_and_not1_b32 vcc_lo, exec_lo, s15
	s_cbranch_vccnz .LBB279_15
; %bb.14:                               ;   in Loop: Header=BB279_11 Depth=1
	v_cvt_f32_u32_e32 v1, s18
	s_sub_co_i32 s20, 0, s18
	s_delay_alu instid0(VALU_DEP_1) | instskip(NEXT) | instid1(TRANS32_DEP_1)
	v_rcp_iflag_f32_e32 v1, v1
	v_mul_f32_e32 v1, 0x4f7ffffe, v1
	s_delay_alu instid0(VALU_DEP_1) | instskip(NEXT) | instid1(VALU_DEP_1)
	v_cvt_u32_f32_e32 v1, v1
	v_readfirstlane_b32 s15, v1
	s_mul_i32 s20, s20, s15
	s_delay_alu instid0(SALU_CYCLE_1) | instskip(NEXT) | instid1(SALU_CYCLE_1)
	s_mul_hi_u32 s20, s15, s20
	s_add_co_i32 s15, s15, s20
	s_wait_alu 0xfffe
	s_mul_hi_u32 s15, s2, s15
	s_wait_alu 0xfffe
	s_mul_i32 s20, s15, s18
	s_add_co_i32 s21, s15, 1
	s_sub_co_i32 s20, s2, s20
	s_delay_alu instid0(SALU_CYCLE_1)
	s_sub_co_i32 s22, s20, s18
	s_cmp_ge_u32 s20, s18
	s_cselect_b32 s15, s21, s15
	s_cselect_b32 s20, s22, s20
	s_wait_alu 0xfffe
	s_add_co_i32 s21, s15, 1
	s_cmp_ge_u32 s20, s18
	s_cselect_b32 s20, s21, s15
	s_mov_b32 s21, s14
.LBB279_15:                             ;   in Loop: Header=BB279_11 Depth=1
	s_load_b64 s[22:23], s[16:17], 0xc8
	s_mul_u64 s[18:19], s[20:21], s[18:19]
	s_add_co_i32 s7, s7, -1
	s_wait_alu 0xfffe
	s_sub_nc_u64 s[2:3], s[2:3], s[18:19]
	s_cmp_gt_u32 s7, 2
	s_add_nc_u64 s[16:17], s[16:17], -8
	s_wait_kmcnt 0x0
	s_wait_alu 0xfffe
	s_mul_u64 s[2:3], s[22:23], s[2:3]
	s_wait_alu 0xfffe
	s_add_nc_u64 s[8:9], s[2:3], s[8:9]
	s_cbranch_scc0 .LBB279_18
; %bb.16:                               ;   in Loop: Header=BB279_11 Depth=1
	s_mov_b64 s[2:3], s[20:21]
	s_branch .LBB279_11
.LBB279_17:
	s_mov_b64 s[20:21], s[2:3]
.LBB279_18:
	s_clause 0x2
	s_load_b64 s[2:3], s[0:1], 0xd0
	s_load_b32 s7, s[0:1], 0x360
	s_load_b64 s[14:15], s[0:1], 0x0
	s_wait_kmcnt 0x0
	s_mul_u64 s[12:13], s[2:3], s[12:13]
	s_bitcmp1_b32 s7, 0
	v_cmp_gt_u32_e64 s2, s6, v0
	s_cselect_b32 s7, -1, 0
	s_add_nc_u64 s[12:13], s[14:15], s[12:13]
	s_wait_alu 0xfffe
	s_xor_b32 s7, s7, -1
	s_add_nc_u64 s[14:15], s[12:13], s[4:5]
	s_wait_alu 0xfffe
	v_cndmask_b32_e64 v2, 0, 1, s7
	v_cndmask_b32_e64 v1, 0, 1, s7
	s_delay_alu instid0(VALU_DEP_2) | instskip(NEXT) | instid1(VALU_DEP_1)
	v_lshlrev_b32_e32 v3, 8, v2
	v_or_b32_e32 v2, v2, v3
	s_delay_alu instid0(VALU_DEP_1)
	v_and_b32_e32 v2, 0x101, v2
	s_and_saveexec_b32 s3, s2
	s_cbranch_execz .LBB279_20
; %bb.19:
	v_mad_co_u64_u32 v[3:4], null, s10, v0, s[14:15]
	s_delay_alu instid0(VALU_DEP_1) | instskip(NEXT) | instid1(VALU_DEP_1)
	v_mov_b32_e32 v1, v4
	v_mad_co_u64_u32 v[4:5], null, s11, v0, v[1:2]
	v_and_b32_e32 v2, 0x100, v2
	global_load_u8 v1, v[3:4], off
	s_wait_loadcnt 0x0
	v_or_b32_e32 v2, v1, v2
	s_delay_alu instid0(VALU_DEP_1)
	v_and_b32_e32 v2, 0xffff, v2
.LBB279_20:
	s_wait_alu 0xfffe
	s_or_b32 exec_lo, exec_lo, s3
	s_clause 0x1
	s_load_b64 s[16:17], s[0:1], 0x288
	s_load_b64 s[4:5], s[0:1], 0x1b8
	v_or_b32_e32 v5, 16, v0
	s_delay_alu instid0(VALU_DEP_1)
	v_cmp_gt_u32_e64 s3, s6, v5
	s_and_saveexec_b32 s6, s3
	s_cbranch_execz .LBB279_22
; %bb.21:
	v_mad_co_u64_u32 v[3:4], null, s10, v5, s[14:15]
	s_delay_alu instid0(VALU_DEP_1) | instskip(NEXT) | instid1(VALU_DEP_1)
	v_mad_co_u64_u32 v[6:7], null, s11, v5, v[4:5]
	v_mov_b32_e32 v4, v6
	global_load_u8 v3, v[3:4], off
	s_wait_loadcnt 0x0
	v_perm_b32 v2, v2, v3, 0xc0c0004
.LBB279_22:
	s_wait_alu 0xfffe
	s_or_b32 exec_lo, exec_lo, s6
	s_delay_alu instid0(VALU_DEP_1)
	v_lshrrev_b16 v2, 8, v2
	v_lshlrev_b32_e32 v17, 1, v0
	s_load_b64 s[12:13], s[0:1], 0x358
	s_wait_kmcnt 0x0
	s_mul_u64 s[0:1], s[16:17], s[20:21]
	ds_store_b8 v0, v1
	ds_store_b8 v0, v2 offset:16
	v_mov_b32_e32 v1, 0
	v_mov_b32_e32 v3, 0
	s_wait_dscnt 0x0
	; wave barrier
	global_inv scope:SCOPE_SE
	v_mov_b32_e32 v4, 0
	ds_load_u16 v21, v17
	s_lshl_b64 s[0:1], s[0:1], 3
	v_mov_b32_e32 v2, v1
	s_add_nc_u64 s[0:1], s[4:5], s[0:1]
	s_lshl_b64 s[4:5], s[8:9], 3
	s_wait_loadcnt_dscnt 0x0
	s_wait_alu 0xfffe
	s_add_nc_u64 s[16:17], s[0:1], s[4:5]
	; wave barrier
	global_inv scope:SCOPE_SE
	s_and_saveexec_b32 s0, s2
	s_cbranch_execz .LBB279_24
; %bb.23:
	v_mad_co_u64_u32 v[2:3], null, s12, v0, 0
	s_delay_alu instid0(VALU_DEP_1) | instskip(NEXT) | instid1(VALU_DEP_1)
	v_mad_co_u64_u32 v[3:4], null, s13, v0, v[3:4]
	v_lshlrev_b64_e32 v[2:3], 3, v[2:3]
	s_delay_alu instid0(VALU_DEP_1) | instskip(NEXT) | instid1(VALU_DEP_1)
	v_add_co_u32 v2, vcc_lo, s16, v2
	v_add_co_ci_u32_e64 v3, null, s17, v3, vcc_lo
	global_load_b64 v[3:4], v[2:3], off
	v_mov_b32_e32 v2, v1
.LBB279_24:
	s_or_b32 exec_lo, exec_lo, s0
	s_and_saveexec_b32 s0, s3
	s_cbranch_execz .LBB279_26
; %bb.25:
	v_mad_co_u64_u32 v[1:2], null, s12, v5, 0
	s_wait_loadcnt 0x0
	s_delay_alu instid0(VALU_DEP_1) | instskip(NEXT) | instid1(VALU_DEP_1)
	v_mad_co_u64_u32 v[5:6], null, s13, v5, v[2:3]
	v_mov_b32_e32 v2, v5
	s_delay_alu instid0(VALU_DEP_1) | instskip(NEXT) | instid1(VALU_DEP_1)
	v_lshlrev_b64_e32 v[1:2], 3, v[1:2]
	v_add_co_u32 v1, vcc_lo, s16, v1
	s_wait_alu 0xfffd
	s_delay_alu instid0(VALU_DEP_2)
	v_add_co_ci_u32_e64 v2, null, s17, v2, vcc_lo
	global_load_b64 v[1:2], v[1:2], off
.LBB279_26:
	s_or_b32 exec_lo, exec_lo, s0
	v_lshlrev_b32_e32 v18, 3, v0
	v_lshlrev_b32_e32 v19, 3, v17
	v_lshrrev_b16 v22, 8, v21
	v_cmp_lt_u32_e64 s0, 0x7f, v0
	v_cmp_gt_u32_e64 s1, 0x80, v0
	s_wait_loadcnt 0x0
	ds_store_2addr_b64 v18, v[3:4], v[1:2] offset1:16
	s_wait_dscnt 0x0
	; wave barrier
	global_inv scope:SCOPE_SE
	ds_load_2addr_b64 v[1:4], v19 offset1:1
	v_lshlrev_b32_e32 v20, 5, v0
	s_and_b32 vcc_lo, exec_lo, s7
	; wave barrier
	s_wait_loadcnt_dscnt 0x0
	global_inv scope:SCOPE_SE
	s_wait_alu 0xfffe
	s_cbranch_vccz .LBB279_53
; %bb.27:
	s_getpc_b64 s[4:5]
	s_wait_alu 0xfffe
	s_sext_i32_i16 s5, s5
	s_add_co_u32 s4, s4, _ZN7rocprim17ROCPRIM_400000_NS16block_radix_sortIbLj16ELj2ElLj1ELj1ELj0ELNS0_26block_radix_rank_algorithmE1ELNS0_18block_padding_hintE2ELNS0_4arch9wavefront6targetE0EE19radix_bits_per_passE@rel32@lo+12
	s_wait_alu 0xfffe
	s_add_co_ci_u32 s5, s5, _ZN7rocprim17ROCPRIM_400000_NS16block_radix_sortIbLj16ELj2ElLj1ELj1ELj0ELNS0_26block_radix_rank_algorithmE1ELNS0_18block_padding_hintE2ELNS0_4arch9wavefront6targetE0EE19radix_bits_per_passE@rel32@hi+24
	v_mad_i32_i24 v24, 0xffffffe2, v0, v20
	s_load_b32 s4, s[4:5], 0x0
	s_delay_alu instid0(VALU_DEP_1)
	v_mad_u32_u24 v23, v0, 14, v24
	s_and_saveexec_b32 s5, s1
	s_cbranch_execz .LBB279_36
; %bb.28:
	s_delay_alu instid0(VALU_DEP_1)
	v_mad_i32_i24 v5, v0, -12, v23
	v_mov_b32_e32 v6, 0
	v_cmp_gt_u32_e32 vcc_lo, 0x70, v0
	ds_store_b32 v5, v6
	s_and_b32 exec_lo, exec_lo, vcc_lo
	s_cbranch_execz .LBB279_36
; %bb.29:
	v_mul_i32_i24_e32 v5, -12, v0
	v_cmp_gt_u32_e32 vcc_lo, 0x60, v0
	s_delay_alu instid0(VALU_DEP_2)
	v_add_nc_u32_e32 v5, v23, v5
	ds_store_b32 v5, v6 offset:64
	s_and_b32 exec_lo, exec_lo, vcc_lo
	s_cbranch_execz .LBB279_36
; %bb.30:
	v_mov_b32_e32 v6, 0
	v_cmp_gt_u32_e32 vcc_lo, 0x50, v0
	ds_store_b32 v5, v6 offset:128
	s_and_b32 exec_lo, exec_lo, vcc_lo
	s_cbranch_execz .LBB279_36
; %bb.31:
	v_cmp_gt_u32_e32 vcc_lo, 64, v0
	ds_store_b32 v5, v6 offset:192
	s_and_b32 exec_lo, exec_lo, vcc_lo
	s_cbranch_execz .LBB279_36
; %bb.32:
	v_mov_b32_e32 v6, 0
	v_cmp_gt_u32_e32 vcc_lo, 48, v0
	ds_store_b32 v5, v6 offset:256
	s_and_b32 exec_lo, exec_lo, vcc_lo
	s_cbranch_execz .LBB279_36
; %bb.33:
	v_cmp_gt_u32_e32 vcc_lo, 32, v0
	ds_store_b32 v5, v6 offset:320
	s_and_b32 exec_lo, exec_lo, vcc_lo
	s_cbranch_execz .LBB279_36
; %bb.34:
	v_mov_b32_e32 v6, 0
	v_cmp_gt_u32_e32 vcc_lo, 16, v0
	ds_store_b32 v5, v6 offset:384
	s_and_b32 exec_lo, exec_lo, vcc_lo
; %bb.35:
	ds_store_b32 v5, v6 offset:448
.LBB279_36:
	s_wait_alu 0xfffe
	s_or_b32 exec_lo, exec_lo, s5
	s_wait_kmcnt 0x0
	s_min_u32 s1, s4, 8
	v_lshlrev_b32_e32 v25, 1, v17
	s_lshl_b32 s1, -1, s1
	v_cmp_eq_u32_e64 s4, 15, v0
	s_not_b32 s1, s1
	s_delay_alu instid0(SALU_CYCLE_1) | instskip(NEXT) | instid1(VALU_DEP_1)
	v_and_b32_e32 v5, s1, v21
	v_and_b32_e32 v5, 0xff, v5
	s_delay_alu instid0(VALU_DEP_1) | instskip(SKIP_3) | instid1(VALU_DEP_1)
	v_lshl_or_b32 v14, v5, 6, v25
	v_and_b32_e32 v5, 0xffff, v22
	ds_load_u16 v13, v14
	v_and_b32_e32 v5, s1, v5
	v_lshl_or_b32 v15, v5, 6, v25
	s_wait_dscnt 0x0
	v_add_nc_u16 v6, v13, 1
	ds_store_b16 v14, v6
	ds_load_u16 v16, v15
	s_wait_dscnt 0x0
	v_add_nc_u16 v5, v16, 1
	ds_store_b16 v15, v5
	; wave barrier
	s_wait_loadcnt_dscnt 0x0
	global_inv scope:SCOPE_SE
	ds_load_b128 v[9:12], v20
	ds_load_b128 v[5:8], v20 offset:16
	s_wait_dscnt 0x1
	v_add_nc_u32_e32 v26, v10, v9
	s_delay_alu instid0(VALU_DEP_1) | instskip(SKIP_1) | instid1(VALU_DEP_1)
	v_add3_u32 v26, v26, v11, v12
	s_wait_dscnt 0x0
	v_add3_u32 v27, v26, v5, v6
	v_mbcnt_lo_u32_b32 v26, -1, 0
	s_delay_alu instid0(VALU_DEP_2) | instskip(NEXT) | instid1(VALU_DEP_2)
	v_add3_u32 v8, v27, v7, v8
	v_and_b32_e32 v27, 15, v26
	s_delay_alu instid0(VALU_DEP_2) | instskip(NEXT) | instid1(VALU_DEP_2)
	v_mov_b32_dpp v28, v8 row_shr:1 row_mask:0xf bank_mask:0xf
	v_cmp_eq_u32_e32 vcc_lo, 0, v27
	v_cmp_lt_u32_e64 s1, 1, v27
	v_cmp_lt_u32_e64 s5, 3, v27
	;; [unrolled: 1-line block ×3, first 2 shown]
	s_wait_alu 0xfffd
	v_cndmask_b32_e64 v28, v28, 0, vcc_lo
	s_delay_alu instid0(VALU_DEP_1) | instskip(NEXT) | instid1(VALU_DEP_1)
	v_add_nc_u32_e32 v8, v28, v8
	v_mov_b32_dpp v28, v8 row_shr:2 row_mask:0xf bank_mask:0xf
	s_wait_alu 0xf1ff
	s_delay_alu instid0(VALU_DEP_1) | instskip(NEXT) | instid1(VALU_DEP_1)
	v_cndmask_b32_e64 v28, 0, v28, s1
	v_add_nc_u32_e32 v8, v8, v28
	s_delay_alu instid0(VALU_DEP_1) | instskip(NEXT) | instid1(VALU_DEP_1)
	v_mov_b32_dpp v28, v8 row_shr:4 row_mask:0xf bank_mask:0xf
	v_cndmask_b32_e64 v28, 0, v28, s5
	s_delay_alu instid0(VALU_DEP_1) | instskip(NEXT) | instid1(VALU_DEP_1)
	v_add_nc_u32_e32 v8, v8, v28
	v_mov_b32_dpp v28, v8 row_shr:8 row_mask:0xf bank_mask:0xf
	s_delay_alu instid0(VALU_DEP_1) | instskip(NEXT) | instid1(VALU_DEP_1)
	v_cndmask_b32_e64 v27, 0, v28, s6
	v_add_nc_u32_e32 v8, v8, v27
	s_and_saveexec_b32 s7, s4
; %bb.37:
	v_mov_b32_e32 v27, 0
	ds_store_b32 v27, v8 offset:512
; %bb.38:
	s_wait_alu 0xfffe
	s_or_b32 exec_lo, exec_lo, s7
	v_sub_co_u32 v27, s8, v26, 1
	v_and_b32_e32 v28, 16, v26
	; wave barrier
	s_wait_loadcnt_dscnt 0x0
	global_inv scope:SCOPE_SE
	v_cmp_lt_i32_e64 s7, v27, v28
	s_wait_alu 0xf1ff
	s_delay_alu instid0(VALU_DEP_1) | instskip(NEXT) | instid1(VALU_DEP_1)
	v_cndmask_b32_e64 v26, v27, v26, s7
	v_dual_mov_b32 v27, 0 :: v_dual_lshlrev_b32 v26, 2, v26
	ds_load_b32 v27, v27 offset:512
	ds_bpermute_b32 v8, v26, v8
	s_wait_dscnt 0x0
	v_cndmask_b32_e64 v8, v8, 0, s8
	s_delay_alu instid0(VALU_DEP_1) | instskip(NEXT) | instid1(VALU_DEP_1)
	v_lshl_add_u32 v8, v27, 16, v8
	v_add_nc_u32_e32 v9, v8, v9
	s_delay_alu instid0(VALU_DEP_1) | instskip(NEXT) | instid1(VALU_DEP_1)
	v_add_nc_u32_e32 v10, v9, v10
	v_add_nc_u32_e32 v11, v10, v11
	s_delay_alu instid0(VALU_DEP_1) | instskip(NEXT) | instid1(VALU_DEP_1)
	v_add_nc_u32_e32 v27, v11, v12
	;; [unrolled: 3-line block ×3, first 2 shown]
	v_add_nc_u32_e32 v30, v29, v7
	v_and_b32_e32 v7, 0xffff, v13
	ds_store_b128 v20, v[8:11]
	ds_store_b128 v20, v[27:30] offset:16
	; wave barrier
	s_wait_loadcnt_dscnt 0x0
	global_inv scope:SCOPE_SE
	ds_load_u16 v5, v14
	ds_load_u16 v6, v15
	v_and_b32_e32 v8, 0xffff, v16
	; wave barrier
	s_wait_loadcnt_dscnt 0x0
	global_inv scope:SCOPE_SE
                                        ; implicit-def: $vgpr28
	v_add_nc_u32_e32 v5, v5, v7
	v_add_nc_u32_e32 v6, v6, v8
	ds_store_b8 v5, v21
	ds_store_b8 v6, v22
	v_lshlrev_b32_e32 v5, 3, v5
	v_lshlrev_b32_e32 v6, 3, v6
	; wave barrier
	s_wait_loadcnt_dscnt 0x0
	global_inv scope:SCOPE_SE
	ds_load_u16 v27, v24
	; wave barrier
	s_wait_loadcnt_dscnt 0x0
	global_inv scope:SCOPE_SE
	ds_store_b64 v5, v[1:2]
	ds_store_b64 v6, v[3:4]
	; wave barrier
	s_wait_loadcnt_dscnt 0x0
	global_inv scope:SCOPE_SE
	ds_load_b128 v[5:8], v23
	; wave barrier
	s_wait_loadcnt_dscnt 0x0
	global_inv scope:SCOPE_SE
	s_and_saveexec_b32 s7, s0
	s_wait_alu 0xfffe
	s_xor_b32 s0, exec_lo, s7
; %bb.39:
	ds_load_u16 v28, v25
; %bb.40:
	s_wait_alu 0xfffe
	s_and_not1_saveexec_b32 s7, s0
	s_cbranch_execz .LBB279_50
; %bb.41:
	s_wait_dscnt 0x0
	v_dual_mov_b32 v28, 0 :: v_dual_lshlrev_b32 v9, 2, v0
	s_mov_b32 s9, exec_lo
	ds_store_b32 v9, v28
	v_cmpx_gt_u32_e32 0x70, v0
	s_cbranch_execz .LBB279_49
; %bb.42:
	v_mov_b32_e32 v10, 0
	v_cmp_gt_u32_e64 s0, 0x60, v0
	ds_store_b32 v9, v10 offset:64
	s_and_b32 exec_lo, exec_lo, s0
	s_cbranch_execz .LBB279_49
; %bb.43:
	v_cmp_gt_u32_e64 s0, 0x50, v0
	ds_store_b32 v9, v10 offset:128
	s_and_b32 exec_lo, exec_lo, s0
	s_cbranch_execz .LBB279_49
; %bb.44:
	v_mov_b32_e32 v10, 0
	v_cmp_gt_u32_e64 s0, 64, v0
	ds_store_b32 v9, v10 offset:192
	s_and_b32 exec_lo, exec_lo, s0
	s_cbranch_execz .LBB279_49
; %bb.45:
	v_cmp_gt_u32_e64 s0, 48, v0
	ds_store_b32 v9, v10 offset:256
	s_and_b32 exec_lo, exec_lo, s0
	;; [unrolled: 11-line block ×3, first 2 shown]
; %bb.48:
	v_mov_b32_e32 v10, 0
	ds_store_b32 v9, v10 offset:448
.LBB279_49:
	s_wait_alu 0xfffe
	s_or_b32 exec_lo, exec_lo, s9
.LBB279_50:
	s_wait_alu 0xfffe
	s_or_b32 exec_lo, exec_lo, s7
	s_wait_dscnt 0x0
	v_add_nc_u16 v9, v28, 2
	s_mov_b32 s0, 0
	ds_store_b16 v25, v9
	; wave barrier
	s_wait_loadcnt_dscnt 0x0
	global_inv scope:SCOPE_SE
	ds_load_b128 v[13:16], v20
	ds_load_b128 v[9:12], v20 offset:16
	s_wait_dscnt 0x1
	v_add_nc_u32_e32 v29, v14, v13
	s_delay_alu instid0(VALU_DEP_1) | instskip(SKIP_1) | instid1(VALU_DEP_1)
	v_add3_u32 v29, v29, v15, v16
	s_wait_dscnt 0x0
	v_add3_u32 v29, v29, v9, v10
	s_delay_alu instid0(VALU_DEP_1) | instskip(NEXT) | instid1(VALU_DEP_1)
	v_add3_u32 v12, v29, v11, v12
	v_mov_b32_dpp v29, v12 row_shr:1 row_mask:0xf bank_mask:0xf
	s_delay_alu instid0(VALU_DEP_1) | instskip(NEXT) | instid1(VALU_DEP_1)
	v_cndmask_b32_e64 v29, v29, 0, vcc_lo
	v_add_nc_u32_e32 v12, v29, v12
	s_delay_alu instid0(VALU_DEP_1) | instskip(NEXT) | instid1(VALU_DEP_1)
	v_mov_b32_dpp v29, v12 row_shr:2 row_mask:0xf bank_mask:0xf
	v_cndmask_b32_e64 v29, 0, v29, s1
	s_delay_alu instid0(VALU_DEP_1) | instskip(NEXT) | instid1(VALU_DEP_1)
	v_add_nc_u32_e32 v12, v12, v29
	v_mov_b32_dpp v29, v12 row_shr:4 row_mask:0xf bank_mask:0xf
	s_delay_alu instid0(VALU_DEP_1) | instskip(NEXT) | instid1(VALU_DEP_1)
	v_cndmask_b32_e64 v29, 0, v29, s5
	v_add_nc_u32_e32 v12, v12, v29
	s_delay_alu instid0(VALU_DEP_1) | instskip(NEXT) | instid1(VALU_DEP_1)
	v_mov_b32_dpp v29, v12 row_shr:8 row_mask:0xf bank_mask:0xf
	v_cndmask_b32_e64 v29, 0, v29, s6
	s_delay_alu instid0(VALU_DEP_1)
	v_add_nc_u32_e32 v12, v12, v29
	s_and_saveexec_b32 s1, s4
; %bb.51:
	v_mov_b32_e32 v29, 0
	ds_store_b32 v29, v12 offset:512
; %bb.52:
	s_wait_alu 0xfffe
	s_or_b32 exec_lo, exec_lo, s1
	ds_bpermute_b32 v12, v26, v12
	v_mov_b32_e32 v26, 0
	; wave barrier
	s_wait_loadcnt_dscnt 0x0
	global_inv scope:SCOPE_SE
	ds_load_b32 v26, v26 offset:512
	v_cndmask_b32_e64 v12, v12, 0, s8
	s_wait_dscnt 0x0
	s_delay_alu instid0(VALU_DEP_1) | instskip(NEXT) | instid1(VALU_DEP_1)
	v_lshl_add_u32 v12, v26, 16, v12
	v_add_nc_u32_e32 v13, v12, v13
	s_delay_alu instid0(VALU_DEP_1) | instskip(NEXT) | instid1(VALU_DEP_1)
	v_add_nc_u32_e32 v14, v13, v14
	v_add_nc_u32_e32 v15, v14, v15
	s_delay_alu instid0(VALU_DEP_1) | instskip(NEXT) | instid1(VALU_DEP_1)
	v_add_nc_u32_e32 v29, v15, v16
	v_add_nc_u32_e32 v30, v29, v9
	s_delay_alu instid0(VALU_DEP_1) | instskip(SKIP_1) | instid1(VALU_DEP_2)
	v_add_nc_u32_e32 v31, v30, v10
	v_add_nc_u16 v10, v28, 1
	v_add_nc_u32_e32 v32, v31, v11
	v_and_b32_e32 v11, 0xffff, v28
	s_delay_alu instid0(VALU_DEP_3)
	v_and_b32_e32 v10, 0xffff, v10
	ds_store_b128 v20, v[12:15]
	ds_store_b128 v20, v[29:32] offset:16
	; wave barrier
	s_wait_loadcnt_dscnt 0x0
	global_inv scope:SCOPE_SE
	ds_load_u16 v9, v25
	v_lshrrev_b16 v12, 8, v27
	; wave barrier
	s_wait_loadcnt_dscnt 0x0
	global_inv scope:SCOPE_SE
	v_add_nc_u32_e32 v11, v9, v11
	v_add_nc_u32_e32 v9, v9, v10
	ds_store_b8 v11, v27
	ds_store_b8 v9, v12
	v_lshlrev_b32_e32 v10, 3, v11
	v_lshlrev_b32_e32 v11, 3, v9
	; wave barrier
	s_wait_loadcnt_dscnt 0x0
	global_inv scope:SCOPE_SE
	ds_load_u16 v9, v24
	; wave barrier
	s_wait_loadcnt_dscnt 0x0
	global_inv scope:SCOPE_SE
	ds_store_b64 v10, v[5:6]
	ds_store_b64 v11, v[7:8]
	; wave barrier
	s_wait_loadcnt_dscnt 0x0
	global_inv scope:SCOPE_SE
	ds_load_b128 v[5:8], v23
	s_and_b32 vcc_lo, exec_lo, s0
	s_wait_alu 0xfffe
	s_cbranch_vccnz .LBB279_54
	s_branch .LBB279_80
.LBB279_53:
                                        ; implicit-def: $vgpr7_vgpr8
                                        ; implicit-def: $vgpr9
	s_cbranch_execz .LBB279_80
.LBB279_54:
	s_getpc_b64 s[0:1]
	s_wait_alu 0xfffe
	s_sext_i32_i16 s1, s1
	s_add_co_u32 s0, s0, _ZN7rocprim17ROCPRIM_400000_NS16block_radix_sortIbLj16ELj2ElLj1ELj1ELj0ELNS0_26block_radix_rank_algorithmE1ELNS0_18block_padding_hintE2ELNS0_4arch9wavefront6targetE0EE19radix_bits_per_passE@rel32@lo+12
	s_wait_alu 0xfffe
	s_add_co_ci_u32 s1, s1, _ZN7rocprim17ROCPRIM_400000_NS16block_radix_sortIbLj16ELj2ElLj1ELj1ELj0ELNS0_26block_radix_rank_algorithmE1ELNS0_18block_padding_hintE2ELNS0_4arch9wavefront6targetE0EE19radix_bits_per_passE@rel32@hi+24
	v_mad_i32_i24 v14, 0xffffffe2, v0, v20
	s_load_b32 s1, s[0:1], 0x0
	s_mov_b32 s4, exec_lo
	v_cmp_lt_u32_e32 vcc_lo, 0x7f, v0
	s_delay_alu instid0(VALU_DEP_2)
	v_mad_u32_u24 v13, v0, 14, v14
	v_cmpx_gt_u32_e32 0x80, v0
	s_cbranch_execz .LBB279_63
; %bb.55:
	s_wait_dscnt 0x0
	s_delay_alu instid0(VALU_DEP_2)
	v_mad_i32_i24 v5, v0, -12, v13
	v_mov_b32_e32 v6, 0
	v_cmp_gt_u32_e64 s0, 0x70, v0
	ds_store_b32 v5, v6
	s_and_b32 exec_lo, exec_lo, s0
	s_cbranch_execz .LBB279_63
; %bb.56:
	v_mul_i32_i24_e32 v5, -12, v0
	v_cmp_gt_u32_e64 s0, 0x60, v0
	s_delay_alu instid0(VALU_DEP_2)
	v_add_nc_u32_e32 v5, v13, v5
	ds_store_b32 v5, v6 offset:64
	s_and_b32 exec_lo, exec_lo, s0
	s_cbranch_execz .LBB279_63
; %bb.57:
	v_mov_b32_e32 v6, 0
	v_cmp_gt_u32_e64 s0, 0x50, v0
	ds_store_b32 v5, v6 offset:128
	s_and_b32 exec_lo, exec_lo, s0
	s_cbranch_execz .LBB279_63
; %bb.58:
	v_cmp_gt_u32_e64 s0, 64, v0
	ds_store_b32 v5, v6 offset:192
	s_and_b32 exec_lo, exec_lo, s0
	s_cbranch_execz .LBB279_63
; %bb.59:
	v_mov_b32_e32 v6, 0
	v_cmp_gt_u32_e64 s0, 48, v0
	ds_store_b32 v5, v6 offset:256
	s_and_b32 exec_lo, exec_lo, s0
	s_cbranch_execz .LBB279_63
; %bb.60:
	v_cmp_gt_u32_e64 s0, 32, v0
	ds_store_b32 v5, v6 offset:320
	s_and_b32 exec_lo, exec_lo, s0
	s_cbranch_execz .LBB279_63
; %bb.61:
	v_mov_b32_e32 v6, 0
	v_cmp_gt_u32_e64 s0, 16, v0
	ds_store_b32 v5, v6 offset:384
	s_and_b32 exec_lo, exec_lo, s0
; %bb.62:
	ds_store_b32 v5, v6 offset:448
.LBB279_63:
	s_wait_alu 0xfffe
	s_or_b32 exec_lo, exec_lo, s4
	s_wait_kmcnt 0x0
	s_min_u32 s0, s1, 8
	s_wait_dscnt 0x0
	v_and_b32_e32 v5, 1, v21
	s_wait_alu 0xfffe
	s_lshl_b32 s0, -1, s0
	v_lshlrev_b32_e32 v15, 1, v17
	s_wait_alu 0xfffe
	s_not_b32 s0, s0
	v_cmp_eq_u32_e64 s5, 15, v0
	v_cmp_eq_u32_e64 s7, 1, v5
	s_wait_alu 0xfffe
	s_lshl_b32 s0, s0, 5
	s_wait_alu 0xfffe
	s_and_b32 s0, s0, 32
	s_wait_alu 0xfffe
	v_cndmask_b32_e64 v5, s0, 0, s7
	s_delay_alu instid0(VALU_DEP_1) | instskip(SKIP_4) | instid1(VALU_DEP_1)
	v_lshl_or_b32 v23, v5, 1, v15
	v_and_b32_e32 v5, 1, v22
	ds_load_u16 v21, v23
	v_cmp_eq_u32_e64 s8, 1, v5
	s_wait_alu 0xf1ff
	v_cndmask_b32_e64 v5, s0, 0, s8
	s_delay_alu instid0(VALU_DEP_1)
	v_lshl_or_b32 v22, v5, 1, v15
	s_wait_dscnt 0x0
	v_add_nc_u16 v6, v21, 1
	ds_store_b16 v23, v6
	ds_load_u16 v24, v22
	s_wait_dscnt 0x0
	v_add_nc_u16 v5, v24, 1
	ds_store_b16 v22, v5
	; wave barrier
	s_wait_loadcnt_dscnt 0x0
	global_inv scope:SCOPE_SE
	ds_load_b128 v[9:12], v20
	ds_load_b128 v[5:8], v20 offset:16
	s_wait_dscnt 0x1
	v_add_nc_u32_e32 v16, v10, v9
	s_delay_alu instid0(VALU_DEP_1) | instskip(SKIP_1) | instid1(VALU_DEP_1)
	v_add3_u32 v16, v16, v11, v12
	s_wait_dscnt 0x0
	v_add3_u32 v25, v16, v5, v6
	v_mbcnt_lo_u32_b32 v16, -1, 0
	s_delay_alu instid0(VALU_DEP_2) | instskip(NEXT) | instid1(VALU_DEP_2)
	v_add3_u32 v8, v25, v7, v8
	v_and_b32_e32 v25, 15, v16
	s_delay_alu instid0(VALU_DEP_2) | instskip(NEXT) | instid1(VALU_DEP_2)
	v_mov_b32_dpp v26, v8 row_shr:1 row_mask:0xf bank_mask:0xf
	v_cmp_eq_u32_e64 s0, 0, v25
	v_cmp_lt_u32_e64 s1, 1, v25
	v_cmp_lt_u32_e64 s4, 3, v25
	v_cmp_lt_u32_e64 s6, 7, v25
	s_wait_alu 0xf1ff
	v_cndmask_b32_e64 v26, v26, 0, s0
	s_delay_alu instid0(VALU_DEP_1) | instskip(NEXT) | instid1(VALU_DEP_1)
	v_add_nc_u32_e32 v8, v26, v8
	v_mov_b32_dpp v26, v8 row_shr:2 row_mask:0xf bank_mask:0xf
	s_delay_alu instid0(VALU_DEP_1) | instskip(NEXT) | instid1(VALU_DEP_1)
	v_cndmask_b32_e64 v26, 0, v26, s1
	v_add_nc_u32_e32 v8, v8, v26
	s_delay_alu instid0(VALU_DEP_1) | instskip(NEXT) | instid1(VALU_DEP_1)
	v_mov_b32_dpp v26, v8 row_shr:4 row_mask:0xf bank_mask:0xf
	v_cndmask_b32_e64 v26, 0, v26, s4
	s_delay_alu instid0(VALU_DEP_1) | instskip(NEXT) | instid1(VALU_DEP_1)
	v_add_nc_u32_e32 v8, v8, v26
	v_mov_b32_dpp v26, v8 row_shr:8 row_mask:0xf bank_mask:0xf
	s_delay_alu instid0(VALU_DEP_1) | instskip(NEXT) | instid1(VALU_DEP_1)
	v_cndmask_b32_e64 v25, 0, v26, s6
	v_add_nc_u32_e32 v8, v8, v25
	s_and_saveexec_b32 s9, s5
; %bb.64:
	v_mov_b32_e32 v25, 0
	ds_store_b32 v25, v8 offset:512
; %bb.65:
	s_wait_alu 0xfffe
	s_or_b32 exec_lo, exec_lo, s9
	v_sub_co_u32 v25, s18, v16, 1
	v_and_b32_e32 v26, 16, v16
	; wave barrier
	s_wait_loadcnt_dscnt 0x0
	global_inv scope:SCOPE_SE
	s_xor_b32 s7, s7, -1
	v_cmp_lt_i32_e64 s9, v25, v26
	s_wait_alu 0xf1ff
	s_delay_alu instid0(VALU_DEP_1) | instskip(NEXT) | instid1(VALU_DEP_1)
	v_cndmask_b32_e64 v16, v25, v16, s9
	v_dual_mov_b32 v25, 0 :: v_dual_lshlrev_b32 v16, 2, v16
	ds_load_b32 v25, v25 offset:512
	ds_bpermute_b32 v8, v16, v8
	s_wait_dscnt 0x0
	v_cndmask_b32_e64 v8, v8, 0, s18
	s_delay_alu instid0(VALU_DEP_1) | instskip(NEXT) | instid1(VALU_DEP_1)
	v_lshl_add_u32 v8, v25, 16, v8
	v_add_nc_u32_e32 v9, v8, v9
	s_delay_alu instid0(VALU_DEP_1) | instskip(NEXT) | instid1(VALU_DEP_1)
	v_add_nc_u32_e32 v10, v9, v10
	v_add_nc_u32_e32 v11, v10, v11
	s_delay_alu instid0(VALU_DEP_1) | instskip(NEXT) | instid1(VALU_DEP_1)
	v_add_nc_u32_e32 v25, v11, v12
	;; [unrolled: 3-line block ×3, first 2 shown]
	v_add_nc_u32_e32 v28, v27, v7
	v_and_b32_e32 v7, 0xffff, v21
	ds_store_b128 v20, v[8:11]
	ds_store_b128 v20, v[25:28] offset:16
	; wave barrier
	s_wait_loadcnt_dscnt 0x0
	global_inv scope:SCOPE_SE
	ds_load_u16 v5, v23
	ds_load_u16 v6, v22
	v_and_b32_e32 v8, 0xffff, v24
	s_wait_alu 0xfffe
	v_cndmask_b32_e64 v9, 0, 1, s7
	s_xor_b32 s7, s8, -1
	s_wait_loadcnt_dscnt 0x0
	s_wait_alu 0xfffe
	v_cndmask_b32_e64 v10, 0, 1, s7
	; wave barrier
	global_inv scope:SCOPE_SE
                                        ; implicit-def: $vgpr22
	v_add_nc_u32_e32 v5, v5, v7
	v_add_nc_u32_e32 v6, v6, v8
	ds_store_b8 v5, v9
	ds_store_b8 v6, v10
	v_lshlrev_b32_e32 v5, 3, v5
	v_lshlrev_b32_e32 v6, 3, v6
	; wave barrier
	s_wait_loadcnt_dscnt 0x0
	global_inv scope:SCOPE_SE
	ds_load_u16 v21, v14
	; wave barrier
	s_wait_loadcnt_dscnt 0x0
	global_inv scope:SCOPE_SE
	ds_store_b64 v5, v[1:2]
	ds_store_b64 v6, v[3:4]
	; wave barrier
	s_wait_loadcnt_dscnt 0x0
	global_inv scope:SCOPE_SE
	ds_load_b128 v[1:4], v13
	; wave barrier
	s_wait_loadcnt_dscnt 0x0
	global_inv scope:SCOPE_SE
	s_and_saveexec_b32 s7, vcc_lo
	s_wait_alu 0xfffe
	s_xor_b32 s7, exec_lo, s7
; %bb.66:
	ds_load_u16 v22, v15
; %bb.67:
	s_wait_alu 0xfffe
	s_and_not1_saveexec_b32 s7, s7
	s_cbranch_execz .LBB279_77
; %bb.68:
	s_wait_dscnt 0x0
	v_dual_mov_b32 v22, 0 :: v_dual_lshlrev_b32 v5, 2, v0
	s_mov_b32 s8, exec_lo
	ds_store_b32 v5, v22
	v_cmpx_gt_u32_e32 0x70, v0
	s_cbranch_execz .LBB279_76
; %bb.69:
	v_mov_b32_e32 v6, 0
	v_cmp_gt_u32_e32 vcc_lo, 0x60, v0
	ds_store_b32 v5, v6 offset:64
	s_and_b32 exec_lo, exec_lo, vcc_lo
	s_cbranch_execz .LBB279_76
; %bb.70:
	v_cmp_gt_u32_e32 vcc_lo, 0x50, v0
	ds_store_b32 v5, v6 offset:128
	s_and_b32 exec_lo, exec_lo, vcc_lo
	s_cbranch_execz .LBB279_76
; %bb.71:
	v_mov_b32_e32 v6, 0
	v_cmp_gt_u32_e32 vcc_lo, 64, v0
	ds_store_b32 v5, v6 offset:192
	s_and_b32 exec_lo, exec_lo, vcc_lo
	s_cbranch_execz .LBB279_76
; %bb.72:
	v_cmp_gt_u32_e32 vcc_lo, 48, v0
	ds_store_b32 v5, v6 offset:256
	s_and_b32 exec_lo, exec_lo, vcc_lo
	;; [unrolled: 11-line block ×3, first 2 shown]
; %bb.75:
	v_mov_b32_e32 v6, 0
	ds_store_b32 v5, v6 offset:448
.LBB279_76:
	s_wait_alu 0xfffe
	s_or_b32 exec_lo, exec_lo, s8
.LBB279_77:
	s_wait_alu 0xfffe
	s_or_b32 exec_lo, exec_lo, s7
	s_wait_dscnt 0x0
	v_add_nc_u16 v5, v22, 2
	ds_store_b16 v15, v5
	; wave barrier
	s_wait_loadcnt_dscnt 0x0
	global_inv scope:SCOPE_SE
	ds_load_b128 v[9:12], v20
	ds_load_b128 v[5:8], v20 offset:16
	s_wait_dscnt 0x1
	v_add_nc_u32_e32 v23, v10, v9
	s_delay_alu instid0(VALU_DEP_1) | instskip(SKIP_1) | instid1(VALU_DEP_1)
	v_add3_u32 v23, v23, v11, v12
	s_wait_dscnt 0x0
	v_add3_u32 v23, v23, v5, v6
	s_delay_alu instid0(VALU_DEP_1) | instskip(NEXT) | instid1(VALU_DEP_1)
	v_add3_u32 v8, v23, v7, v8
	v_mov_b32_dpp v23, v8 row_shr:1 row_mask:0xf bank_mask:0xf
	s_delay_alu instid0(VALU_DEP_1) | instskip(NEXT) | instid1(VALU_DEP_1)
	v_cndmask_b32_e64 v23, v23, 0, s0
	v_add_nc_u32_e32 v8, v23, v8
	s_delay_alu instid0(VALU_DEP_1) | instskip(NEXT) | instid1(VALU_DEP_1)
	v_mov_b32_dpp v23, v8 row_shr:2 row_mask:0xf bank_mask:0xf
	v_cndmask_b32_e64 v23, 0, v23, s1
	s_delay_alu instid0(VALU_DEP_1) | instskip(NEXT) | instid1(VALU_DEP_1)
	v_add_nc_u32_e32 v8, v8, v23
	v_mov_b32_dpp v23, v8 row_shr:4 row_mask:0xf bank_mask:0xf
	s_delay_alu instid0(VALU_DEP_1) | instskip(NEXT) | instid1(VALU_DEP_1)
	v_cndmask_b32_e64 v23, 0, v23, s4
	v_add_nc_u32_e32 v8, v8, v23
	s_delay_alu instid0(VALU_DEP_1) | instskip(NEXT) | instid1(VALU_DEP_1)
	v_mov_b32_dpp v23, v8 row_shr:8 row_mask:0xf bank_mask:0xf
	v_cndmask_b32_e64 v23, 0, v23, s6
	s_delay_alu instid0(VALU_DEP_1)
	v_add_nc_u32_e32 v8, v8, v23
	s_and_saveexec_b32 s0, s5
; %bb.78:
	v_mov_b32_e32 v23, 0
	ds_store_b32 v23, v8 offset:512
; %bb.79:
	s_wait_alu 0xfffe
	s_or_b32 exec_lo, exec_lo, s0
	ds_bpermute_b32 v8, v16, v8
	v_mov_b32_e32 v16, 0
	; wave barrier
	s_wait_loadcnt_dscnt 0x0
	global_inv scope:SCOPE_SE
	ds_load_b32 v16, v16 offset:512
	v_cndmask_b32_e64 v8, v8, 0, s18
	s_wait_dscnt 0x0
	s_delay_alu instid0(VALU_DEP_1) | instskip(NEXT) | instid1(VALU_DEP_1)
	v_lshl_add_u32 v8, v16, 16, v8
	v_add_nc_u32_e32 v9, v8, v9
	s_delay_alu instid0(VALU_DEP_1) | instskip(NEXT) | instid1(VALU_DEP_1)
	v_add_nc_u32_e32 v10, v9, v10
	v_add_nc_u32_e32 v11, v10, v11
	s_delay_alu instid0(VALU_DEP_1) | instskip(NEXT) | instid1(VALU_DEP_1)
	v_add_nc_u32_e32 v23, v11, v12
	v_add_nc_u32_e32 v24, v23, v5
	s_delay_alu instid0(VALU_DEP_1) | instskip(SKIP_1) | instid1(VALU_DEP_2)
	v_add_nc_u32_e32 v25, v24, v6
	v_add_nc_u16 v6, v22, 1
	v_add_nc_u32_e32 v26, v25, v7
	v_and_b32_e32 v7, 0xffff, v22
	s_delay_alu instid0(VALU_DEP_3)
	v_and_b32_e32 v6, 0xffff, v6
	ds_store_b128 v20, v[8:11]
	ds_store_b128 v20, v[23:26] offset:16
	; wave barrier
	s_wait_loadcnt_dscnt 0x0
	global_inv scope:SCOPE_SE
	ds_load_u16 v5, v15
	v_lshrrev_b16 v8, 8, v21
	; wave barrier
	s_wait_loadcnt_dscnt 0x0
	global_inv scope:SCOPE_SE
	v_add_nc_u32_e32 v7, v5, v7
	v_add_nc_u32_e32 v5, v5, v6
	ds_store_b8 v7, v21
	ds_store_b8 v5, v8
	; wave barrier
	s_wait_loadcnt_dscnt 0x0
	global_inv scope:SCOPE_SE
	ds_load_u16 v9, v14
	v_lshlrev_b32_e32 v6, 3, v7
	v_lshlrev_b32_e32 v5, 3, v5
	; wave barrier
	s_wait_loadcnt_dscnt 0x0
	global_inv scope:SCOPE_SE
	ds_store_b64 v6, v[1:2]
	ds_store_b64 v5, v[3:4]
	; wave barrier
	s_wait_loadcnt_dscnt 0x0
	global_inv scope:SCOPE_SE
	ds_load_b128 v[5:8], v13
	v_and_b32_e32 v1, 0xffffff00, v9
	v_xor_b32_e32 v2, 1, v9
	s_delay_alu instid0(VALU_DEP_2) | instskip(NEXT) | instid1(VALU_DEP_2)
	v_xor_b32_e32 v1, 0x100, v1
	v_and_b32_e32 v2, 0xff, v2
	s_delay_alu instid0(VALU_DEP_1) | instskip(NEXT) | instid1(VALU_DEP_1)
	v_or_b32_e32 v1, v2, v1
	v_and_b32_e32 v9, 0xffff, v1
.LBB279_80:
	v_mad_co_u64_u32 v[1:2], null, s10, v0, s[14:15]
	; wave barrier
	s_wait_loadcnt_dscnt 0x0
	global_inv scope:SCOPE_SE
	ds_store_b16 v17, v9
	; wave barrier
	s_wait_loadcnt_dscnt 0x0
	global_inv scope:SCOPE_SE
	ds_load_u8 v9, v0 offset:16
	v_mad_co_u64_u32 v[3:4], null, s11, v0, v[2:3]
	s_delay_alu instid0(VALU_DEP_1)
	v_mov_b32_e32 v2, v3
	s_and_saveexec_b32 s0, s2
	s_cbranch_execz .LBB279_82
; %bb.81:
	ds_load_u8 v4, v0
	s_wait_dscnt 0x0
	global_store_b8 v[1:2], v4, off
.LBB279_82:
	s_wait_alu 0xfffe
	s_or_b32 exec_lo, exec_lo, s0
	s_and_saveexec_b32 s0, s3
	s_cbranch_execz .LBB279_84
; %bb.83:
	s_lshl_b64 s[4:5], s[10:11], 4
	s_wait_alu 0xfffe
	v_add_co_u32 v1, vcc_lo, v1, s4
	s_wait_alu 0xfffd
	v_add_co_ci_u32_e64 v2, null, s5, v3, vcc_lo
	s_wait_dscnt 0x0
	global_store_b8 v[1:2], v9, off
.LBB279_84:
	s_wait_alu 0xfffe
	s_or_b32 exec_lo, exec_lo, s0
	v_mad_co_u64_u32 v[2:3], null, s12, v0, 0
	s_wait_storecnt 0x0
	; wave barrier
	s_wait_loadcnt_dscnt 0x0
	global_inv scope:SCOPE_SE
	ds_store_2addr_b64 v19, v[5:6], v[7:8] offset1:1
	; wave barrier
	s_wait_loadcnt_dscnt 0x0
	global_inv scope:SCOPE_SE
	v_mov_b32_e32 v1, v3
	s_delay_alu instid0(VALU_DEP_1) | instskip(SKIP_2) | instid1(VALU_DEP_1)
	v_mad_co_u64_u32 v[3:4], null, s13, v0, v[1:2]
	ds_load_b64 v[0:1], v18 offset:128
	v_lshlrev_b64_e32 v[2:3], 3, v[2:3]
	v_add_co_u32 v2, vcc_lo, s16, v2
	s_wait_alu 0xfffd
	s_delay_alu instid0(VALU_DEP_2)
	v_add_co_ci_u32_e64 v3, null, s17, v3, vcc_lo
	s_and_saveexec_b32 s0, s2
	s_cbranch_execz .LBB279_86
; %bb.85:
	ds_load_b64 v[4:5], v18
	s_wait_dscnt 0x0
	global_store_b64 v[2:3], v[4:5], off
.LBB279_86:
	s_wait_alu 0xfffe
	s_or_b32 exec_lo, exec_lo, s0
	s_and_saveexec_b32 s0, s3
	s_cbranch_execz .LBB279_88
; %bb.87:
	s_lshl_b64 s[0:1], s[12:13], 7
	s_wait_alu 0xfffe
	v_add_co_u32 v2, vcc_lo, v2, s0
	s_wait_alu 0xfffd
	v_add_co_ci_u32_e64 v3, null, s1, v3, vcc_lo
	s_wait_dscnt 0x0
	global_store_b64 v[2:3], v[0:1], off
.LBB279_88:
	s_endpgm
	.section	.rodata,"a",@progbits
	.p2align	6, 0x0
	.amdhsa_kernel _ZN2at6native18radixSortKVInPlaceILin1ELin1ELi16ELi2EblmEEvNS_4cuda6detail10TensorInfoIT3_T5_EES6_S6_S6_NS4_IT4_S6_EES6_b
		.amdhsa_group_segment_fixed_size 528
		.amdhsa_private_segment_fixed_size 0
		.amdhsa_kernarg_size 1128
		.amdhsa_user_sgpr_count 2
		.amdhsa_user_sgpr_dispatch_ptr 0
		.amdhsa_user_sgpr_queue_ptr 0
		.amdhsa_user_sgpr_kernarg_segment_ptr 1
		.amdhsa_user_sgpr_dispatch_id 0
		.amdhsa_user_sgpr_private_segment_size 0
		.amdhsa_wavefront_size32 1
		.amdhsa_uses_dynamic_stack 0
		.amdhsa_enable_private_segment 0
		.amdhsa_system_sgpr_workgroup_id_x 1
		.amdhsa_system_sgpr_workgroup_id_y 1
		.amdhsa_system_sgpr_workgroup_id_z 1
		.amdhsa_system_sgpr_workgroup_info 0
		.amdhsa_system_vgpr_workitem_id 0
		.amdhsa_next_free_vgpr 33
		.amdhsa_next_free_sgpr 34
		.amdhsa_reserve_vcc 1
		.amdhsa_float_round_mode_32 0
		.amdhsa_float_round_mode_16_64 0
		.amdhsa_float_denorm_mode_32 3
		.amdhsa_float_denorm_mode_16_64 3
		.amdhsa_fp16_overflow 0
		.amdhsa_workgroup_processor_mode 1
		.amdhsa_memory_ordered 1
		.amdhsa_forward_progress 1
		.amdhsa_inst_pref_size 51
		.amdhsa_round_robin_scheduling 0
		.amdhsa_exception_fp_ieee_invalid_op 0
		.amdhsa_exception_fp_denorm_src 0
		.amdhsa_exception_fp_ieee_div_zero 0
		.amdhsa_exception_fp_ieee_overflow 0
		.amdhsa_exception_fp_ieee_underflow 0
		.amdhsa_exception_fp_ieee_inexact 0
		.amdhsa_exception_int_div_zero 0
	.end_amdhsa_kernel
	.section	.text._ZN2at6native18radixSortKVInPlaceILin1ELin1ELi16ELi2EblmEEvNS_4cuda6detail10TensorInfoIT3_T5_EES6_S6_S6_NS4_IT4_S6_EES6_b,"axG",@progbits,_ZN2at6native18radixSortKVInPlaceILin1ELin1ELi16ELi2EblmEEvNS_4cuda6detail10TensorInfoIT3_T5_EES6_S6_S6_NS4_IT4_S6_EES6_b,comdat
.Lfunc_end279:
	.size	_ZN2at6native18radixSortKVInPlaceILin1ELin1ELi16ELi2EblmEEvNS_4cuda6detail10TensorInfoIT3_T5_EES6_S6_S6_NS4_IT4_S6_EES6_b, .Lfunc_end279-_ZN2at6native18radixSortKVInPlaceILin1ELin1ELi16ELi2EblmEEvNS_4cuda6detail10TensorInfoIT3_T5_EES6_S6_S6_NS4_IT4_S6_EES6_b
                                        ; -- End function
	.set _ZN2at6native18radixSortKVInPlaceILin1ELin1ELi16ELi2EblmEEvNS_4cuda6detail10TensorInfoIT3_T5_EES6_S6_S6_NS4_IT4_S6_EES6_b.num_vgpr, 33
	.set _ZN2at6native18radixSortKVInPlaceILin1ELin1ELi16ELi2EblmEEvNS_4cuda6detail10TensorInfoIT3_T5_EES6_S6_S6_NS4_IT4_S6_EES6_b.num_agpr, 0
	.set _ZN2at6native18radixSortKVInPlaceILin1ELin1ELi16ELi2EblmEEvNS_4cuda6detail10TensorInfoIT3_T5_EES6_S6_S6_NS4_IT4_S6_EES6_b.numbered_sgpr, 34
	.set _ZN2at6native18radixSortKVInPlaceILin1ELin1ELi16ELi2EblmEEvNS_4cuda6detail10TensorInfoIT3_T5_EES6_S6_S6_NS4_IT4_S6_EES6_b.num_named_barrier, 0
	.set _ZN2at6native18radixSortKVInPlaceILin1ELin1ELi16ELi2EblmEEvNS_4cuda6detail10TensorInfoIT3_T5_EES6_S6_S6_NS4_IT4_S6_EES6_b.private_seg_size, 0
	.set _ZN2at6native18radixSortKVInPlaceILin1ELin1ELi16ELi2EblmEEvNS_4cuda6detail10TensorInfoIT3_T5_EES6_S6_S6_NS4_IT4_S6_EES6_b.uses_vcc, 1
	.set _ZN2at6native18radixSortKVInPlaceILin1ELin1ELi16ELi2EblmEEvNS_4cuda6detail10TensorInfoIT3_T5_EES6_S6_S6_NS4_IT4_S6_EES6_b.uses_flat_scratch, 0
	.set _ZN2at6native18radixSortKVInPlaceILin1ELin1ELi16ELi2EblmEEvNS_4cuda6detail10TensorInfoIT3_T5_EES6_S6_S6_NS4_IT4_S6_EES6_b.has_dyn_sized_stack, 0
	.set _ZN2at6native18radixSortKVInPlaceILin1ELin1ELi16ELi2EblmEEvNS_4cuda6detail10TensorInfoIT3_T5_EES6_S6_S6_NS4_IT4_S6_EES6_b.has_recursion, 0
	.set _ZN2at6native18radixSortKVInPlaceILin1ELin1ELi16ELi2EblmEEvNS_4cuda6detail10TensorInfoIT3_T5_EES6_S6_S6_NS4_IT4_S6_EES6_b.has_indirect_call, 0
	.section	.AMDGPU.csdata,"",@progbits
; Kernel info:
; codeLenInByte = 6504
; TotalNumSgprs: 36
; NumVgprs: 33
; ScratchSize: 0
; MemoryBound: 0
; FloatMode: 240
; IeeeMode: 1
; LDSByteSize: 528 bytes/workgroup (compile time only)
; SGPRBlocks: 0
; VGPRBlocks: 4
; NumSGPRsForWavesPerEU: 36
; NumVGPRsForWavesPerEU: 33
; Occupancy: 16
; WaveLimiterHint : 1
; COMPUTE_PGM_RSRC2:SCRATCH_EN: 0
; COMPUTE_PGM_RSRC2:USER_SGPR: 2
; COMPUTE_PGM_RSRC2:TRAP_HANDLER: 0
; COMPUTE_PGM_RSRC2:TGID_X_EN: 1
; COMPUTE_PGM_RSRC2:TGID_Y_EN: 1
; COMPUTE_PGM_RSRC2:TGID_Z_EN: 1
; COMPUTE_PGM_RSRC2:TIDIG_COMP_CNT: 0
	.section	.AMDGPU.gpr_maximums,"",@progbits
	.set amdgpu.max_num_vgpr, 0
	.set amdgpu.max_num_agpr, 0
	.set amdgpu.max_num_sgpr, 0
	.section	.AMDGPU.csdata,"",@progbits
	.protected	_ZN7rocprim17ROCPRIM_400000_NS16block_radix_sortIhLj512ELj8ElLj1ELj1ELj0ELNS0_26block_radix_rank_algorithmE1ELNS0_18block_padding_hintE2ELNS0_4arch9wavefront6targetE0EE19radix_bits_per_passE ; @_ZN7rocprim17ROCPRIM_400000_NS16block_radix_sortIhLj512ELj8ElLj1ELj1ELj0ELNS0_26block_radix_rank_algorithmE1ELNS0_18block_padding_hintE2ELNS0_4arch9wavefront6targetE0EE19radix_bits_per_passE
	.type	_ZN7rocprim17ROCPRIM_400000_NS16block_radix_sortIhLj512ELj8ElLj1ELj1ELj0ELNS0_26block_radix_rank_algorithmE1ELNS0_18block_padding_hintE2ELNS0_4arch9wavefront6targetE0EE19radix_bits_per_passE,@object
	.section	.rodata._ZN7rocprim17ROCPRIM_400000_NS16block_radix_sortIhLj512ELj8ElLj1ELj1ELj0ELNS0_26block_radix_rank_algorithmE1ELNS0_18block_padding_hintE2ELNS0_4arch9wavefront6targetE0EE19radix_bits_per_passE,"aG",@progbits,_ZN7rocprim17ROCPRIM_400000_NS16block_radix_sortIhLj512ELj8ElLj1ELj1ELj0ELNS0_26block_radix_rank_algorithmE1ELNS0_18block_padding_hintE2ELNS0_4arch9wavefront6targetE0EE19radix_bits_per_passE,comdat
	.weak	_ZN7rocprim17ROCPRIM_400000_NS16block_radix_sortIhLj512ELj8ElLj1ELj1ELj0ELNS0_26block_radix_rank_algorithmE1ELNS0_18block_padding_hintE2ELNS0_4arch9wavefront6targetE0EE19radix_bits_per_passE
	.p2align	2, 0x0
_ZN7rocprim17ROCPRIM_400000_NS16block_radix_sortIhLj512ELj8ElLj1ELj1ELj0ELNS0_26block_radix_rank_algorithmE1ELNS0_18block_padding_hintE2ELNS0_4arch9wavefront6targetE0EE19radix_bits_per_passE:
	.long	8                               ; 0x8
	.size	_ZN7rocprim17ROCPRIM_400000_NS16block_radix_sortIhLj512ELj8ElLj1ELj1ELj0ELNS0_26block_radix_rank_algorithmE1ELNS0_18block_padding_hintE2ELNS0_4arch9wavefront6targetE0EE19radix_bits_per_passE, 4

	.protected	_ZN7rocprim17ROCPRIM_400000_NS16block_radix_sortIhLj256ELj8ElLj1ELj1ELj0ELNS0_26block_radix_rank_algorithmE1ELNS0_18block_padding_hintE2ELNS0_4arch9wavefront6targetE0EE19radix_bits_per_passE ; @_ZN7rocprim17ROCPRIM_400000_NS16block_radix_sortIhLj256ELj8ElLj1ELj1ELj0ELNS0_26block_radix_rank_algorithmE1ELNS0_18block_padding_hintE2ELNS0_4arch9wavefront6targetE0EE19radix_bits_per_passE
	.type	_ZN7rocprim17ROCPRIM_400000_NS16block_radix_sortIhLj256ELj8ElLj1ELj1ELj0ELNS0_26block_radix_rank_algorithmE1ELNS0_18block_padding_hintE2ELNS0_4arch9wavefront6targetE0EE19radix_bits_per_passE,@object
	.section	.rodata._ZN7rocprim17ROCPRIM_400000_NS16block_radix_sortIhLj256ELj8ElLj1ELj1ELj0ELNS0_26block_radix_rank_algorithmE1ELNS0_18block_padding_hintE2ELNS0_4arch9wavefront6targetE0EE19radix_bits_per_passE,"aG",@progbits,_ZN7rocprim17ROCPRIM_400000_NS16block_radix_sortIhLj256ELj8ElLj1ELj1ELj0ELNS0_26block_radix_rank_algorithmE1ELNS0_18block_padding_hintE2ELNS0_4arch9wavefront6targetE0EE19radix_bits_per_passE,comdat
	.weak	_ZN7rocprim17ROCPRIM_400000_NS16block_radix_sortIhLj256ELj8ElLj1ELj1ELj0ELNS0_26block_radix_rank_algorithmE1ELNS0_18block_padding_hintE2ELNS0_4arch9wavefront6targetE0EE19radix_bits_per_passE
	.p2align	2, 0x0
_ZN7rocprim17ROCPRIM_400000_NS16block_radix_sortIhLj256ELj8ElLj1ELj1ELj0ELNS0_26block_radix_rank_algorithmE1ELNS0_18block_padding_hintE2ELNS0_4arch9wavefront6targetE0EE19radix_bits_per_passE:
	.long	8                               ; 0x8
	.size	_ZN7rocprim17ROCPRIM_400000_NS16block_radix_sortIhLj256ELj8ElLj1ELj1ELj0ELNS0_26block_radix_rank_algorithmE1ELNS0_18block_padding_hintE2ELNS0_4arch9wavefront6targetE0EE19radix_bits_per_passE, 4

	.protected	_ZN7rocprim17ROCPRIM_400000_NS16block_radix_sortIhLj128ELj8ElLj1ELj1ELj0ELNS0_26block_radix_rank_algorithmE1ELNS0_18block_padding_hintE2ELNS0_4arch9wavefront6targetE0EE19radix_bits_per_passE ; @_ZN7rocprim17ROCPRIM_400000_NS16block_radix_sortIhLj128ELj8ElLj1ELj1ELj0ELNS0_26block_radix_rank_algorithmE1ELNS0_18block_padding_hintE2ELNS0_4arch9wavefront6targetE0EE19radix_bits_per_passE
	.type	_ZN7rocprim17ROCPRIM_400000_NS16block_radix_sortIhLj128ELj8ElLj1ELj1ELj0ELNS0_26block_radix_rank_algorithmE1ELNS0_18block_padding_hintE2ELNS0_4arch9wavefront6targetE0EE19radix_bits_per_passE,@object
	.section	.rodata._ZN7rocprim17ROCPRIM_400000_NS16block_radix_sortIhLj128ELj8ElLj1ELj1ELj0ELNS0_26block_radix_rank_algorithmE1ELNS0_18block_padding_hintE2ELNS0_4arch9wavefront6targetE0EE19radix_bits_per_passE,"aG",@progbits,_ZN7rocprim17ROCPRIM_400000_NS16block_radix_sortIhLj128ELj8ElLj1ELj1ELj0ELNS0_26block_radix_rank_algorithmE1ELNS0_18block_padding_hintE2ELNS0_4arch9wavefront6targetE0EE19radix_bits_per_passE,comdat
	.weak	_ZN7rocprim17ROCPRIM_400000_NS16block_radix_sortIhLj128ELj8ElLj1ELj1ELj0ELNS0_26block_radix_rank_algorithmE1ELNS0_18block_padding_hintE2ELNS0_4arch9wavefront6targetE0EE19radix_bits_per_passE
	.p2align	2, 0x0
_ZN7rocprim17ROCPRIM_400000_NS16block_radix_sortIhLj128ELj8ElLj1ELj1ELj0ELNS0_26block_radix_rank_algorithmE1ELNS0_18block_padding_hintE2ELNS0_4arch9wavefront6targetE0EE19radix_bits_per_passE:
	.long	8                               ; 0x8
	.size	_ZN7rocprim17ROCPRIM_400000_NS16block_radix_sortIhLj128ELj8ElLj1ELj1ELj0ELNS0_26block_radix_rank_algorithmE1ELNS0_18block_padding_hintE2ELNS0_4arch9wavefront6targetE0EE19radix_bits_per_passE, 4

	.protected	_ZN7rocprim17ROCPRIM_400000_NS16block_radix_sortIhLj32ELj4ElLj1ELj1ELj0ELNS0_26block_radix_rank_algorithmE1ELNS0_18block_padding_hintE2ELNS0_4arch9wavefront6targetE0EE19radix_bits_per_passE ; @_ZN7rocprim17ROCPRIM_400000_NS16block_radix_sortIhLj32ELj4ElLj1ELj1ELj0ELNS0_26block_radix_rank_algorithmE1ELNS0_18block_padding_hintE2ELNS0_4arch9wavefront6targetE0EE19radix_bits_per_passE
	.type	_ZN7rocprim17ROCPRIM_400000_NS16block_radix_sortIhLj32ELj4ElLj1ELj1ELj0ELNS0_26block_radix_rank_algorithmE1ELNS0_18block_padding_hintE2ELNS0_4arch9wavefront6targetE0EE19radix_bits_per_passE,@object
	.section	.rodata._ZN7rocprim17ROCPRIM_400000_NS16block_radix_sortIhLj32ELj4ElLj1ELj1ELj0ELNS0_26block_radix_rank_algorithmE1ELNS0_18block_padding_hintE2ELNS0_4arch9wavefront6targetE0EE19radix_bits_per_passE,"aG",@progbits,_ZN7rocprim17ROCPRIM_400000_NS16block_radix_sortIhLj32ELj4ElLj1ELj1ELj0ELNS0_26block_radix_rank_algorithmE1ELNS0_18block_padding_hintE2ELNS0_4arch9wavefront6targetE0EE19radix_bits_per_passE,comdat
	.weak	_ZN7rocprim17ROCPRIM_400000_NS16block_radix_sortIhLj32ELj4ElLj1ELj1ELj0ELNS0_26block_radix_rank_algorithmE1ELNS0_18block_padding_hintE2ELNS0_4arch9wavefront6targetE0EE19radix_bits_per_passE
	.p2align	2, 0x0
_ZN7rocprim17ROCPRIM_400000_NS16block_radix_sortIhLj32ELj4ElLj1ELj1ELj0ELNS0_26block_radix_rank_algorithmE1ELNS0_18block_padding_hintE2ELNS0_4arch9wavefront6targetE0EE19radix_bits_per_passE:
	.long	8                               ; 0x8
	.size	_ZN7rocprim17ROCPRIM_400000_NS16block_radix_sortIhLj32ELj4ElLj1ELj1ELj0ELNS0_26block_radix_rank_algorithmE1ELNS0_18block_padding_hintE2ELNS0_4arch9wavefront6targetE0EE19radix_bits_per_passE, 4

	.protected	_ZN7rocprim17ROCPRIM_400000_NS16block_radix_sortIhLj16ELj2ElLj1ELj1ELj0ELNS0_26block_radix_rank_algorithmE1ELNS0_18block_padding_hintE2ELNS0_4arch9wavefront6targetE0EE19radix_bits_per_passE ; @_ZN7rocprim17ROCPRIM_400000_NS16block_radix_sortIhLj16ELj2ElLj1ELj1ELj0ELNS0_26block_radix_rank_algorithmE1ELNS0_18block_padding_hintE2ELNS0_4arch9wavefront6targetE0EE19radix_bits_per_passE
	.type	_ZN7rocprim17ROCPRIM_400000_NS16block_radix_sortIhLj16ELj2ElLj1ELj1ELj0ELNS0_26block_radix_rank_algorithmE1ELNS0_18block_padding_hintE2ELNS0_4arch9wavefront6targetE0EE19radix_bits_per_passE,@object
	.section	.rodata._ZN7rocprim17ROCPRIM_400000_NS16block_radix_sortIhLj16ELj2ElLj1ELj1ELj0ELNS0_26block_radix_rank_algorithmE1ELNS0_18block_padding_hintE2ELNS0_4arch9wavefront6targetE0EE19radix_bits_per_passE,"aG",@progbits,_ZN7rocprim17ROCPRIM_400000_NS16block_radix_sortIhLj16ELj2ElLj1ELj1ELj0ELNS0_26block_radix_rank_algorithmE1ELNS0_18block_padding_hintE2ELNS0_4arch9wavefront6targetE0EE19radix_bits_per_passE,comdat
	.weak	_ZN7rocprim17ROCPRIM_400000_NS16block_radix_sortIhLj16ELj2ElLj1ELj1ELj0ELNS0_26block_radix_rank_algorithmE1ELNS0_18block_padding_hintE2ELNS0_4arch9wavefront6targetE0EE19radix_bits_per_passE
	.p2align	2, 0x0
_ZN7rocprim17ROCPRIM_400000_NS16block_radix_sortIhLj16ELj2ElLj1ELj1ELj0ELNS0_26block_radix_rank_algorithmE1ELNS0_18block_padding_hintE2ELNS0_4arch9wavefront6targetE0EE19radix_bits_per_passE:
	.long	4                               ; 0x4
	.size	_ZN7rocprim17ROCPRIM_400000_NS16block_radix_sortIhLj16ELj2ElLj1ELj1ELj0ELNS0_26block_radix_rank_algorithmE1ELNS0_18block_padding_hintE2ELNS0_4arch9wavefront6targetE0EE19radix_bits_per_passE, 4

	.protected	_ZN7rocprim17ROCPRIM_400000_NS16block_radix_sortIaLj512ELj8ElLj1ELj1ELj0ELNS0_26block_radix_rank_algorithmE1ELNS0_18block_padding_hintE2ELNS0_4arch9wavefront6targetE0EE19radix_bits_per_passE ; @_ZN7rocprim17ROCPRIM_400000_NS16block_radix_sortIaLj512ELj8ElLj1ELj1ELj0ELNS0_26block_radix_rank_algorithmE1ELNS0_18block_padding_hintE2ELNS0_4arch9wavefront6targetE0EE19radix_bits_per_passE
	.type	_ZN7rocprim17ROCPRIM_400000_NS16block_radix_sortIaLj512ELj8ElLj1ELj1ELj0ELNS0_26block_radix_rank_algorithmE1ELNS0_18block_padding_hintE2ELNS0_4arch9wavefront6targetE0EE19radix_bits_per_passE,@object
	.section	.rodata._ZN7rocprim17ROCPRIM_400000_NS16block_radix_sortIaLj512ELj8ElLj1ELj1ELj0ELNS0_26block_radix_rank_algorithmE1ELNS0_18block_padding_hintE2ELNS0_4arch9wavefront6targetE0EE19radix_bits_per_passE,"aG",@progbits,_ZN7rocprim17ROCPRIM_400000_NS16block_radix_sortIaLj512ELj8ElLj1ELj1ELj0ELNS0_26block_radix_rank_algorithmE1ELNS0_18block_padding_hintE2ELNS0_4arch9wavefront6targetE0EE19radix_bits_per_passE,comdat
	.weak	_ZN7rocprim17ROCPRIM_400000_NS16block_radix_sortIaLj512ELj8ElLj1ELj1ELj0ELNS0_26block_radix_rank_algorithmE1ELNS0_18block_padding_hintE2ELNS0_4arch9wavefront6targetE0EE19radix_bits_per_passE
	.p2align	2, 0x0
_ZN7rocprim17ROCPRIM_400000_NS16block_radix_sortIaLj512ELj8ElLj1ELj1ELj0ELNS0_26block_radix_rank_algorithmE1ELNS0_18block_padding_hintE2ELNS0_4arch9wavefront6targetE0EE19radix_bits_per_passE:
	.long	8                               ; 0x8
	.size	_ZN7rocprim17ROCPRIM_400000_NS16block_radix_sortIaLj512ELj8ElLj1ELj1ELj0ELNS0_26block_radix_rank_algorithmE1ELNS0_18block_padding_hintE2ELNS0_4arch9wavefront6targetE0EE19radix_bits_per_passE, 4

	.protected	_ZN7rocprim17ROCPRIM_400000_NS16block_radix_sortIaLj256ELj8ElLj1ELj1ELj0ELNS0_26block_radix_rank_algorithmE1ELNS0_18block_padding_hintE2ELNS0_4arch9wavefront6targetE0EE19radix_bits_per_passE ; @_ZN7rocprim17ROCPRIM_400000_NS16block_radix_sortIaLj256ELj8ElLj1ELj1ELj0ELNS0_26block_radix_rank_algorithmE1ELNS0_18block_padding_hintE2ELNS0_4arch9wavefront6targetE0EE19radix_bits_per_passE
	.type	_ZN7rocprim17ROCPRIM_400000_NS16block_radix_sortIaLj256ELj8ElLj1ELj1ELj0ELNS0_26block_radix_rank_algorithmE1ELNS0_18block_padding_hintE2ELNS0_4arch9wavefront6targetE0EE19radix_bits_per_passE,@object
	.section	.rodata._ZN7rocprim17ROCPRIM_400000_NS16block_radix_sortIaLj256ELj8ElLj1ELj1ELj0ELNS0_26block_radix_rank_algorithmE1ELNS0_18block_padding_hintE2ELNS0_4arch9wavefront6targetE0EE19radix_bits_per_passE,"aG",@progbits,_ZN7rocprim17ROCPRIM_400000_NS16block_radix_sortIaLj256ELj8ElLj1ELj1ELj0ELNS0_26block_radix_rank_algorithmE1ELNS0_18block_padding_hintE2ELNS0_4arch9wavefront6targetE0EE19radix_bits_per_passE,comdat
	.weak	_ZN7rocprim17ROCPRIM_400000_NS16block_radix_sortIaLj256ELj8ElLj1ELj1ELj0ELNS0_26block_radix_rank_algorithmE1ELNS0_18block_padding_hintE2ELNS0_4arch9wavefront6targetE0EE19radix_bits_per_passE
	.p2align	2, 0x0
_ZN7rocprim17ROCPRIM_400000_NS16block_radix_sortIaLj256ELj8ElLj1ELj1ELj0ELNS0_26block_radix_rank_algorithmE1ELNS0_18block_padding_hintE2ELNS0_4arch9wavefront6targetE0EE19radix_bits_per_passE:
	.long	8                               ; 0x8
	.size	_ZN7rocprim17ROCPRIM_400000_NS16block_radix_sortIaLj256ELj8ElLj1ELj1ELj0ELNS0_26block_radix_rank_algorithmE1ELNS0_18block_padding_hintE2ELNS0_4arch9wavefront6targetE0EE19radix_bits_per_passE, 4

	.protected	_ZN7rocprim17ROCPRIM_400000_NS16block_radix_sortIaLj128ELj8ElLj1ELj1ELj0ELNS0_26block_radix_rank_algorithmE1ELNS0_18block_padding_hintE2ELNS0_4arch9wavefront6targetE0EE19radix_bits_per_passE ; @_ZN7rocprim17ROCPRIM_400000_NS16block_radix_sortIaLj128ELj8ElLj1ELj1ELj0ELNS0_26block_radix_rank_algorithmE1ELNS0_18block_padding_hintE2ELNS0_4arch9wavefront6targetE0EE19radix_bits_per_passE
	.type	_ZN7rocprim17ROCPRIM_400000_NS16block_radix_sortIaLj128ELj8ElLj1ELj1ELj0ELNS0_26block_radix_rank_algorithmE1ELNS0_18block_padding_hintE2ELNS0_4arch9wavefront6targetE0EE19radix_bits_per_passE,@object
	.section	.rodata._ZN7rocprim17ROCPRIM_400000_NS16block_radix_sortIaLj128ELj8ElLj1ELj1ELj0ELNS0_26block_radix_rank_algorithmE1ELNS0_18block_padding_hintE2ELNS0_4arch9wavefront6targetE0EE19radix_bits_per_passE,"aG",@progbits,_ZN7rocprim17ROCPRIM_400000_NS16block_radix_sortIaLj128ELj8ElLj1ELj1ELj0ELNS0_26block_radix_rank_algorithmE1ELNS0_18block_padding_hintE2ELNS0_4arch9wavefront6targetE0EE19radix_bits_per_passE,comdat
	.weak	_ZN7rocprim17ROCPRIM_400000_NS16block_radix_sortIaLj128ELj8ElLj1ELj1ELj0ELNS0_26block_radix_rank_algorithmE1ELNS0_18block_padding_hintE2ELNS0_4arch9wavefront6targetE0EE19radix_bits_per_passE
	.p2align	2, 0x0
_ZN7rocprim17ROCPRIM_400000_NS16block_radix_sortIaLj128ELj8ElLj1ELj1ELj0ELNS0_26block_radix_rank_algorithmE1ELNS0_18block_padding_hintE2ELNS0_4arch9wavefront6targetE0EE19radix_bits_per_passE:
	.long	8                               ; 0x8
	.size	_ZN7rocprim17ROCPRIM_400000_NS16block_radix_sortIaLj128ELj8ElLj1ELj1ELj0ELNS0_26block_radix_rank_algorithmE1ELNS0_18block_padding_hintE2ELNS0_4arch9wavefront6targetE0EE19radix_bits_per_passE, 4

	.protected	_ZN7rocprim17ROCPRIM_400000_NS16block_radix_sortIaLj32ELj4ElLj1ELj1ELj0ELNS0_26block_radix_rank_algorithmE1ELNS0_18block_padding_hintE2ELNS0_4arch9wavefront6targetE0EE19radix_bits_per_passE ; @_ZN7rocprim17ROCPRIM_400000_NS16block_radix_sortIaLj32ELj4ElLj1ELj1ELj0ELNS0_26block_radix_rank_algorithmE1ELNS0_18block_padding_hintE2ELNS0_4arch9wavefront6targetE0EE19radix_bits_per_passE
	.type	_ZN7rocprim17ROCPRIM_400000_NS16block_radix_sortIaLj32ELj4ElLj1ELj1ELj0ELNS0_26block_radix_rank_algorithmE1ELNS0_18block_padding_hintE2ELNS0_4arch9wavefront6targetE0EE19radix_bits_per_passE,@object
	.section	.rodata._ZN7rocprim17ROCPRIM_400000_NS16block_radix_sortIaLj32ELj4ElLj1ELj1ELj0ELNS0_26block_radix_rank_algorithmE1ELNS0_18block_padding_hintE2ELNS0_4arch9wavefront6targetE0EE19radix_bits_per_passE,"aG",@progbits,_ZN7rocprim17ROCPRIM_400000_NS16block_radix_sortIaLj32ELj4ElLj1ELj1ELj0ELNS0_26block_radix_rank_algorithmE1ELNS0_18block_padding_hintE2ELNS0_4arch9wavefront6targetE0EE19radix_bits_per_passE,comdat
	.weak	_ZN7rocprim17ROCPRIM_400000_NS16block_radix_sortIaLj32ELj4ElLj1ELj1ELj0ELNS0_26block_radix_rank_algorithmE1ELNS0_18block_padding_hintE2ELNS0_4arch9wavefront6targetE0EE19radix_bits_per_passE
	.p2align	2, 0x0
_ZN7rocprim17ROCPRIM_400000_NS16block_radix_sortIaLj32ELj4ElLj1ELj1ELj0ELNS0_26block_radix_rank_algorithmE1ELNS0_18block_padding_hintE2ELNS0_4arch9wavefront6targetE0EE19radix_bits_per_passE:
	.long	8                               ; 0x8
	.size	_ZN7rocprim17ROCPRIM_400000_NS16block_radix_sortIaLj32ELj4ElLj1ELj1ELj0ELNS0_26block_radix_rank_algorithmE1ELNS0_18block_padding_hintE2ELNS0_4arch9wavefront6targetE0EE19radix_bits_per_passE, 4

	.protected	_ZN7rocprim17ROCPRIM_400000_NS16block_radix_sortIaLj16ELj2ElLj1ELj1ELj0ELNS0_26block_radix_rank_algorithmE1ELNS0_18block_padding_hintE2ELNS0_4arch9wavefront6targetE0EE19radix_bits_per_passE ; @_ZN7rocprim17ROCPRIM_400000_NS16block_radix_sortIaLj16ELj2ElLj1ELj1ELj0ELNS0_26block_radix_rank_algorithmE1ELNS0_18block_padding_hintE2ELNS0_4arch9wavefront6targetE0EE19radix_bits_per_passE
	.type	_ZN7rocprim17ROCPRIM_400000_NS16block_radix_sortIaLj16ELj2ElLj1ELj1ELj0ELNS0_26block_radix_rank_algorithmE1ELNS0_18block_padding_hintE2ELNS0_4arch9wavefront6targetE0EE19radix_bits_per_passE,@object
	.section	.rodata._ZN7rocprim17ROCPRIM_400000_NS16block_radix_sortIaLj16ELj2ElLj1ELj1ELj0ELNS0_26block_radix_rank_algorithmE1ELNS0_18block_padding_hintE2ELNS0_4arch9wavefront6targetE0EE19radix_bits_per_passE,"aG",@progbits,_ZN7rocprim17ROCPRIM_400000_NS16block_radix_sortIaLj16ELj2ElLj1ELj1ELj0ELNS0_26block_radix_rank_algorithmE1ELNS0_18block_padding_hintE2ELNS0_4arch9wavefront6targetE0EE19radix_bits_per_passE,comdat
	.weak	_ZN7rocprim17ROCPRIM_400000_NS16block_radix_sortIaLj16ELj2ElLj1ELj1ELj0ELNS0_26block_radix_rank_algorithmE1ELNS0_18block_padding_hintE2ELNS0_4arch9wavefront6targetE0EE19radix_bits_per_passE
	.p2align	2, 0x0
_ZN7rocprim17ROCPRIM_400000_NS16block_radix_sortIaLj16ELj2ElLj1ELj1ELj0ELNS0_26block_radix_rank_algorithmE1ELNS0_18block_padding_hintE2ELNS0_4arch9wavefront6targetE0EE19radix_bits_per_passE:
	.long	4                               ; 0x4
	.size	_ZN7rocprim17ROCPRIM_400000_NS16block_radix_sortIaLj16ELj2ElLj1ELj1ELj0ELNS0_26block_radix_rank_algorithmE1ELNS0_18block_padding_hintE2ELNS0_4arch9wavefront6targetE0EE19radix_bits_per_passE, 4

	.protected	_ZN7rocprim17ROCPRIM_400000_NS16block_radix_sortIiLj512ELj8ElLj1ELj1ELj0ELNS0_26block_radix_rank_algorithmE1ELNS0_18block_padding_hintE2ELNS0_4arch9wavefront6targetE0EE19radix_bits_per_passE ; @_ZN7rocprim17ROCPRIM_400000_NS16block_radix_sortIiLj512ELj8ElLj1ELj1ELj0ELNS0_26block_radix_rank_algorithmE1ELNS0_18block_padding_hintE2ELNS0_4arch9wavefront6targetE0EE19radix_bits_per_passE
	.type	_ZN7rocprim17ROCPRIM_400000_NS16block_radix_sortIiLj512ELj8ElLj1ELj1ELj0ELNS0_26block_radix_rank_algorithmE1ELNS0_18block_padding_hintE2ELNS0_4arch9wavefront6targetE0EE19radix_bits_per_passE,@object
	.section	.rodata._ZN7rocprim17ROCPRIM_400000_NS16block_radix_sortIiLj512ELj8ElLj1ELj1ELj0ELNS0_26block_radix_rank_algorithmE1ELNS0_18block_padding_hintE2ELNS0_4arch9wavefront6targetE0EE19radix_bits_per_passE,"aG",@progbits,_ZN7rocprim17ROCPRIM_400000_NS16block_radix_sortIiLj512ELj8ElLj1ELj1ELj0ELNS0_26block_radix_rank_algorithmE1ELNS0_18block_padding_hintE2ELNS0_4arch9wavefront6targetE0EE19radix_bits_per_passE,comdat
	.weak	_ZN7rocprim17ROCPRIM_400000_NS16block_radix_sortIiLj512ELj8ElLj1ELj1ELj0ELNS0_26block_radix_rank_algorithmE1ELNS0_18block_padding_hintE2ELNS0_4arch9wavefront6targetE0EE19radix_bits_per_passE
	.p2align	2, 0x0
_ZN7rocprim17ROCPRIM_400000_NS16block_radix_sortIiLj512ELj8ElLj1ELj1ELj0ELNS0_26block_radix_rank_algorithmE1ELNS0_18block_padding_hintE2ELNS0_4arch9wavefront6targetE0EE19radix_bits_per_passE:
	.long	8                               ; 0x8
	.size	_ZN7rocprim17ROCPRIM_400000_NS16block_radix_sortIiLj512ELj8ElLj1ELj1ELj0ELNS0_26block_radix_rank_algorithmE1ELNS0_18block_padding_hintE2ELNS0_4arch9wavefront6targetE0EE19radix_bits_per_passE, 4

	.protected	_ZN7rocprim17ROCPRIM_400000_NS16block_radix_sortIiLj256ELj8ElLj1ELj1ELj0ELNS0_26block_radix_rank_algorithmE1ELNS0_18block_padding_hintE2ELNS0_4arch9wavefront6targetE0EE19radix_bits_per_passE ; @_ZN7rocprim17ROCPRIM_400000_NS16block_radix_sortIiLj256ELj8ElLj1ELj1ELj0ELNS0_26block_radix_rank_algorithmE1ELNS0_18block_padding_hintE2ELNS0_4arch9wavefront6targetE0EE19radix_bits_per_passE
	.type	_ZN7rocprim17ROCPRIM_400000_NS16block_radix_sortIiLj256ELj8ElLj1ELj1ELj0ELNS0_26block_radix_rank_algorithmE1ELNS0_18block_padding_hintE2ELNS0_4arch9wavefront6targetE0EE19radix_bits_per_passE,@object
	.section	.rodata._ZN7rocprim17ROCPRIM_400000_NS16block_radix_sortIiLj256ELj8ElLj1ELj1ELj0ELNS0_26block_radix_rank_algorithmE1ELNS0_18block_padding_hintE2ELNS0_4arch9wavefront6targetE0EE19radix_bits_per_passE,"aG",@progbits,_ZN7rocprim17ROCPRIM_400000_NS16block_radix_sortIiLj256ELj8ElLj1ELj1ELj0ELNS0_26block_radix_rank_algorithmE1ELNS0_18block_padding_hintE2ELNS0_4arch9wavefront6targetE0EE19radix_bits_per_passE,comdat
	.weak	_ZN7rocprim17ROCPRIM_400000_NS16block_radix_sortIiLj256ELj8ElLj1ELj1ELj0ELNS0_26block_radix_rank_algorithmE1ELNS0_18block_padding_hintE2ELNS0_4arch9wavefront6targetE0EE19radix_bits_per_passE
	.p2align	2, 0x0
_ZN7rocprim17ROCPRIM_400000_NS16block_radix_sortIiLj256ELj8ElLj1ELj1ELj0ELNS0_26block_radix_rank_algorithmE1ELNS0_18block_padding_hintE2ELNS0_4arch9wavefront6targetE0EE19radix_bits_per_passE:
	.long	8                               ; 0x8
	.size	_ZN7rocprim17ROCPRIM_400000_NS16block_radix_sortIiLj256ELj8ElLj1ELj1ELj0ELNS0_26block_radix_rank_algorithmE1ELNS0_18block_padding_hintE2ELNS0_4arch9wavefront6targetE0EE19radix_bits_per_passE, 4

	.protected	_ZN7rocprim17ROCPRIM_400000_NS16block_radix_sortIiLj128ELj8ElLj1ELj1ELj0ELNS0_26block_radix_rank_algorithmE1ELNS0_18block_padding_hintE2ELNS0_4arch9wavefront6targetE0EE19radix_bits_per_passE ; @_ZN7rocprim17ROCPRIM_400000_NS16block_radix_sortIiLj128ELj8ElLj1ELj1ELj0ELNS0_26block_radix_rank_algorithmE1ELNS0_18block_padding_hintE2ELNS0_4arch9wavefront6targetE0EE19radix_bits_per_passE
	.type	_ZN7rocprim17ROCPRIM_400000_NS16block_radix_sortIiLj128ELj8ElLj1ELj1ELj0ELNS0_26block_radix_rank_algorithmE1ELNS0_18block_padding_hintE2ELNS0_4arch9wavefront6targetE0EE19radix_bits_per_passE,@object
	.section	.rodata._ZN7rocprim17ROCPRIM_400000_NS16block_radix_sortIiLj128ELj8ElLj1ELj1ELj0ELNS0_26block_radix_rank_algorithmE1ELNS0_18block_padding_hintE2ELNS0_4arch9wavefront6targetE0EE19radix_bits_per_passE,"aG",@progbits,_ZN7rocprim17ROCPRIM_400000_NS16block_radix_sortIiLj128ELj8ElLj1ELj1ELj0ELNS0_26block_radix_rank_algorithmE1ELNS0_18block_padding_hintE2ELNS0_4arch9wavefront6targetE0EE19radix_bits_per_passE,comdat
	.weak	_ZN7rocprim17ROCPRIM_400000_NS16block_radix_sortIiLj128ELj8ElLj1ELj1ELj0ELNS0_26block_radix_rank_algorithmE1ELNS0_18block_padding_hintE2ELNS0_4arch9wavefront6targetE0EE19radix_bits_per_passE
	.p2align	2, 0x0
_ZN7rocprim17ROCPRIM_400000_NS16block_radix_sortIiLj128ELj8ElLj1ELj1ELj0ELNS0_26block_radix_rank_algorithmE1ELNS0_18block_padding_hintE2ELNS0_4arch9wavefront6targetE0EE19radix_bits_per_passE:
	.long	8                               ; 0x8
	.size	_ZN7rocprim17ROCPRIM_400000_NS16block_radix_sortIiLj128ELj8ElLj1ELj1ELj0ELNS0_26block_radix_rank_algorithmE1ELNS0_18block_padding_hintE2ELNS0_4arch9wavefront6targetE0EE19radix_bits_per_passE, 4

	.protected	_ZN7rocprim17ROCPRIM_400000_NS16block_radix_sortIiLj32ELj4ElLj1ELj1ELj0ELNS0_26block_radix_rank_algorithmE1ELNS0_18block_padding_hintE2ELNS0_4arch9wavefront6targetE0EE19radix_bits_per_passE ; @_ZN7rocprim17ROCPRIM_400000_NS16block_radix_sortIiLj32ELj4ElLj1ELj1ELj0ELNS0_26block_radix_rank_algorithmE1ELNS0_18block_padding_hintE2ELNS0_4arch9wavefront6targetE0EE19radix_bits_per_passE
	.type	_ZN7rocprim17ROCPRIM_400000_NS16block_radix_sortIiLj32ELj4ElLj1ELj1ELj0ELNS0_26block_radix_rank_algorithmE1ELNS0_18block_padding_hintE2ELNS0_4arch9wavefront6targetE0EE19radix_bits_per_passE,@object
	.section	.rodata._ZN7rocprim17ROCPRIM_400000_NS16block_radix_sortIiLj32ELj4ElLj1ELj1ELj0ELNS0_26block_radix_rank_algorithmE1ELNS0_18block_padding_hintE2ELNS0_4arch9wavefront6targetE0EE19radix_bits_per_passE,"aG",@progbits,_ZN7rocprim17ROCPRIM_400000_NS16block_radix_sortIiLj32ELj4ElLj1ELj1ELj0ELNS0_26block_radix_rank_algorithmE1ELNS0_18block_padding_hintE2ELNS0_4arch9wavefront6targetE0EE19radix_bits_per_passE,comdat
	.weak	_ZN7rocprim17ROCPRIM_400000_NS16block_radix_sortIiLj32ELj4ElLj1ELj1ELj0ELNS0_26block_radix_rank_algorithmE1ELNS0_18block_padding_hintE2ELNS0_4arch9wavefront6targetE0EE19radix_bits_per_passE
	.p2align	2, 0x0
_ZN7rocprim17ROCPRIM_400000_NS16block_radix_sortIiLj32ELj4ElLj1ELj1ELj0ELNS0_26block_radix_rank_algorithmE1ELNS0_18block_padding_hintE2ELNS0_4arch9wavefront6targetE0EE19radix_bits_per_passE:
	.long	8                               ; 0x8
	.size	_ZN7rocprim17ROCPRIM_400000_NS16block_radix_sortIiLj32ELj4ElLj1ELj1ELj0ELNS0_26block_radix_rank_algorithmE1ELNS0_18block_padding_hintE2ELNS0_4arch9wavefront6targetE0EE19radix_bits_per_passE, 4

	.protected	_ZN7rocprim17ROCPRIM_400000_NS16block_radix_sortIiLj16ELj2ElLj1ELj1ELj0ELNS0_26block_radix_rank_algorithmE1ELNS0_18block_padding_hintE2ELNS0_4arch9wavefront6targetE0EE19radix_bits_per_passE ; @_ZN7rocprim17ROCPRIM_400000_NS16block_radix_sortIiLj16ELj2ElLj1ELj1ELj0ELNS0_26block_radix_rank_algorithmE1ELNS0_18block_padding_hintE2ELNS0_4arch9wavefront6targetE0EE19radix_bits_per_passE
	.type	_ZN7rocprim17ROCPRIM_400000_NS16block_radix_sortIiLj16ELj2ElLj1ELj1ELj0ELNS0_26block_radix_rank_algorithmE1ELNS0_18block_padding_hintE2ELNS0_4arch9wavefront6targetE0EE19radix_bits_per_passE,@object
	.section	.rodata._ZN7rocprim17ROCPRIM_400000_NS16block_radix_sortIiLj16ELj2ElLj1ELj1ELj0ELNS0_26block_radix_rank_algorithmE1ELNS0_18block_padding_hintE2ELNS0_4arch9wavefront6targetE0EE19radix_bits_per_passE,"aG",@progbits,_ZN7rocprim17ROCPRIM_400000_NS16block_radix_sortIiLj16ELj2ElLj1ELj1ELj0ELNS0_26block_radix_rank_algorithmE1ELNS0_18block_padding_hintE2ELNS0_4arch9wavefront6targetE0EE19radix_bits_per_passE,comdat
	.weak	_ZN7rocprim17ROCPRIM_400000_NS16block_radix_sortIiLj16ELj2ElLj1ELj1ELj0ELNS0_26block_radix_rank_algorithmE1ELNS0_18block_padding_hintE2ELNS0_4arch9wavefront6targetE0EE19radix_bits_per_passE
	.p2align	2, 0x0
_ZN7rocprim17ROCPRIM_400000_NS16block_radix_sortIiLj16ELj2ElLj1ELj1ELj0ELNS0_26block_radix_rank_algorithmE1ELNS0_18block_padding_hintE2ELNS0_4arch9wavefront6targetE0EE19radix_bits_per_passE:
	.long	4                               ; 0x4
	.size	_ZN7rocprim17ROCPRIM_400000_NS16block_radix_sortIiLj16ELj2ElLj1ELj1ELj0ELNS0_26block_radix_rank_algorithmE1ELNS0_18block_padding_hintE2ELNS0_4arch9wavefront6targetE0EE19radix_bits_per_passE, 4

	.protected	_ZN7rocprim17ROCPRIM_400000_NS16block_radix_sortIlLj512ELj8ElLj1ELj1ELj0ELNS0_26block_radix_rank_algorithmE1ELNS0_18block_padding_hintE2ELNS0_4arch9wavefront6targetE0EE19radix_bits_per_passE ; @_ZN7rocprim17ROCPRIM_400000_NS16block_radix_sortIlLj512ELj8ElLj1ELj1ELj0ELNS0_26block_radix_rank_algorithmE1ELNS0_18block_padding_hintE2ELNS0_4arch9wavefront6targetE0EE19radix_bits_per_passE
	.type	_ZN7rocprim17ROCPRIM_400000_NS16block_radix_sortIlLj512ELj8ElLj1ELj1ELj0ELNS0_26block_radix_rank_algorithmE1ELNS0_18block_padding_hintE2ELNS0_4arch9wavefront6targetE0EE19radix_bits_per_passE,@object
	.section	.rodata._ZN7rocprim17ROCPRIM_400000_NS16block_radix_sortIlLj512ELj8ElLj1ELj1ELj0ELNS0_26block_radix_rank_algorithmE1ELNS0_18block_padding_hintE2ELNS0_4arch9wavefront6targetE0EE19radix_bits_per_passE,"aG",@progbits,_ZN7rocprim17ROCPRIM_400000_NS16block_radix_sortIlLj512ELj8ElLj1ELj1ELj0ELNS0_26block_radix_rank_algorithmE1ELNS0_18block_padding_hintE2ELNS0_4arch9wavefront6targetE0EE19radix_bits_per_passE,comdat
	.weak	_ZN7rocprim17ROCPRIM_400000_NS16block_radix_sortIlLj512ELj8ElLj1ELj1ELj0ELNS0_26block_radix_rank_algorithmE1ELNS0_18block_padding_hintE2ELNS0_4arch9wavefront6targetE0EE19radix_bits_per_passE
	.p2align	2, 0x0
_ZN7rocprim17ROCPRIM_400000_NS16block_radix_sortIlLj512ELj8ElLj1ELj1ELj0ELNS0_26block_radix_rank_algorithmE1ELNS0_18block_padding_hintE2ELNS0_4arch9wavefront6targetE0EE19radix_bits_per_passE:
	.long	8                               ; 0x8
	.size	_ZN7rocprim17ROCPRIM_400000_NS16block_radix_sortIlLj512ELj8ElLj1ELj1ELj0ELNS0_26block_radix_rank_algorithmE1ELNS0_18block_padding_hintE2ELNS0_4arch9wavefront6targetE0EE19radix_bits_per_passE, 4

	.protected	_ZN7rocprim17ROCPRIM_400000_NS16block_radix_sortIlLj256ELj8ElLj1ELj1ELj0ELNS0_26block_radix_rank_algorithmE1ELNS0_18block_padding_hintE2ELNS0_4arch9wavefront6targetE0EE19radix_bits_per_passE ; @_ZN7rocprim17ROCPRIM_400000_NS16block_radix_sortIlLj256ELj8ElLj1ELj1ELj0ELNS0_26block_radix_rank_algorithmE1ELNS0_18block_padding_hintE2ELNS0_4arch9wavefront6targetE0EE19radix_bits_per_passE
	.type	_ZN7rocprim17ROCPRIM_400000_NS16block_radix_sortIlLj256ELj8ElLj1ELj1ELj0ELNS0_26block_radix_rank_algorithmE1ELNS0_18block_padding_hintE2ELNS0_4arch9wavefront6targetE0EE19radix_bits_per_passE,@object
	.section	.rodata._ZN7rocprim17ROCPRIM_400000_NS16block_radix_sortIlLj256ELj8ElLj1ELj1ELj0ELNS0_26block_radix_rank_algorithmE1ELNS0_18block_padding_hintE2ELNS0_4arch9wavefront6targetE0EE19radix_bits_per_passE,"aG",@progbits,_ZN7rocprim17ROCPRIM_400000_NS16block_radix_sortIlLj256ELj8ElLj1ELj1ELj0ELNS0_26block_radix_rank_algorithmE1ELNS0_18block_padding_hintE2ELNS0_4arch9wavefront6targetE0EE19radix_bits_per_passE,comdat
	.weak	_ZN7rocprim17ROCPRIM_400000_NS16block_radix_sortIlLj256ELj8ElLj1ELj1ELj0ELNS0_26block_radix_rank_algorithmE1ELNS0_18block_padding_hintE2ELNS0_4arch9wavefront6targetE0EE19radix_bits_per_passE
	.p2align	2, 0x0
_ZN7rocprim17ROCPRIM_400000_NS16block_radix_sortIlLj256ELj8ElLj1ELj1ELj0ELNS0_26block_radix_rank_algorithmE1ELNS0_18block_padding_hintE2ELNS0_4arch9wavefront6targetE0EE19radix_bits_per_passE:
	.long	8                               ; 0x8
	.size	_ZN7rocprim17ROCPRIM_400000_NS16block_radix_sortIlLj256ELj8ElLj1ELj1ELj0ELNS0_26block_radix_rank_algorithmE1ELNS0_18block_padding_hintE2ELNS0_4arch9wavefront6targetE0EE19radix_bits_per_passE, 4

	.protected	_ZN7rocprim17ROCPRIM_400000_NS16block_radix_sortIlLj128ELj8ElLj1ELj1ELj0ELNS0_26block_radix_rank_algorithmE1ELNS0_18block_padding_hintE2ELNS0_4arch9wavefront6targetE0EE19radix_bits_per_passE ; @_ZN7rocprim17ROCPRIM_400000_NS16block_radix_sortIlLj128ELj8ElLj1ELj1ELj0ELNS0_26block_radix_rank_algorithmE1ELNS0_18block_padding_hintE2ELNS0_4arch9wavefront6targetE0EE19radix_bits_per_passE
	.type	_ZN7rocprim17ROCPRIM_400000_NS16block_radix_sortIlLj128ELj8ElLj1ELj1ELj0ELNS0_26block_radix_rank_algorithmE1ELNS0_18block_padding_hintE2ELNS0_4arch9wavefront6targetE0EE19radix_bits_per_passE,@object
	.section	.rodata._ZN7rocprim17ROCPRIM_400000_NS16block_radix_sortIlLj128ELj8ElLj1ELj1ELj0ELNS0_26block_radix_rank_algorithmE1ELNS0_18block_padding_hintE2ELNS0_4arch9wavefront6targetE0EE19radix_bits_per_passE,"aG",@progbits,_ZN7rocprim17ROCPRIM_400000_NS16block_radix_sortIlLj128ELj8ElLj1ELj1ELj0ELNS0_26block_radix_rank_algorithmE1ELNS0_18block_padding_hintE2ELNS0_4arch9wavefront6targetE0EE19radix_bits_per_passE,comdat
	.weak	_ZN7rocprim17ROCPRIM_400000_NS16block_radix_sortIlLj128ELj8ElLj1ELj1ELj0ELNS0_26block_radix_rank_algorithmE1ELNS0_18block_padding_hintE2ELNS0_4arch9wavefront6targetE0EE19radix_bits_per_passE
	.p2align	2, 0x0
_ZN7rocprim17ROCPRIM_400000_NS16block_radix_sortIlLj128ELj8ElLj1ELj1ELj0ELNS0_26block_radix_rank_algorithmE1ELNS0_18block_padding_hintE2ELNS0_4arch9wavefront6targetE0EE19radix_bits_per_passE:
	.long	8                               ; 0x8
	.size	_ZN7rocprim17ROCPRIM_400000_NS16block_radix_sortIlLj128ELj8ElLj1ELj1ELj0ELNS0_26block_radix_rank_algorithmE1ELNS0_18block_padding_hintE2ELNS0_4arch9wavefront6targetE0EE19radix_bits_per_passE, 4

	.protected	_ZN7rocprim17ROCPRIM_400000_NS16block_radix_sortIlLj32ELj4ElLj1ELj1ELj0ELNS0_26block_radix_rank_algorithmE1ELNS0_18block_padding_hintE2ELNS0_4arch9wavefront6targetE0EE19radix_bits_per_passE ; @_ZN7rocprim17ROCPRIM_400000_NS16block_radix_sortIlLj32ELj4ElLj1ELj1ELj0ELNS0_26block_radix_rank_algorithmE1ELNS0_18block_padding_hintE2ELNS0_4arch9wavefront6targetE0EE19radix_bits_per_passE
	.type	_ZN7rocprim17ROCPRIM_400000_NS16block_radix_sortIlLj32ELj4ElLj1ELj1ELj0ELNS0_26block_radix_rank_algorithmE1ELNS0_18block_padding_hintE2ELNS0_4arch9wavefront6targetE0EE19radix_bits_per_passE,@object
	.section	.rodata._ZN7rocprim17ROCPRIM_400000_NS16block_radix_sortIlLj32ELj4ElLj1ELj1ELj0ELNS0_26block_radix_rank_algorithmE1ELNS0_18block_padding_hintE2ELNS0_4arch9wavefront6targetE0EE19radix_bits_per_passE,"aG",@progbits,_ZN7rocprim17ROCPRIM_400000_NS16block_radix_sortIlLj32ELj4ElLj1ELj1ELj0ELNS0_26block_radix_rank_algorithmE1ELNS0_18block_padding_hintE2ELNS0_4arch9wavefront6targetE0EE19radix_bits_per_passE,comdat
	.weak	_ZN7rocprim17ROCPRIM_400000_NS16block_radix_sortIlLj32ELj4ElLj1ELj1ELj0ELNS0_26block_radix_rank_algorithmE1ELNS0_18block_padding_hintE2ELNS0_4arch9wavefront6targetE0EE19radix_bits_per_passE
	.p2align	2, 0x0
_ZN7rocprim17ROCPRIM_400000_NS16block_radix_sortIlLj32ELj4ElLj1ELj1ELj0ELNS0_26block_radix_rank_algorithmE1ELNS0_18block_padding_hintE2ELNS0_4arch9wavefront6targetE0EE19radix_bits_per_passE:
	.long	8                               ; 0x8
	.size	_ZN7rocprim17ROCPRIM_400000_NS16block_radix_sortIlLj32ELj4ElLj1ELj1ELj0ELNS0_26block_radix_rank_algorithmE1ELNS0_18block_padding_hintE2ELNS0_4arch9wavefront6targetE0EE19radix_bits_per_passE, 4

	.protected	_ZN7rocprim17ROCPRIM_400000_NS16block_radix_sortIlLj16ELj2ElLj1ELj1ELj0ELNS0_26block_radix_rank_algorithmE1ELNS0_18block_padding_hintE2ELNS0_4arch9wavefront6targetE0EE19radix_bits_per_passE ; @_ZN7rocprim17ROCPRIM_400000_NS16block_radix_sortIlLj16ELj2ElLj1ELj1ELj0ELNS0_26block_radix_rank_algorithmE1ELNS0_18block_padding_hintE2ELNS0_4arch9wavefront6targetE0EE19radix_bits_per_passE
	.type	_ZN7rocprim17ROCPRIM_400000_NS16block_radix_sortIlLj16ELj2ElLj1ELj1ELj0ELNS0_26block_radix_rank_algorithmE1ELNS0_18block_padding_hintE2ELNS0_4arch9wavefront6targetE0EE19radix_bits_per_passE,@object
	.section	.rodata._ZN7rocprim17ROCPRIM_400000_NS16block_radix_sortIlLj16ELj2ElLj1ELj1ELj0ELNS0_26block_radix_rank_algorithmE1ELNS0_18block_padding_hintE2ELNS0_4arch9wavefront6targetE0EE19radix_bits_per_passE,"aG",@progbits,_ZN7rocprim17ROCPRIM_400000_NS16block_radix_sortIlLj16ELj2ElLj1ELj1ELj0ELNS0_26block_radix_rank_algorithmE1ELNS0_18block_padding_hintE2ELNS0_4arch9wavefront6targetE0EE19radix_bits_per_passE,comdat
	.weak	_ZN7rocprim17ROCPRIM_400000_NS16block_radix_sortIlLj16ELj2ElLj1ELj1ELj0ELNS0_26block_radix_rank_algorithmE1ELNS0_18block_padding_hintE2ELNS0_4arch9wavefront6targetE0EE19radix_bits_per_passE
	.p2align	2, 0x0
_ZN7rocprim17ROCPRIM_400000_NS16block_radix_sortIlLj16ELj2ElLj1ELj1ELj0ELNS0_26block_radix_rank_algorithmE1ELNS0_18block_padding_hintE2ELNS0_4arch9wavefront6targetE0EE19radix_bits_per_passE:
	.long	4                               ; 0x4
	.size	_ZN7rocprim17ROCPRIM_400000_NS16block_radix_sortIlLj16ELj2ElLj1ELj1ELj0ELNS0_26block_radix_rank_algorithmE1ELNS0_18block_padding_hintE2ELNS0_4arch9wavefront6targetE0EE19radix_bits_per_passE, 4

	.protected	_ZN7rocprim17ROCPRIM_400000_NS16block_radix_sortIsLj512ELj8ElLj1ELj1ELj0ELNS0_26block_radix_rank_algorithmE1ELNS0_18block_padding_hintE2ELNS0_4arch9wavefront6targetE0EE19radix_bits_per_passE ; @_ZN7rocprim17ROCPRIM_400000_NS16block_radix_sortIsLj512ELj8ElLj1ELj1ELj0ELNS0_26block_radix_rank_algorithmE1ELNS0_18block_padding_hintE2ELNS0_4arch9wavefront6targetE0EE19radix_bits_per_passE
	.type	_ZN7rocprim17ROCPRIM_400000_NS16block_radix_sortIsLj512ELj8ElLj1ELj1ELj0ELNS0_26block_radix_rank_algorithmE1ELNS0_18block_padding_hintE2ELNS0_4arch9wavefront6targetE0EE19radix_bits_per_passE,@object
	.section	.rodata._ZN7rocprim17ROCPRIM_400000_NS16block_radix_sortIsLj512ELj8ElLj1ELj1ELj0ELNS0_26block_radix_rank_algorithmE1ELNS0_18block_padding_hintE2ELNS0_4arch9wavefront6targetE0EE19radix_bits_per_passE,"aG",@progbits,_ZN7rocprim17ROCPRIM_400000_NS16block_radix_sortIsLj512ELj8ElLj1ELj1ELj0ELNS0_26block_radix_rank_algorithmE1ELNS0_18block_padding_hintE2ELNS0_4arch9wavefront6targetE0EE19radix_bits_per_passE,comdat
	.weak	_ZN7rocprim17ROCPRIM_400000_NS16block_radix_sortIsLj512ELj8ElLj1ELj1ELj0ELNS0_26block_radix_rank_algorithmE1ELNS0_18block_padding_hintE2ELNS0_4arch9wavefront6targetE0EE19radix_bits_per_passE
	.p2align	2, 0x0
_ZN7rocprim17ROCPRIM_400000_NS16block_radix_sortIsLj512ELj8ElLj1ELj1ELj0ELNS0_26block_radix_rank_algorithmE1ELNS0_18block_padding_hintE2ELNS0_4arch9wavefront6targetE0EE19radix_bits_per_passE:
	.long	8                               ; 0x8
	.size	_ZN7rocprim17ROCPRIM_400000_NS16block_radix_sortIsLj512ELj8ElLj1ELj1ELj0ELNS0_26block_radix_rank_algorithmE1ELNS0_18block_padding_hintE2ELNS0_4arch9wavefront6targetE0EE19radix_bits_per_passE, 4

	.protected	_ZN7rocprim17ROCPRIM_400000_NS16block_radix_sortIsLj256ELj8ElLj1ELj1ELj0ELNS0_26block_radix_rank_algorithmE1ELNS0_18block_padding_hintE2ELNS0_4arch9wavefront6targetE0EE19radix_bits_per_passE ; @_ZN7rocprim17ROCPRIM_400000_NS16block_radix_sortIsLj256ELj8ElLj1ELj1ELj0ELNS0_26block_radix_rank_algorithmE1ELNS0_18block_padding_hintE2ELNS0_4arch9wavefront6targetE0EE19radix_bits_per_passE
	.type	_ZN7rocprim17ROCPRIM_400000_NS16block_radix_sortIsLj256ELj8ElLj1ELj1ELj0ELNS0_26block_radix_rank_algorithmE1ELNS0_18block_padding_hintE2ELNS0_4arch9wavefront6targetE0EE19radix_bits_per_passE,@object
	.section	.rodata._ZN7rocprim17ROCPRIM_400000_NS16block_radix_sortIsLj256ELj8ElLj1ELj1ELj0ELNS0_26block_radix_rank_algorithmE1ELNS0_18block_padding_hintE2ELNS0_4arch9wavefront6targetE0EE19radix_bits_per_passE,"aG",@progbits,_ZN7rocprim17ROCPRIM_400000_NS16block_radix_sortIsLj256ELj8ElLj1ELj1ELj0ELNS0_26block_radix_rank_algorithmE1ELNS0_18block_padding_hintE2ELNS0_4arch9wavefront6targetE0EE19radix_bits_per_passE,comdat
	.weak	_ZN7rocprim17ROCPRIM_400000_NS16block_radix_sortIsLj256ELj8ElLj1ELj1ELj0ELNS0_26block_radix_rank_algorithmE1ELNS0_18block_padding_hintE2ELNS0_4arch9wavefront6targetE0EE19radix_bits_per_passE
	.p2align	2, 0x0
_ZN7rocprim17ROCPRIM_400000_NS16block_radix_sortIsLj256ELj8ElLj1ELj1ELj0ELNS0_26block_radix_rank_algorithmE1ELNS0_18block_padding_hintE2ELNS0_4arch9wavefront6targetE0EE19radix_bits_per_passE:
	.long	8                               ; 0x8
	.size	_ZN7rocprim17ROCPRIM_400000_NS16block_radix_sortIsLj256ELj8ElLj1ELj1ELj0ELNS0_26block_radix_rank_algorithmE1ELNS0_18block_padding_hintE2ELNS0_4arch9wavefront6targetE0EE19radix_bits_per_passE, 4

	.protected	_ZN7rocprim17ROCPRIM_400000_NS16block_radix_sortIsLj128ELj8ElLj1ELj1ELj0ELNS0_26block_radix_rank_algorithmE1ELNS0_18block_padding_hintE2ELNS0_4arch9wavefront6targetE0EE19radix_bits_per_passE ; @_ZN7rocprim17ROCPRIM_400000_NS16block_radix_sortIsLj128ELj8ElLj1ELj1ELj0ELNS0_26block_radix_rank_algorithmE1ELNS0_18block_padding_hintE2ELNS0_4arch9wavefront6targetE0EE19radix_bits_per_passE
	.type	_ZN7rocprim17ROCPRIM_400000_NS16block_radix_sortIsLj128ELj8ElLj1ELj1ELj0ELNS0_26block_radix_rank_algorithmE1ELNS0_18block_padding_hintE2ELNS0_4arch9wavefront6targetE0EE19radix_bits_per_passE,@object
	.section	.rodata._ZN7rocprim17ROCPRIM_400000_NS16block_radix_sortIsLj128ELj8ElLj1ELj1ELj0ELNS0_26block_radix_rank_algorithmE1ELNS0_18block_padding_hintE2ELNS0_4arch9wavefront6targetE0EE19radix_bits_per_passE,"aG",@progbits,_ZN7rocprim17ROCPRIM_400000_NS16block_radix_sortIsLj128ELj8ElLj1ELj1ELj0ELNS0_26block_radix_rank_algorithmE1ELNS0_18block_padding_hintE2ELNS0_4arch9wavefront6targetE0EE19radix_bits_per_passE,comdat
	.weak	_ZN7rocprim17ROCPRIM_400000_NS16block_radix_sortIsLj128ELj8ElLj1ELj1ELj0ELNS0_26block_radix_rank_algorithmE1ELNS0_18block_padding_hintE2ELNS0_4arch9wavefront6targetE0EE19radix_bits_per_passE
	.p2align	2, 0x0
_ZN7rocprim17ROCPRIM_400000_NS16block_radix_sortIsLj128ELj8ElLj1ELj1ELj0ELNS0_26block_radix_rank_algorithmE1ELNS0_18block_padding_hintE2ELNS0_4arch9wavefront6targetE0EE19radix_bits_per_passE:
	.long	8                               ; 0x8
	.size	_ZN7rocprim17ROCPRIM_400000_NS16block_radix_sortIsLj128ELj8ElLj1ELj1ELj0ELNS0_26block_radix_rank_algorithmE1ELNS0_18block_padding_hintE2ELNS0_4arch9wavefront6targetE0EE19radix_bits_per_passE, 4

	.protected	_ZN7rocprim17ROCPRIM_400000_NS16block_radix_sortIsLj32ELj4ElLj1ELj1ELj0ELNS0_26block_radix_rank_algorithmE1ELNS0_18block_padding_hintE2ELNS0_4arch9wavefront6targetE0EE19radix_bits_per_passE ; @_ZN7rocprim17ROCPRIM_400000_NS16block_radix_sortIsLj32ELj4ElLj1ELj1ELj0ELNS0_26block_radix_rank_algorithmE1ELNS0_18block_padding_hintE2ELNS0_4arch9wavefront6targetE0EE19radix_bits_per_passE
	.type	_ZN7rocprim17ROCPRIM_400000_NS16block_radix_sortIsLj32ELj4ElLj1ELj1ELj0ELNS0_26block_radix_rank_algorithmE1ELNS0_18block_padding_hintE2ELNS0_4arch9wavefront6targetE0EE19radix_bits_per_passE,@object
	.section	.rodata._ZN7rocprim17ROCPRIM_400000_NS16block_radix_sortIsLj32ELj4ElLj1ELj1ELj0ELNS0_26block_radix_rank_algorithmE1ELNS0_18block_padding_hintE2ELNS0_4arch9wavefront6targetE0EE19radix_bits_per_passE,"aG",@progbits,_ZN7rocprim17ROCPRIM_400000_NS16block_radix_sortIsLj32ELj4ElLj1ELj1ELj0ELNS0_26block_radix_rank_algorithmE1ELNS0_18block_padding_hintE2ELNS0_4arch9wavefront6targetE0EE19radix_bits_per_passE,comdat
	.weak	_ZN7rocprim17ROCPRIM_400000_NS16block_radix_sortIsLj32ELj4ElLj1ELj1ELj0ELNS0_26block_radix_rank_algorithmE1ELNS0_18block_padding_hintE2ELNS0_4arch9wavefront6targetE0EE19radix_bits_per_passE
	.p2align	2, 0x0
_ZN7rocprim17ROCPRIM_400000_NS16block_radix_sortIsLj32ELj4ElLj1ELj1ELj0ELNS0_26block_radix_rank_algorithmE1ELNS0_18block_padding_hintE2ELNS0_4arch9wavefront6targetE0EE19radix_bits_per_passE:
	.long	8                               ; 0x8
	.size	_ZN7rocprim17ROCPRIM_400000_NS16block_radix_sortIsLj32ELj4ElLj1ELj1ELj0ELNS0_26block_radix_rank_algorithmE1ELNS0_18block_padding_hintE2ELNS0_4arch9wavefront6targetE0EE19radix_bits_per_passE, 4

	.protected	_ZN7rocprim17ROCPRIM_400000_NS16block_radix_sortIsLj16ELj2ElLj1ELj1ELj0ELNS0_26block_radix_rank_algorithmE1ELNS0_18block_padding_hintE2ELNS0_4arch9wavefront6targetE0EE19radix_bits_per_passE ; @_ZN7rocprim17ROCPRIM_400000_NS16block_radix_sortIsLj16ELj2ElLj1ELj1ELj0ELNS0_26block_radix_rank_algorithmE1ELNS0_18block_padding_hintE2ELNS0_4arch9wavefront6targetE0EE19radix_bits_per_passE
	.type	_ZN7rocprim17ROCPRIM_400000_NS16block_radix_sortIsLj16ELj2ElLj1ELj1ELj0ELNS0_26block_radix_rank_algorithmE1ELNS0_18block_padding_hintE2ELNS0_4arch9wavefront6targetE0EE19radix_bits_per_passE,@object
	.section	.rodata._ZN7rocprim17ROCPRIM_400000_NS16block_radix_sortIsLj16ELj2ElLj1ELj1ELj0ELNS0_26block_radix_rank_algorithmE1ELNS0_18block_padding_hintE2ELNS0_4arch9wavefront6targetE0EE19radix_bits_per_passE,"aG",@progbits,_ZN7rocprim17ROCPRIM_400000_NS16block_radix_sortIsLj16ELj2ElLj1ELj1ELj0ELNS0_26block_radix_rank_algorithmE1ELNS0_18block_padding_hintE2ELNS0_4arch9wavefront6targetE0EE19radix_bits_per_passE,comdat
	.weak	_ZN7rocprim17ROCPRIM_400000_NS16block_radix_sortIsLj16ELj2ElLj1ELj1ELj0ELNS0_26block_radix_rank_algorithmE1ELNS0_18block_padding_hintE2ELNS0_4arch9wavefront6targetE0EE19radix_bits_per_passE
	.p2align	2, 0x0
_ZN7rocprim17ROCPRIM_400000_NS16block_radix_sortIsLj16ELj2ElLj1ELj1ELj0ELNS0_26block_radix_rank_algorithmE1ELNS0_18block_padding_hintE2ELNS0_4arch9wavefront6targetE0EE19radix_bits_per_passE:
	.long	4                               ; 0x4
	.size	_ZN7rocprim17ROCPRIM_400000_NS16block_radix_sortIsLj16ELj2ElLj1ELj1ELj0ELNS0_26block_radix_rank_algorithmE1ELNS0_18block_padding_hintE2ELNS0_4arch9wavefront6targetE0EE19radix_bits_per_passE, 4

	.protected	_ZN7rocprim17ROCPRIM_400000_NS16block_radix_sortIdLj512ELj8ElLj1ELj1ELj0ELNS0_26block_radix_rank_algorithmE1ELNS0_18block_padding_hintE2ELNS0_4arch9wavefront6targetE0EE19radix_bits_per_passE ; @_ZN7rocprim17ROCPRIM_400000_NS16block_radix_sortIdLj512ELj8ElLj1ELj1ELj0ELNS0_26block_radix_rank_algorithmE1ELNS0_18block_padding_hintE2ELNS0_4arch9wavefront6targetE0EE19radix_bits_per_passE
	.type	_ZN7rocprim17ROCPRIM_400000_NS16block_radix_sortIdLj512ELj8ElLj1ELj1ELj0ELNS0_26block_radix_rank_algorithmE1ELNS0_18block_padding_hintE2ELNS0_4arch9wavefront6targetE0EE19radix_bits_per_passE,@object
	.section	.rodata._ZN7rocprim17ROCPRIM_400000_NS16block_radix_sortIdLj512ELj8ElLj1ELj1ELj0ELNS0_26block_radix_rank_algorithmE1ELNS0_18block_padding_hintE2ELNS0_4arch9wavefront6targetE0EE19radix_bits_per_passE,"aG",@progbits,_ZN7rocprim17ROCPRIM_400000_NS16block_radix_sortIdLj512ELj8ElLj1ELj1ELj0ELNS0_26block_radix_rank_algorithmE1ELNS0_18block_padding_hintE2ELNS0_4arch9wavefront6targetE0EE19radix_bits_per_passE,comdat
	.weak	_ZN7rocprim17ROCPRIM_400000_NS16block_radix_sortIdLj512ELj8ElLj1ELj1ELj0ELNS0_26block_radix_rank_algorithmE1ELNS0_18block_padding_hintE2ELNS0_4arch9wavefront6targetE0EE19radix_bits_per_passE
	.p2align	2, 0x0
_ZN7rocprim17ROCPRIM_400000_NS16block_radix_sortIdLj512ELj8ElLj1ELj1ELj0ELNS0_26block_radix_rank_algorithmE1ELNS0_18block_padding_hintE2ELNS0_4arch9wavefront6targetE0EE19radix_bits_per_passE:
	.long	8                               ; 0x8
	.size	_ZN7rocprim17ROCPRIM_400000_NS16block_radix_sortIdLj512ELj8ElLj1ELj1ELj0ELNS0_26block_radix_rank_algorithmE1ELNS0_18block_padding_hintE2ELNS0_4arch9wavefront6targetE0EE19radix_bits_per_passE, 4

	.protected	_ZN7rocprim17ROCPRIM_400000_NS16block_radix_sortIdLj256ELj8ElLj1ELj1ELj0ELNS0_26block_radix_rank_algorithmE1ELNS0_18block_padding_hintE2ELNS0_4arch9wavefront6targetE0EE19radix_bits_per_passE ; @_ZN7rocprim17ROCPRIM_400000_NS16block_radix_sortIdLj256ELj8ElLj1ELj1ELj0ELNS0_26block_radix_rank_algorithmE1ELNS0_18block_padding_hintE2ELNS0_4arch9wavefront6targetE0EE19radix_bits_per_passE
	.type	_ZN7rocprim17ROCPRIM_400000_NS16block_radix_sortIdLj256ELj8ElLj1ELj1ELj0ELNS0_26block_radix_rank_algorithmE1ELNS0_18block_padding_hintE2ELNS0_4arch9wavefront6targetE0EE19radix_bits_per_passE,@object
	.section	.rodata._ZN7rocprim17ROCPRIM_400000_NS16block_radix_sortIdLj256ELj8ElLj1ELj1ELj0ELNS0_26block_radix_rank_algorithmE1ELNS0_18block_padding_hintE2ELNS0_4arch9wavefront6targetE0EE19radix_bits_per_passE,"aG",@progbits,_ZN7rocprim17ROCPRIM_400000_NS16block_radix_sortIdLj256ELj8ElLj1ELj1ELj0ELNS0_26block_radix_rank_algorithmE1ELNS0_18block_padding_hintE2ELNS0_4arch9wavefront6targetE0EE19radix_bits_per_passE,comdat
	.weak	_ZN7rocprim17ROCPRIM_400000_NS16block_radix_sortIdLj256ELj8ElLj1ELj1ELj0ELNS0_26block_radix_rank_algorithmE1ELNS0_18block_padding_hintE2ELNS0_4arch9wavefront6targetE0EE19radix_bits_per_passE
	.p2align	2, 0x0
_ZN7rocprim17ROCPRIM_400000_NS16block_radix_sortIdLj256ELj8ElLj1ELj1ELj0ELNS0_26block_radix_rank_algorithmE1ELNS0_18block_padding_hintE2ELNS0_4arch9wavefront6targetE0EE19radix_bits_per_passE:
	.long	8                               ; 0x8
	.size	_ZN7rocprim17ROCPRIM_400000_NS16block_radix_sortIdLj256ELj8ElLj1ELj1ELj0ELNS0_26block_radix_rank_algorithmE1ELNS0_18block_padding_hintE2ELNS0_4arch9wavefront6targetE0EE19radix_bits_per_passE, 4

	.protected	_ZN7rocprim17ROCPRIM_400000_NS16block_radix_sortIdLj128ELj8ElLj1ELj1ELj0ELNS0_26block_radix_rank_algorithmE1ELNS0_18block_padding_hintE2ELNS0_4arch9wavefront6targetE0EE19radix_bits_per_passE ; @_ZN7rocprim17ROCPRIM_400000_NS16block_radix_sortIdLj128ELj8ElLj1ELj1ELj0ELNS0_26block_radix_rank_algorithmE1ELNS0_18block_padding_hintE2ELNS0_4arch9wavefront6targetE0EE19radix_bits_per_passE
	.type	_ZN7rocprim17ROCPRIM_400000_NS16block_radix_sortIdLj128ELj8ElLj1ELj1ELj0ELNS0_26block_radix_rank_algorithmE1ELNS0_18block_padding_hintE2ELNS0_4arch9wavefront6targetE0EE19radix_bits_per_passE,@object
	.section	.rodata._ZN7rocprim17ROCPRIM_400000_NS16block_radix_sortIdLj128ELj8ElLj1ELj1ELj0ELNS0_26block_radix_rank_algorithmE1ELNS0_18block_padding_hintE2ELNS0_4arch9wavefront6targetE0EE19radix_bits_per_passE,"aG",@progbits,_ZN7rocprim17ROCPRIM_400000_NS16block_radix_sortIdLj128ELj8ElLj1ELj1ELj0ELNS0_26block_radix_rank_algorithmE1ELNS0_18block_padding_hintE2ELNS0_4arch9wavefront6targetE0EE19radix_bits_per_passE,comdat
	.weak	_ZN7rocprim17ROCPRIM_400000_NS16block_radix_sortIdLj128ELj8ElLj1ELj1ELj0ELNS0_26block_radix_rank_algorithmE1ELNS0_18block_padding_hintE2ELNS0_4arch9wavefront6targetE0EE19radix_bits_per_passE
	.p2align	2, 0x0
_ZN7rocprim17ROCPRIM_400000_NS16block_radix_sortIdLj128ELj8ElLj1ELj1ELj0ELNS0_26block_radix_rank_algorithmE1ELNS0_18block_padding_hintE2ELNS0_4arch9wavefront6targetE0EE19radix_bits_per_passE:
	.long	8                               ; 0x8
	.size	_ZN7rocprim17ROCPRIM_400000_NS16block_radix_sortIdLj128ELj8ElLj1ELj1ELj0ELNS0_26block_radix_rank_algorithmE1ELNS0_18block_padding_hintE2ELNS0_4arch9wavefront6targetE0EE19radix_bits_per_passE, 4

	.protected	_ZN7rocprim17ROCPRIM_400000_NS16block_radix_sortIdLj32ELj4ElLj1ELj1ELj0ELNS0_26block_radix_rank_algorithmE1ELNS0_18block_padding_hintE2ELNS0_4arch9wavefront6targetE0EE19radix_bits_per_passE ; @_ZN7rocprim17ROCPRIM_400000_NS16block_radix_sortIdLj32ELj4ElLj1ELj1ELj0ELNS0_26block_radix_rank_algorithmE1ELNS0_18block_padding_hintE2ELNS0_4arch9wavefront6targetE0EE19radix_bits_per_passE
	.type	_ZN7rocprim17ROCPRIM_400000_NS16block_radix_sortIdLj32ELj4ElLj1ELj1ELj0ELNS0_26block_radix_rank_algorithmE1ELNS0_18block_padding_hintE2ELNS0_4arch9wavefront6targetE0EE19radix_bits_per_passE,@object
	.section	.rodata._ZN7rocprim17ROCPRIM_400000_NS16block_radix_sortIdLj32ELj4ElLj1ELj1ELj0ELNS0_26block_radix_rank_algorithmE1ELNS0_18block_padding_hintE2ELNS0_4arch9wavefront6targetE0EE19radix_bits_per_passE,"aG",@progbits,_ZN7rocprim17ROCPRIM_400000_NS16block_radix_sortIdLj32ELj4ElLj1ELj1ELj0ELNS0_26block_radix_rank_algorithmE1ELNS0_18block_padding_hintE2ELNS0_4arch9wavefront6targetE0EE19radix_bits_per_passE,comdat
	.weak	_ZN7rocprim17ROCPRIM_400000_NS16block_radix_sortIdLj32ELj4ElLj1ELj1ELj0ELNS0_26block_radix_rank_algorithmE1ELNS0_18block_padding_hintE2ELNS0_4arch9wavefront6targetE0EE19radix_bits_per_passE
	.p2align	2, 0x0
_ZN7rocprim17ROCPRIM_400000_NS16block_radix_sortIdLj32ELj4ElLj1ELj1ELj0ELNS0_26block_radix_rank_algorithmE1ELNS0_18block_padding_hintE2ELNS0_4arch9wavefront6targetE0EE19radix_bits_per_passE:
	.long	8                               ; 0x8
	.size	_ZN7rocprim17ROCPRIM_400000_NS16block_radix_sortIdLj32ELj4ElLj1ELj1ELj0ELNS0_26block_radix_rank_algorithmE1ELNS0_18block_padding_hintE2ELNS0_4arch9wavefront6targetE0EE19radix_bits_per_passE, 4

	.protected	_ZN7rocprim17ROCPRIM_400000_NS16block_radix_sortIdLj16ELj2ElLj1ELj1ELj0ELNS0_26block_radix_rank_algorithmE1ELNS0_18block_padding_hintE2ELNS0_4arch9wavefront6targetE0EE19radix_bits_per_passE ; @_ZN7rocprim17ROCPRIM_400000_NS16block_radix_sortIdLj16ELj2ElLj1ELj1ELj0ELNS0_26block_radix_rank_algorithmE1ELNS0_18block_padding_hintE2ELNS0_4arch9wavefront6targetE0EE19radix_bits_per_passE
	.type	_ZN7rocprim17ROCPRIM_400000_NS16block_radix_sortIdLj16ELj2ElLj1ELj1ELj0ELNS0_26block_radix_rank_algorithmE1ELNS0_18block_padding_hintE2ELNS0_4arch9wavefront6targetE0EE19radix_bits_per_passE,@object
	.section	.rodata._ZN7rocprim17ROCPRIM_400000_NS16block_radix_sortIdLj16ELj2ElLj1ELj1ELj0ELNS0_26block_radix_rank_algorithmE1ELNS0_18block_padding_hintE2ELNS0_4arch9wavefront6targetE0EE19radix_bits_per_passE,"aG",@progbits,_ZN7rocprim17ROCPRIM_400000_NS16block_radix_sortIdLj16ELj2ElLj1ELj1ELj0ELNS0_26block_radix_rank_algorithmE1ELNS0_18block_padding_hintE2ELNS0_4arch9wavefront6targetE0EE19radix_bits_per_passE,comdat
	.weak	_ZN7rocprim17ROCPRIM_400000_NS16block_radix_sortIdLj16ELj2ElLj1ELj1ELj0ELNS0_26block_radix_rank_algorithmE1ELNS0_18block_padding_hintE2ELNS0_4arch9wavefront6targetE0EE19radix_bits_per_passE
	.p2align	2, 0x0
_ZN7rocprim17ROCPRIM_400000_NS16block_radix_sortIdLj16ELj2ElLj1ELj1ELj0ELNS0_26block_radix_rank_algorithmE1ELNS0_18block_padding_hintE2ELNS0_4arch9wavefront6targetE0EE19radix_bits_per_passE:
	.long	4                               ; 0x4
	.size	_ZN7rocprim17ROCPRIM_400000_NS16block_radix_sortIdLj16ELj2ElLj1ELj1ELj0ELNS0_26block_radix_rank_algorithmE1ELNS0_18block_padding_hintE2ELNS0_4arch9wavefront6targetE0EE19radix_bits_per_passE, 4

	.protected	_ZN7rocprim17ROCPRIM_400000_NS16block_radix_sortIfLj512ELj8ElLj1ELj1ELj0ELNS0_26block_radix_rank_algorithmE1ELNS0_18block_padding_hintE2ELNS0_4arch9wavefront6targetE0EE19radix_bits_per_passE ; @_ZN7rocprim17ROCPRIM_400000_NS16block_radix_sortIfLj512ELj8ElLj1ELj1ELj0ELNS0_26block_radix_rank_algorithmE1ELNS0_18block_padding_hintE2ELNS0_4arch9wavefront6targetE0EE19radix_bits_per_passE
	.type	_ZN7rocprim17ROCPRIM_400000_NS16block_radix_sortIfLj512ELj8ElLj1ELj1ELj0ELNS0_26block_radix_rank_algorithmE1ELNS0_18block_padding_hintE2ELNS0_4arch9wavefront6targetE0EE19radix_bits_per_passE,@object
	.section	.rodata._ZN7rocprim17ROCPRIM_400000_NS16block_radix_sortIfLj512ELj8ElLj1ELj1ELj0ELNS0_26block_radix_rank_algorithmE1ELNS0_18block_padding_hintE2ELNS0_4arch9wavefront6targetE0EE19radix_bits_per_passE,"aG",@progbits,_ZN7rocprim17ROCPRIM_400000_NS16block_radix_sortIfLj512ELj8ElLj1ELj1ELj0ELNS0_26block_radix_rank_algorithmE1ELNS0_18block_padding_hintE2ELNS0_4arch9wavefront6targetE0EE19radix_bits_per_passE,comdat
	.weak	_ZN7rocprim17ROCPRIM_400000_NS16block_radix_sortIfLj512ELj8ElLj1ELj1ELj0ELNS0_26block_radix_rank_algorithmE1ELNS0_18block_padding_hintE2ELNS0_4arch9wavefront6targetE0EE19radix_bits_per_passE
	.p2align	2, 0x0
_ZN7rocprim17ROCPRIM_400000_NS16block_radix_sortIfLj512ELj8ElLj1ELj1ELj0ELNS0_26block_radix_rank_algorithmE1ELNS0_18block_padding_hintE2ELNS0_4arch9wavefront6targetE0EE19radix_bits_per_passE:
	.long	8                               ; 0x8
	.size	_ZN7rocprim17ROCPRIM_400000_NS16block_radix_sortIfLj512ELj8ElLj1ELj1ELj0ELNS0_26block_radix_rank_algorithmE1ELNS0_18block_padding_hintE2ELNS0_4arch9wavefront6targetE0EE19radix_bits_per_passE, 4

	.protected	_ZN7rocprim17ROCPRIM_400000_NS16block_radix_sortIfLj256ELj8ElLj1ELj1ELj0ELNS0_26block_radix_rank_algorithmE1ELNS0_18block_padding_hintE2ELNS0_4arch9wavefront6targetE0EE19radix_bits_per_passE ; @_ZN7rocprim17ROCPRIM_400000_NS16block_radix_sortIfLj256ELj8ElLj1ELj1ELj0ELNS0_26block_radix_rank_algorithmE1ELNS0_18block_padding_hintE2ELNS0_4arch9wavefront6targetE0EE19radix_bits_per_passE
	.type	_ZN7rocprim17ROCPRIM_400000_NS16block_radix_sortIfLj256ELj8ElLj1ELj1ELj0ELNS0_26block_radix_rank_algorithmE1ELNS0_18block_padding_hintE2ELNS0_4arch9wavefront6targetE0EE19radix_bits_per_passE,@object
	.section	.rodata._ZN7rocprim17ROCPRIM_400000_NS16block_radix_sortIfLj256ELj8ElLj1ELj1ELj0ELNS0_26block_radix_rank_algorithmE1ELNS0_18block_padding_hintE2ELNS0_4arch9wavefront6targetE0EE19radix_bits_per_passE,"aG",@progbits,_ZN7rocprim17ROCPRIM_400000_NS16block_radix_sortIfLj256ELj8ElLj1ELj1ELj0ELNS0_26block_radix_rank_algorithmE1ELNS0_18block_padding_hintE2ELNS0_4arch9wavefront6targetE0EE19radix_bits_per_passE,comdat
	.weak	_ZN7rocprim17ROCPRIM_400000_NS16block_radix_sortIfLj256ELj8ElLj1ELj1ELj0ELNS0_26block_radix_rank_algorithmE1ELNS0_18block_padding_hintE2ELNS0_4arch9wavefront6targetE0EE19radix_bits_per_passE
	.p2align	2, 0x0
_ZN7rocprim17ROCPRIM_400000_NS16block_radix_sortIfLj256ELj8ElLj1ELj1ELj0ELNS0_26block_radix_rank_algorithmE1ELNS0_18block_padding_hintE2ELNS0_4arch9wavefront6targetE0EE19radix_bits_per_passE:
	.long	8                               ; 0x8
	.size	_ZN7rocprim17ROCPRIM_400000_NS16block_radix_sortIfLj256ELj8ElLj1ELj1ELj0ELNS0_26block_radix_rank_algorithmE1ELNS0_18block_padding_hintE2ELNS0_4arch9wavefront6targetE0EE19radix_bits_per_passE, 4

	.protected	_ZN7rocprim17ROCPRIM_400000_NS16block_radix_sortIfLj128ELj8ElLj1ELj1ELj0ELNS0_26block_radix_rank_algorithmE1ELNS0_18block_padding_hintE2ELNS0_4arch9wavefront6targetE0EE19radix_bits_per_passE ; @_ZN7rocprim17ROCPRIM_400000_NS16block_radix_sortIfLj128ELj8ElLj1ELj1ELj0ELNS0_26block_radix_rank_algorithmE1ELNS0_18block_padding_hintE2ELNS0_4arch9wavefront6targetE0EE19radix_bits_per_passE
	.type	_ZN7rocprim17ROCPRIM_400000_NS16block_radix_sortIfLj128ELj8ElLj1ELj1ELj0ELNS0_26block_radix_rank_algorithmE1ELNS0_18block_padding_hintE2ELNS0_4arch9wavefront6targetE0EE19radix_bits_per_passE,@object
	.section	.rodata._ZN7rocprim17ROCPRIM_400000_NS16block_radix_sortIfLj128ELj8ElLj1ELj1ELj0ELNS0_26block_radix_rank_algorithmE1ELNS0_18block_padding_hintE2ELNS0_4arch9wavefront6targetE0EE19radix_bits_per_passE,"aG",@progbits,_ZN7rocprim17ROCPRIM_400000_NS16block_radix_sortIfLj128ELj8ElLj1ELj1ELj0ELNS0_26block_radix_rank_algorithmE1ELNS0_18block_padding_hintE2ELNS0_4arch9wavefront6targetE0EE19radix_bits_per_passE,comdat
	.weak	_ZN7rocprim17ROCPRIM_400000_NS16block_radix_sortIfLj128ELj8ElLj1ELj1ELj0ELNS0_26block_radix_rank_algorithmE1ELNS0_18block_padding_hintE2ELNS0_4arch9wavefront6targetE0EE19radix_bits_per_passE
	.p2align	2, 0x0
_ZN7rocprim17ROCPRIM_400000_NS16block_radix_sortIfLj128ELj8ElLj1ELj1ELj0ELNS0_26block_radix_rank_algorithmE1ELNS0_18block_padding_hintE2ELNS0_4arch9wavefront6targetE0EE19radix_bits_per_passE:
	.long	8                               ; 0x8
	.size	_ZN7rocprim17ROCPRIM_400000_NS16block_radix_sortIfLj128ELj8ElLj1ELj1ELj0ELNS0_26block_radix_rank_algorithmE1ELNS0_18block_padding_hintE2ELNS0_4arch9wavefront6targetE0EE19radix_bits_per_passE, 4

	.protected	_ZN7rocprim17ROCPRIM_400000_NS16block_radix_sortIfLj32ELj4ElLj1ELj1ELj0ELNS0_26block_radix_rank_algorithmE1ELNS0_18block_padding_hintE2ELNS0_4arch9wavefront6targetE0EE19radix_bits_per_passE ; @_ZN7rocprim17ROCPRIM_400000_NS16block_radix_sortIfLj32ELj4ElLj1ELj1ELj0ELNS0_26block_radix_rank_algorithmE1ELNS0_18block_padding_hintE2ELNS0_4arch9wavefront6targetE0EE19radix_bits_per_passE
	.type	_ZN7rocprim17ROCPRIM_400000_NS16block_radix_sortIfLj32ELj4ElLj1ELj1ELj0ELNS0_26block_radix_rank_algorithmE1ELNS0_18block_padding_hintE2ELNS0_4arch9wavefront6targetE0EE19radix_bits_per_passE,@object
	.section	.rodata._ZN7rocprim17ROCPRIM_400000_NS16block_radix_sortIfLj32ELj4ElLj1ELj1ELj0ELNS0_26block_radix_rank_algorithmE1ELNS0_18block_padding_hintE2ELNS0_4arch9wavefront6targetE0EE19radix_bits_per_passE,"aG",@progbits,_ZN7rocprim17ROCPRIM_400000_NS16block_radix_sortIfLj32ELj4ElLj1ELj1ELj0ELNS0_26block_radix_rank_algorithmE1ELNS0_18block_padding_hintE2ELNS0_4arch9wavefront6targetE0EE19radix_bits_per_passE,comdat
	.weak	_ZN7rocprim17ROCPRIM_400000_NS16block_radix_sortIfLj32ELj4ElLj1ELj1ELj0ELNS0_26block_radix_rank_algorithmE1ELNS0_18block_padding_hintE2ELNS0_4arch9wavefront6targetE0EE19radix_bits_per_passE
	.p2align	2, 0x0
_ZN7rocprim17ROCPRIM_400000_NS16block_radix_sortIfLj32ELj4ElLj1ELj1ELj0ELNS0_26block_radix_rank_algorithmE1ELNS0_18block_padding_hintE2ELNS0_4arch9wavefront6targetE0EE19radix_bits_per_passE:
	.long	8                               ; 0x8
	.size	_ZN7rocprim17ROCPRIM_400000_NS16block_radix_sortIfLj32ELj4ElLj1ELj1ELj0ELNS0_26block_radix_rank_algorithmE1ELNS0_18block_padding_hintE2ELNS0_4arch9wavefront6targetE0EE19radix_bits_per_passE, 4

	.protected	_ZN7rocprim17ROCPRIM_400000_NS16block_radix_sortIfLj16ELj2ElLj1ELj1ELj0ELNS0_26block_radix_rank_algorithmE1ELNS0_18block_padding_hintE2ELNS0_4arch9wavefront6targetE0EE19radix_bits_per_passE ; @_ZN7rocprim17ROCPRIM_400000_NS16block_radix_sortIfLj16ELj2ElLj1ELj1ELj0ELNS0_26block_radix_rank_algorithmE1ELNS0_18block_padding_hintE2ELNS0_4arch9wavefront6targetE0EE19radix_bits_per_passE
	.type	_ZN7rocprim17ROCPRIM_400000_NS16block_radix_sortIfLj16ELj2ElLj1ELj1ELj0ELNS0_26block_radix_rank_algorithmE1ELNS0_18block_padding_hintE2ELNS0_4arch9wavefront6targetE0EE19radix_bits_per_passE,@object
	.section	.rodata._ZN7rocprim17ROCPRIM_400000_NS16block_radix_sortIfLj16ELj2ElLj1ELj1ELj0ELNS0_26block_radix_rank_algorithmE1ELNS0_18block_padding_hintE2ELNS0_4arch9wavefront6targetE0EE19radix_bits_per_passE,"aG",@progbits,_ZN7rocprim17ROCPRIM_400000_NS16block_radix_sortIfLj16ELj2ElLj1ELj1ELj0ELNS0_26block_radix_rank_algorithmE1ELNS0_18block_padding_hintE2ELNS0_4arch9wavefront6targetE0EE19radix_bits_per_passE,comdat
	.weak	_ZN7rocprim17ROCPRIM_400000_NS16block_radix_sortIfLj16ELj2ElLj1ELj1ELj0ELNS0_26block_radix_rank_algorithmE1ELNS0_18block_padding_hintE2ELNS0_4arch9wavefront6targetE0EE19radix_bits_per_passE
	.p2align	2, 0x0
_ZN7rocprim17ROCPRIM_400000_NS16block_radix_sortIfLj16ELj2ElLj1ELj1ELj0ELNS0_26block_radix_rank_algorithmE1ELNS0_18block_padding_hintE2ELNS0_4arch9wavefront6targetE0EE19radix_bits_per_passE:
	.long	4                               ; 0x4
	.size	_ZN7rocprim17ROCPRIM_400000_NS16block_radix_sortIfLj16ELj2ElLj1ELj1ELj0ELNS0_26block_radix_rank_algorithmE1ELNS0_18block_padding_hintE2ELNS0_4arch9wavefront6targetE0EE19radix_bits_per_passE, 4

	.protected	_ZN7rocprim17ROCPRIM_400000_NS16block_radix_sortI6__halfLj512ELj8ElLj1ELj1ELj0ELNS0_26block_radix_rank_algorithmE1ELNS0_18block_padding_hintE2ELNS0_4arch9wavefront6targetE0EE19radix_bits_per_passE ; @_ZN7rocprim17ROCPRIM_400000_NS16block_radix_sortI6__halfLj512ELj8ElLj1ELj1ELj0ELNS0_26block_radix_rank_algorithmE1ELNS0_18block_padding_hintE2ELNS0_4arch9wavefront6targetE0EE19radix_bits_per_passE
	.type	_ZN7rocprim17ROCPRIM_400000_NS16block_radix_sortI6__halfLj512ELj8ElLj1ELj1ELj0ELNS0_26block_radix_rank_algorithmE1ELNS0_18block_padding_hintE2ELNS0_4arch9wavefront6targetE0EE19radix_bits_per_passE,@object
	.section	.rodata._ZN7rocprim17ROCPRIM_400000_NS16block_radix_sortI6__halfLj512ELj8ElLj1ELj1ELj0ELNS0_26block_radix_rank_algorithmE1ELNS0_18block_padding_hintE2ELNS0_4arch9wavefront6targetE0EE19radix_bits_per_passE,"aG",@progbits,_ZN7rocprim17ROCPRIM_400000_NS16block_radix_sortI6__halfLj512ELj8ElLj1ELj1ELj0ELNS0_26block_radix_rank_algorithmE1ELNS0_18block_padding_hintE2ELNS0_4arch9wavefront6targetE0EE19radix_bits_per_passE,comdat
	.weak	_ZN7rocprim17ROCPRIM_400000_NS16block_radix_sortI6__halfLj512ELj8ElLj1ELj1ELj0ELNS0_26block_radix_rank_algorithmE1ELNS0_18block_padding_hintE2ELNS0_4arch9wavefront6targetE0EE19radix_bits_per_passE
	.p2align	2, 0x0
_ZN7rocprim17ROCPRIM_400000_NS16block_radix_sortI6__halfLj512ELj8ElLj1ELj1ELj0ELNS0_26block_radix_rank_algorithmE1ELNS0_18block_padding_hintE2ELNS0_4arch9wavefront6targetE0EE19radix_bits_per_passE:
	.long	8                               ; 0x8
	.size	_ZN7rocprim17ROCPRIM_400000_NS16block_radix_sortI6__halfLj512ELj8ElLj1ELj1ELj0ELNS0_26block_radix_rank_algorithmE1ELNS0_18block_padding_hintE2ELNS0_4arch9wavefront6targetE0EE19radix_bits_per_passE, 4

	.protected	_ZN7rocprim17ROCPRIM_400000_NS16block_radix_sortI6__halfLj256ELj8ElLj1ELj1ELj0ELNS0_26block_radix_rank_algorithmE1ELNS0_18block_padding_hintE2ELNS0_4arch9wavefront6targetE0EE19radix_bits_per_passE ; @_ZN7rocprim17ROCPRIM_400000_NS16block_radix_sortI6__halfLj256ELj8ElLj1ELj1ELj0ELNS0_26block_radix_rank_algorithmE1ELNS0_18block_padding_hintE2ELNS0_4arch9wavefront6targetE0EE19radix_bits_per_passE
	.type	_ZN7rocprim17ROCPRIM_400000_NS16block_radix_sortI6__halfLj256ELj8ElLj1ELj1ELj0ELNS0_26block_radix_rank_algorithmE1ELNS0_18block_padding_hintE2ELNS0_4arch9wavefront6targetE0EE19radix_bits_per_passE,@object
	.section	.rodata._ZN7rocprim17ROCPRIM_400000_NS16block_radix_sortI6__halfLj256ELj8ElLj1ELj1ELj0ELNS0_26block_radix_rank_algorithmE1ELNS0_18block_padding_hintE2ELNS0_4arch9wavefront6targetE0EE19radix_bits_per_passE,"aG",@progbits,_ZN7rocprim17ROCPRIM_400000_NS16block_radix_sortI6__halfLj256ELj8ElLj1ELj1ELj0ELNS0_26block_radix_rank_algorithmE1ELNS0_18block_padding_hintE2ELNS0_4arch9wavefront6targetE0EE19radix_bits_per_passE,comdat
	.weak	_ZN7rocprim17ROCPRIM_400000_NS16block_radix_sortI6__halfLj256ELj8ElLj1ELj1ELj0ELNS0_26block_radix_rank_algorithmE1ELNS0_18block_padding_hintE2ELNS0_4arch9wavefront6targetE0EE19radix_bits_per_passE
	.p2align	2, 0x0
_ZN7rocprim17ROCPRIM_400000_NS16block_radix_sortI6__halfLj256ELj8ElLj1ELj1ELj0ELNS0_26block_radix_rank_algorithmE1ELNS0_18block_padding_hintE2ELNS0_4arch9wavefront6targetE0EE19radix_bits_per_passE:
	.long	8                               ; 0x8
	.size	_ZN7rocprim17ROCPRIM_400000_NS16block_radix_sortI6__halfLj256ELj8ElLj1ELj1ELj0ELNS0_26block_radix_rank_algorithmE1ELNS0_18block_padding_hintE2ELNS0_4arch9wavefront6targetE0EE19radix_bits_per_passE, 4

	.protected	_ZN7rocprim17ROCPRIM_400000_NS16block_radix_sortI6__halfLj128ELj8ElLj1ELj1ELj0ELNS0_26block_radix_rank_algorithmE1ELNS0_18block_padding_hintE2ELNS0_4arch9wavefront6targetE0EE19radix_bits_per_passE ; @_ZN7rocprim17ROCPRIM_400000_NS16block_radix_sortI6__halfLj128ELj8ElLj1ELj1ELj0ELNS0_26block_radix_rank_algorithmE1ELNS0_18block_padding_hintE2ELNS0_4arch9wavefront6targetE0EE19radix_bits_per_passE
	.type	_ZN7rocprim17ROCPRIM_400000_NS16block_radix_sortI6__halfLj128ELj8ElLj1ELj1ELj0ELNS0_26block_radix_rank_algorithmE1ELNS0_18block_padding_hintE2ELNS0_4arch9wavefront6targetE0EE19radix_bits_per_passE,@object
	.section	.rodata._ZN7rocprim17ROCPRIM_400000_NS16block_radix_sortI6__halfLj128ELj8ElLj1ELj1ELj0ELNS0_26block_radix_rank_algorithmE1ELNS0_18block_padding_hintE2ELNS0_4arch9wavefront6targetE0EE19radix_bits_per_passE,"aG",@progbits,_ZN7rocprim17ROCPRIM_400000_NS16block_radix_sortI6__halfLj128ELj8ElLj1ELj1ELj0ELNS0_26block_radix_rank_algorithmE1ELNS0_18block_padding_hintE2ELNS0_4arch9wavefront6targetE0EE19radix_bits_per_passE,comdat
	.weak	_ZN7rocprim17ROCPRIM_400000_NS16block_radix_sortI6__halfLj128ELj8ElLj1ELj1ELj0ELNS0_26block_radix_rank_algorithmE1ELNS0_18block_padding_hintE2ELNS0_4arch9wavefront6targetE0EE19radix_bits_per_passE
	.p2align	2, 0x0
_ZN7rocprim17ROCPRIM_400000_NS16block_radix_sortI6__halfLj128ELj8ElLj1ELj1ELj0ELNS0_26block_radix_rank_algorithmE1ELNS0_18block_padding_hintE2ELNS0_4arch9wavefront6targetE0EE19radix_bits_per_passE:
	.long	8                               ; 0x8
	.size	_ZN7rocprim17ROCPRIM_400000_NS16block_radix_sortI6__halfLj128ELj8ElLj1ELj1ELj0ELNS0_26block_radix_rank_algorithmE1ELNS0_18block_padding_hintE2ELNS0_4arch9wavefront6targetE0EE19radix_bits_per_passE, 4

	.protected	_ZN7rocprim17ROCPRIM_400000_NS16block_radix_sortI6__halfLj32ELj4ElLj1ELj1ELj0ELNS0_26block_radix_rank_algorithmE1ELNS0_18block_padding_hintE2ELNS0_4arch9wavefront6targetE0EE19radix_bits_per_passE ; @_ZN7rocprim17ROCPRIM_400000_NS16block_radix_sortI6__halfLj32ELj4ElLj1ELj1ELj0ELNS0_26block_radix_rank_algorithmE1ELNS0_18block_padding_hintE2ELNS0_4arch9wavefront6targetE0EE19radix_bits_per_passE
	.type	_ZN7rocprim17ROCPRIM_400000_NS16block_radix_sortI6__halfLj32ELj4ElLj1ELj1ELj0ELNS0_26block_radix_rank_algorithmE1ELNS0_18block_padding_hintE2ELNS0_4arch9wavefront6targetE0EE19radix_bits_per_passE,@object
	.section	.rodata._ZN7rocprim17ROCPRIM_400000_NS16block_radix_sortI6__halfLj32ELj4ElLj1ELj1ELj0ELNS0_26block_radix_rank_algorithmE1ELNS0_18block_padding_hintE2ELNS0_4arch9wavefront6targetE0EE19radix_bits_per_passE,"aG",@progbits,_ZN7rocprim17ROCPRIM_400000_NS16block_radix_sortI6__halfLj32ELj4ElLj1ELj1ELj0ELNS0_26block_radix_rank_algorithmE1ELNS0_18block_padding_hintE2ELNS0_4arch9wavefront6targetE0EE19radix_bits_per_passE,comdat
	.weak	_ZN7rocprim17ROCPRIM_400000_NS16block_radix_sortI6__halfLj32ELj4ElLj1ELj1ELj0ELNS0_26block_radix_rank_algorithmE1ELNS0_18block_padding_hintE2ELNS0_4arch9wavefront6targetE0EE19radix_bits_per_passE
	.p2align	2, 0x0
_ZN7rocprim17ROCPRIM_400000_NS16block_radix_sortI6__halfLj32ELj4ElLj1ELj1ELj0ELNS0_26block_radix_rank_algorithmE1ELNS0_18block_padding_hintE2ELNS0_4arch9wavefront6targetE0EE19radix_bits_per_passE:
	.long	8                               ; 0x8
	.size	_ZN7rocprim17ROCPRIM_400000_NS16block_radix_sortI6__halfLj32ELj4ElLj1ELj1ELj0ELNS0_26block_radix_rank_algorithmE1ELNS0_18block_padding_hintE2ELNS0_4arch9wavefront6targetE0EE19radix_bits_per_passE, 4

	.protected	_ZN7rocprim17ROCPRIM_400000_NS16block_radix_sortI6__halfLj16ELj2ElLj1ELj1ELj0ELNS0_26block_radix_rank_algorithmE1ELNS0_18block_padding_hintE2ELNS0_4arch9wavefront6targetE0EE19radix_bits_per_passE ; @_ZN7rocprim17ROCPRIM_400000_NS16block_radix_sortI6__halfLj16ELj2ElLj1ELj1ELj0ELNS0_26block_radix_rank_algorithmE1ELNS0_18block_padding_hintE2ELNS0_4arch9wavefront6targetE0EE19radix_bits_per_passE
	.type	_ZN7rocprim17ROCPRIM_400000_NS16block_radix_sortI6__halfLj16ELj2ElLj1ELj1ELj0ELNS0_26block_radix_rank_algorithmE1ELNS0_18block_padding_hintE2ELNS0_4arch9wavefront6targetE0EE19radix_bits_per_passE,@object
	.section	.rodata._ZN7rocprim17ROCPRIM_400000_NS16block_radix_sortI6__halfLj16ELj2ElLj1ELj1ELj0ELNS0_26block_radix_rank_algorithmE1ELNS0_18block_padding_hintE2ELNS0_4arch9wavefront6targetE0EE19radix_bits_per_passE,"aG",@progbits,_ZN7rocprim17ROCPRIM_400000_NS16block_radix_sortI6__halfLj16ELj2ElLj1ELj1ELj0ELNS0_26block_radix_rank_algorithmE1ELNS0_18block_padding_hintE2ELNS0_4arch9wavefront6targetE0EE19radix_bits_per_passE,comdat
	.weak	_ZN7rocprim17ROCPRIM_400000_NS16block_radix_sortI6__halfLj16ELj2ElLj1ELj1ELj0ELNS0_26block_radix_rank_algorithmE1ELNS0_18block_padding_hintE2ELNS0_4arch9wavefront6targetE0EE19radix_bits_per_passE
	.p2align	2, 0x0
_ZN7rocprim17ROCPRIM_400000_NS16block_radix_sortI6__halfLj16ELj2ElLj1ELj1ELj0ELNS0_26block_radix_rank_algorithmE1ELNS0_18block_padding_hintE2ELNS0_4arch9wavefront6targetE0EE19radix_bits_per_passE:
	.long	4                               ; 0x4
	.size	_ZN7rocprim17ROCPRIM_400000_NS16block_radix_sortI6__halfLj16ELj2ElLj1ELj1ELj0ELNS0_26block_radix_rank_algorithmE1ELNS0_18block_padding_hintE2ELNS0_4arch9wavefront6targetE0EE19radix_bits_per_passE, 4

	.protected	_ZN7rocprim17ROCPRIM_400000_NS16block_radix_sortI12hip_bfloat16Lj512ELj8ElLj1ELj1ELj0ELNS0_26block_radix_rank_algorithmE1ELNS0_18block_padding_hintE2ELNS0_4arch9wavefront6targetE0EE19radix_bits_per_passE ; @_ZN7rocprim17ROCPRIM_400000_NS16block_radix_sortI12hip_bfloat16Lj512ELj8ElLj1ELj1ELj0ELNS0_26block_radix_rank_algorithmE1ELNS0_18block_padding_hintE2ELNS0_4arch9wavefront6targetE0EE19radix_bits_per_passE
	.type	_ZN7rocprim17ROCPRIM_400000_NS16block_radix_sortI12hip_bfloat16Lj512ELj8ElLj1ELj1ELj0ELNS0_26block_radix_rank_algorithmE1ELNS0_18block_padding_hintE2ELNS0_4arch9wavefront6targetE0EE19radix_bits_per_passE,@object
	.section	.rodata._ZN7rocprim17ROCPRIM_400000_NS16block_radix_sortI12hip_bfloat16Lj512ELj8ElLj1ELj1ELj0ELNS0_26block_radix_rank_algorithmE1ELNS0_18block_padding_hintE2ELNS0_4arch9wavefront6targetE0EE19radix_bits_per_passE,"aG",@progbits,_ZN7rocprim17ROCPRIM_400000_NS16block_radix_sortI12hip_bfloat16Lj512ELj8ElLj1ELj1ELj0ELNS0_26block_radix_rank_algorithmE1ELNS0_18block_padding_hintE2ELNS0_4arch9wavefront6targetE0EE19radix_bits_per_passE,comdat
	.weak	_ZN7rocprim17ROCPRIM_400000_NS16block_radix_sortI12hip_bfloat16Lj512ELj8ElLj1ELj1ELj0ELNS0_26block_radix_rank_algorithmE1ELNS0_18block_padding_hintE2ELNS0_4arch9wavefront6targetE0EE19radix_bits_per_passE
	.p2align	2, 0x0
_ZN7rocprim17ROCPRIM_400000_NS16block_radix_sortI12hip_bfloat16Lj512ELj8ElLj1ELj1ELj0ELNS0_26block_radix_rank_algorithmE1ELNS0_18block_padding_hintE2ELNS0_4arch9wavefront6targetE0EE19radix_bits_per_passE:
	.long	8                               ; 0x8
	.size	_ZN7rocprim17ROCPRIM_400000_NS16block_radix_sortI12hip_bfloat16Lj512ELj8ElLj1ELj1ELj0ELNS0_26block_radix_rank_algorithmE1ELNS0_18block_padding_hintE2ELNS0_4arch9wavefront6targetE0EE19radix_bits_per_passE, 4

	.protected	_ZN7rocprim17ROCPRIM_400000_NS16block_radix_sortI12hip_bfloat16Lj256ELj8ElLj1ELj1ELj0ELNS0_26block_radix_rank_algorithmE1ELNS0_18block_padding_hintE2ELNS0_4arch9wavefront6targetE0EE19radix_bits_per_passE ; @_ZN7rocprim17ROCPRIM_400000_NS16block_radix_sortI12hip_bfloat16Lj256ELj8ElLj1ELj1ELj0ELNS0_26block_radix_rank_algorithmE1ELNS0_18block_padding_hintE2ELNS0_4arch9wavefront6targetE0EE19radix_bits_per_passE
	.type	_ZN7rocprim17ROCPRIM_400000_NS16block_radix_sortI12hip_bfloat16Lj256ELj8ElLj1ELj1ELj0ELNS0_26block_radix_rank_algorithmE1ELNS0_18block_padding_hintE2ELNS0_4arch9wavefront6targetE0EE19radix_bits_per_passE,@object
	.section	.rodata._ZN7rocprim17ROCPRIM_400000_NS16block_radix_sortI12hip_bfloat16Lj256ELj8ElLj1ELj1ELj0ELNS0_26block_radix_rank_algorithmE1ELNS0_18block_padding_hintE2ELNS0_4arch9wavefront6targetE0EE19radix_bits_per_passE,"aG",@progbits,_ZN7rocprim17ROCPRIM_400000_NS16block_radix_sortI12hip_bfloat16Lj256ELj8ElLj1ELj1ELj0ELNS0_26block_radix_rank_algorithmE1ELNS0_18block_padding_hintE2ELNS0_4arch9wavefront6targetE0EE19radix_bits_per_passE,comdat
	.weak	_ZN7rocprim17ROCPRIM_400000_NS16block_radix_sortI12hip_bfloat16Lj256ELj8ElLj1ELj1ELj0ELNS0_26block_radix_rank_algorithmE1ELNS0_18block_padding_hintE2ELNS0_4arch9wavefront6targetE0EE19radix_bits_per_passE
	.p2align	2, 0x0
_ZN7rocprim17ROCPRIM_400000_NS16block_radix_sortI12hip_bfloat16Lj256ELj8ElLj1ELj1ELj0ELNS0_26block_radix_rank_algorithmE1ELNS0_18block_padding_hintE2ELNS0_4arch9wavefront6targetE0EE19radix_bits_per_passE:
	.long	8                               ; 0x8
	.size	_ZN7rocprim17ROCPRIM_400000_NS16block_radix_sortI12hip_bfloat16Lj256ELj8ElLj1ELj1ELj0ELNS0_26block_radix_rank_algorithmE1ELNS0_18block_padding_hintE2ELNS0_4arch9wavefront6targetE0EE19radix_bits_per_passE, 4

	.protected	_ZN7rocprim17ROCPRIM_400000_NS16block_radix_sortI12hip_bfloat16Lj128ELj8ElLj1ELj1ELj0ELNS0_26block_radix_rank_algorithmE1ELNS0_18block_padding_hintE2ELNS0_4arch9wavefront6targetE0EE19radix_bits_per_passE ; @_ZN7rocprim17ROCPRIM_400000_NS16block_radix_sortI12hip_bfloat16Lj128ELj8ElLj1ELj1ELj0ELNS0_26block_radix_rank_algorithmE1ELNS0_18block_padding_hintE2ELNS0_4arch9wavefront6targetE0EE19radix_bits_per_passE
	.type	_ZN7rocprim17ROCPRIM_400000_NS16block_radix_sortI12hip_bfloat16Lj128ELj8ElLj1ELj1ELj0ELNS0_26block_radix_rank_algorithmE1ELNS0_18block_padding_hintE2ELNS0_4arch9wavefront6targetE0EE19radix_bits_per_passE,@object
	.section	.rodata._ZN7rocprim17ROCPRIM_400000_NS16block_radix_sortI12hip_bfloat16Lj128ELj8ElLj1ELj1ELj0ELNS0_26block_radix_rank_algorithmE1ELNS0_18block_padding_hintE2ELNS0_4arch9wavefront6targetE0EE19radix_bits_per_passE,"aG",@progbits,_ZN7rocprim17ROCPRIM_400000_NS16block_radix_sortI12hip_bfloat16Lj128ELj8ElLj1ELj1ELj0ELNS0_26block_radix_rank_algorithmE1ELNS0_18block_padding_hintE2ELNS0_4arch9wavefront6targetE0EE19radix_bits_per_passE,comdat
	.weak	_ZN7rocprim17ROCPRIM_400000_NS16block_radix_sortI12hip_bfloat16Lj128ELj8ElLj1ELj1ELj0ELNS0_26block_radix_rank_algorithmE1ELNS0_18block_padding_hintE2ELNS0_4arch9wavefront6targetE0EE19radix_bits_per_passE
	.p2align	2, 0x0
_ZN7rocprim17ROCPRIM_400000_NS16block_radix_sortI12hip_bfloat16Lj128ELj8ElLj1ELj1ELj0ELNS0_26block_radix_rank_algorithmE1ELNS0_18block_padding_hintE2ELNS0_4arch9wavefront6targetE0EE19radix_bits_per_passE:
	.long	8                               ; 0x8
	.size	_ZN7rocprim17ROCPRIM_400000_NS16block_radix_sortI12hip_bfloat16Lj128ELj8ElLj1ELj1ELj0ELNS0_26block_radix_rank_algorithmE1ELNS0_18block_padding_hintE2ELNS0_4arch9wavefront6targetE0EE19radix_bits_per_passE, 4

	.protected	_ZN7rocprim17ROCPRIM_400000_NS16block_radix_sortI12hip_bfloat16Lj32ELj4ElLj1ELj1ELj0ELNS0_26block_radix_rank_algorithmE1ELNS0_18block_padding_hintE2ELNS0_4arch9wavefront6targetE0EE19radix_bits_per_passE ; @_ZN7rocprim17ROCPRIM_400000_NS16block_radix_sortI12hip_bfloat16Lj32ELj4ElLj1ELj1ELj0ELNS0_26block_radix_rank_algorithmE1ELNS0_18block_padding_hintE2ELNS0_4arch9wavefront6targetE0EE19radix_bits_per_passE
	.type	_ZN7rocprim17ROCPRIM_400000_NS16block_radix_sortI12hip_bfloat16Lj32ELj4ElLj1ELj1ELj0ELNS0_26block_radix_rank_algorithmE1ELNS0_18block_padding_hintE2ELNS0_4arch9wavefront6targetE0EE19radix_bits_per_passE,@object
	.section	.rodata._ZN7rocprim17ROCPRIM_400000_NS16block_radix_sortI12hip_bfloat16Lj32ELj4ElLj1ELj1ELj0ELNS0_26block_radix_rank_algorithmE1ELNS0_18block_padding_hintE2ELNS0_4arch9wavefront6targetE0EE19radix_bits_per_passE,"aG",@progbits,_ZN7rocprim17ROCPRIM_400000_NS16block_radix_sortI12hip_bfloat16Lj32ELj4ElLj1ELj1ELj0ELNS0_26block_radix_rank_algorithmE1ELNS0_18block_padding_hintE2ELNS0_4arch9wavefront6targetE0EE19radix_bits_per_passE,comdat
	.weak	_ZN7rocprim17ROCPRIM_400000_NS16block_radix_sortI12hip_bfloat16Lj32ELj4ElLj1ELj1ELj0ELNS0_26block_radix_rank_algorithmE1ELNS0_18block_padding_hintE2ELNS0_4arch9wavefront6targetE0EE19radix_bits_per_passE
	.p2align	2, 0x0
_ZN7rocprim17ROCPRIM_400000_NS16block_radix_sortI12hip_bfloat16Lj32ELj4ElLj1ELj1ELj0ELNS0_26block_radix_rank_algorithmE1ELNS0_18block_padding_hintE2ELNS0_4arch9wavefront6targetE0EE19radix_bits_per_passE:
	.long	8                               ; 0x8
	.size	_ZN7rocprim17ROCPRIM_400000_NS16block_radix_sortI12hip_bfloat16Lj32ELj4ElLj1ELj1ELj0ELNS0_26block_radix_rank_algorithmE1ELNS0_18block_padding_hintE2ELNS0_4arch9wavefront6targetE0EE19radix_bits_per_passE, 4

	.protected	_ZN7rocprim17ROCPRIM_400000_NS16block_radix_sortI12hip_bfloat16Lj16ELj2ElLj1ELj1ELj0ELNS0_26block_radix_rank_algorithmE1ELNS0_18block_padding_hintE2ELNS0_4arch9wavefront6targetE0EE19radix_bits_per_passE ; @_ZN7rocprim17ROCPRIM_400000_NS16block_radix_sortI12hip_bfloat16Lj16ELj2ElLj1ELj1ELj0ELNS0_26block_radix_rank_algorithmE1ELNS0_18block_padding_hintE2ELNS0_4arch9wavefront6targetE0EE19radix_bits_per_passE
	.type	_ZN7rocprim17ROCPRIM_400000_NS16block_radix_sortI12hip_bfloat16Lj16ELj2ElLj1ELj1ELj0ELNS0_26block_radix_rank_algorithmE1ELNS0_18block_padding_hintE2ELNS0_4arch9wavefront6targetE0EE19radix_bits_per_passE,@object
	.section	.rodata._ZN7rocprim17ROCPRIM_400000_NS16block_radix_sortI12hip_bfloat16Lj16ELj2ElLj1ELj1ELj0ELNS0_26block_radix_rank_algorithmE1ELNS0_18block_padding_hintE2ELNS0_4arch9wavefront6targetE0EE19radix_bits_per_passE,"aG",@progbits,_ZN7rocprim17ROCPRIM_400000_NS16block_radix_sortI12hip_bfloat16Lj16ELj2ElLj1ELj1ELj0ELNS0_26block_radix_rank_algorithmE1ELNS0_18block_padding_hintE2ELNS0_4arch9wavefront6targetE0EE19radix_bits_per_passE,comdat
	.weak	_ZN7rocprim17ROCPRIM_400000_NS16block_radix_sortI12hip_bfloat16Lj16ELj2ElLj1ELj1ELj0ELNS0_26block_radix_rank_algorithmE1ELNS0_18block_padding_hintE2ELNS0_4arch9wavefront6targetE0EE19radix_bits_per_passE
	.p2align	2, 0x0
_ZN7rocprim17ROCPRIM_400000_NS16block_radix_sortI12hip_bfloat16Lj16ELj2ElLj1ELj1ELj0ELNS0_26block_radix_rank_algorithmE1ELNS0_18block_padding_hintE2ELNS0_4arch9wavefront6targetE0EE19radix_bits_per_passE:
	.long	4                               ; 0x4
	.size	_ZN7rocprim17ROCPRIM_400000_NS16block_radix_sortI12hip_bfloat16Lj16ELj2ElLj1ELj1ELj0ELNS0_26block_radix_rank_algorithmE1ELNS0_18block_padding_hintE2ELNS0_4arch9wavefront6targetE0EE19radix_bits_per_passE, 4

	.protected	_ZN7rocprim17ROCPRIM_400000_NS16block_radix_sortIbLj512ELj8ElLj1ELj1ELj0ELNS0_26block_radix_rank_algorithmE1ELNS0_18block_padding_hintE2ELNS0_4arch9wavefront6targetE0EE19radix_bits_per_passE ; @_ZN7rocprim17ROCPRIM_400000_NS16block_radix_sortIbLj512ELj8ElLj1ELj1ELj0ELNS0_26block_radix_rank_algorithmE1ELNS0_18block_padding_hintE2ELNS0_4arch9wavefront6targetE0EE19radix_bits_per_passE
	.type	_ZN7rocprim17ROCPRIM_400000_NS16block_radix_sortIbLj512ELj8ElLj1ELj1ELj0ELNS0_26block_radix_rank_algorithmE1ELNS0_18block_padding_hintE2ELNS0_4arch9wavefront6targetE0EE19radix_bits_per_passE,@object
	.section	.rodata._ZN7rocprim17ROCPRIM_400000_NS16block_radix_sortIbLj512ELj8ElLj1ELj1ELj0ELNS0_26block_radix_rank_algorithmE1ELNS0_18block_padding_hintE2ELNS0_4arch9wavefront6targetE0EE19radix_bits_per_passE,"aG",@progbits,_ZN7rocprim17ROCPRIM_400000_NS16block_radix_sortIbLj512ELj8ElLj1ELj1ELj0ELNS0_26block_radix_rank_algorithmE1ELNS0_18block_padding_hintE2ELNS0_4arch9wavefront6targetE0EE19radix_bits_per_passE,comdat
	.weak	_ZN7rocprim17ROCPRIM_400000_NS16block_radix_sortIbLj512ELj8ElLj1ELj1ELj0ELNS0_26block_radix_rank_algorithmE1ELNS0_18block_padding_hintE2ELNS0_4arch9wavefront6targetE0EE19radix_bits_per_passE
	.p2align	2, 0x0
_ZN7rocprim17ROCPRIM_400000_NS16block_radix_sortIbLj512ELj8ElLj1ELj1ELj0ELNS0_26block_radix_rank_algorithmE1ELNS0_18block_padding_hintE2ELNS0_4arch9wavefront6targetE0EE19radix_bits_per_passE:
	.long	8                               ; 0x8
	.size	_ZN7rocprim17ROCPRIM_400000_NS16block_radix_sortIbLj512ELj8ElLj1ELj1ELj0ELNS0_26block_radix_rank_algorithmE1ELNS0_18block_padding_hintE2ELNS0_4arch9wavefront6targetE0EE19radix_bits_per_passE, 4

	.protected	_ZN7rocprim17ROCPRIM_400000_NS16block_radix_sortIbLj256ELj8ElLj1ELj1ELj0ELNS0_26block_radix_rank_algorithmE1ELNS0_18block_padding_hintE2ELNS0_4arch9wavefront6targetE0EE19radix_bits_per_passE ; @_ZN7rocprim17ROCPRIM_400000_NS16block_radix_sortIbLj256ELj8ElLj1ELj1ELj0ELNS0_26block_radix_rank_algorithmE1ELNS0_18block_padding_hintE2ELNS0_4arch9wavefront6targetE0EE19radix_bits_per_passE
	.type	_ZN7rocprim17ROCPRIM_400000_NS16block_radix_sortIbLj256ELj8ElLj1ELj1ELj0ELNS0_26block_radix_rank_algorithmE1ELNS0_18block_padding_hintE2ELNS0_4arch9wavefront6targetE0EE19radix_bits_per_passE,@object
	.section	.rodata._ZN7rocprim17ROCPRIM_400000_NS16block_radix_sortIbLj256ELj8ElLj1ELj1ELj0ELNS0_26block_radix_rank_algorithmE1ELNS0_18block_padding_hintE2ELNS0_4arch9wavefront6targetE0EE19radix_bits_per_passE,"aG",@progbits,_ZN7rocprim17ROCPRIM_400000_NS16block_radix_sortIbLj256ELj8ElLj1ELj1ELj0ELNS0_26block_radix_rank_algorithmE1ELNS0_18block_padding_hintE2ELNS0_4arch9wavefront6targetE0EE19radix_bits_per_passE,comdat
	.weak	_ZN7rocprim17ROCPRIM_400000_NS16block_radix_sortIbLj256ELj8ElLj1ELj1ELj0ELNS0_26block_radix_rank_algorithmE1ELNS0_18block_padding_hintE2ELNS0_4arch9wavefront6targetE0EE19radix_bits_per_passE
	.p2align	2, 0x0
_ZN7rocprim17ROCPRIM_400000_NS16block_radix_sortIbLj256ELj8ElLj1ELj1ELj0ELNS0_26block_radix_rank_algorithmE1ELNS0_18block_padding_hintE2ELNS0_4arch9wavefront6targetE0EE19radix_bits_per_passE:
	.long	8                               ; 0x8
	.size	_ZN7rocprim17ROCPRIM_400000_NS16block_radix_sortIbLj256ELj8ElLj1ELj1ELj0ELNS0_26block_radix_rank_algorithmE1ELNS0_18block_padding_hintE2ELNS0_4arch9wavefront6targetE0EE19radix_bits_per_passE, 4

	.protected	_ZN7rocprim17ROCPRIM_400000_NS16block_radix_sortIbLj128ELj8ElLj1ELj1ELj0ELNS0_26block_radix_rank_algorithmE1ELNS0_18block_padding_hintE2ELNS0_4arch9wavefront6targetE0EE19radix_bits_per_passE ; @_ZN7rocprim17ROCPRIM_400000_NS16block_radix_sortIbLj128ELj8ElLj1ELj1ELj0ELNS0_26block_radix_rank_algorithmE1ELNS0_18block_padding_hintE2ELNS0_4arch9wavefront6targetE0EE19radix_bits_per_passE
	.type	_ZN7rocprim17ROCPRIM_400000_NS16block_radix_sortIbLj128ELj8ElLj1ELj1ELj0ELNS0_26block_radix_rank_algorithmE1ELNS0_18block_padding_hintE2ELNS0_4arch9wavefront6targetE0EE19radix_bits_per_passE,@object
	.section	.rodata._ZN7rocprim17ROCPRIM_400000_NS16block_radix_sortIbLj128ELj8ElLj1ELj1ELj0ELNS0_26block_radix_rank_algorithmE1ELNS0_18block_padding_hintE2ELNS0_4arch9wavefront6targetE0EE19radix_bits_per_passE,"aG",@progbits,_ZN7rocprim17ROCPRIM_400000_NS16block_radix_sortIbLj128ELj8ElLj1ELj1ELj0ELNS0_26block_radix_rank_algorithmE1ELNS0_18block_padding_hintE2ELNS0_4arch9wavefront6targetE0EE19radix_bits_per_passE,comdat
	.weak	_ZN7rocprim17ROCPRIM_400000_NS16block_radix_sortIbLj128ELj8ElLj1ELj1ELj0ELNS0_26block_radix_rank_algorithmE1ELNS0_18block_padding_hintE2ELNS0_4arch9wavefront6targetE0EE19radix_bits_per_passE
	.p2align	2, 0x0
_ZN7rocprim17ROCPRIM_400000_NS16block_radix_sortIbLj128ELj8ElLj1ELj1ELj0ELNS0_26block_radix_rank_algorithmE1ELNS0_18block_padding_hintE2ELNS0_4arch9wavefront6targetE0EE19radix_bits_per_passE:
	.long	8                               ; 0x8
	.size	_ZN7rocprim17ROCPRIM_400000_NS16block_radix_sortIbLj128ELj8ElLj1ELj1ELj0ELNS0_26block_radix_rank_algorithmE1ELNS0_18block_padding_hintE2ELNS0_4arch9wavefront6targetE0EE19radix_bits_per_passE, 4

	.protected	_ZN7rocprim17ROCPRIM_400000_NS16block_radix_sortIbLj32ELj4ElLj1ELj1ELj0ELNS0_26block_radix_rank_algorithmE1ELNS0_18block_padding_hintE2ELNS0_4arch9wavefront6targetE0EE19radix_bits_per_passE ; @_ZN7rocprim17ROCPRIM_400000_NS16block_radix_sortIbLj32ELj4ElLj1ELj1ELj0ELNS0_26block_radix_rank_algorithmE1ELNS0_18block_padding_hintE2ELNS0_4arch9wavefront6targetE0EE19radix_bits_per_passE
	.type	_ZN7rocprim17ROCPRIM_400000_NS16block_radix_sortIbLj32ELj4ElLj1ELj1ELj0ELNS0_26block_radix_rank_algorithmE1ELNS0_18block_padding_hintE2ELNS0_4arch9wavefront6targetE0EE19radix_bits_per_passE,@object
	.section	.rodata._ZN7rocprim17ROCPRIM_400000_NS16block_radix_sortIbLj32ELj4ElLj1ELj1ELj0ELNS0_26block_radix_rank_algorithmE1ELNS0_18block_padding_hintE2ELNS0_4arch9wavefront6targetE0EE19radix_bits_per_passE,"aG",@progbits,_ZN7rocprim17ROCPRIM_400000_NS16block_radix_sortIbLj32ELj4ElLj1ELj1ELj0ELNS0_26block_radix_rank_algorithmE1ELNS0_18block_padding_hintE2ELNS0_4arch9wavefront6targetE0EE19radix_bits_per_passE,comdat
	.weak	_ZN7rocprim17ROCPRIM_400000_NS16block_radix_sortIbLj32ELj4ElLj1ELj1ELj0ELNS0_26block_radix_rank_algorithmE1ELNS0_18block_padding_hintE2ELNS0_4arch9wavefront6targetE0EE19radix_bits_per_passE
	.p2align	2, 0x0
_ZN7rocprim17ROCPRIM_400000_NS16block_radix_sortIbLj32ELj4ElLj1ELj1ELj0ELNS0_26block_radix_rank_algorithmE1ELNS0_18block_padding_hintE2ELNS0_4arch9wavefront6targetE0EE19radix_bits_per_passE:
	.long	8                               ; 0x8
	.size	_ZN7rocprim17ROCPRIM_400000_NS16block_radix_sortIbLj32ELj4ElLj1ELj1ELj0ELNS0_26block_radix_rank_algorithmE1ELNS0_18block_padding_hintE2ELNS0_4arch9wavefront6targetE0EE19radix_bits_per_passE, 4

	.protected	_ZN7rocprim17ROCPRIM_400000_NS16block_radix_sortIbLj16ELj2ElLj1ELj1ELj0ELNS0_26block_radix_rank_algorithmE1ELNS0_18block_padding_hintE2ELNS0_4arch9wavefront6targetE0EE19radix_bits_per_passE ; @_ZN7rocprim17ROCPRIM_400000_NS16block_radix_sortIbLj16ELj2ElLj1ELj1ELj0ELNS0_26block_radix_rank_algorithmE1ELNS0_18block_padding_hintE2ELNS0_4arch9wavefront6targetE0EE19radix_bits_per_passE
	.type	_ZN7rocprim17ROCPRIM_400000_NS16block_radix_sortIbLj16ELj2ElLj1ELj1ELj0ELNS0_26block_radix_rank_algorithmE1ELNS0_18block_padding_hintE2ELNS0_4arch9wavefront6targetE0EE19radix_bits_per_passE,@object
	.section	.rodata._ZN7rocprim17ROCPRIM_400000_NS16block_radix_sortIbLj16ELj2ElLj1ELj1ELj0ELNS0_26block_radix_rank_algorithmE1ELNS0_18block_padding_hintE2ELNS0_4arch9wavefront6targetE0EE19radix_bits_per_passE,"aG",@progbits,_ZN7rocprim17ROCPRIM_400000_NS16block_radix_sortIbLj16ELj2ElLj1ELj1ELj0ELNS0_26block_radix_rank_algorithmE1ELNS0_18block_padding_hintE2ELNS0_4arch9wavefront6targetE0EE19radix_bits_per_passE,comdat
	.weak	_ZN7rocprim17ROCPRIM_400000_NS16block_radix_sortIbLj16ELj2ElLj1ELj1ELj0ELNS0_26block_radix_rank_algorithmE1ELNS0_18block_padding_hintE2ELNS0_4arch9wavefront6targetE0EE19radix_bits_per_passE
	.p2align	2, 0x0
_ZN7rocprim17ROCPRIM_400000_NS16block_radix_sortIbLj16ELj2ElLj1ELj1ELj0ELNS0_26block_radix_rank_algorithmE1ELNS0_18block_padding_hintE2ELNS0_4arch9wavefront6targetE0EE19radix_bits_per_passE:
	.long	4                               ; 0x4
	.size	_ZN7rocprim17ROCPRIM_400000_NS16block_radix_sortIbLj16ELj2ElLj1ELj1ELj0ELNS0_26block_radix_rank_algorithmE1ELNS0_18block_padding_hintE2ELNS0_4arch9wavefront6targetE0EE19radix_bits_per_passE, 4

	.type	__hip_cuid_7d95c410f186321c,@object ; @__hip_cuid_7d95c410f186321c
	.section	.bss,"aw",@nobits
	.globl	__hip_cuid_7d95c410f186321c
__hip_cuid_7d95c410f186321c:
	.byte	0                               ; 0x0
	.size	__hip_cuid_7d95c410f186321c, 1

	.ident	"AMD clang version 22.0.0git (https://github.com/RadeonOpenCompute/llvm-project roc-7.2.4 26084 f58b06dce1f9c15707c5f808fd002e18c2accf7e)"
	.section	".note.GNU-stack","",@progbits
	.addrsig
	.addrsig_sym __hip_cuid_7d95c410f186321c
	.amdgpu_metadata
---
amdhsa.kernels:
  - .args:
      - .offset:         0
        .size:           216
        .value_kind:     by_value
      - .offset:         216
        .size:           4
        .value_kind:     by_value
      - .offset:         220
        .size:           4
        .value_kind:     by_value
      - .offset:         224
        .size:           4
        .value_kind:     by_value
      - .offset:         232
        .size:           216
        .value_kind:     by_value
      - .offset:         448
        .size:           4
        .value_kind:     by_value
      - .offset:         452
        .size:           1
        .value_kind:     by_value
      - .offset:         456
        .size:           4
        .value_kind:     hidden_block_count_x
      - .offset:         460
        .size:           4
        .value_kind:     hidden_block_count_y
      - .offset:         464
        .size:           4
        .value_kind:     hidden_block_count_z
      - .offset:         468
        .size:           2
        .value_kind:     hidden_group_size_x
      - .offset:         470
        .size:           2
        .value_kind:     hidden_group_size_y
      - .offset:         472
        .size:           2
        .value_kind:     hidden_group_size_z
      - .offset:         474
        .size:           2
        .value_kind:     hidden_remainder_x
      - .offset:         476
        .size:           2
        .value_kind:     hidden_remainder_y
      - .offset:         478
        .size:           2
        .value_kind:     hidden_remainder_z
      - .offset:         496
        .size:           8
        .value_kind:     hidden_global_offset_x
      - .offset:         504
        .size:           8
        .value_kind:     hidden_global_offset_y
      - .offset:         512
        .size:           8
        .value_kind:     hidden_global_offset_z
      - .offset:         520
        .size:           2
        .value_kind:     hidden_grid_dims
    .group_segment_fixed_size: 5120
    .kernarg_segment_align: 8
    .kernarg_segment_size: 712
    .language:       OpenCL C
    .language_version:
      - 2
      - 0
    .max_flat_workgroup_size: 256
    .name:           _ZN2at6native20bitonicSortKVInPlaceILin2ELin1ELi16ELi16EhlNS0_4LTOpIhLb1EEEjEEvNS_4cuda6detail10TensorInfoIT3_T6_EES8_S8_S8_NS6_IT4_S8_EES8_T5_
    .private_segment_fixed_size: 0
    .sgpr_count:     18
    .sgpr_spill_count: 0
    .symbol:         _ZN2at6native20bitonicSortKVInPlaceILin2ELin1ELi16ELi16EhlNS0_4LTOpIhLb1EEEjEEvNS_4cuda6detail10TensorInfoIT3_T6_EES8_S8_S8_NS6_IT4_S8_EES8_T5_.kd
    .uniform_work_group_size: 1
    .uses_dynamic_stack: false
    .vgpr_count:     34
    .vgpr_spill_count: 0
    .wavefront_size: 32
    .workgroup_processor_mode: 1
  - .args:
      - .offset:         0
        .size:           216
        .value_kind:     by_value
      - .offset:         216
        .size:           4
        .value_kind:     by_value
      - .offset:         220
        .size:           4
        .value_kind:     by_value
      - .offset:         224
        .size:           4
        .value_kind:     by_value
      - .offset:         232
        .size:           216
        .value_kind:     by_value
      - .offset:         448
        .size:           4
        .value_kind:     by_value
      - .offset:         452
        .size:           1
        .value_kind:     by_value
      - .offset:         456
        .size:           4
        .value_kind:     hidden_block_count_x
      - .offset:         460
        .size:           4
        .value_kind:     hidden_block_count_y
      - .offset:         464
        .size:           4
        .value_kind:     hidden_block_count_z
      - .offset:         468
        .size:           2
        .value_kind:     hidden_group_size_x
      - .offset:         470
        .size:           2
        .value_kind:     hidden_group_size_y
      - .offset:         472
        .size:           2
        .value_kind:     hidden_group_size_z
      - .offset:         474
        .size:           2
        .value_kind:     hidden_remainder_x
      - .offset:         476
        .size:           2
        .value_kind:     hidden_remainder_y
      - .offset:         478
        .size:           2
        .value_kind:     hidden_remainder_z
      - .offset:         496
        .size:           8
        .value_kind:     hidden_global_offset_x
      - .offset:         504
        .size:           8
        .value_kind:     hidden_global_offset_y
      - .offset:         512
        .size:           8
        .value_kind:     hidden_global_offset_z
      - .offset:         520
        .size:           2
        .value_kind:     hidden_grid_dims
    .group_segment_fixed_size: 5120
    .kernarg_segment_align: 8
    .kernarg_segment_size: 712
    .language:       OpenCL C
    .language_version:
      - 2
      - 0
    .max_flat_workgroup_size: 256
    .name:           _ZN2at6native20bitonicSortKVInPlaceILin2ELin1ELi16ELi16EhlNS0_4GTOpIhLb1EEEjEEvNS_4cuda6detail10TensorInfoIT3_T6_EES8_S8_S8_NS6_IT4_S8_EES8_T5_
    .private_segment_fixed_size: 0
    .sgpr_count:     18
    .sgpr_spill_count: 0
    .symbol:         _ZN2at6native20bitonicSortKVInPlaceILin2ELin1ELi16ELi16EhlNS0_4GTOpIhLb1EEEjEEvNS_4cuda6detail10TensorInfoIT3_T6_EES8_S8_S8_NS6_IT4_S8_EES8_T5_.kd
    .uniform_work_group_size: 1
    .uses_dynamic_stack: false
    .vgpr_count:     34
    .vgpr_spill_count: 0
    .wavefront_size: 32
    .workgroup_processor_mode: 1
  - .args:
      - .offset:         0
        .size:           216
        .value_kind:     by_value
      - .offset:         216
        .size:           4
        .value_kind:     by_value
      - .offset:         220
        .size:           4
        .value_kind:     by_value
      - .offset:         224
        .size:           4
        .value_kind:     by_value
      - .offset:         232
        .size:           216
        .value_kind:     by_value
      - .offset:         448
        .size:           4
        .value_kind:     by_value
      - .offset:         452
        .size:           1
        .value_kind:     by_value
      - .offset:         456
        .size:           4
        .value_kind:     hidden_block_count_x
      - .offset:         460
        .size:           4
        .value_kind:     hidden_block_count_y
      - .offset:         464
        .size:           4
        .value_kind:     hidden_block_count_z
      - .offset:         468
        .size:           2
        .value_kind:     hidden_group_size_x
      - .offset:         470
        .size:           2
        .value_kind:     hidden_group_size_y
      - .offset:         472
        .size:           2
        .value_kind:     hidden_group_size_z
      - .offset:         474
        .size:           2
        .value_kind:     hidden_remainder_x
      - .offset:         476
        .size:           2
        .value_kind:     hidden_remainder_y
      - .offset:         478
        .size:           2
        .value_kind:     hidden_remainder_z
      - .offset:         496
        .size:           8
        .value_kind:     hidden_global_offset_x
      - .offset:         504
        .size:           8
        .value_kind:     hidden_global_offset_y
      - .offset:         512
        .size:           8
        .value_kind:     hidden_global_offset_z
      - .offset:         520
        .size:           2
        .value_kind:     hidden_grid_dims
    .group_segment_fixed_size: 5120
    .kernarg_segment_align: 8
    .kernarg_segment_size: 712
    .language:       OpenCL C
    .language_version:
      - 2
      - 0
    .max_flat_workgroup_size: 256
    .name:           _ZN2at6native20bitonicSortKVInPlaceILi2ELin1ELi16ELi16EhlNS0_4LTOpIhLb1EEEjEEvNS_4cuda6detail10TensorInfoIT3_T6_EES8_S8_S8_NS6_IT4_S8_EES8_T5_
    .private_segment_fixed_size: 0
    .sgpr_count:     21
    .sgpr_spill_count: 0
    .symbol:         _ZN2at6native20bitonicSortKVInPlaceILi2ELin1ELi16ELi16EhlNS0_4LTOpIhLb1EEEjEEvNS_4cuda6detail10TensorInfoIT3_T6_EES8_S8_S8_NS6_IT4_S8_EES8_T5_.kd
    .uniform_work_group_size: 1
    .uses_dynamic_stack: false
    .vgpr_count:     34
    .vgpr_spill_count: 0
    .wavefront_size: 32
    .workgroup_processor_mode: 1
  - .args:
      - .offset:         0
        .size:           216
        .value_kind:     by_value
      - .offset:         216
        .size:           4
        .value_kind:     by_value
      - .offset:         220
        .size:           4
        .value_kind:     by_value
      - .offset:         224
        .size:           4
        .value_kind:     by_value
      - .offset:         232
        .size:           216
        .value_kind:     by_value
      - .offset:         448
        .size:           4
        .value_kind:     by_value
      - .offset:         452
        .size:           1
        .value_kind:     by_value
      - .offset:         456
        .size:           4
        .value_kind:     hidden_block_count_x
      - .offset:         460
        .size:           4
        .value_kind:     hidden_block_count_y
      - .offset:         464
        .size:           4
        .value_kind:     hidden_block_count_z
      - .offset:         468
        .size:           2
        .value_kind:     hidden_group_size_x
      - .offset:         470
        .size:           2
        .value_kind:     hidden_group_size_y
      - .offset:         472
        .size:           2
        .value_kind:     hidden_group_size_z
      - .offset:         474
        .size:           2
        .value_kind:     hidden_remainder_x
      - .offset:         476
        .size:           2
        .value_kind:     hidden_remainder_y
      - .offset:         478
        .size:           2
        .value_kind:     hidden_remainder_z
      - .offset:         496
        .size:           8
        .value_kind:     hidden_global_offset_x
      - .offset:         504
        .size:           8
        .value_kind:     hidden_global_offset_y
      - .offset:         512
        .size:           8
        .value_kind:     hidden_global_offset_z
      - .offset:         520
        .size:           2
        .value_kind:     hidden_grid_dims
    .group_segment_fixed_size: 5120
    .kernarg_segment_align: 8
    .kernarg_segment_size: 712
    .language:       OpenCL C
    .language_version:
      - 2
      - 0
    .max_flat_workgroup_size: 256
    .name:           _ZN2at6native20bitonicSortKVInPlaceILi2ELin1ELi16ELi16EhlNS0_4GTOpIhLb1EEEjEEvNS_4cuda6detail10TensorInfoIT3_T6_EES8_S8_S8_NS6_IT4_S8_EES8_T5_
    .private_segment_fixed_size: 0
    .sgpr_count:     21
    .sgpr_spill_count: 0
    .symbol:         _ZN2at6native20bitonicSortKVInPlaceILi2ELin1ELi16ELi16EhlNS0_4GTOpIhLb1EEEjEEvNS_4cuda6detail10TensorInfoIT3_T6_EES8_S8_S8_NS6_IT4_S8_EES8_T5_.kd
    .uniform_work_group_size: 1
    .uses_dynamic_stack: false
    .vgpr_count:     34
    .vgpr_spill_count: 0
    .wavefront_size: 32
    .workgroup_processor_mode: 1
  - .args:
      - .offset:         0
        .size:           216
        .value_kind:     by_value
      - .offset:         216
        .size:           4
        .value_kind:     by_value
      - .offset:         220
        .size:           4
        .value_kind:     by_value
      - .offset:         224
        .size:           4
        .value_kind:     by_value
      - .offset:         232
        .size:           216
        .value_kind:     by_value
      - .offset:         448
        .size:           4
        .value_kind:     by_value
      - .offset:         452
        .size:           1
        .value_kind:     by_value
      - .offset:         456
        .size:           4
        .value_kind:     hidden_block_count_x
      - .offset:         460
        .size:           4
        .value_kind:     hidden_block_count_y
      - .offset:         464
        .size:           4
        .value_kind:     hidden_block_count_z
      - .offset:         468
        .size:           2
        .value_kind:     hidden_group_size_x
      - .offset:         470
        .size:           2
        .value_kind:     hidden_group_size_y
      - .offset:         472
        .size:           2
        .value_kind:     hidden_group_size_z
      - .offset:         474
        .size:           2
        .value_kind:     hidden_remainder_x
      - .offset:         476
        .size:           2
        .value_kind:     hidden_remainder_y
      - .offset:         478
        .size:           2
        .value_kind:     hidden_remainder_z
      - .offset:         496
        .size:           8
        .value_kind:     hidden_global_offset_x
      - .offset:         504
        .size:           8
        .value_kind:     hidden_global_offset_y
      - .offset:         512
        .size:           8
        .value_kind:     hidden_global_offset_z
      - .offset:         520
        .size:           2
        .value_kind:     hidden_grid_dims
    .group_segment_fixed_size: 5120
    .kernarg_segment_align: 8
    .kernarg_segment_size: 712
    .language:       OpenCL C
    .language_version:
      - 2
      - 0
    .max_flat_workgroup_size: 256
    .name:           _ZN2at6native20bitonicSortKVInPlaceILin1ELin1ELi16ELi16EhlNS0_4LTOpIhLb1EEEjEEvNS_4cuda6detail10TensorInfoIT3_T6_EES8_S8_S8_NS6_IT4_S8_EES8_T5_
    .private_segment_fixed_size: 0
    .sgpr_count:     16
    .sgpr_spill_count: 0
    .symbol:         _ZN2at6native20bitonicSortKVInPlaceILin1ELin1ELi16ELi16EhlNS0_4LTOpIhLb1EEEjEEvNS_4cuda6detail10TensorInfoIT3_T6_EES8_S8_S8_NS6_IT4_S8_EES8_T5_.kd
    .uniform_work_group_size: 1
    .uses_dynamic_stack: false
    .vgpr_count:     34
    .vgpr_spill_count: 0
    .wavefront_size: 32
    .workgroup_processor_mode: 1
  - .args:
      - .offset:         0
        .size:           216
        .value_kind:     by_value
      - .offset:         216
        .size:           4
        .value_kind:     by_value
      - .offset:         220
        .size:           4
        .value_kind:     by_value
      - .offset:         224
        .size:           4
        .value_kind:     by_value
      - .offset:         232
        .size:           216
        .value_kind:     by_value
      - .offset:         448
        .size:           4
        .value_kind:     by_value
      - .offset:         452
        .size:           1
        .value_kind:     by_value
      - .offset:         456
        .size:           4
        .value_kind:     hidden_block_count_x
      - .offset:         460
        .size:           4
        .value_kind:     hidden_block_count_y
      - .offset:         464
        .size:           4
        .value_kind:     hidden_block_count_z
      - .offset:         468
        .size:           2
        .value_kind:     hidden_group_size_x
      - .offset:         470
        .size:           2
        .value_kind:     hidden_group_size_y
      - .offset:         472
        .size:           2
        .value_kind:     hidden_group_size_z
      - .offset:         474
        .size:           2
        .value_kind:     hidden_remainder_x
      - .offset:         476
        .size:           2
        .value_kind:     hidden_remainder_y
      - .offset:         478
        .size:           2
        .value_kind:     hidden_remainder_z
      - .offset:         496
        .size:           8
        .value_kind:     hidden_global_offset_x
      - .offset:         504
        .size:           8
        .value_kind:     hidden_global_offset_y
      - .offset:         512
        .size:           8
        .value_kind:     hidden_global_offset_z
      - .offset:         520
        .size:           2
        .value_kind:     hidden_grid_dims
    .group_segment_fixed_size: 5120
    .kernarg_segment_align: 8
    .kernarg_segment_size: 712
    .language:       OpenCL C
    .language_version:
      - 2
      - 0
    .max_flat_workgroup_size: 256
    .name:           _ZN2at6native20bitonicSortKVInPlaceILin1ELin1ELi16ELi16EhlNS0_4GTOpIhLb1EEEjEEvNS_4cuda6detail10TensorInfoIT3_T6_EES8_S8_S8_NS6_IT4_S8_EES8_T5_
    .private_segment_fixed_size: 0
    .sgpr_count:     16
    .sgpr_spill_count: 0
    .symbol:         _ZN2at6native20bitonicSortKVInPlaceILin1ELin1ELi16ELi16EhlNS0_4GTOpIhLb1EEEjEEvNS_4cuda6detail10TensorInfoIT3_T6_EES8_S8_S8_NS6_IT4_S8_EES8_T5_.kd
    .uniform_work_group_size: 1
    .uses_dynamic_stack: false
    .vgpr_count:     34
    .vgpr_spill_count: 0
    .wavefront_size: 32
    .workgroup_processor_mode: 1
  - .args:
      - .offset:         0
        .size:           416
        .value_kind:     by_value
      - .offset:         416
        .size:           8
        .value_kind:     by_value
      - .offset:         424
        .size:           8
        .value_kind:     by_value
      - .offset:         432
        .size:           8
        .value_kind:     by_value
      - .offset:         440
        .size:           416
        .value_kind:     by_value
      - .offset:         856
        .size:           8
        .value_kind:     by_value
      - .offset:         864
        .size:           1
        .value_kind:     by_value
      - .offset:         872
        .size:           4
        .value_kind:     hidden_block_count_x
      - .offset:         876
        .size:           4
        .value_kind:     hidden_block_count_y
      - .offset:         880
        .size:           4
        .value_kind:     hidden_block_count_z
      - .offset:         884
        .size:           2
        .value_kind:     hidden_group_size_x
      - .offset:         886
        .size:           2
        .value_kind:     hidden_group_size_y
      - .offset:         888
        .size:           2
        .value_kind:     hidden_group_size_z
      - .offset:         890
        .size:           2
        .value_kind:     hidden_remainder_x
      - .offset:         892
        .size:           2
        .value_kind:     hidden_remainder_y
      - .offset:         894
        .size:           2
        .value_kind:     hidden_remainder_z
      - .offset:         912
        .size:           8
        .value_kind:     hidden_global_offset_x
      - .offset:         920
        .size:           8
        .value_kind:     hidden_global_offset_y
      - .offset:         928
        .size:           8
        .value_kind:     hidden_global_offset_z
      - .offset:         936
        .size:           2
        .value_kind:     hidden_grid_dims
    .group_segment_fixed_size: 5120
    .kernarg_segment_align: 8
    .kernarg_segment_size: 1128
    .language:       OpenCL C
    .language_version:
      - 2
      - 0
    .max_flat_workgroup_size: 256
    .name:           _ZN2at6native20bitonicSortKVInPlaceILin1ELin1ELi16ELi16EhlNS0_4LTOpIhLb1EEEmEEvNS_4cuda6detail10TensorInfoIT3_T6_EES8_S8_S8_NS6_IT4_S8_EES8_T5_
    .private_segment_fixed_size: 0
    .sgpr_count:     33
    .sgpr_spill_count: 0
    .symbol:         _ZN2at6native20bitonicSortKVInPlaceILin1ELin1ELi16ELi16EhlNS0_4LTOpIhLb1EEEmEEvNS_4cuda6detail10TensorInfoIT3_T6_EES8_S8_S8_NS6_IT4_S8_EES8_T5_.kd
    .uniform_work_group_size: 1
    .uses_dynamic_stack: false
    .vgpr_count:     36
    .vgpr_spill_count: 0
    .wavefront_size: 32
    .workgroup_processor_mode: 1
  - .args:
      - .offset:         0
        .size:           416
        .value_kind:     by_value
      - .offset:         416
        .size:           8
        .value_kind:     by_value
      - .offset:         424
        .size:           8
        .value_kind:     by_value
      - .offset:         432
        .size:           8
        .value_kind:     by_value
      - .offset:         440
        .size:           416
        .value_kind:     by_value
      - .offset:         856
        .size:           8
        .value_kind:     by_value
      - .offset:         864
        .size:           1
        .value_kind:     by_value
      - .offset:         872
        .size:           4
        .value_kind:     hidden_block_count_x
      - .offset:         876
        .size:           4
        .value_kind:     hidden_block_count_y
      - .offset:         880
        .size:           4
        .value_kind:     hidden_block_count_z
      - .offset:         884
        .size:           2
        .value_kind:     hidden_group_size_x
      - .offset:         886
        .size:           2
        .value_kind:     hidden_group_size_y
      - .offset:         888
        .size:           2
        .value_kind:     hidden_group_size_z
      - .offset:         890
        .size:           2
        .value_kind:     hidden_remainder_x
      - .offset:         892
        .size:           2
        .value_kind:     hidden_remainder_y
      - .offset:         894
        .size:           2
        .value_kind:     hidden_remainder_z
      - .offset:         912
        .size:           8
        .value_kind:     hidden_global_offset_x
      - .offset:         920
        .size:           8
        .value_kind:     hidden_global_offset_y
      - .offset:         928
        .size:           8
        .value_kind:     hidden_global_offset_z
      - .offset:         936
        .size:           2
        .value_kind:     hidden_grid_dims
    .group_segment_fixed_size: 5120
    .kernarg_segment_align: 8
    .kernarg_segment_size: 1128
    .language:       OpenCL C
    .language_version:
      - 2
      - 0
    .max_flat_workgroup_size: 256
    .name:           _ZN2at6native20bitonicSortKVInPlaceILin1ELin1ELi16ELi16EhlNS0_4GTOpIhLb1EEEmEEvNS_4cuda6detail10TensorInfoIT3_T6_EES8_S8_S8_NS6_IT4_S8_EES8_T5_
    .private_segment_fixed_size: 0
    .sgpr_count:     33
    .sgpr_spill_count: 0
    .symbol:         _ZN2at6native20bitonicSortKVInPlaceILin1ELin1ELi16ELi16EhlNS0_4GTOpIhLb1EEEmEEvNS_4cuda6detail10TensorInfoIT3_T6_EES8_S8_S8_NS6_IT4_S8_EES8_T5_.kd
    .uniform_work_group_size: 1
    .uses_dynamic_stack: false
    .vgpr_count:     36
    .vgpr_spill_count: 0
    .wavefront_size: 32
    .workgroup_processor_mode: 1
  - .args:
      - .offset:         0
        .size:           216
        .value_kind:     by_value
      - .offset:         216
        .size:           4
        .value_kind:     by_value
      - .offset:         220
        .size:           4
        .value_kind:     by_value
      - .offset:         224
        .size:           4
        .value_kind:     by_value
      - .offset:         232
        .size:           216
        .value_kind:     by_value
      - .offset:         448
        .size:           4
        .value_kind:     by_value
      - .offset:         452
        .size:           1
        .value_kind:     by_value
      - .offset:         456
        .size:           4
        .value_kind:     hidden_block_count_x
      - .offset:         460
        .size:           4
        .value_kind:     hidden_block_count_y
      - .offset:         464
        .size:           4
        .value_kind:     hidden_block_count_z
      - .offset:         468
        .size:           2
        .value_kind:     hidden_group_size_x
      - .offset:         470
        .size:           2
        .value_kind:     hidden_group_size_y
      - .offset:         472
        .size:           2
        .value_kind:     hidden_group_size_z
      - .offset:         474
        .size:           2
        .value_kind:     hidden_remainder_x
      - .offset:         476
        .size:           2
        .value_kind:     hidden_remainder_y
      - .offset:         478
        .size:           2
        .value_kind:     hidden_remainder_z
      - .offset:         496
        .size:           8
        .value_kind:     hidden_global_offset_x
      - .offset:         504
        .size:           8
        .value_kind:     hidden_global_offset_y
      - .offset:         512
        .size:           8
        .value_kind:     hidden_global_offset_z
      - .offset:         520
        .size:           2
        .value_kind:     hidden_grid_dims
    .group_segment_fixed_size: 5120
    .kernarg_segment_align: 8
    .kernarg_segment_size: 712
    .language:       OpenCL C
    .language_version:
      - 2
      - 0
    .max_flat_workgroup_size: 256
    .name:           _ZN2at6native20bitonicSortKVInPlaceILin2ELin1ELi16ELi16EalNS0_4LTOpIaLb1EEEjEEvNS_4cuda6detail10TensorInfoIT3_T6_EES8_S8_S8_NS6_IT4_S8_EES8_T5_
    .private_segment_fixed_size: 0
    .sgpr_count:     18
    .sgpr_spill_count: 0
    .symbol:         _ZN2at6native20bitonicSortKVInPlaceILin2ELin1ELi16ELi16EalNS0_4LTOpIaLb1EEEjEEvNS_4cuda6detail10TensorInfoIT3_T6_EES8_S8_S8_NS6_IT4_S8_EES8_T5_.kd
    .uniform_work_group_size: 1
    .uses_dynamic_stack: false
    .vgpr_count:     35
    .vgpr_spill_count: 0
    .wavefront_size: 32
    .workgroup_processor_mode: 1
  - .args:
      - .offset:         0
        .size:           216
        .value_kind:     by_value
      - .offset:         216
        .size:           4
        .value_kind:     by_value
      - .offset:         220
        .size:           4
        .value_kind:     by_value
      - .offset:         224
        .size:           4
        .value_kind:     by_value
      - .offset:         232
        .size:           216
        .value_kind:     by_value
      - .offset:         448
        .size:           4
        .value_kind:     by_value
      - .offset:         452
        .size:           1
        .value_kind:     by_value
      - .offset:         456
        .size:           4
        .value_kind:     hidden_block_count_x
      - .offset:         460
        .size:           4
        .value_kind:     hidden_block_count_y
      - .offset:         464
        .size:           4
        .value_kind:     hidden_block_count_z
      - .offset:         468
        .size:           2
        .value_kind:     hidden_group_size_x
      - .offset:         470
        .size:           2
        .value_kind:     hidden_group_size_y
      - .offset:         472
        .size:           2
        .value_kind:     hidden_group_size_z
      - .offset:         474
        .size:           2
        .value_kind:     hidden_remainder_x
      - .offset:         476
        .size:           2
        .value_kind:     hidden_remainder_y
      - .offset:         478
        .size:           2
        .value_kind:     hidden_remainder_z
      - .offset:         496
        .size:           8
        .value_kind:     hidden_global_offset_x
      - .offset:         504
        .size:           8
        .value_kind:     hidden_global_offset_y
      - .offset:         512
        .size:           8
        .value_kind:     hidden_global_offset_z
      - .offset:         520
        .size:           2
        .value_kind:     hidden_grid_dims
    .group_segment_fixed_size: 5120
    .kernarg_segment_align: 8
    .kernarg_segment_size: 712
    .language:       OpenCL C
    .language_version:
      - 2
      - 0
    .max_flat_workgroup_size: 256
    .name:           _ZN2at6native20bitonicSortKVInPlaceILin2ELin1ELi16ELi16EalNS0_4GTOpIaLb1EEEjEEvNS_4cuda6detail10TensorInfoIT3_T6_EES8_S8_S8_NS6_IT4_S8_EES8_T5_
    .private_segment_fixed_size: 0
    .sgpr_count:     18
    .sgpr_spill_count: 0
    .symbol:         _ZN2at6native20bitonicSortKVInPlaceILin2ELin1ELi16ELi16EalNS0_4GTOpIaLb1EEEjEEvNS_4cuda6detail10TensorInfoIT3_T6_EES8_S8_S8_NS6_IT4_S8_EES8_T5_.kd
    .uniform_work_group_size: 1
    .uses_dynamic_stack: false
    .vgpr_count:     35
    .vgpr_spill_count: 0
    .wavefront_size: 32
    .workgroup_processor_mode: 1
  - .args:
      - .offset:         0
        .size:           216
        .value_kind:     by_value
      - .offset:         216
        .size:           4
        .value_kind:     by_value
      - .offset:         220
        .size:           4
        .value_kind:     by_value
      - .offset:         224
        .size:           4
        .value_kind:     by_value
      - .offset:         232
        .size:           216
        .value_kind:     by_value
      - .offset:         448
        .size:           4
        .value_kind:     by_value
      - .offset:         452
        .size:           1
        .value_kind:     by_value
      - .offset:         456
        .size:           4
        .value_kind:     hidden_block_count_x
      - .offset:         460
        .size:           4
        .value_kind:     hidden_block_count_y
      - .offset:         464
        .size:           4
        .value_kind:     hidden_block_count_z
      - .offset:         468
        .size:           2
        .value_kind:     hidden_group_size_x
      - .offset:         470
        .size:           2
        .value_kind:     hidden_group_size_y
      - .offset:         472
        .size:           2
        .value_kind:     hidden_group_size_z
      - .offset:         474
        .size:           2
        .value_kind:     hidden_remainder_x
      - .offset:         476
        .size:           2
        .value_kind:     hidden_remainder_y
      - .offset:         478
        .size:           2
        .value_kind:     hidden_remainder_z
      - .offset:         496
        .size:           8
        .value_kind:     hidden_global_offset_x
      - .offset:         504
        .size:           8
        .value_kind:     hidden_global_offset_y
      - .offset:         512
        .size:           8
        .value_kind:     hidden_global_offset_z
      - .offset:         520
        .size:           2
        .value_kind:     hidden_grid_dims
    .group_segment_fixed_size: 5120
    .kernarg_segment_align: 8
    .kernarg_segment_size: 712
    .language:       OpenCL C
    .language_version:
      - 2
      - 0
    .max_flat_workgroup_size: 256
    .name:           _ZN2at6native20bitonicSortKVInPlaceILi2ELin1ELi16ELi16EalNS0_4LTOpIaLb1EEEjEEvNS_4cuda6detail10TensorInfoIT3_T6_EES8_S8_S8_NS6_IT4_S8_EES8_T5_
    .private_segment_fixed_size: 0
    .sgpr_count:     21
    .sgpr_spill_count: 0
    .symbol:         _ZN2at6native20bitonicSortKVInPlaceILi2ELin1ELi16ELi16EalNS0_4LTOpIaLb1EEEjEEvNS_4cuda6detail10TensorInfoIT3_T6_EES8_S8_S8_NS6_IT4_S8_EES8_T5_.kd
    .uniform_work_group_size: 1
    .uses_dynamic_stack: false
    .vgpr_count:     35
    .vgpr_spill_count: 0
    .wavefront_size: 32
    .workgroup_processor_mode: 1
  - .args:
      - .offset:         0
        .size:           216
        .value_kind:     by_value
      - .offset:         216
        .size:           4
        .value_kind:     by_value
      - .offset:         220
        .size:           4
        .value_kind:     by_value
      - .offset:         224
        .size:           4
        .value_kind:     by_value
      - .offset:         232
        .size:           216
        .value_kind:     by_value
      - .offset:         448
        .size:           4
        .value_kind:     by_value
      - .offset:         452
        .size:           1
        .value_kind:     by_value
      - .offset:         456
        .size:           4
        .value_kind:     hidden_block_count_x
      - .offset:         460
        .size:           4
        .value_kind:     hidden_block_count_y
      - .offset:         464
        .size:           4
        .value_kind:     hidden_block_count_z
      - .offset:         468
        .size:           2
        .value_kind:     hidden_group_size_x
      - .offset:         470
        .size:           2
        .value_kind:     hidden_group_size_y
      - .offset:         472
        .size:           2
        .value_kind:     hidden_group_size_z
      - .offset:         474
        .size:           2
        .value_kind:     hidden_remainder_x
      - .offset:         476
        .size:           2
        .value_kind:     hidden_remainder_y
      - .offset:         478
        .size:           2
        .value_kind:     hidden_remainder_z
      - .offset:         496
        .size:           8
        .value_kind:     hidden_global_offset_x
      - .offset:         504
        .size:           8
        .value_kind:     hidden_global_offset_y
      - .offset:         512
        .size:           8
        .value_kind:     hidden_global_offset_z
      - .offset:         520
        .size:           2
        .value_kind:     hidden_grid_dims
    .group_segment_fixed_size: 5120
    .kernarg_segment_align: 8
    .kernarg_segment_size: 712
    .language:       OpenCL C
    .language_version:
      - 2
      - 0
    .max_flat_workgroup_size: 256
    .name:           _ZN2at6native20bitonicSortKVInPlaceILi2ELin1ELi16ELi16EalNS0_4GTOpIaLb1EEEjEEvNS_4cuda6detail10TensorInfoIT3_T6_EES8_S8_S8_NS6_IT4_S8_EES8_T5_
    .private_segment_fixed_size: 0
    .sgpr_count:     21
    .sgpr_spill_count: 0
    .symbol:         _ZN2at6native20bitonicSortKVInPlaceILi2ELin1ELi16ELi16EalNS0_4GTOpIaLb1EEEjEEvNS_4cuda6detail10TensorInfoIT3_T6_EES8_S8_S8_NS6_IT4_S8_EES8_T5_.kd
    .uniform_work_group_size: 1
    .uses_dynamic_stack: false
    .vgpr_count:     35
    .vgpr_spill_count: 0
    .wavefront_size: 32
    .workgroup_processor_mode: 1
  - .args:
      - .offset:         0
        .size:           216
        .value_kind:     by_value
      - .offset:         216
        .size:           4
        .value_kind:     by_value
      - .offset:         220
        .size:           4
        .value_kind:     by_value
      - .offset:         224
        .size:           4
        .value_kind:     by_value
      - .offset:         232
        .size:           216
        .value_kind:     by_value
      - .offset:         448
        .size:           4
        .value_kind:     by_value
      - .offset:         452
        .size:           1
        .value_kind:     by_value
      - .offset:         456
        .size:           4
        .value_kind:     hidden_block_count_x
      - .offset:         460
        .size:           4
        .value_kind:     hidden_block_count_y
      - .offset:         464
        .size:           4
        .value_kind:     hidden_block_count_z
      - .offset:         468
        .size:           2
        .value_kind:     hidden_group_size_x
      - .offset:         470
        .size:           2
        .value_kind:     hidden_group_size_y
      - .offset:         472
        .size:           2
        .value_kind:     hidden_group_size_z
      - .offset:         474
        .size:           2
        .value_kind:     hidden_remainder_x
      - .offset:         476
        .size:           2
        .value_kind:     hidden_remainder_y
      - .offset:         478
        .size:           2
        .value_kind:     hidden_remainder_z
      - .offset:         496
        .size:           8
        .value_kind:     hidden_global_offset_x
      - .offset:         504
        .size:           8
        .value_kind:     hidden_global_offset_y
      - .offset:         512
        .size:           8
        .value_kind:     hidden_global_offset_z
      - .offset:         520
        .size:           2
        .value_kind:     hidden_grid_dims
    .group_segment_fixed_size: 5120
    .kernarg_segment_align: 8
    .kernarg_segment_size: 712
    .language:       OpenCL C
    .language_version:
      - 2
      - 0
    .max_flat_workgroup_size: 256
    .name:           _ZN2at6native20bitonicSortKVInPlaceILin1ELin1ELi16ELi16EalNS0_4LTOpIaLb1EEEjEEvNS_4cuda6detail10TensorInfoIT3_T6_EES8_S8_S8_NS6_IT4_S8_EES8_T5_
    .private_segment_fixed_size: 0
    .sgpr_count:     16
    .sgpr_spill_count: 0
    .symbol:         _ZN2at6native20bitonicSortKVInPlaceILin1ELin1ELi16ELi16EalNS0_4LTOpIaLb1EEEjEEvNS_4cuda6detail10TensorInfoIT3_T6_EES8_S8_S8_NS6_IT4_S8_EES8_T5_.kd
    .uniform_work_group_size: 1
    .uses_dynamic_stack: false
    .vgpr_count:     35
    .vgpr_spill_count: 0
    .wavefront_size: 32
    .workgroup_processor_mode: 1
  - .args:
      - .offset:         0
        .size:           216
        .value_kind:     by_value
      - .offset:         216
        .size:           4
        .value_kind:     by_value
      - .offset:         220
        .size:           4
        .value_kind:     by_value
      - .offset:         224
        .size:           4
        .value_kind:     by_value
      - .offset:         232
        .size:           216
        .value_kind:     by_value
      - .offset:         448
        .size:           4
        .value_kind:     by_value
      - .offset:         452
        .size:           1
        .value_kind:     by_value
      - .offset:         456
        .size:           4
        .value_kind:     hidden_block_count_x
      - .offset:         460
        .size:           4
        .value_kind:     hidden_block_count_y
      - .offset:         464
        .size:           4
        .value_kind:     hidden_block_count_z
      - .offset:         468
        .size:           2
        .value_kind:     hidden_group_size_x
      - .offset:         470
        .size:           2
        .value_kind:     hidden_group_size_y
      - .offset:         472
        .size:           2
        .value_kind:     hidden_group_size_z
      - .offset:         474
        .size:           2
        .value_kind:     hidden_remainder_x
      - .offset:         476
        .size:           2
        .value_kind:     hidden_remainder_y
      - .offset:         478
        .size:           2
        .value_kind:     hidden_remainder_z
      - .offset:         496
        .size:           8
        .value_kind:     hidden_global_offset_x
      - .offset:         504
        .size:           8
        .value_kind:     hidden_global_offset_y
      - .offset:         512
        .size:           8
        .value_kind:     hidden_global_offset_z
      - .offset:         520
        .size:           2
        .value_kind:     hidden_grid_dims
    .group_segment_fixed_size: 5120
    .kernarg_segment_align: 8
    .kernarg_segment_size: 712
    .language:       OpenCL C
    .language_version:
      - 2
      - 0
    .max_flat_workgroup_size: 256
    .name:           _ZN2at6native20bitonicSortKVInPlaceILin1ELin1ELi16ELi16EalNS0_4GTOpIaLb1EEEjEEvNS_4cuda6detail10TensorInfoIT3_T6_EES8_S8_S8_NS6_IT4_S8_EES8_T5_
    .private_segment_fixed_size: 0
    .sgpr_count:     16
    .sgpr_spill_count: 0
    .symbol:         _ZN2at6native20bitonicSortKVInPlaceILin1ELin1ELi16ELi16EalNS0_4GTOpIaLb1EEEjEEvNS_4cuda6detail10TensorInfoIT3_T6_EES8_S8_S8_NS6_IT4_S8_EES8_T5_.kd
    .uniform_work_group_size: 1
    .uses_dynamic_stack: false
    .vgpr_count:     35
    .vgpr_spill_count: 0
    .wavefront_size: 32
    .workgroup_processor_mode: 1
  - .args:
      - .offset:         0
        .size:           416
        .value_kind:     by_value
      - .offset:         416
        .size:           8
        .value_kind:     by_value
      - .offset:         424
        .size:           8
        .value_kind:     by_value
      - .offset:         432
        .size:           8
        .value_kind:     by_value
      - .offset:         440
        .size:           416
        .value_kind:     by_value
      - .offset:         856
        .size:           8
        .value_kind:     by_value
      - .offset:         864
        .size:           1
        .value_kind:     by_value
      - .offset:         872
        .size:           4
        .value_kind:     hidden_block_count_x
      - .offset:         876
        .size:           4
        .value_kind:     hidden_block_count_y
      - .offset:         880
        .size:           4
        .value_kind:     hidden_block_count_z
      - .offset:         884
        .size:           2
        .value_kind:     hidden_group_size_x
      - .offset:         886
        .size:           2
        .value_kind:     hidden_group_size_y
      - .offset:         888
        .size:           2
        .value_kind:     hidden_group_size_z
      - .offset:         890
        .size:           2
        .value_kind:     hidden_remainder_x
      - .offset:         892
        .size:           2
        .value_kind:     hidden_remainder_y
      - .offset:         894
        .size:           2
        .value_kind:     hidden_remainder_z
      - .offset:         912
        .size:           8
        .value_kind:     hidden_global_offset_x
      - .offset:         920
        .size:           8
        .value_kind:     hidden_global_offset_y
      - .offset:         928
        .size:           8
        .value_kind:     hidden_global_offset_z
      - .offset:         936
        .size:           2
        .value_kind:     hidden_grid_dims
    .group_segment_fixed_size: 5120
    .kernarg_segment_align: 8
    .kernarg_segment_size: 1128
    .language:       OpenCL C
    .language_version:
      - 2
      - 0
    .max_flat_workgroup_size: 256
    .name:           _ZN2at6native20bitonicSortKVInPlaceILin1ELin1ELi16ELi16EalNS0_4LTOpIaLb1EEEmEEvNS_4cuda6detail10TensorInfoIT3_T6_EES8_S8_S8_NS6_IT4_S8_EES8_T5_
    .private_segment_fixed_size: 0
    .sgpr_count:     33
    .sgpr_spill_count: 0
    .symbol:         _ZN2at6native20bitonicSortKVInPlaceILin1ELin1ELi16ELi16EalNS0_4LTOpIaLb1EEEmEEvNS_4cuda6detail10TensorInfoIT3_T6_EES8_S8_S8_NS6_IT4_S8_EES8_T5_.kd
    .uniform_work_group_size: 1
    .uses_dynamic_stack: false
    .vgpr_count:     37
    .vgpr_spill_count: 0
    .wavefront_size: 32
    .workgroup_processor_mode: 1
  - .args:
      - .offset:         0
        .size:           416
        .value_kind:     by_value
      - .offset:         416
        .size:           8
        .value_kind:     by_value
      - .offset:         424
        .size:           8
        .value_kind:     by_value
      - .offset:         432
        .size:           8
        .value_kind:     by_value
      - .offset:         440
        .size:           416
        .value_kind:     by_value
      - .offset:         856
        .size:           8
        .value_kind:     by_value
      - .offset:         864
        .size:           1
        .value_kind:     by_value
      - .offset:         872
        .size:           4
        .value_kind:     hidden_block_count_x
      - .offset:         876
        .size:           4
        .value_kind:     hidden_block_count_y
      - .offset:         880
        .size:           4
        .value_kind:     hidden_block_count_z
      - .offset:         884
        .size:           2
        .value_kind:     hidden_group_size_x
      - .offset:         886
        .size:           2
        .value_kind:     hidden_group_size_y
      - .offset:         888
        .size:           2
        .value_kind:     hidden_group_size_z
      - .offset:         890
        .size:           2
        .value_kind:     hidden_remainder_x
      - .offset:         892
        .size:           2
        .value_kind:     hidden_remainder_y
      - .offset:         894
        .size:           2
        .value_kind:     hidden_remainder_z
      - .offset:         912
        .size:           8
        .value_kind:     hidden_global_offset_x
      - .offset:         920
        .size:           8
        .value_kind:     hidden_global_offset_y
      - .offset:         928
        .size:           8
        .value_kind:     hidden_global_offset_z
      - .offset:         936
        .size:           2
        .value_kind:     hidden_grid_dims
    .group_segment_fixed_size: 5120
    .kernarg_segment_align: 8
    .kernarg_segment_size: 1128
    .language:       OpenCL C
    .language_version:
      - 2
      - 0
    .max_flat_workgroup_size: 256
    .name:           _ZN2at6native20bitonicSortKVInPlaceILin1ELin1ELi16ELi16EalNS0_4GTOpIaLb1EEEmEEvNS_4cuda6detail10TensorInfoIT3_T6_EES8_S8_S8_NS6_IT4_S8_EES8_T5_
    .private_segment_fixed_size: 0
    .sgpr_count:     33
    .sgpr_spill_count: 0
    .symbol:         _ZN2at6native20bitonicSortKVInPlaceILin1ELin1ELi16ELi16EalNS0_4GTOpIaLb1EEEmEEvNS_4cuda6detail10TensorInfoIT3_T6_EES8_S8_S8_NS6_IT4_S8_EES8_T5_.kd
    .uniform_work_group_size: 1
    .uses_dynamic_stack: false
    .vgpr_count:     37
    .vgpr_spill_count: 0
    .wavefront_size: 32
    .workgroup_processor_mode: 1
  - .args:
      - .offset:         0
        .size:           216
        .value_kind:     by_value
      - .offset:         216
        .size:           4
        .value_kind:     by_value
      - .offset:         220
        .size:           4
        .value_kind:     by_value
      - .offset:         224
        .size:           4
        .value_kind:     by_value
      - .offset:         232
        .size:           216
        .value_kind:     by_value
      - .offset:         448
        .size:           4
        .value_kind:     by_value
      - .offset:         452
        .size:           1
        .value_kind:     by_value
      - .offset:         456
        .size:           4
        .value_kind:     hidden_block_count_x
      - .offset:         460
        .size:           4
        .value_kind:     hidden_block_count_y
      - .offset:         464
        .size:           4
        .value_kind:     hidden_block_count_z
      - .offset:         468
        .size:           2
        .value_kind:     hidden_group_size_x
      - .offset:         470
        .size:           2
        .value_kind:     hidden_group_size_y
      - .offset:         472
        .size:           2
        .value_kind:     hidden_group_size_z
      - .offset:         474
        .size:           2
        .value_kind:     hidden_remainder_x
      - .offset:         476
        .size:           2
        .value_kind:     hidden_remainder_y
      - .offset:         478
        .size:           2
        .value_kind:     hidden_remainder_z
      - .offset:         496
        .size:           8
        .value_kind:     hidden_global_offset_x
      - .offset:         504
        .size:           8
        .value_kind:     hidden_global_offset_y
      - .offset:         512
        .size:           8
        .value_kind:     hidden_global_offset_z
      - .offset:         520
        .size:           2
        .value_kind:     hidden_grid_dims
    .group_segment_fixed_size: 6656
    .kernarg_segment_align: 8
    .kernarg_segment_size: 712
    .language:       OpenCL C
    .language_version:
      - 2
      - 0
    .max_flat_workgroup_size: 256
    .name:           _ZN2at6native20bitonicSortKVInPlaceILin2ELin1ELi16ELi16EilNS0_4LTOpIiLb1EEEjEEvNS_4cuda6detail10TensorInfoIT3_T6_EES8_S8_S8_NS6_IT4_S8_EES8_T5_
    .private_segment_fixed_size: 0
    .sgpr_count:     18
    .sgpr_spill_count: 0
    .symbol:         _ZN2at6native20bitonicSortKVInPlaceILin2ELin1ELi16ELi16EilNS0_4LTOpIiLb1EEEjEEvNS_4cuda6detail10TensorInfoIT3_T6_EES8_S8_S8_NS6_IT4_S8_EES8_T5_.kd
    .uniform_work_group_size: 1
    .uses_dynamic_stack: false
    .vgpr_count:     36
    .vgpr_spill_count: 0
    .wavefront_size: 32
    .workgroup_processor_mode: 1
  - .args:
      - .offset:         0
        .size:           216
        .value_kind:     by_value
      - .offset:         216
        .size:           4
        .value_kind:     by_value
      - .offset:         220
        .size:           4
        .value_kind:     by_value
      - .offset:         224
        .size:           4
        .value_kind:     by_value
      - .offset:         232
        .size:           216
        .value_kind:     by_value
      - .offset:         448
        .size:           4
        .value_kind:     by_value
      - .offset:         452
        .size:           1
        .value_kind:     by_value
      - .offset:         456
        .size:           4
        .value_kind:     hidden_block_count_x
      - .offset:         460
        .size:           4
        .value_kind:     hidden_block_count_y
      - .offset:         464
        .size:           4
        .value_kind:     hidden_block_count_z
      - .offset:         468
        .size:           2
        .value_kind:     hidden_group_size_x
      - .offset:         470
        .size:           2
        .value_kind:     hidden_group_size_y
      - .offset:         472
        .size:           2
        .value_kind:     hidden_group_size_z
      - .offset:         474
        .size:           2
        .value_kind:     hidden_remainder_x
      - .offset:         476
        .size:           2
        .value_kind:     hidden_remainder_y
      - .offset:         478
        .size:           2
        .value_kind:     hidden_remainder_z
      - .offset:         496
        .size:           8
        .value_kind:     hidden_global_offset_x
      - .offset:         504
        .size:           8
        .value_kind:     hidden_global_offset_y
      - .offset:         512
        .size:           8
        .value_kind:     hidden_global_offset_z
      - .offset:         520
        .size:           2
        .value_kind:     hidden_grid_dims
    .group_segment_fixed_size: 6656
    .kernarg_segment_align: 8
    .kernarg_segment_size: 712
    .language:       OpenCL C
    .language_version:
      - 2
      - 0
    .max_flat_workgroup_size: 256
    .name:           _ZN2at6native20bitonicSortKVInPlaceILin2ELin1ELi16ELi16EilNS0_4GTOpIiLb1EEEjEEvNS_4cuda6detail10TensorInfoIT3_T6_EES8_S8_S8_NS6_IT4_S8_EES8_T5_
    .private_segment_fixed_size: 0
    .sgpr_count:     18
    .sgpr_spill_count: 0
    .symbol:         _ZN2at6native20bitonicSortKVInPlaceILin2ELin1ELi16ELi16EilNS0_4GTOpIiLb1EEEjEEvNS_4cuda6detail10TensorInfoIT3_T6_EES8_S8_S8_NS6_IT4_S8_EES8_T5_.kd
    .uniform_work_group_size: 1
    .uses_dynamic_stack: false
    .vgpr_count:     36
    .vgpr_spill_count: 0
    .wavefront_size: 32
    .workgroup_processor_mode: 1
  - .args:
      - .offset:         0
        .size:           216
        .value_kind:     by_value
      - .offset:         216
        .size:           4
        .value_kind:     by_value
      - .offset:         220
        .size:           4
        .value_kind:     by_value
      - .offset:         224
        .size:           4
        .value_kind:     by_value
      - .offset:         232
        .size:           216
        .value_kind:     by_value
      - .offset:         448
        .size:           4
        .value_kind:     by_value
      - .offset:         452
        .size:           1
        .value_kind:     by_value
      - .offset:         456
        .size:           4
        .value_kind:     hidden_block_count_x
      - .offset:         460
        .size:           4
        .value_kind:     hidden_block_count_y
      - .offset:         464
        .size:           4
        .value_kind:     hidden_block_count_z
      - .offset:         468
        .size:           2
        .value_kind:     hidden_group_size_x
      - .offset:         470
        .size:           2
        .value_kind:     hidden_group_size_y
      - .offset:         472
        .size:           2
        .value_kind:     hidden_group_size_z
      - .offset:         474
        .size:           2
        .value_kind:     hidden_remainder_x
      - .offset:         476
        .size:           2
        .value_kind:     hidden_remainder_y
      - .offset:         478
        .size:           2
        .value_kind:     hidden_remainder_z
      - .offset:         496
        .size:           8
        .value_kind:     hidden_global_offset_x
      - .offset:         504
        .size:           8
        .value_kind:     hidden_global_offset_y
      - .offset:         512
        .size:           8
        .value_kind:     hidden_global_offset_z
      - .offset:         520
        .size:           2
        .value_kind:     hidden_grid_dims
    .group_segment_fixed_size: 6656
    .kernarg_segment_align: 8
    .kernarg_segment_size: 712
    .language:       OpenCL C
    .language_version:
      - 2
      - 0
    .max_flat_workgroup_size: 256
    .name:           _ZN2at6native20bitonicSortKVInPlaceILi2ELin1ELi16ELi16EilNS0_4LTOpIiLb1EEEjEEvNS_4cuda6detail10TensorInfoIT3_T6_EES8_S8_S8_NS6_IT4_S8_EES8_T5_
    .private_segment_fixed_size: 0
    .sgpr_count:     21
    .sgpr_spill_count: 0
    .symbol:         _ZN2at6native20bitonicSortKVInPlaceILi2ELin1ELi16ELi16EilNS0_4LTOpIiLb1EEEjEEvNS_4cuda6detail10TensorInfoIT3_T6_EES8_S8_S8_NS6_IT4_S8_EES8_T5_.kd
    .uniform_work_group_size: 1
    .uses_dynamic_stack: false
    .vgpr_count:     36
    .vgpr_spill_count: 0
    .wavefront_size: 32
    .workgroup_processor_mode: 1
  - .args:
      - .offset:         0
        .size:           216
        .value_kind:     by_value
      - .offset:         216
        .size:           4
        .value_kind:     by_value
      - .offset:         220
        .size:           4
        .value_kind:     by_value
      - .offset:         224
        .size:           4
        .value_kind:     by_value
      - .offset:         232
        .size:           216
        .value_kind:     by_value
      - .offset:         448
        .size:           4
        .value_kind:     by_value
      - .offset:         452
        .size:           1
        .value_kind:     by_value
      - .offset:         456
        .size:           4
        .value_kind:     hidden_block_count_x
      - .offset:         460
        .size:           4
        .value_kind:     hidden_block_count_y
      - .offset:         464
        .size:           4
        .value_kind:     hidden_block_count_z
      - .offset:         468
        .size:           2
        .value_kind:     hidden_group_size_x
      - .offset:         470
        .size:           2
        .value_kind:     hidden_group_size_y
      - .offset:         472
        .size:           2
        .value_kind:     hidden_group_size_z
      - .offset:         474
        .size:           2
        .value_kind:     hidden_remainder_x
      - .offset:         476
        .size:           2
        .value_kind:     hidden_remainder_y
      - .offset:         478
        .size:           2
        .value_kind:     hidden_remainder_z
      - .offset:         496
        .size:           8
        .value_kind:     hidden_global_offset_x
      - .offset:         504
        .size:           8
        .value_kind:     hidden_global_offset_y
      - .offset:         512
        .size:           8
        .value_kind:     hidden_global_offset_z
      - .offset:         520
        .size:           2
        .value_kind:     hidden_grid_dims
    .group_segment_fixed_size: 6656
    .kernarg_segment_align: 8
    .kernarg_segment_size: 712
    .language:       OpenCL C
    .language_version:
      - 2
      - 0
    .max_flat_workgroup_size: 256
    .name:           _ZN2at6native20bitonicSortKVInPlaceILi2ELin1ELi16ELi16EilNS0_4GTOpIiLb1EEEjEEvNS_4cuda6detail10TensorInfoIT3_T6_EES8_S8_S8_NS6_IT4_S8_EES8_T5_
    .private_segment_fixed_size: 0
    .sgpr_count:     21
    .sgpr_spill_count: 0
    .symbol:         _ZN2at6native20bitonicSortKVInPlaceILi2ELin1ELi16ELi16EilNS0_4GTOpIiLb1EEEjEEvNS_4cuda6detail10TensorInfoIT3_T6_EES8_S8_S8_NS6_IT4_S8_EES8_T5_.kd
    .uniform_work_group_size: 1
    .uses_dynamic_stack: false
    .vgpr_count:     36
    .vgpr_spill_count: 0
    .wavefront_size: 32
    .workgroup_processor_mode: 1
  - .args:
      - .offset:         0
        .size:           216
        .value_kind:     by_value
      - .offset:         216
        .size:           4
        .value_kind:     by_value
      - .offset:         220
        .size:           4
        .value_kind:     by_value
      - .offset:         224
        .size:           4
        .value_kind:     by_value
      - .offset:         232
        .size:           216
        .value_kind:     by_value
      - .offset:         448
        .size:           4
        .value_kind:     by_value
      - .offset:         452
        .size:           1
        .value_kind:     by_value
      - .offset:         456
        .size:           4
        .value_kind:     hidden_block_count_x
      - .offset:         460
        .size:           4
        .value_kind:     hidden_block_count_y
      - .offset:         464
        .size:           4
        .value_kind:     hidden_block_count_z
      - .offset:         468
        .size:           2
        .value_kind:     hidden_group_size_x
      - .offset:         470
        .size:           2
        .value_kind:     hidden_group_size_y
      - .offset:         472
        .size:           2
        .value_kind:     hidden_group_size_z
      - .offset:         474
        .size:           2
        .value_kind:     hidden_remainder_x
      - .offset:         476
        .size:           2
        .value_kind:     hidden_remainder_y
      - .offset:         478
        .size:           2
        .value_kind:     hidden_remainder_z
      - .offset:         496
        .size:           8
        .value_kind:     hidden_global_offset_x
      - .offset:         504
        .size:           8
        .value_kind:     hidden_global_offset_y
      - .offset:         512
        .size:           8
        .value_kind:     hidden_global_offset_z
      - .offset:         520
        .size:           2
        .value_kind:     hidden_grid_dims
    .group_segment_fixed_size: 6656
    .kernarg_segment_align: 8
    .kernarg_segment_size: 712
    .language:       OpenCL C
    .language_version:
      - 2
      - 0
    .max_flat_workgroup_size: 256
    .name:           _ZN2at6native20bitonicSortKVInPlaceILin1ELin1ELi16ELi16EilNS0_4LTOpIiLb1EEEjEEvNS_4cuda6detail10TensorInfoIT3_T6_EES8_S8_S8_NS6_IT4_S8_EES8_T5_
    .private_segment_fixed_size: 0
    .sgpr_count:     16
    .sgpr_spill_count: 0
    .symbol:         _ZN2at6native20bitonicSortKVInPlaceILin1ELin1ELi16ELi16EilNS0_4LTOpIiLb1EEEjEEvNS_4cuda6detail10TensorInfoIT3_T6_EES8_S8_S8_NS6_IT4_S8_EES8_T5_.kd
    .uniform_work_group_size: 1
    .uses_dynamic_stack: false
    .vgpr_count:     36
    .vgpr_spill_count: 0
    .wavefront_size: 32
    .workgroup_processor_mode: 1
  - .args:
      - .offset:         0
        .size:           216
        .value_kind:     by_value
      - .offset:         216
        .size:           4
        .value_kind:     by_value
      - .offset:         220
        .size:           4
        .value_kind:     by_value
      - .offset:         224
        .size:           4
        .value_kind:     by_value
      - .offset:         232
        .size:           216
        .value_kind:     by_value
      - .offset:         448
        .size:           4
        .value_kind:     by_value
      - .offset:         452
        .size:           1
        .value_kind:     by_value
      - .offset:         456
        .size:           4
        .value_kind:     hidden_block_count_x
      - .offset:         460
        .size:           4
        .value_kind:     hidden_block_count_y
      - .offset:         464
        .size:           4
        .value_kind:     hidden_block_count_z
      - .offset:         468
        .size:           2
        .value_kind:     hidden_group_size_x
      - .offset:         470
        .size:           2
        .value_kind:     hidden_group_size_y
      - .offset:         472
        .size:           2
        .value_kind:     hidden_group_size_z
      - .offset:         474
        .size:           2
        .value_kind:     hidden_remainder_x
      - .offset:         476
        .size:           2
        .value_kind:     hidden_remainder_y
      - .offset:         478
        .size:           2
        .value_kind:     hidden_remainder_z
      - .offset:         496
        .size:           8
        .value_kind:     hidden_global_offset_x
      - .offset:         504
        .size:           8
        .value_kind:     hidden_global_offset_y
      - .offset:         512
        .size:           8
        .value_kind:     hidden_global_offset_z
      - .offset:         520
        .size:           2
        .value_kind:     hidden_grid_dims
    .group_segment_fixed_size: 6656
    .kernarg_segment_align: 8
    .kernarg_segment_size: 712
    .language:       OpenCL C
    .language_version:
      - 2
      - 0
    .max_flat_workgroup_size: 256
    .name:           _ZN2at6native20bitonicSortKVInPlaceILin1ELin1ELi16ELi16EilNS0_4GTOpIiLb1EEEjEEvNS_4cuda6detail10TensorInfoIT3_T6_EES8_S8_S8_NS6_IT4_S8_EES8_T5_
    .private_segment_fixed_size: 0
    .sgpr_count:     16
    .sgpr_spill_count: 0
    .symbol:         _ZN2at6native20bitonicSortKVInPlaceILin1ELin1ELi16ELi16EilNS0_4GTOpIiLb1EEEjEEvNS_4cuda6detail10TensorInfoIT3_T6_EES8_S8_S8_NS6_IT4_S8_EES8_T5_.kd
    .uniform_work_group_size: 1
    .uses_dynamic_stack: false
    .vgpr_count:     36
    .vgpr_spill_count: 0
    .wavefront_size: 32
    .workgroup_processor_mode: 1
  - .args:
      - .offset:         0
        .size:           416
        .value_kind:     by_value
      - .offset:         416
        .size:           8
        .value_kind:     by_value
      - .offset:         424
        .size:           8
        .value_kind:     by_value
      - .offset:         432
        .size:           8
        .value_kind:     by_value
      - .offset:         440
        .size:           416
        .value_kind:     by_value
      - .offset:         856
        .size:           8
        .value_kind:     by_value
      - .offset:         864
        .size:           1
        .value_kind:     by_value
      - .offset:         872
        .size:           4
        .value_kind:     hidden_block_count_x
      - .offset:         876
        .size:           4
        .value_kind:     hidden_block_count_y
      - .offset:         880
        .size:           4
        .value_kind:     hidden_block_count_z
      - .offset:         884
        .size:           2
        .value_kind:     hidden_group_size_x
      - .offset:         886
        .size:           2
        .value_kind:     hidden_group_size_y
      - .offset:         888
        .size:           2
        .value_kind:     hidden_group_size_z
      - .offset:         890
        .size:           2
        .value_kind:     hidden_remainder_x
      - .offset:         892
        .size:           2
        .value_kind:     hidden_remainder_y
      - .offset:         894
        .size:           2
        .value_kind:     hidden_remainder_z
      - .offset:         912
        .size:           8
        .value_kind:     hidden_global_offset_x
      - .offset:         920
        .size:           8
        .value_kind:     hidden_global_offset_y
      - .offset:         928
        .size:           8
        .value_kind:     hidden_global_offset_z
      - .offset:         936
        .size:           2
        .value_kind:     hidden_grid_dims
    .group_segment_fixed_size: 6656
    .kernarg_segment_align: 8
    .kernarg_segment_size: 1128
    .language:       OpenCL C
    .language_version:
      - 2
      - 0
    .max_flat_workgroup_size: 256
    .name:           _ZN2at6native20bitonicSortKVInPlaceILin1ELin1ELi16ELi16EilNS0_4LTOpIiLb1EEEmEEvNS_4cuda6detail10TensorInfoIT3_T6_EES8_S8_S8_NS6_IT4_S8_EES8_T5_
    .private_segment_fixed_size: 0
    .sgpr_count:     33
    .sgpr_spill_count: 0
    .symbol:         _ZN2at6native20bitonicSortKVInPlaceILin1ELin1ELi16ELi16EilNS0_4LTOpIiLb1EEEmEEvNS_4cuda6detail10TensorInfoIT3_T6_EES8_S8_S8_NS6_IT4_S8_EES8_T5_.kd
    .uniform_work_group_size: 1
    .uses_dynamic_stack: false
    .vgpr_count:     38
    .vgpr_spill_count: 0
    .wavefront_size: 32
    .workgroup_processor_mode: 1
  - .args:
      - .offset:         0
        .size:           416
        .value_kind:     by_value
      - .offset:         416
        .size:           8
        .value_kind:     by_value
      - .offset:         424
        .size:           8
        .value_kind:     by_value
      - .offset:         432
        .size:           8
        .value_kind:     by_value
      - .offset:         440
        .size:           416
        .value_kind:     by_value
      - .offset:         856
        .size:           8
        .value_kind:     by_value
      - .offset:         864
        .size:           1
        .value_kind:     by_value
      - .offset:         872
        .size:           4
        .value_kind:     hidden_block_count_x
      - .offset:         876
        .size:           4
        .value_kind:     hidden_block_count_y
      - .offset:         880
        .size:           4
        .value_kind:     hidden_block_count_z
      - .offset:         884
        .size:           2
        .value_kind:     hidden_group_size_x
      - .offset:         886
        .size:           2
        .value_kind:     hidden_group_size_y
      - .offset:         888
        .size:           2
        .value_kind:     hidden_group_size_z
      - .offset:         890
        .size:           2
        .value_kind:     hidden_remainder_x
      - .offset:         892
        .size:           2
        .value_kind:     hidden_remainder_y
      - .offset:         894
        .size:           2
        .value_kind:     hidden_remainder_z
      - .offset:         912
        .size:           8
        .value_kind:     hidden_global_offset_x
      - .offset:         920
        .size:           8
        .value_kind:     hidden_global_offset_y
      - .offset:         928
        .size:           8
        .value_kind:     hidden_global_offset_z
      - .offset:         936
        .size:           2
        .value_kind:     hidden_grid_dims
    .group_segment_fixed_size: 6656
    .kernarg_segment_align: 8
    .kernarg_segment_size: 1128
    .language:       OpenCL C
    .language_version:
      - 2
      - 0
    .max_flat_workgroup_size: 256
    .name:           _ZN2at6native20bitonicSortKVInPlaceILin1ELin1ELi16ELi16EilNS0_4GTOpIiLb1EEEmEEvNS_4cuda6detail10TensorInfoIT3_T6_EES8_S8_S8_NS6_IT4_S8_EES8_T5_
    .private_segment_fixed_size: 0
    .sgpr_count:     33
    .sgpr_spill_count: 0
    .symbol:         _ZN2at6native20bitonicSortKVInPlaceILin1ELin1ELi16ELi16EilNS0_4GTOpIiLb1EEEmEEvNS_4cuda6detail10TensorInfoIT3_T6_EES8_S8_S8_NS6_IT4_S8_EES8_T5_.kd
    .uniform_work_group_size: 1
    .uses_dynamic_stack: false
    .vgpr_count:     38
    .vgpr_spill_count: 0
    .wavefront_size: 32
    .workgroup_processor_mode: 1
  - .args:
      - .offset:         0
        .size:           216
        .value_kind:     by_value
      - .offset:         216
        .size:           4
        .value_kind:     by_value
      - .offset:         220
        .size:           4
        .value_kind:     by_value
      - .offset:         224
        .size:           4
        .value_kind:     by_value
      - .offset:         232
        .size:           216
        .value_kind:     by_value
      - .offset:         448
        .size:           4
        .value_kind:     by_value
      - .offset:         452
        .size:           1
        .value_kind:     by_value
      - .offset:         456
        .size:           4
        .value_kind:     hidden_block_count_x
      - .offset:         460
        .size:           4
        .value_kind:     hidden_block_count_y
      - .offset:         464
        .size:           4
        .value_kind:     hidden_block_count_z
      - .offset:         468
        .size:           2
        .value_kind:     hidden_group_size_x
      - .offset:         470
        .size:           2
        .value_kind:     hidden_group_size_y
      - .offset:         472
        .size:           2
        .value_kind:     hidden_group_size_z
      - .offset:         474
        .size:           2
        .value_kind:     hidden_remainder_x
      - .offset:         476
        .size:           2
        .value_kind:     hidden_remainder_y
      - .offset:         478
        .size:           2
        .value_kind:     hidden_remainder_z
      - .offset:         496
        .size:           8
        .value_kind:     hidden_global_offset_x
      - .offset:         504
        .size:           8
        .value_kind:     hidden_global_offset_y
      - .offset:         512
        .size:           8
        .value_kind:     hidden_global_offset_z
      - .offset:         520
        .size:           2
        .value_kind:     hidden_grid_dims
    .group_segment_fixed_size: 8704
    .kernarg_segment_align: 8
    .kernarg_segment_size: 712
    .language:       OpenCL C
    .language_version:
      - 2
      - 0
    .max_flat_workgroup_size: 256
    .name:           _ZN2at6native20bitonicSortKVInPlaceILin2ELin1ELi16ELi16EllNS0_4LTOpIlLb1EEEjEEvNS_4cuda6detail10TensorInfoIT3_T6_EES8_S8_S8_NS6_IT4_S8_EES8_T5_
    .private_segment_fixed_size: 0
    .sgpr_count:     18
    .sgpr_spill_count: 0
    .symbol:         _ZN2at6native20bitonicSortKVInPlaceILin2ELin1ELi16ELi16EllNS0_4LTOpIlLb1EEEjEEvNS_4cuda6detail10TensorInfoIT3_T6_EES8_S8_S8_NS6_IT4_S8_EES8_T5_.kd
    .uniform_work_group_size: 1
    .uses_dynamic_stack: false
    .vgpr_count:     44
    .vgpr_spill_count: 0
    .wavefront_size: 32
    .workgroup_processor_mode: 1
  - .args:
      - .offset:         0
        .size:           216
        .value_kind:     by_value
      - .offset:         216
        .size:           4
        .value_kind:     by_value
      - .offset:         220
        .size:           4
        .value_kind:     by_value
      - .offset:         224
        .size:           4
        .value_kind:     by_value
      - .offset:         232
        .size:           216
        .value_kind:     by_value
      - .offset:         448
        .size:           4
        .value_kind:     by_value
      - .offset:         452
        .size:           1
        .value_kind:     by_value
      - .offset:         456
        .size:           4
        .value_kind:     hidden_block_count_x
      - .offset:         460
        .size:           4
        .value_kind:     hidden_block_count_y
      - .offset:         464
        .size:           4
        .value_kind:     hidden_block_count_z
      - .offset:         468
        .size:           2
        .value_kind:     hidden_group_size_x
      - .offset:         470
        .size:           2
        .value_kind:     hidden_group_size_y
      - .offset:         472
        .size:           2
        .value_kind:     hidden_group_size_z
      - .offset:         474
        .size:           2
        .value_kind:     hidden_remainder_x
      - .offset:         476
        .size:           2
        .value_kind:     hidden_remainder_y
      - .offset:         478
        .size:           2
        .value_kind:     hidden_remainder_z
      - .offset:         496
        .size:           8
        .value_kind:     hidden_global_offset_x
      - .offset:         504
        .size:           8
        .value_kind:     hidden_global_offset_y
      - .offset:         512
        .size:           8
        .value_kind:     hidden_global_offset_z
      - .offset:         520
        .size:           2
        .value_kind:     hidden_grid_dims
    .group_segment_fixed_size: 8704
    .kernarg_segment_align: 8
    .kernarg_segment_size: 712
    .language:       OpenCL C
    .language_version:
      - 2
      - 0
    .max_flat_workgroup_size: 256
    .name:           _ZN2at6native20bitonicSortKVInPlaceILin2ELin1ELi16ELi16EllNS0_4GTOpIlLb1EEEjEEvNS_4cuda6detail10TensorInfoIT3_T6_EES8_S8_S8_NS6_IT4_S8_EES8_T5_
    .private_segment_fixed_size: 0
    .sgpr_count:     18
    .sgpr_spill_count: 0
    .symbol:         _ZN2at6native20bitonicSortKVInPlaceILin2ELin1ELi16ELi16EllNS0_4GTOpIlLb1EEEjEEvNS_4cuda6detail10TensorInfoIT3_T6_EES8_S8_S8_NS6_IT4_S8_EES8_T5_.kd
    .uniform_work_group_size: 1
    .uses_dynamic_stack: false
    .vgpr_count:     44
    .vgpr_spill_count: 0
    .wavefront_size: 32
    .workgroup_processor_mode: 1
  - .args:
      - .offset:         0
        .size:           216
        .value_kind:     by_value
      - .offset:         216
        .size:           4
        .value_kind:     by_value
      - .offset:         220
        .size:           4
        .value_kind:     by_value
      - .offset:         224
        .size:           4
        .value_kind:     by_value
      - .offset:         232
        .size:           216
        .value_kind:     by_value
      - .offset:         448
        .size:           4
        .value_kind:     by_value
      - .offset:         452
        .size:           1
        .value_kind:     by_value
      - .offset:         456
        .size:           4
        .value_kind:     hidden_block_count_x
      - .offset:         460
        .size:           4
        .value_kind:     hidden_block_count_y
      - .offset:         464
        .size:           4
        .value_kind:     hidden_block_count_z
      - .offset:         468
        .size:           2
        .value_kind:     hidden_group_size_x
      - .offset:         470
        .size:           2
        .value_kind:     hidden_group_size_y
      - .offset:         472
        .size:           2
        .value_kind:     hidden_group_size_z
      - .offset:         474
        .size:           2
        .value_kind:     hidden_remainder_x
      - .offset:         476
        .size:           2
        .value_kind:     hidden_remainder_y
      - .offset:         478
        .size:           2
        .value_kind:     hidden_remainder_z
      - .offset:         496
        .size:           8
        .value_kind:     hidden_global_offset_x
      - .offset:         504
        .size:           8
        .value_kind:     hidden_global_offset_y
      - .offset:         512
        .size:           8
        .value_kind:     hidden_global_offset_z
      - .offset:         520
        .size:           2
        .value_kind:     hidden_grid_dims
    .group_segment_fixed_size: 8704
    .kernarg_segment_align: 8
    .kernarg_segment_size: 712
    .language:       OpenCL C
    .language_version:
      - 2
      - 0
    .max_flat_workgroup_size: 256
    .name:           _ZN2at6native20bitonicSortKVInPlaceILi2ELin1ELi16ELi16EllNS0_4LTOpIlLb1EEEjEEvNS_4cuda6detail10TensorInfoIT3_T6_EES8_S8_S8_NS6_IT4_S8_EES8_T5_
    .private_segment_fixed_size: 0
    .sgpr_count:     21
    .sgpr_spill_count: 0
    .symbol:         _ZN2at6native20bitonicSortKVInPlaceILi2ELin1ELi16ELi16EllNS0_4LTOpIlLb1EEEjEEvNS_4cuda6detail10TensorInfoIT3_T6_EES8_S8_S8_NS6_IT4_S8_EES8_T5_.kd
    .uniform_work_group_size: 1
    .uses_dynamic_stack: false
    .vgpr_count:     44
    .vgpr_spill_count: 0
    .wavefront_size: 32
    .workgroup_processor_mode: 1
  - .args:
      - .offset:         0
        .size:           216
        .value_kind:     by_value
      - .offset:         216
        .size:           4
        .value_kind:     by_value
      - .offset:         220
        .size:           4
        .value_kind:     by_value
      - .offset:         224
        .size:           4
        .value_kind:     by_value
      - .offset:         232
        .size:           216
        .value_kind:     by_value
      - .offset:         448
        .size:           4
        .value_kind:     by_value
      - .offset:         452
        .size:           1
        .value_kind:     by_value
      - .offset:         456
        .size:           4
        .value_kind:     hidden_block_count_x
      - .offset:         460
        .size:           4
        .value_kind:     hidden_block_count_y
      - .offset:         464
        .size:           4
        .value_kind:     hidden_block_count_z
      - .offset:         468
        .size:           2
        .value_kind:     hidden_group_size_x
      - .offset:         470
        .size:           2
        .value_kind:     hidden_group_size_y
      - .offset:         472
        .size:           2
        .value_kind:     hidden_group_size_z
      - .offset:         474
        .size:           2
        .value_kind:     hidden_remainder_x
      - .offset:         476
        .size:           2
        .value_kind:     hidden_remainder_y
      - .offset:         478
        .size:           2
        .value_kind:     hidden_remainder_z
      - .offset:         496
        .size:           8
        .value_kind:     hidden_global_offset_x
      - .offset:         504
        .size:           8
        .value_kind:     hidden_global_offset_y
      - .offset:         512
        .size:           8
        .value_kind:     hidden_global_offset_z
      - .offset:         520
        .size:           2
        .value_kind:     hidden_grid_dims
    .group_segment_fixed_size: 8704
    .kernarg_segment_align: 8
    .kernarg_segment_size: 712
    .language:       OpenCL C
    .language_version:
      - 2
      - 0
    .max_flat_workgroup_size: 256
    .name:           _ZN2at6native20bitonicSortKVInPlaceILi2ELin1ELi16ELi16EllNS0_4GTOpIlLb1EEEjEEvNS_4cuda6detail10TensorInfoIT3_T6_EES8_S8_S8_NS6_IT4_S8_EES8_T5_
    .private_segment_fixed_size: 0
    .sgpr_count:     21
    .sgpr_spill_count: 0
    .symbol:         _ZN2at6native20bitonicSortKVInPlaceILi2ELin1ELi16ELi16EllNS0_4GTOpIlLb1EEEjEEvNS_4cuda6detail10TensorInfoIT3_T6_EES8_S8_S8_NS6_IT4_S8_EES8_T5_.kd
    .uniform_work_group_size: 1
    .uses_dynamic_stack: false
    .vgpr_count:     44
    .vgpr_spill_count: 0
    .wavefront_size: 32
    .workgroup_processor_mode: 1
  - .args:
      - .offset:         0
        .size:           216
        .value_kind:     by_value
      - .offset:         216
        .size:           4
        .value_kind:     by_value
      - .offset:         220
        .size:           4
        .value_kind:     by_value
      - .offset:         224
        .size:           4
        .value_kind:     by_value
      - .offset:         232
        .size:           216
        .value_kind:     by_value
      - .offset:         448
        .size:           4
        .value_kind:     by_value
      - .offset:         452
        .size:           1
        .value_kind:     by_value
      - .offset:         456
        .size:           4
        .value_kind:     hidden_block_count_x
      - .offset:         460
        .size:           4
        .value_kind:     hidden_block_count_y
      - .offset:         464
        .size:           4
        .value_kind:     hidden_block_count_z
      - .offset:         468
        .size:           2
        .value_kind:     hidden_group_size_x
      - .offset:         470
        .size:           2
        .value_kind:     hidden_group_size_y
      - .offset:         472
        .size:           2
        .value_kind:     hidden_group_size_z
      - .offset:         474
        .size:           2
        .value_kind:     hidden_remainder_x
      - .offset:         476
        .size:           2
        .value_kind:     hidden_remainder_y
      - .offset:         478
        .size:           2
        .value_kind:     hidden_remainder_z
      - .offset:         496
        .size:           8
        .value_kind:     hidden_global_offset_x
      - .offset:         504
        .size:           8
        .value_kind:     hidden_global_offset_y
      - .offset:         512
        .size:           8
        .value_kind:     hidden_global_offset_z
      - .offset:         520
        .size:           2
        .value_kind:     hidden_grid_dims
    .group_segment_fixed_size: 8704
    .kernarg_segment_align: 8
    .kernarg_segment_size: 712
    .language:       OpenCL C
    .language_version:
      - 2
      - 0
    .max_flat_workgroup_size: 256
    .name:           _ZN2at6native20bitonicSortKVInPlaceILin1ELin1ELi16ELi16EllNS0_4LTOpIlLb1EEEjEEvNS_4cuda6detail10TensorInfoIT3_T6_EES8_S8_S8_NS6_IT4_S8_EES8_T5_
    .private_segment_fixed_size: 0
    .sgpr_count:     16
    .sgpr_spill_count: 0
    .symbol:         _ZN2at6native20bitonicSortKVInPlaceILin1ELin1ELi16ELi16EllNS0_4LTOpIlLb1EEEjEEvNS_4cuda6detail10TensorInfoIT3_T6_EES8_S8_S8_NS6_IT4_S8_EES8_T5_.kd
    .uniform_work_group_size: 1
    .uses_dynamic_stack: false
    .vgpr_count:     44
    .vgpr_spill_count: 0
    .wavefront_size: 32
    .workgroup_processor_mode: 1
  - .args:
      - .offset:         0
        .size:           216
        .value_kind:     by_value
      - .offset:         216
        .size:           4
        .value_kind:     by_value
      - .offset:         220
        .size:           4
        .value_kind:     by_value
      - .offset:         224
        .size:           4
        .value_kind:     by_value
      - .offset:         232
        .size:           216
        .value_kind:     by_value
      - .offset:         448
        .size:           4
        .value_kind:     by_value
      - .offset:         452
        .size:           1
        .value_kind:     by_value
      - .offset:         456
        .size:           4
        .value_kind:     hidden_block_count_x
      - .offset:         460
        .size:           4
        .value_kind:     hidden_block_count_y
      - .offset:         464
        .size:           4
        .value_kind:     hidden_block_count_z
      - .offset:         468
        .size:           2
        .value_kind:     hidden_group_size_x
      - .offset:         470
        .size:           2
        .value_kind:     hidden_group_size_y
      - .offset:         472
        .size:           2
        .value_kind:     hidden_group_size_z
      - .offset:         474
        .size:           2
        .value_kind:     hidden_remainder_x
      - .offset:         476
        .size:           2
        .value_kind:     hidden_remainder_y
      - .offset:         478
        .size:           2
        .value_kind:     hidden_remainder_z
      - .offset:         496
        .size:           8
        .value_kind:     hidden_global_offset_x
      - .offset:         504
        .size:           8
        .value_kind:     hidden_global_offset_y
      - .offset:         512
        .size:           8
        .value_kind:     hidden_global_offset_z
      - .offset:         520
        .size:           2
        .value_kind:     hidden_grid_dims
    .group_segment_fixed_size: 8704
    .kernarg_segment_align: 8
    .kernarg_segment_size: 712
    .language:       OpenCL C
    .language_version:
      - 2
      - 0
    .max_flat_workgroup_size: 256
    .name:           _ZN2at6native20bitonicSortKVInPlaceILin1ELin1ELi16ELi16EllNS0_4GTOpIlLb1EEEjEEvNS_4cuda6detail10TensorInfoIT3_T6_EES8_S8_S8_NS6_IT4_S8_EES8_T5_
    .private_segment_fixed_size: 0
    .sgpr_count:     16
    .sgpr_spill_count: 0
    .symbol:         _ZN2at6native20bitonicSortKVInPlaceILin1ELin1ELi16ELi16EllNS0_4GTOpIlLb1EEEjEEvNS_4cuda6detail10TensorInfoIT3_T6_EES8_S8_S8_NS6_IT4_S8_EES8_T5_.kd
    .uniform_work_group_size: 1
    .uses_dynamic_stack: false
    .vgpr_count:     44
    .vgpr_spill_count: 0
    .wavefront_size: 32
    .workgroup_processor_mode: 1
  - .args:
      - .offset:         0
        .size:           416
        .value_kind:     by_value
      - .offset:         416
        .size:           8
        .value_kind:     by_value
      - .offset:         424
        .size:           8
        .value_kind:     by_value
      - .offset:         432
        .size:           8
        .value_kind:     by_value
      - .offset:         440
        .size:           416
        .value_kind:     by_value
      - .offset:         856
        .size:           8
        .value_kind:     by_value
      - .offset:         864
        .size:           1
        .value_kind:     by_value
      - .offset:         872
        .size:           4
        .value_kind:     hidden_block_count_x
      - .offset:         876
        .size:           4
        .value_kind:     hidden_block_count_y
      - .offset:         880
        .size:           4
        .value_kind:     hidden_block_count_z
      - .offset:         884
        .size:           2
        .value_kind:     hidden_group_size_x
      - .offset:         886
        .size:           2
        .value_kind:     hidden_group_size_y
      - .offset:         888
        .size:           2
        .value_kind:     hidden_group_size_z
      - .offset:         890
        .size:           2
        .value_kind:     hidden_remainder_x
      - .offset:         892
        .size:           2
        .value_kind:     hidden_remainder_y
      - .offset:         894
        .size:           2
        .value_kind:     hidden_remainder_z
      - .offset:         912
        .size:           8
        .value_kind:     hidden_global_offset_x
      - .offset:         920
        .size:           8
        .value_kind:     hidden_global_offset_y
      - .offset:         928
        .size:           8
        .value_kind:     hidden_global_offset_z
      - .offset:         936
        .size:           2
        .value_kind:     hidden_grid_dims
    .group_segment_fixed_size: 8704
    .kernarg_segment_align: 8
    .kernarg_segment_size: 1128
    .language:       OpenCL C
    .language_version:
      - 2
      - 0
    .max_flat_workgroup_size: 256
    .name:           _ZN2at6native20bitonicSortKVInPlaceILin1ELin1ELi16ELi16EllNS0_4LTOpIlLb1EEEmEEvNS_4cuda6detail10TensorInfoIT3_T6_EES8_S8_S8_NS6_IT4_S8_EES8_T5_
    .private_segment_fixed_size: 0
    .sgpr_count:     33
    .sgpr_spill_count: 0
    .symbol:         _ZN2at6native20bitonicSortKVInPlaceILin1ELin1ELi16ELi16EllNS0_4LTOpIlLb1EEEmEEvNS_4cuda6detail10TensorInfoIT3_T6_EES8_S8_S8_NS6_IT4_S8_EES8_T5_.kd
    .uniform_work_group_size: 1
    .uses_dynamic_stack: false
    .vgpr_count:     46
    .vgpr_spill_count: 0
    .wavefront_size: 32
    .workgroup_processor_mode: 1
  - .args:
      - .offset:         0
        .size:           416
        .value_kind:     by_value
      - .offset:         416
        .size:           8
        .value_kind:     by_value
      - .offset:         424
        .size:           8
        .value_kind:     by_value
      - .offset:         432
        .size:           8
        .value_kind:     by_value
      - .offset:         440
        .size:           416
        .value_kind:     by_value
      - .offset:         856
        .size:           8
        .value_kind:     by_value
      - .offset:         864
        .size:           1
        .value_kind:     by_value
      - .offset:         872
        .size:           4
        .value_kind:     hidden_block_count_x
      - .offset:         876
        .size:           4
        .value_kind:     hidden_block_count_y
      - .offset:         880
        .size:           4
        .value_kind:     hidden_block_count_z
      - .offset:         884
        .size:           2
        .value_kind:     hidden_group_size_x
      - .offset:         886
        .size:           2
        .value_kind:     hidden_group_size_y
      - .offset:         888
        .size:           2
        .value_kind:     hidden_group_size_z
      - .offset:         890
        .size:           2
        .value_kind:     hidden_remainder_x
      - .offset:         892
        .size:           2
        .value_kind:     hidden_remainder_y
      - .offset:         894
        .size:           2
        .value_kind:     hidden_remainder_z
      - .offset:         912
        .size:           8
        .value_kind:     hidden_global_offset_x
      - .offset:         920
        .size:           8
        .value_kind:     hidden_global_offset_y
      - .offset:         928
        .size:           8
        .value_kind:     hidden_global_offset_z
      - .offset:         936
        .size:           2
        .value_kind:     hidden_grid_dims
    .group_segment_fixed_size: 8704
    .kernarg_segment_align: 8
    .kernarg_segment_size: 1128
    .language:       OpenCL C
    .language_version:
      - 2
      - 0
    .max_flat_workgroup_size: 256
    .name:           _ZN2at6native20bitonicSortKVInPlaceILin1ELin1ELi16ELi16EllNS0_4GTOpIlLb1EEEmEEvNS_4cuda6detail10TensorInfoIT3_T6_EES8_S8_S8_NS6_IT4_S8_EES8_T5_
    .private_segment_fixed_size: 0
    .sgpr_count:     33
    .sgpr_spill_count: 0
    .symbol:         _ZN2at6native20bitonicSortKVInPlaceILin1ELin1ELi16ELi16EllNS0_4GTOpIlLb1EEEmEEvNS_4cuda6detail10TensorInfoIT3_T6_EES8_S8_S8_NS6_IT4_S8_EES8_T5_.kd
    .uniform_work_group_size: 1
    .uses_dynamic_stack: false
    .vgpr_count:     46
    .vgpr_spill_count: 0
    .wavefront_size: 32
    .workgroup_processor_mode: 1
  - .args:
      - .offset:         0
        .size:           216
        .value_kind:     by_value
      - .offset:         216
        .size:           4
        .value_kind:     by_value
      - .offset:         220
        .size:           4
        .value_kind:     by_value
      - .offset:         224
        .size:           4
        .value_kind:     by_value
      - .offset:         232
        .size:           216
        .value_kind:     by_value
      - .offset:         448
        .size:           4
        .value_kind:     by_value
      - .offset:         452
        .size:           1
        .value_kind:     by_value
      - .offset:         456
        .size:           4
        .value_kind:     hidden_block_count_x
      - .offset:         460
        .size:           4
        .value_kind:     hidden_block_count_y
      - .offset:         464
        .size:           4
        .value_kind:     hidden_block_count_z
      - .offset:         468
        .size:           2
        .value_kind:     hidden_group_size_x
      - .offset:         470
        .size:           2
        .value_kind:     hidden_group_size_y
      - .offset:         472
        .size:           2
        .value_kind:     hidden_group_size_z
      - .offset:         474
        .size:           2
        .value_kind:     hidden_remainder_x
      - .offset:         476
        .size:           2
        .value_kind:     hidden_remainder_y
      - .offset:         478
        .size:           2
        .value_kind:     hidden_remainder_z
      - .offset:         496
        .size:           8
        .value_kind:     hidden_global_offset_x
      - .offset:         504
        .size:           8
        .value_kind:     hidden_global_offset_y
      - .offset:         512
        .size:           8
        .value_kind:     hidden_global_offset_z
      - .offset:         520
        .size:           2
        .value_kind:     hidden_grid_dims
    .group_segment_fixed_size: 5632
    .kernarg_segment_align: 8
    .kernarg_segment_size: 712
    .language:       OpenCL C
    .language_version:
      - 2
      - 0
    .max_flat_workgroup_size: 256
    .name:           _ZN2at6native20bitonicSortKVInPlaceILin2ELin1ELi16ELi16EslNS0_4LTOpIsLb1EEEjEEvNS_4cuda6detail10TensorInfoIT3_T6_EES8_S8_S8_NS6_IT4_S8_EES8_T5_
    .private_segment_fixed_size: 0
    .sgpr_count:     18
    .sgpr_spill_count: 0
    .symbol:         _ZN2at6native20bitonicSortKVInPlaceILin2ELin1ELi16ELi16EslNS0_4LTOpIsLb1EEEjEEvNS_4cuda6detail10TensorInfoIT3_T6_EES8_S8_S8_NS6_IT4_S8_EES8_T5_.kd
    .uniform_work_group_size: 1
    .uses_dynamic_stack: false
    .vgpr_count:     34
    .vgpr_spill_count: 0
    .wavefront_size: 32
    .workgroup_processor_mode: 1
  - .args:
      - .offset:         0
        .size:           216
        .value_kind:     by_value
      - .offset:         216
        .size:           4
        .value_kind:     by_value
      - .offset:         220
        .size:           4
        .value_kind:     by_value
      - .offset:         224
        .size:           4
        .value_kind:     by_value
      - .offset:         232
        .size:           216
        .value_kind:     by_value
      - .offset:         448
        .size:           4
        .value_kind:     by_value
      - .offset:         452
        .size:           1
        .value_kind:     by_value
      - .offset:         456
        .size:           4
        .value_kind:     hidden_block_count_x
      - .offset:         460
        .size:           4
        .value_kind:     hidden_block_count_y
      - .offset:         464
        .size:           4
        .value_kind:     hidden_block_count_z
      - .offset:         468
        .size:           2
        .value_kind:     hidden_group_size_x
      - .offset:         470
        .size:           2
        .value_kind:     hidden_group_size_y
      - .offset:         472
        .size:           2
        .value_kind:     hidden_group_size_z
      - .offset:         474
        .size:           2
        .value_kind:     hidden_remainder_x
      - .offset:         476
        .size:           2
        .value_kind:     hidden_remainder_y
      - .offset:         478
        .size:           2
        .value_kind:     hidden_remainder_z
      - .offset:         496
        .size:           8
        .value_kind:     hidden_global_offset_x
      - .offset:         504
        .size:           8
        .value_kind:     hidden_global_offset_y
      - .offset:         512
        .size:           8
        .value_kind:     hidden_global_offset_z
      - .offset:         520
        .size:           2
        .value_kind:     hidden_grid_dims
    .group_segment_fixed_size: 5632
    .kernarg_segment_align: 8
    .kernarg_segment_size: 712
    .language:       OpenCL C
    .language_version:
      - 2
      - 0
    .max_flat_workgroup_size: 256
    .name:           _ZN2at6native20bitonicSortKVInPlaceILin2ELin1ELi16ELi16EslNS0_4GTOpIsLb1EEEjEEvNS_4cuda6detail10TensorInfoIT3_T6_EES8_S8_S8_NS6_IT4_S8_EES8_T5_
    .private_segment_fixed_size: 0
    .sgpr_count:     18
    .sgpr_spill_count: 0
    .symbol:         _ZN2at6native20bitonicSortKVInPlaceILin2ELin1ELi16ELi16EslNS0_4GTOpIsLb1EEEjEEvNS_4cuda6detail10TensorInfoIT3_T6_EES8_S8_S8_NS6_IT4_S8_EES8_T5_.kd
    .uniform_work_group_size: 1
    .uses_dynamic_stack: false
    .vgpr_count:     34
    .vgpr_spill_count: 0
    .wavefront_size: 32
    .workgroup_processor_mode: 1
  - .args:
      - .offset:         0
        .size:           216
        .value_kind:     by_value
      - .offset:         216
        .size:           4
        .value_kind:     by_value
      - .offset:         220
        .size:           4
        .value_kind:     by_value
      - .offset:         224
        .size:           4
        .value_kind:     by_value
      - .offset:         232
        .size:           216
        .value_kind:     by_value
      - .offset:         448
        .size:           4
        .value_kind:     by_value
      - .offset:         452
        .size:           1
        .value_kind:     by_value
      - .offset:         456
        .size:           4
        .value_kind:     hidden_block_count_x
      - .offset:         460
        .size:           4
        .value_kind:     hidden_block_count_y
      - .offset:         464
        .size:           4
        .value_kind:     hidden_block_count_z
      - .offset:         468
        .size:           2
        .value_kind:     hidden_group_size_x
      - .offset:         470
        .size:           2
        .value_kind:     hidden_group_size_y
      - .offset:         472
        .size:           2
        .value_kind:     hidden_group_size_z
      - .offset:         474
        .size:           2
        .value_kind:     hidden_remainder_x
      - .offset:         476
        .size:           2
        .value_kind:     hidden_remainder_y
      - .offset:         478
        .size:           2
        .value_kind:     hidden_remainder_z
      - .offset:         496
        .size:           8
        .value_kind:     hidden_global_offset_x
      - .offset:         504
        .size:           8
        .value_kind:     hidden_global_offset_y
      - .offset:         512
        .size:           8
        .value_kind:     hidden_global_offset_z
      - .offset:         520
        .size:           2
        .value_kind:     hidden_grid_dims
    .group_segment_fixed_size: 5632
    .kernarg_segment_align: 8
    .kernarg_segment_size: 712
    .language:       OpenCL C
    .language_version:
      - 2
      - 0
    .max_flat_workgroup_size: 256
    .name:           _ZN2at6native20bitonicSortKVInPlaceILi2ELin1ELi16ELi16EslNS0_4LTOpIsLb1EEEjEEvNS_4cuda6detail10TensorInfoIT3_T6_EES8_S8_S8_NS6_IT4_S8_EES8_T5_
    .private_segment_fixed_size: 0
    .sgpr_count:     21
    .sgpr_spill_count: 0
    .symbol:         _ZN2at6native20bitonicSortKVInPlaceILi2ELin1ELi16ELi16EslNS0_4LTOpIsLb1EEEjEEvNS_4cuda6detail10TensorInfoIT3_T6_EES8_S8_S8_NS6_IT4_S8_EES8_T5_.kd
    .uniform_work_group_size: 1
    .uses_dynamic_stack: false
    .vgpr_count:     34
    .vgpr_spill_count: 0
    .wavefront_size: 32
    .workgroup_processor_mode: 1
  - .args:
      - .offset:         0
        .size:           216
        .value_kind:     by_value
      - .offset:         216
        .size:           4
        .value_kind:     by_value
      - .offset:         220
        .size:           4
        .value_kind:     by_value
      - .offset:         224
        .size:           4
        .value_kind:     by_value
      - .offset:         232
        .size:           216
        .value_kind:     by_value
      - .offset:         448
        .size:           4
        .value_kind:     by_value
      - .offset:         452
        .size:           1
        .value_kind:     by_value
      - .offset:         456
        .size:           4
        .value_kind:     hidden_block_count_x
      - .offset:         460
        .size:           4
        .value_kind:     hidden_block_count_y
      - .offset:         464
        .size:           4
        .value_kind:     hidden_block_count_z
      - .offset:         468
        .size:           2
        .value_kind:     hidden_group_size_x
      - .offset:         470
        .size:           2
        .value_kind:     hidden_group_size_y
      - .offset:         472
        .size:           2
        .value_kind:     hidden_group_size_z
      - .offset:         474
        .size:           2
        .value_kind:     hidden_remainder_x
      - .offset:         476
        .size:           2
        .value_kind:     hidden_remainder_y
      - .offset:         478
        .size:           2
        .value_kind:     hidden_remainder_z
      - .offset:         496
        .size:           8
        .value_kind:     hidden_global_offset_x
      - .offset:         504
        .size:           8
        .value_kind:     hidden_global_offset_y
      - .offset:         512
        .size:           8
        .value_kind:     hidden_global_offset_z
      - .offset:         520
        .size:           2
        .value_kind:     hidden_grid_dims
    .group_segment_fixed_size: 5632
    .kernarg_segment_align: 8
    .kernarg_segment_size: 712
    .language:       OpenCL C
    .language_version:
      - 2
      - 0
    .max_flat_workgroup_size: 256
    .name:           _ZN2at6native20bitonicSortKVInPlaceILi2ELin1ELi16ELi16EslNS0_4GTOpIsLb1EEEjEEvNS_4cuda6detail10TensorInfoIT3_T6_EES8_S8_S8_NS6_IT4_S8_EES8_T5_
    .private_segment_fixed_size: 0
    .sgpr_count:     21
    .sgpr_spill_count: 0
    .symbol:         _ZN2at6native20bitonicSortKVInPlaceILi2ELin1ELi16ELi16EslNS0_4GTOpIsLb1EEEjEEvNS_4cuda6detail10TensorInfoIT3_T6_EES8_S8_S8_NS6_IT4_S8_EES8_T5_.kd
    .uniform_work_group_size: 1
    .uses_dynamic_stack: false
    .vgpr_count:     34
    .vgpr_spill_count: 0
    .wavefront_size: 32
    .workgroup_processor_mode: 1
  - .args:
      - .offset:         0
        .size:           216
        .value_kind:     by_value
      - .offset:         216
        .size:           4
        .value_kind:     by_value
      - .offset:         220
        .size:           4
        .value_kind:     by_value
      - .offset:         224
        .size:           4
        .value_kind:     by_value
      - .offset:         232
        .size:           216
        .value_kind:     by_value
      - .offset:         448
        .size:           4
        .value_kind:     by_value
      - .offset:         452
        .size:           1
        .value_kind:     by_value
      - .offset:         456
        .size:           4
        .value_kind:     hidden_block_count_x
      - .offset:         460
        .size:           4
        .value_kind:     hidden_block_count_y
      - .offset:         464
        .size:           4
        .value_kind:     hidden_block_count_z
      - .offset:         468
        .size:           2
        .value_kind:     hidden_group_size_x
      - .offset:         470
        .size:           2
        .value_kind:     hidden_group_size_y
      - .offset:         472
        .size:           2
        .value_kind:     hidden_group_size_z
      - .offset:         474
        .size:           2
        .value_kind:     hidden_remainder_x
      - .offset:         476
        .size:           2
        .value_kind:     hidden_remainder_y
      - .offset:         478
        .size:           2
        .value_kind:     hidden_remainder_z
      - .offset:         496
        .size:           8
        .value_kind:     hidden_global_offset_x
      - .offset:         504
        .size:           8
        .value_kind:     hidden_global_offset_y
      - .offset:         512
        .size:           8
        .value_kind:     hidden_global_offset_z
      - .offset:         520
        .size:           2
        .value_kind:     hidden_grid_dims
    .group_segment_fixed_size: 5632
    .kernarg_segment_align: 8
    .kernarg_segment_size: 712
    .language:       OpenCL C
    .language_version:
      - 2
      - 0
    .max_flat_workgroup_size: 256
    .name:           _ZN2at6native20bitonicSortKVInPlaceILin1ELin1ELi16ELi16EslNS0_4LTOpIsLb1EEEjEEvNS_4cuda6detail10TensorInfoIT3_T6_EES8_S8_S8_NS6_IT4_S8_EES8_T5_
    .private_segment_fixed_size: 0
    .sgpr_count:     16
    .sgpr_spill_count: 0
    .symbol:         _ZN2at6native20bitonicSortKVInPlaceILin1ELin1ELi16ELi16EslNS0_4LTOpIsLb1EEEjEEvNS_4cuda6detail10TensorInfoIT3_T6_EES8_S8_S8_NS6_IT4_S8_EES8_T5_.kd
    .uniform_work_group_size: 1
    .uses_dynamic_stack: false
    .vgpr_count:     34
    .vgpr_spill_count: 0
    .wavefront_size: 32
    .workgroup_processor_mode: 1
  - .args:
      - .offset:         0
        .size:           216
        .value_kind:     by_value
      - .offset:         216
        .size:           4
        .value_kind:     by_value
      - .offset:         220
        .size:           4
        .value_kind:     by_value
      - .offset:         224
        .size:           4
        .value_kind:     by_value
      - .offset:         232
        .size:           216
        .value_kind:     by_value
      - .offset:         448
        .size:           4
        .value_kind:     by_value
      - .offset:         452
        .size:           1
        .value_kind:     by_value
      - .offset:         456
        .size:           4
        .value_kind:     hidden_block_count_x
      - .offset:         460
        .size:           4
        .value_kind:     hidden_block_count_y
      - .offset:         464
        .size:           4
        .value_kind:     hidden_block_count_z
      - .offset:         468
        .size:           2
        .value_kind:     hidden_group_size_x
      - .offset:         470
        .size:           2
        .value_kind:     hidden_group_size_y
      - .offset:         472
        .size:           2
        .value_kind:     hidden_group_size_z
      - .offset:         474
        .size:           2
        .value_kind:     hidden_remainder_x
      - .offset:         476
        .size:           2
        .value_kind:     hidden_remainder_y
      - .offset:         478
        .size:           2
        .value_kind:     hidden_remainder_z
      - .offset:         496
        .size:           8
        .value_kind:     hidden_global_offset_x
      - .offset:         504
        .size:           8
        .value_kind:     hidden_global_offset_y
      - .offset:         512
        .size:           8
        .value_kind:     hidden_global_offset_z
      - .offset:         520
        .size:           2
        .value_kind:     hidden_grid_dims
    .group_segment_fixed_size: 5632
    .kernarg_segment_align: 8
    .kernarg_segment_size: 712
    .language:       OpenCL C
    .language_version:
      - 2
      - 0
    .max_flat_workgroup_size: 256
    .name:           _ZN2at6native20bitonicSortKVInPlaceILin1ELin1ELi16ELi16EslNS0_4GTOpIsLb1EEEjEEvNS_4cuda6detail10TensorInfoIT3_T6_EES8_S8_S8_NS6_IT4_S8_EES8_T5_
    .private_segment_fixed_size: 0
    .sgpr_count:     16
    .sgpr_spill_count: 0
    .symbol:         _ZN2at6native20bitonicSortKVInPlaceILin1ELin1ELi16ELi16EslNS0_4GTOpIsLb1EEEjEEvNS_4cuda6detail10TensorInfoIT3_T6_EES8_S8_S8_NS6_IT4_S8_EES8_T5_.kd
    .uniform_work_group_size: 1
    .uses_dynamic_stack: false
    .vgpr_count:     34
    .vgpr_spill_count: 0
    .wavefront_size: 32
    .workgroup_processor_mode: 1
  - .args:
      - .offset:         0
        .size:           416
        .value_kind:     by_value
      - .offset:         416
        .size:           8
        .value_kind:     by_value
      - .offset:         424
        .size:           8
        .value_kind:     by_value
      - .offset:         432
        .size:           8
        .value_kind:     by_value
      - .offset:         440
        .size:           416
        .value_kind:     by_value
      - .offset:         856
        .size:           8
        .value_kind:     by_value
      - .offset:         864
        .size:           1
        .value_kind:     by_value
      - .offset:         872
        .size:           4
        .value_kind:     hidden_block_count_x
      - .offset:         876
        .size:           4
        .value_kind:     hidden_block_count_y
      - .offset:         880
        .size:           4
        .value_kind:     hidden_block_count_z
      - .offset:         884
        .size:           2
        .value_kind:     hidden_group_size_x
      - .offset:         886
        .size:           2
        .value_kind:     hidden_group_size_y
      - .offset:         888
        .size:           2
        .value_kind:     hidden_group_size_z
      - .offset:         890
        .size:           2
        .value_kind:     hidden_remainder_x
      - .offset:         892
        .size:           2
        .value_kind:     hidden_remainder_y
      - .offset:         894
        .size:           2
        .value_kind:     hidden_remainder_z
      - .offset:         912
        .size:           8
        .value_kind:     hidden_global_offset_x
      - .offset:         920
        .size:           8
        .value_kind:     hidden_global_offset_y
      - .offset:         928
        .size:           8
        .value_kind:     hidden_global_offset_z
      - .offset:         936
        .size:           2
        .value_kind:     hidden_grid_dims
    .group_segment_fixed_size: 5632
    .kernarg_segment_align: 8
    .kernarg_segment_size: 1128
    .language:       OpenCL C
    .language_version:
      - 2
      - 0
    .max_flat_workgroup_size: 256
    .name:           _ZN2at6native20bitonicSortKVInPlaceILin1ELin1ELi16ELi16EslNS0_4LTOpIsLb1EEEmEEvNS_4cuda6detail10TensorInfoIT3_T6_EES8_S8_S8_NS6_IT4_S8_EES8_T5_
    .private_segment_fixed_size: 0
    .sgpr_count:     33
    .sgpr_spill_count: 0
    .symbol:         _ZN2at6native20bitonicSortKVInPlaceILin1ELin1ELi16ELi16EslNS0_4LTOpIsLb1EEEmEEvNS_4cuda6detail10TensorInfoIT3_T6_EES8_S8_S8_NS6_IT4_S8_EES8_T5_.kd
    .uniform_work_group_size: 1
    .uses_dynamic_stack: false
    .vgpr_count:     36
    .vgpr_spill_count: 0
    .wavefront_size: 32
    .workgroup_processor_mode: 1
  - .args:
      - .offset:         0
        .size:           416
        .value_kind:     by_value
      - .offset:         416
        .size:           8
        .value_kind:     by_value
      - .offset:         424
        .size:           8
        .value_kind:     by_value
      - .offset:         432
        .size:           8
        .value_kind:     by_value
      - .offset:         440
        .size:           416
        .value_kind:     by_value
      - .offset:         856
        .size:           8
        .value_kind:     by_value
      - .offset:         864
        .size:           1
        .value_kind:     by_value
      - .offset:         872
        .size:           4
        .value_kind:     hidden_block_count_x
      - .offset:         876
        .size:           4
        .value_kind:     hidden_block_count_y
      - .offset:         880
        .size:           4
        .value_kind:     hidden_block_count_z
      - .offset:         884
        .size:           2
        .value_kind:     hidden_group_size_x
      - .offset:         886
        .size:           2
        .value_kind:     hidden_group_size_y
      - .offset:         888
        .size:           2
        .value_kind:     hidden_group_size_z
      - .offset:         890
        .size:           2
        .value_kind:     hidden_remainder_x
      - .offset:         892
        .size:           2
        .value_kind:     hidden_remainder_y
      - .offset:         894
        .size:           2
        .value_kind:     hidden_remainder_z
      - .offset:         912
        .size:           8
        .value_kind:     hidden_global_offset_x
      - .offset:         920
        .size:           8
        .value_kind:     hidden_global_offset_y
      - .offset:         928
        .size:           8
        .value_kind:     hidden_global_offset_z
      - .offset:         936
        .size:           2
        .value_kind:     hidden_grid_dims
    .group_segment_fixed_size: 5632
    .kernarg_segment_align: 8
    .kernarg_segment_size: 1128
    .language:       OpenCL C
    .language_version:
      - 2
      - 0
    .max_flat_workgroup_size: 256
    .name:           _ZN2at6native20bitonicSortKVInPlaceILin1ELin1ELi16ELi16EslNS0_4GTOpIsLb1EEEmEEvNS_4cuda6detail10TensorInfoIT3_T6_EES8_S8_S8_NS6_IT4_S8_EES8_T5_
    .private_segment_fixed_size: 0
    .sgpr_count:     33
    .sgpr_spill_count: 0
    .symbol:         _ZN2at6native20bitonicSortKVInPlaceILin1ELin1ELi16ELi16EslNS0_4GTOpIsLb1EEEmEEvNS_4cuda6detail10TensorInfoIT3_T6_EES8_S8_S8_NS6_IT4_S8_EES8_T5_.kd
    .uniform_work_group_size: 1
    .uses_dynamic_stack: false
    .vgpr_count:     36
    .vgpr_spill_count: 0
    .wavefront_size: 32
    .workgroup_processor_mode: 1
  - .args:
      - .offset:         0
        .size:           216
        .value_kind:     by_value
      - .offset:         216
        .size:           4
        .value_kind:     by_value
      - .offset:         220
        .size:           4
        .value_kind:     by_value
      - .offset:         224
        .size:           4
        .value_kind:     by_value
      - .offset:         232
        .size:           216
        .value_kind:     by_value
      - .offset:         448
        .size:           4
        .value_kind:     by_value
      - .offset:         452
        .size:           1
        .value_kind:     by_value
      - .offset:         456
        .size:           4
        .value_kind:     hidden_block_count_x
      - .offset:         460
        .size:           4
        .value_kind:     hidden_block_count_y
      - .offset:         464
        .size:           4
        .value_kind:     hidden_block_count_z
      - .offset:         468
        .size:           2
        .value_kind:     hidden_group_size_x
      - .offset:         470
        .size:           2
        .value_kind:     hidden_group_size_y
      - .offset:         472
        .size:           2
        .value_kind:     hidden_group_size_z
      - .offset:         474
        .size:           2
        .value_kind:     hidden_remainder_x
      - .offset:         476
        .size:           2
        .value_kind:     hidden_remainder_y
      - .offset:         478
        .size:           2
        .value_kind:     hidden_remainder_z
      - .offset:         496
        .size:           8
        .value_kind:     hidden_global_offset_x
      - .offset:         504
        .size:           8
        .value_kind:     hidden_global_offset_y
      - .offset:         512
        .size:           8
        .value_kind:     hidden_global_offset_z
      - .offset:         520
        .size:           2
        .value_kind:     hidden_grid_dims
    .group_segment_fixed_size: 8704
    .kernarg_segment_align: 8
    .kernarg_segment_size: 712
    .language:       OpenCL C
    .language_version:
      - 2
      - 0
    .max_flat_workgroup_size: 256
    .name:           _ZN2at6native20bitonicSortKVInPlaceILin2ELin1ELi16ELi16EdlNS0_4LTOpIdLb1EEEjEEvNS_4cuda6detail10TensorInfoIT3_T6_EES8_S8_S8_NS6_IT4_S8_EES8_T5_
    .private_segment_fixed_size: 0
    .sgpr_count:     18
    .sgpr_spill_count: 0
    .symbol:         _ZN2at6native20bitonicSortKVInPlaceILin2ELin1ELi16ELi16EdlNS0_4LTOpIdLb1EEEjEEvNS_4cuda6detail10TensorInfoIT3_T6_EES8_S8_S8_NS6_IT4_S8_EES8_T5_.kd
    .uniform_work_group_size: 1
    .uses_dynamic_stack: false
    .vgpr_count:     44
    .vgpr_spill_count: 0
    .wavefront_size: 32
    .workgroup_processor_mode: 1
  - .args:
      - .offset:         0
        .size:           216
        .value_kind:     by_value
      - .offset:         216
        .size:           4
        .value_kind:     by_value
      - .offset:         220
        .size:           4
        .value_kind:     by_value
      - .offset:         224
        .size:           4
        .value_kind:     by_value
      - .offset:         232
        .size:           216
        .value_kind:     by_value
      - .offset:         448
        .size:           4
        .value_kind:     by_value
      - .offset:         452
        .size:           1
        .value_kind:     by_value
      - .offset:         456
        .size:           4
        .value_kind:     hidden_block_count_x
      - .offset:         460
        .size:           4
        .value_kind:     hidden_block_count_y
      - .offset:         464
        .size:           4
        .value_kind:     hidden_block_count_z
      - .offset:         468
        .size:           2
        .value_kind:     hidden_group_size_x
      - .offset:         470
        .size:           2
        .value_kind:     hidden_group_size_y
      - .offset:         472
        .size:           2
        .value_kind:     hidden_group_size_z
      - .offset:         474
        .size:           2
        .value_kind:     hidden_remainder_x
      - .offset:         476
        .size:           2
        .value_kind:     hidden_remainder_y
      - .offset:         478
        .size:           2
        .value_kind:     hidden_remainder_z
      - .offset:         496
        .size:           8
        .value_kind:     hidden_global_offset_x
      - .offset:         504
        .size:           8
        .value_kind:     hidden_global_offset_y
      - .offset:         512
        .size:           8
        .value_kind:     hidden_global_offset_z
      - .offset:         520
        .size:           2
        .value_kind:     hidden_grid_dims
    .group_segment_fixed_size: 8704
    .kernarg_segment_align: 8
    .kernarg_segment_size: 712
    .language:       OpenCL C
    .language_version:
      - 2
      - 0
    .max_flat_workgroup_size: 256
    .name:           _ZN2at6native20bitonicSortKVInPlaceILin2ELin1ELi16ELi16EdlNS0_4GTOpIdLb1EEEjEEvNS_4cuda6detail10TensorInfoIT3_T6_EES8_S8_S8_NS6_IT4_S8_EES8_T5_
    .private_segment_fixed_size: 0
    .sgpr_count:     18
    .sgpr_spill_count: 0
    .symbol:         _ZN2at6native20bitonicSortKVInPlaceILin2ELin1ELi16ELi16EdlNS0_4GTOpIdLb1EEEjEEvNS_4cuda6detail10TensorInfoIT3_T6_EES8_S8_S8_NS6_IT4_S8_EES8_T5_.kd
    .uniform_work_group_size: 1
    .uses_dynamic_stack: false
    .vgpr_count:     44
    .vgpr_spill_count: 0
    .wavefront_size: 32
    .workgroup_processor_mode: 1
  - .args:
      - .offset:         0
        .size:           216
        .value_kind:     by_value
      - .offset:         216
        .size:           4
        .value_kind:     by_value
      - .offset:         220
        .size:           4
        .value_kind:     by_value
      - .offset:         224
        .size:           4
        .value_kind:     by_value
      - .offset:         232
        .size:           216
        .value_kind:     by_value
      - .offset:         448
        .size:           4
        .value_kind:     by_value
      - .offset:         452
        .size:           1
        .value_kind:     by_value
      - .offset:         456
        .size:           4
        .value_kind:     hidden_block_count_x
      - .offset:         460
        .size:           4
        .value_kind:     hidden_block_count_y
      - .offset:         464
        .size:           4
        .value_kind:     hidden_block_count_z
      - .offset:         468
        .size:           2
        .value_kind:     hidden_group_size_x
      - .offset:         470
        .size:           2
        .value_kind:     hidden_group_size_y
      - .offset:         472
        .size:           2
        .value_kind:     hidden_group_size_z
      - .offset:         474
        .size:           2
        .value_kind:     hidden_remainder_x
      - .offset:         476
        .size:           2
        .value_kind:     hidden_remainder_y
      - .offset:         478
        .size:           2
        .value_kind:     hidden_remainder_z
      - .offset:         496
        .size:           8
        .value_kind:     hidden_global_offset_x
      - .offset:         504
        .size:           8
        .value_kind:     hidden_global_offset_y
      - .offset:         512
        .size:           8
        .value_kind:     hidden_global_offset_z
      - .offset:         520
        .size:           2
        .value_kind:     hidden_grid_dims
    .group_segment_fixed_size: 8704
    .kernarg_segment_align: 8
    .kernarg_segment_size: 712
    .language:       OpenCL C
    .language_version:
      - 2
      - 0
    .max_flat_workgroup_size: 256
    .name:           _ZN2at6native20bitonicSortKVInPlaceILi2ELin1ELi16ELi16EdlNS0_4LTOpIdLb1EEEjEEvNS_4cuda6detail10TensorInfoIT3_T6_EES8_S8_S8_NS6_IT4_S8_EES8_T5_
    .private_segment_fixed_size: 0
    .sgpr_count:     21
    .sgpr_spill_count: 0
    .symbol:         _ZN2at6native20bitonicSortKVInPlaceILi2ELin1ELi16ELi16EdlNS0_4LTOpIdLb1EEEjEEvNS_4cuda6detail10TensorInfoIT3_T6_EES8_S8_S8_NS6_IT4_S8_EES8_T5_.kd
    .uniform_work_group_size: 1
    .uses_dynamic_stack: false
    .vgpr_count:     44
    .vgpr_spill_count: 0
    .wavefront_size: 32
    .workgroup_processor_mode: 1
  - .args:
      - .offset:         0
        .size:           216
        .value_kind:     by_value
      - .offset:         216
        .size:           4
        .value_kind:     by_value
      - .offset:         220
        .size:           4
        .value_kind:     by_value
      - .offset:         224
        .size:           4
        .value_kind:     by_value
      - .offset:         232
        .size:           216
        .value_kind:     by_value
      - .offset:         448
        .size:           4
        .value_kind:     by_value
      - .offset:         452
        .size:           1
        .value_kind:     by_value
      - .offset:         456
        .size:           4
        .value_kind:     hidden_block_count_x
      - .offset:         460
        .size:           4
        .value_kind:     hidden_block_count_y
      - .offset:         464
        .size:           4
        .value_kind:     hidden_block_count_z
      - .offset:         468
        .size:           2
        .value_kind:     hidden_group_size_x
      - .offset:         470
        .size:           2
        .value_kind:     hidden_group_size_y
      - .offset:         472
        .size:           2
        .value_kind:     hidden_group_size_z
      - .offset:         474
        .size:           2
        .value_kind:     hidden_remainder_x
      - .offset:         476
        .size:           2
        .value_kind:     hidden_remainder_y
      - .offset:         478
        .size:           2
        .value_kind:     hidden_remainder_z
      - .offset:         496
        .size:           8
        .value_kind:     hidden_global_offset_x
      - .offset:         504
        .size:           8
        .value_kind:     hidden_global_offset_y
      - .offset:         512
        .size:           8
        .value_kind:     hidden_global_offset_z
      - .offset:         520
        .size:           2
        .value_kind:     hidden_grid_dims
    .group_segment_fixed_size: 8704
    .kernarg_segment_align: 8
    .kernarg_segment_size: 712
    .language:       OpenCL C
    .language_version:
      - 2
      - 0
    .max_flat_workgroup_size: 256
    .name:           _ZN2at6native20bitonicSortKVInPlaceILi2ELin1ELi16ELi16EdlNS0_4GTOpIdLb1EEEjEEvNS_4cuda6detail10TensorInfoIT3_T6_EES8_S8_S8_NS6_IT4_S8_EES8_T5_
    .private_segment_fixed_size: 0
    .sgpr_count:     21
    .sgpr_spill_count: 0
    .symbol:         _ZN2at6native20bitonicSortKVInPlaceILi2ELin1ELi16ELi16EdlNS0_4GTOpIdLb1EEEjEEvNS_4cuda6detail10TensorInfoIT3_T6_EES8_S8_S8_NS6_IT4_S8_EES8_T5_.kd
    .uniform_work_group_size: 1
    .uses_dynamic_stack: false
    .vgpr_count:     44
    .vgpr_spill_count: 0
    .wavefront_size: 32
    .workgroup_processor_mode: 1
  - .args:
      - .offset:         0
        .size:           216
        .value_kind:     by_value
      - .offset:         216
        .size:           4
        .value_kind:     by_value
      - .offset:         220
        .size:           4
        .value_kind:     by_value
      - .offset:         224
        .size:           4
        .value_kind:     by_value
      - .offset:         232
        .size:           216
        .value_kind:     by_value
      - .offset:         448
        .size:           4
        .value_kind:     by_value
      - .offset:         452
        .size:           1
        .value_kind:     by_value
      - .offset:         456
        .size:           4
        .value_kind:     hidden_block_count_x
      - .offset:         460
        .size:           4
        .value_kind:     hidden_block_count_y
      - .offset:         464
        .size:           4
        .value_kind:     hidden_block_count_z
      - .offset:         468
        .size:           2
        .value_kind:     hidden_group_size_x
      - .offset:         470
        .size:           2
        .value_kind:     hidden_group_size_y
      - .offset:         472
        .size:           2
        .value_kind:     hidden_group_size_z
      - .offset:         474
        .size:           2
        .value_kind:     hidden_remainder_x
      - .offset:         476
        .size:           2
        .value_kind:     hidden_remainder_y
      - .offset:         478
        .size:           2
        .value_kind:     hidden_remainder_z
      - .offset:         496
        .size:           8
        .value_kind:     hidden_global_offset_x
      - .offset:         504
        .size:           8
        .value_kind:     hidden_global_offset_y
      - .offset:         512
        .size:           8
        .value_kind:     hidden_global_offset_z
      - .offset:         520
        .size:           2
        .value_kind:     hidden_grid_dims
    .group_segment_fixed_size: 8704
    .kernarg_segment_align: 8
    .kernarg_segment_size: 712
    .language:       OpenCL C
    .language_version:
      - 2
      - 0
    .max_flat_workgroup_size: 256
    .name:           _ZN2at6native20bitonicSortKVInPlaceILin1ELin1ELi16ELi16EdlNS0_4LTOpIdLb1EEEjEEvNS_4cuda6detail10TensorInfoIT3_T6_EES8_S8_S8_NS6_IT4_S8_EES8_T5_
    .private_segment_fixed_size: 0
    .sgpr_count:     18
    .sgpr_spill_count: 0
    .symbol:         _ZN2at6native20bitonicSortKVInPlaceILin1ELin1ELi16ELi16EdlNS0_4LTOpIdLb1EEEjEEvNS_4cuda6detail10TensorInfoIT3_T6_EES8_S8_S8_NS6_IT4_S8_EES8_T5_.kd
    .uniform_work_group_size: 1
    .uses_dynamic_stack: false
    .vgpr_count:     44
    .vgpr_spill_count: 0
    .wavefront_size: 32
    .workgroup_processor_mode: 1
  - .args:
      - .offset:         0
        .size:           216
        .value_kind:     by_value
      - .offset:         216
        .size:           4
        .value_kind:     by_value
      - .offset:         220
        .size:           4
        .value_kind:     by_value
      - .offset:         224
        .size:           4
        .value_kind:     by_value
      - .offset:         232
        .size:           216
        .value_kind:     by_value
      - .offset:         448
        .size:           4
        .value_kind:     by_value
      - .offset:         452
        .size:           1
        .value_kind:     by_value
      - .offset:         456
        .size:           4
        .value_kind:     hidden_block_count_x
      - .offset:         460
        .size:           4
        .value_kind:     hidden_block_count_y
      - .offset:         464
        .size:           4
        .value_kind:     hidden_block_count_z
      - .offset:         468
        .size:           2
        .value_kind:     hidden_group_size_x
      - .offset:         470
        .size:           2
        .value_kind:     hidden_group_size_y
      - .offset:         472
        .size:           2
        .value_kind:     hidden_group_size_z
      - .offset:         474
        .size:           2
        .value_kind:     hidden_remainder_x
      - .offset:         476
        .size:           2
        .value_kind:     hidden_remainder_y
      - .offset:         478
        .size:           2
        .value_kind:     hidden_remainder_z
      - .offset:         496
        .size:           8
        .value_kind:     hidden_global_offset_x
      - .offset:         504
        .size:           8
        .value_kind:     hidden_global_offset_y
      - .offset:         512
        .size:           8
        .value_kind:     hidden_global_offset_z
      - .offset:         520
        .size:           2
        .value_kind:     hidden_grid_dims
    .group_segment_fixed_size: 8704
    .kernarg_segment_align: 8
    .kernarg_segment_size: 712
    .language:       OpenCL C
    .language_version:
      - 2
      - 0
    .max_flat_workgroup_size: 256
    .name:           _ZN2at6native20bitonicSortKVInPlaceILin1ELin1ELi16ELi16EdlNS0_4GTOpIdLb1EEEjEEvNS_4cuda6detail10TensorInfoIT3_T6_EES8_S8_S8_NS6_IT4_S8_EES8_T5_
    .private_segment_fixed_size: 0
    .sgpr_count:     18
    .sgpr_spill_count: 0
    .symbol:         _ZN2at6native20bitonicSortKVInPlaceILin1ELin1ELi16ELi16EdlNS0_4GTOpIdLb1EEEjEEvNS_4cuda6detail10TensorInfoIT3_T6_EES8_S8_S8_NS6_IT4_S8_EES8_T5_.kd
    .uniform_work_group_size: 1
    .uses_dynamic_stack: false
    .vgpr_count:     44
    .vgpr_spill_count: 0
    .wavefront_size: 32
    .workgroup_processor_mode: 1
  - .args:
      - .offset:         0
        .size:           416
        .value_kind:     by_value
      - .offset:         416
        .size:           8
        .value_kind:     by_value
      - .offset:         424
        .size:           8
        .value_kind:     by_value
      - .offset:         432
        .size:           8
        .value_kind:     by_value
      - .offset:         440
        .size:           416
        .value_kind:     by_value
      - .offset:         856
        .size:           8
        .value_kind:     by_value
      - .offset:         864
        .size:           1
        .value_kind:     by_value
      - .offset:         872
        .size:           4
        .value_kind:     hidden_block_count_x
      - .offset:         876
        .size:           4
        .value_kind:     hidden_block_count_y
      - .offset:         880
        .size:           4
        .value_kind:     hidden_block_count_z
      - .offset:         884
        .size:           2
        .value_kind:     hidden_group_size_x
      - .offset:         886
        .size:           2
        .value_kind:     hidden_group_size_y
      - .offset:         888
        .size:           2
        .value_kind:     hidden_group_size_z
      - .offset:         890
        .size:           2
        .value_kind:     hidden_remainder_x
      - .offset:         892
        .size:           2
        .value_kind:     hidden_remainder_y
      - .offset:         894
        .size:           2
        .value_kind:     hidden_remainder_z
      - .offset:         912
        .size:           8
        .value_kind:     hidden_global_offset_x
      - .offset:         920
        .size:           8
        .value_kind:     hidden_global_offset_y
      - .offset:         928
        .size:           8
        .value_kind:     hidden_global_offset_z
      - .offset:         936
        .size:           2
        .value_kind:     hidden_grid_dims
    .group_segment_fixed_size: 8704
    .kernarg_segment_align: 8
    .kernarg_segment_size: 1128
    .language:       OpenCL C
    .language_version:
      - 2
      - 0
    .max_flat_workgroup_size: 256
    .name:           _ZN2at6native20bitonicSortKVInPlaceILin1ELin1ELi16ELi16EdlNS0_4LTOpIdLb1EEEmEEvNS_4cuda6detail10TensorInfoIT3_T6_EES8_S8_S8_NS6_IT4_S8_EES8_T5_
    .private_segment_fixed_size: 0
    .sgpr_count:     33
    .sgpr_spill_count: 0
    .symbol:         _ZN2at6native20bitonicSortKVInPlaceILin1ELin1ELi16ELi16EdlNS0_4LTOpIdLb1EEEmEEvNS_4cuda6detail10TensorInfoIT3_T6_EES8_S8_S8_NS6_IT4_S8_EES8_T5_.kd
    .uniform_work_group_size: 1
    .uses_dynamic_stack: false
    .vgpr_count:     46
    .vgpr_spill_count: 0
    .wavefront_size: 32
    .workgroup_processor_mode: 1
  - .args:
      - .offset:         0
        .size:           416
        .value_kind:     by_value
      - .offset:         416
        .size:           8
        .value_kind:     by_value
      - .offset:         424
        .size:           8
        .value_kind:     by_value
      - .offset:         432
        .size:           8
        .value_kind:     by_value
      - .offset:         440
        .size:           416
        .value_kind:     by_value
      - .offset:         856
        .size:           8
        .value_kind:     by_value
      - .offset:         864
        .size:           1
        .value_kind:     by_value
      - .offset:         872
        .size:           4
        .value_kind:     hidden_block_count_x
      - .offset:         876
        .size:           4
        .value_kind:     hidden_block_count_y
      - .offset:         880
        .size:           4
        .value_kind:     hidden_block_count_z
      - .offset:         884
        .size:           2
        .value_kind:     hidden_group_size_x
      - .offset:         886
        .size:           2
        .value_kind:     hidden_group_size_y
      - .offset:         888
        .size:           2
        .value_kind:     hidden_group_size_z
      - .offset:         890
        .size:           2
        .value_kind:     hidden_remainder_x
      - .offset:         892
        .size:           2
        .value_kind:     hidden_remainder_y
      - .offset:         894
        .size:           2
        .value_kind:     hidden_remainder_z
      - .offset:         912
        .size:           8
        .value_kind:     hidden_global_offset_x
      - .offset:         920
        .size:           8
        .value_kind:     hidden_global_offset_y
      - .offset:         928
        .size:           8
        .value_kind:     hidden_global_offset_z
      - .offset:         936
        .size:           2
        .value_kind:     hidden_grid_dims
    .group_segment_fixed_size: 8704
    .kernarg_segment_align: 8
    .kernarg_segment_size: 1128
    .language:       OpenCL C
    .language_version:
      - 2
      - 0
    .max_flat_workgroup_size: 256
    .name:           _ZN2at6native20bitonicSortKVInPlaceILin1ELin1ELi16ELi16EdlNS0_4GTOpIdLb1EEEmEEvNS_4cuda6detail10TensorInfoIT3_T6_EES8_S8_S8_NS6_IT4_S8_EES8_T5_
    .private_segment_fixed_size: 0
    .sgpr_count:     33
    .sgpr_spill_count: 0
    .symbol:         _ZN2at6native20bitonicSortKVInPlaceILin1ELin1ELi16ELi16EdlNS0_4GTOpIdLb1EEEmEEvNS_4cuda6detail10TensorInfoIT3_T6_EES8_S8_S8_NS6_IT4_S8_EES8_T5_.kd
    .uniform_work_group_size: 1
    .uses_dynamic_stack: false
    .vgpr_count:     46
    .vgpr_spill_count: 0
    .wavefront_size: 32
    .workgroup_processor_mode: 1
  - .args:
      - .offset:         0
        .size:           216
        .value_kind:     by_value
      - .offset:         216
        .size:           4
        .value_kind:     by_value
      - .offset:         220
        .size:           4
        .value_kind:     by_value
      - .offset:         224
        .size:           4
        .value_kind:     by_value
      - .offset:         232
        .size:           216
        .value_kind:     by_value
      - .offset:         448
        .size:           4
        .value_kind:     by_value
      - .offset:         452
        .size:           1
        .value_kind:     by_value
      - .offset:         456
        .size:           4
        .value_kind:     hidden_block_count_x
      - .offset:         460
        .size:           4
        .value_kind:     hidden_block_count_y
      - .offset:         464
        .size:           4
        .value_kind:     hidden_block_count_z
      - .offset:         468
        .size:           2
        .value_kind:     hidden_group_size_x
      - .offset:         470
        .size:           2
        .value_kind:     hidden_group_size_y
      - .offset:         472
        .size:           2
        .value_kind:     hidden_group_size_z
      - .offset:         474
        .size:           2
        .value_kind:     hidden_remainder_x
      - .offset:         476
        .size:           2
        .value_kind:     hidden_remainder_y
      - .offset:         478
        .size:           2
        .value_kind:     hidden_remainder_z
      - .offset:         496
        .size:           8
        .value_kind:     hidden_global_offset_x
      - .offset:         504
        .size:           8
        .value_kind:     hidden_global_offset_y
      - .offset:         512
        .size:           8
        .value_kind:     hidden_global_offset_z
      - .offset:         520
        .size:           2
        .value_kind:     hidden_grid_dims
    .group_segment_fixed_size: 6656
    .kernarg_segment_align: 8
    .kernarg_segment_size: 712
    .language:       OpenCL C
    .language_version:
      - 2
      - 0
    .max_flat_workgroup_size: 256
    .name:           _ZN2at6native20bitonicSortKVInPlaceILin2ELin1ELi16ELi16EflNS0_4LTOpIfLb1EEEjEEvNS_4cuda6detail10TensorInfoIT3_T6_EES8_S8_S8_NS6_IT4_S8_EES8_T5_
    .private_segment_fixed_size: 0
    .sgpr_count:     18
    .sgpr_spill_count: 0
    .symbol:         _ZN2at6native20bitonicSortKVInPlaceILin2ELin1ELi16ELi16EflNS0_4LTOpIfLb1EEEjEEvNS_4cuda6detail10TensorInfoIT3_T6_EES8_S8_S8_NS6_IT4_S8_EES8_T5_.kd
    .uniform_work_group_size: 1
    .uses_dynamic_stack: false
    .vgpr_count:     36
    .vgpr_spill_count: 0
    .wavefront_size: 32
    .workgroup_processor_mode: 1
  - .args:
      - .offset:         0
        .size:           216
        .value_kind:     by_value
      - .offset:         216
        .size:           4
        .value_kind:     by_value
      - .offset:         220
        .size:           4
        .value_kind:     by_value
      - .offset:         224
        .size:           4
        .value_kind:     by_value
      - .offset:         232
        .size:           216
        .value_kind:     by_value
      - .offset:         448
        .size:           4
        .value_kind:     by_value
      - .offset:         452
        .size:           1
        .value_kind:     by_value
      - .offset:         456
        .size:           4
        .value_kind:     hidden_block_count_x
      - .offset:         460
        .size:           4
        .value_kind:     hidden_block_count_y
      - .offset:         464
        .size:           4
        .value_kind:     hidden_block_count_z
      - .offset:         468
        .size:           2
        .value_kind:     hidden_group_size_x
      - .offset:         470
        .size:           2
        .value_kind:     hidden_group_size_y
      - .offset:         472
        .size:           2
        .value_kind:     hidden_group_size_z
      - .offset:         474
        .size:           2
        .value_kind:     hidden_remainder_x
      - .offset:         476
        .size:           2
        .value_kind:     hidden_remainder_y
      - .offset:         478
        .size:           2
        .value_kind:     hidden_remainder_z
      - .offset:         496
        .size:           8
        .value_kind:     hidden_global_offset_x
      - .offset:         504
        .size:           8
        .value_kind:     hidden_global_offset_y
      - .offset:         512
        .size:           8
        .value_kind:     hidden_global_offset_z
      - .offset:         520
        .size:           2
        .value_kind:     hidden_grid_dims
    .group_segment_fixed_size: 6656
    .kernarg_segment_align: 8
    .kernarg_segment_size: 712
    .language:       OpenCL C
    .language_version:
      - 2
      - 0
    .max_flat_workgroup_size: 256
    .name:           _ZN2at6native20bitonicSortKVInPlaceILin2ELin1ELi16ELi16EflNS0_4GTOpIfLb1EEEjEEvNS_4cuda6detail10TensorInfoIT3_T6_EES8_S8_S8_NS6_IT4_S8_EES8_T5_
    .private_segment_fixed_size: 0
    .sgpr_count:     18
    .sgpr_spill_count: 0
    .symbol:         _ZN2at6native20bitonicSortKVInPlaceILin2ELin1ELi16ELi16EflNS0_4GTOpIfLb1EEEjEEvNS_4cuda6detail10TensorInfoIT3_T6_EES8_S8_S8_NS6_IT4_S8_EES8_T5_.kd
    .uniform_work_group_size: 1
    .uses_dynamic_stack: false
    .vgpr_count:     36
    .vgpr_spill_count: 0
    .wavefront_size: 32
    .workgroup_processor_mode: 1
  - .args:
      - .offset:         0
        .size:           216
        .value_kind:     by_value
      - .offset:         216
        .size:           4
        .value_kind:     by_value
      - .offset:         220
        .size:           4
        .value_kind:     by_value
      - .offset:         224
        .size:           4
        .value_kind:     by_value
      - .offset:         232
        .size:           216
        .value_kind:     by_value
      - .offset:         448
        .size:           4
        .value_kind:     by_value
      - .offset:         452
        .size:           1
        .value_kind:     by_value
      - .offset:         456
        .size:           4
        .value_kind:     hidden_block_count_x
      - .offset:         460
        .size:           4
        .value_kind:     hidden_block_count_y
      - .offset:         464
        .size:           4
        .value_kind:     hidden_block_count_z
      - .offset:         468
        .size:           2
        .value_kind:     hidden_group_size_x
      - .offset:         470
        .size:           2
        .value_kind:     hidden_group_size_y
      - .offset:         472
        .size:           2
        .value_kind:     hidden_group_size_z
      - .offset:         474
        .size:           2
        .value_kind:     hidden_remainder_x
      - .offset:         476
        .size:           2
        .value_kind:     hidden_remainder_y
      - .offset:         478
        .size:           2
        .value_kind:     hidden_remainder_z
      - .offset:         496
        .size:           8
        .value_kind:     hidden_global_offset_x
      - .offset:         504
        .size:           8
        .value_kind:     hidden_global_offset_y
      - .offset:         512
        .size:           8
        .value_kind:     hidden_global_offset_z
      - .offset:         520
        .size:           2
        .value_kind:     hidden_grid_dims
    .group_segment_fixed_size: 6656
    .kernarg_segment_align: 8
    .kernarg_segment_size: 712
    .language:       OpenCL C
    .language_version:
      - 2
      - 0
    .max_flat_workgroup_size: 256
    .name:           _ZN2at6native20bitonicSortKVInPlaceILi2ELin1ELi16ELi16EflNS0_4LTOpIfLb1EEEjEEvNS_4cuda6detail10TensorInfoIT3_T6_EES8_S8_S8_NS6_IT4_S8_EES8_T5_
    .private_segment_fixed_size: 0
    .sgpr_count:     21
    .sgpr_spill_count: 0
    .symbol:         _ZN2at6native20bitonicSortKVInPlaceILi2ELin1ELi16ELi16EflNS0_4LTOpIfLb1EEEjEEvNS_4cuda6detail10TensorInfoIT3_T6_EES8_S8_S8_NS6_IT4_S8_EES8_T5_.kd
    .uniform_work_group_size: 1
    .uses_dynamic_stack: false
    .vgpr_count:     36
    .vgpr_spill_count: 0
    .wavefront_size: 32
    .workgroup_processor_mode: 1
  - .args:
      - .offset:         0
        .size:           216
        .value_kind:     by_value
      - .offset:         216
        .size:           4
        .value_kind:     by_value
      - .offset:         220
        .size:           4
        .value_kind:     by_value
      - .offset:         224
        .size:           4
        .value_kind:     by_value
      - .offset:         232
        .size:           216
        .value_kind:     by_value
      - .offset:         448
        .size:           4
        .value_kind:     by_value
      - .offset:         452
        .size:           1
        .value_kind:     by_value
      - .offset:         456
        .size:           4
        .value_kind:     hidden_block_count_x
      - .offset:         460
        .size:           4
        .value_kind:     hidden_block_count_y
      - .offset:         464
        .size:           4
        .value_kind:     hidden_block_count_z
      - .offset:         468
        .size:           2
        .value_kind:     hidden_group_size_x
      - .offset:         470
        .size:           2
        .value_kind:     hidden_group_size_y
      - .offset:         472
        .size:           2
        .value_kind:     hidden_group_size_z
      - .offset:         474
        .size:           2
        .value_kind:     hidden_remainder_x
      - .offset:         476
        .size:           2
        .value_kind:     hidden_remainder_y
      - .offset:         478
        .size:           2
        .value_kind:     hidden_remainder_z
      - .offset:         496
        .size:           8
        .value_kind:     hidden_global_offset_x
      - .offset:         504
        .size:           8
        .value_kind:     hidden_global_offset_y
      - .offset:         512
        .size:           8
        .value_kind:     hidden_global_offset_z
      - .offset:         520
        .size:           2
        .value_kind:     hidden_grid_dims
    .group_segment_fixed_size: 6656
    .kernarg_segment_align: 8
    .kernarg_segment_size: 712
    .language:       OpenCL C
    .language_version:
      - 2
      - 0
    .max_flat_workgroup_size: 256
    .name:           _ZN2at6native20bitonicSortKVInPlaceILi2ELin1ELi16ELi16EflNS0_4GTOpIfLb1EEEjEEvNS_4cuda6detail10TensorInfoIT3_T6_EES8_S8_S8_NS6_IT4_S8_EES8_T5_
    .private_segment_fixed_size: 0
    .sgpr_count:     21
    .sgpr_spill_count: 0
    .symbol:         _ZN2at6native20bitonicSortKVInPlaceILi2ELin1ELi16ELi16EflNS0_4GTOpIfLb1EEEjEEvNS_4cuda6detail10TensorInfoIT3_T6_EES8_S8_S8_NS6_IT4_S8_EES8_T5_.kd
    .uniform_work_group_size: 1
    .uses_dynamic_stack: false
    .vgpr_count:     36
    .vgpr_spill_count: 0
    .wavefront_size: 32
    .workgroup_processor_mode: 1
  - .args:
      - .offset:         0
        .size:           216
        .value_kind:     by_value
      - .offset:         216
        .size:           4
        .value_kind:     by_value
      - .offset:         220
        .size:           4
        .value_kind:     by_value
      - .offset:         224
        .size:           4
        .value_kind:     by_value
      - .offset:         232
        .size:           216
        .value_kind:     by_value
      - .offset:         448
        .size:           4
        .value_kind:     by_value
      - .offset:         452
        .size:           1
        .value_kind:     by_value
      - .offset:         456
        .size:           4
        .value_kind:     hidden_block_count_x
      - .offset:         460
        .size:           4
        .value_kind:     hidden_block_count_y
      - .offset:         464
        .size:           4
        .value_kind:     hidden_block_count_z
      - .offset:         468
        .size:           2
        .value_kind:     hidden_group_size_x
      - .offset:         470
        .size:           2
        .value_kind:     hidden_group_size_y
      - .offset:         472
        .size:           2
        .value_kind:     hidden_group_size_z
      - .offset:         474
        .size:           2
        .value_kind:     hidden_remainder_x
      - .offset:         476
        .size:           2
        .value_kind:     hidden_remainder_y
      - .offset:         478
        .size:           2
        .value_kind:     hidden_remainder_z
      - .offset:         496
        .size:           8
        .value_kind:     hidden_global_offset_x
      - .offset:         504
        .size:           8
        .value_kind:     hidden_global_offset_y
      - .offset:         512
        .size:           8
        .value_kind:     hidden_global_offset_z
      - .offset:         520
        .size:           2
        .value_kind:     hidden_grid_dims
    .group_segment_fixed_size: 6656
    .kernarg_segment_align: 8
    .kernarg_segment_size: 712
    .language:       OpenCL C
    .language_version:
      - 2
      - 0
    .max_flat_workgroup_size: 256
    .name:           _ZN2at6native20bitonicSortKVInPlaceILin1ELin1ELi16ELi16EflNS0_4LTOpIfLb1EEEjEEvNS_4cuda6detail10TensorInfoIT3_T6_EES8_S8_S8_NS6_IT4_S8_EES8_T5_
    .private_segment_fixed_size: 0
    .sgpr_count:     18
    .sgpr_spill_count: 0
    .symbol:         _ZN2at6native20bitonicSortKVInPlaceILin1ELin1ELi16ELi16EflNS0_4LTOpIfLb1EEEjEEvNS_4cuda6detail10TensorInfoIT3_T6_EES8_S8_S8_NS6_IT4_S8_EES8_T5_.kd
    .uniform_work_group_size: 1
    .uses_dynamic_stack: false
    .vgpr_count:     36
    .vgpr_spill_count: 0
    .wavefront_size: 32
    .workgroup_processor_mode: 1
  - .args:
      - .offset:         0
        .size:           216
        .value_kind:     by_value
      - .offset:         216
        .size:           4
        .value_kind:     by_value
      - .offset:         220
        .size:           4
        .value_kind:     by_value
      - .offset:         224
        .size:           4
        .value_kind:     by_value
      - .offset:         232
        .size:           216
        .value_kind:     by_value
      - .offset:         448
        .size:           4
        .value_kind:     by_value
      - .offset:         452
        .size:           1
        .value_kind:     by_value
      - .offset:         456
        .size:           4
        .value_kind:     hidden_block_count_x
      - .offset:         460
        .size:           4
        .value_kind:     hidden_block_count_y
      - .offset:         464
        .size:           4
        .value_kind:     hidden_block_count_z
      - .offset:         468
        .size:           2
        .value_kind:     hidden_group_size_x
      - .offset:         470
        .size:           2
        .value_kind:     hidden_group_size_y
      - .offset:         472
        .size:           2
        .value_kind:     hidden_group_size_z
      - .offset:         474
        .size:           2
        .value_kind:     hidden_remainder_x
      - .offset:         476
        .size:           2
        .value_kind:     hidden_remainder_y
      - .offset:         478
        .size:           2
        .value_kind:     hidden_remainder_z
      - .offset:         496
        .size:           8
        .value_kind:     hidden_global_offset_x
      - .offset:         504
        .size:           8
        .value_kind:     hidden_global_offset_y
      - .offset:         512
        .size:           8
        .value_kind:     hidden_global_offset_z
      - .offset:         520
        .size:           2
        .value_kind:     hidden_grid_dims
    .group_segment_fixed_size: 6656
    .kernarg_segment_align: 8
    .kernarg_segment_size: 712
    .language:       OpenCL C
    .language_version:
      - 2
      - 0
    .max_flat_workgroup_size: 256
    .name:           _ZN2at6native20bitonicSortKVInPlaceILin1ELin1ELi16ELi16EflNS0_4GTOpIfLb1EEEjEEvNS_4cuda6detail10TensorInfoIT3_T6_EES8_S8_S8_NS6_IT4_S8_EES8_T5_
    .private_segment_fixed_size: 0
    .sgpr_count:     18
    .sgpr_spill_count: 0
    .symbol:         _ZN2at6native20bitonicSortKVInPlaceILin1ELin1ELi16ELi16EflNS0_4GTOpIfLb1EEEjEEvNS_4cuda6detail10TensorInfoIT3_T6_EES8_S8_S8_NS6_IT4_S8_EES8_T5_.kd
    .uniform_work_group_size: 1
    .uses_dynamic_stack: false
    .vgpr_count:     36
    .vgpr_spill_count: 0
    .wavefront_size: 32
    .workgroup_processor_mode: 1
  - .args:
      - .offset:         0
        .size:           416
        .value_kind:     by_value
      - .offset:         416
        .size:           8
        .value_kind:     by_value
      - .offset:         424
        .size:           8
        .value_kind:     by_value
      - .offset:         432
        .size:           8
        .value_kind:     by_value
      - .offset:         440
        .size:           416
        .value_kind:     by_value
      - .offset:         856
        .size:           8
        .value_kind:     by_value
      - .offset:         864
        .size:           1
        .value_kind:     by_value
      - .offset:         872
        .size:           4
        .value_kind:     hidden_block_count_x
      - .offset:         876
        .size:           4
        .value_kind:     hidden_block_count_y
      - .offset:         880
        .size:           4
        .value_kind:     hidden_block_count_z
      - .offset:         884
        .size:           2
        .value_kind:     hidden_group_size_x
      - .offset:         886
        .size:           2
        .value_kind:     hidden_group_size_y
      - .offset:         888
        .size:           2
        .value_kind:     hidden_group_size_z
      - .offset:         890
        .size:           2
        .value_kind:     hidden_remainder_x
      - .offset:         892
        .size:           2
        .value_kind:     hidden_remainder_y
      - .offset:         894
        .size:           2
        .value_kind:     hidden_remainder_z
      - .offset:         912
        .size:           8
        .value_kind:     hidden_global_offset_x
      - .offset:         920
        .size:           8
        .value_kind:     hidden_global_offset_y
      - .offset:         928
        .size:           8
        .value_kind:     hidden_global_offset_z
      - .offset:         936
        .size:           2
        .value_kind:     hidden_grid_dims
    .group_segment_fixed_size: 6656
    .kernarg_segment_align: 8
    .kernarg_segment_size: 1128
    .language:       OpenCL C
    .language_version:
      - 2
      - 0
    .max_flat_workgroup_size: 256
    .name:           _ZN2at6native20bitonicSortKVInPlaceILin1ELin1ELi16ELi16EflNS0_4LTOpIfLb1EEEmEEvNS_4cuda6detail10TensorInfoIT3_T6_EES8_S8_S8_NS6_IT4_S8_EES8_T5_
    .private_segment_fixed_size: 0
    .sgpr_count:     33
    .sgpr_spill_count: 0
    .symbol:         _ZN2at6native20bitonicSortKVInPlaceILin1ELin1ELi16ELi16EflNS0_4LTOpIfLb1EEEmEEvNS_4cuda6detail10TensorInfoIT3_T6_EES8_S8_S8_NS6_IT4_S8_EES8_T5_.kd
    .uniform_work_group_size: 1
    .uses_dynamic_stack: false
    .vgpr_count:     38
    .vgpr_spill_count: 0
    .wavefront_size: 32
    .workgroup_processor_mode: 1
  - .args:
      - .offset:         0
        .size:           416
        .value_kind:     by_value
      - .offset:         416
        .size:           8
        .value_kind:     by_value
      - .offset:         424
        .size:           8
        .value_kind:     by_value
      - .offset:         432
        .size:           8
        .value_kind:     by_value
      - .offset:         440
        .size:           416
        .value_kind:     by_value
      - .offset:         856
        .size:           8
        .value_kind:     by_value
      - .offset:         864
        .size:           1
        .value_kind:     by_value
      - .offset:         872
        .size:           4
        .value_kind:     hidden_block_count_x
      - .offset:         876
        .size:           4
        .value_kind:     hidden_block_count_y
      - .offset:         880
        .size:           4
        .value_kind:     hidden_block_count_z
      - .offset:         884
        .size:           2
        .value_kind:     hidden_group_size_x
      - .offset:         886
        .size:           2
        .value_kind:     hidden_group_size_y
      - .offset:         888
        .size:           2
        .value_kind:     hidden_group_size_z
      - .offset:         890
        .size:           2
        .value_kind:     hidden_remainder_x
      - .offset:         892
        .size:           2
        .value_kind:     hidden_remainder_y
      - .offset:         894
        .size:           2
        .value_kind:     hidden_remainder_z
      - .offset:         912
        .size:           8
        .value_kind:     hidden_global_offset_x
      - .offset:         920
        .size:           8
        .value_kind:     hidden_global_offset_y
      - .offset:         928
        .size:           8
        .value_kind:     hidden_global_offset_z
      - .offset:         936
        .size:           2
        .value_kind:     hidden_grid_dims
    .group_segment_fixed_size: 6656
    .kernarg_segment_align: 8
    .kernarg_segment_size: 1128
    .language:       OpenCL C
    .language_version:
      - 2
      - 0
    .max_flat_workgroup_size: 256
    .name:           _ZN2at6native20bitonicSortKVInPlaceILin1ELin1ELi16ELi16EflNS0_4GTOpIfLb1EEEmEEvNS_4cuda6detail10TensorInfoIT3_T6_EES8_S8_S8_NS6_IT4_S8_EES8_T5_
    .private_segment_fixed_size: 0
    .sgpr_count:     33
    .sgpr_spill_count: 0
    .symbol:         _ZN2at6native20bitonicSortKVInPlaceILin1ELin1ELi16ELi16EflNS0_4GTOpIfLb1EEEmEEvNS_4cuda6detail10TensorInfoIT3_T6_EES8_S8_S8_NS6_IT4_S8_EES8_T5_.kd
    .uniform_work_group_size: 1
    .uses_dynamic_stack: false
    .vgpr_count:     38
    .vgpr_spill_count: 0
    .wavefront_size: 32
    .workgroup_processor_mode: 1
  - .args:
      - .offset:         0
        .size:           216
        .value_kind:     by_value
      - .offset:         216
        .size:           4
        .value_kind:     by_value
      - .offset:         220
        .size:           4
        .value_kind:     by_value
      - .offset:         224
        .size:           4
        .value_kind:     by_value
      - .offset:         232
        .size:           216
        .value_kind:     by_value
      - .offset:         448
        .size:           4
        .value_kind:     by_value
      - .offset:         452
        .size:           1
        .value_kind:     by_value
      - .offset:         456
        .size:           4
        .value_kind:     hidden_block_count_x
      - .offset:         460
        .size:           4
        .value_kind:     hidden_block_count_y
      - .offset:         464
        .size:           4
        .value_kind:     hidden_block_count_z
      - .offset:         468
        .size:           2
        .value_kind:     hidden_group_size_x
      - .offset:         470
        .size:           2
        .value_kind:     hidden_group_size_y
      - .offset:         472
        .size:           2
        .value_kind:     hidden_group_size_z
      - .offset:         474
        .size:           2
        .value_kind:     hidden_remainder_x
      - .offset:         476
        .size:           2
        .value_kind:     hidden_remainder_y
      - .offset:         478
        .size:           2
        .value_kind:     hidden_remainder_z
      - .offset:         496
        .size:           8
        .value_kind:     hidden_global_offset_x
      - .offset:         504
        .size:           8
        .value_kind:     hidden_global_offset_y
      - .offset:         512
        .size:           8
        .value_kind:     hidden_global_offset_z
      - .offset:         520
        .size:           2
        .value_kind:     hidden_grid_dims
    .group_segment_fixed_size: 5632
    .kernarg_segment_align: 8
    .kernarg_segment_size: 712
    .language:       OpenCL C
    .language_version:
      - 2
      - 0
    .max_flat_workgroup_size: 256
    .name:           _ZN2at6native20bitonicSortKVInPlaceILin2ELin1ELi16ELi16EN3c104HalfElNS0_4LTOpIS3_Lb1EEEjEEvNS_4cuda6detail10TensorInfoIT3_T6_EESA_SA_SA_NS8_IT4_SA_EESA_T5_
    .private_segment_fixed_size: 0
    .sgpr_count:     18
    .sgpr_spill_count: 0
    .symbol:         _ZN2at6native20bitonicSortKVInPlaceILin2ELin1ELi16ELi16EN3c104HalfElNS0_4LTOpIS3_Lb1EEEjEEvNS_4cuda6detail10TensorInfoIT3_T6_EESA_SA_SA_NS8_IT4_SA_EESA_T5_.kd
    .uniform_work_group_size: 1
    .uses_dynamic_stack: false
    .vgpr_count:     34
    .vgpr_spill_count: 0
    .wavefront_size: 32
    .workgroup_processor_mode: 1
  - .args:
      - .offset:         0
        .size:           216
        .value_kind:     by_value
      - .offset:         216
        .size:           4
        .value_kind:     by_value
      - .offset:         220
        .size:           4
        .value_kind:     by_value
      - .offset:         224
        .size:           4
        .value_kind:     by_value
      - .offset:         232
        .size:           216
        .value_kind:     by_value
      - .offset:         448
        .size:           4
        .value_kind:     by_value
      - .offset:         452
        .size:           1
        .value_kind:     by_value
      - .offset:         456
        .size:           4
        .value_kind:     hidden_block_count_x
      - .offset:         460
        .size:           4
        .value_kind:     hidden_block_count_y
      - .offset:         464
        .size:           4
        .value_kind:     hidden_block_count_z
      - .offset:         468
        .size:           2
        .value_kind:     hidden_group_size_x
      - .offset:         470
        .size:           2
        .value_kind:     hidden_group_size_y
      - .offset:         472
        .size:           2
        .value_kind:     hidden_group_size_z
      - .offset:         474
        .size:           2
        .value_kind:     hidden_remainder_x
      - .offset:         476
        .size:           2
        .value_kind:     hidden_remainder_y
      - .offset:         478
        .size:           2
        .value_kind:     hidden_remainder_z
      - .offset:         496
        .size:           8
        .value_kind:     hidden_global_offset_x
      - .offset:         504
        .size:           8
        .value_kind:     hidden_global_offset_y
      - .offset:         512
        .size:           8
        .value_kind:     hidden_global_offset_z
      - .offset:         520
        .size:           2
        .value_kind:     hidden_grid_dims
    .group_segment_fixed_size: 5632
    .kernarg_segment_align: 8
    .kernarg_segment_size: 712
    .language:       OpenCL C
    .language_version:
      - 2
      - 0
    .max_flat_workgroup_size: 256
    .name:           _ZN2at6native20bitonicSortKVInPlaceILin2ELin1ELi16ELi16EN3c104HalfElNS0_4GTOpIS3_Lb1EEEjEEvNS_4cuda6detail10TensorInfoIT3_T6_EESA_SA_SA_NS8_IT4_SA_EESA_T5_
    .private_segment_fixed_size: 0
    .sgpr_count:     18
    .sgpr_spill_count: 0
    .symbol:         _ZN2at6native20bitonicSortKVInPlaceILin2ELin1ELi16ELi16EN3c104HalfElNS0_4GTOpIS3_Lb1EEEjEEvNS_4cuda6detail10TensorInfoIT3_T6_EESA_SA_SA_NS8_IT4_SA_EESA_T5_.kd
    .uniform_work_group_size: 1
    .uses_dynamic_stack: false
    .vgpr_count:     34
    .vgpr_spill_count: 0
    .wavefront_size: 32
    .workgroup_processor_mode: 1
  - .args:
      - .offset:         0
        .size:           216
        .value_kind:     by_value
      - .offset:         216
        .size:           4
        .value_kind:     by_value
      - .offset:         220
        .size:           4
        .value_kind:     by_value
      - .offset:         224
        .size:           4
        .value_kind:     by_value
      - .offset:         232
        .size:           216
        .value_kind:     by_value
      - .offset:         448
        .size:           4
        .value_kind:     by_value
      - .offset:         452
        .size:           1
        .value_kind:     by_value
      - .offset:         456
        .size:           4
        .value_kind:     hidden_block_count_x
      - .offset:         460
        .size:           4
        .value_kind:     hidden_block_count_y
      - .offset:         464
        .size:           4
        .value_kind:     hidden_block_count_z
      - .offset:         468
        .size:           2
        .value_kind:     hidden_group_size_x
      - .offset:         470
        .size:           2
        .value_kind:     hidden_group_size_y
      - .offset:         472
        .size:           2
        .value_kind:     hidden_group_size_z
      - .offset:         474
        .size:           2
        .value_kind:     hidden_remainder_x
      - .offset:         476
        .size:           2
        .value_kind:     hidden_remainder_y
      - .offset:         478
        .size:           2
        .value_kind:     hidden_remainder_z
      - .offset:         496
        .size:           8
        .value_kind:     hidden_global_offset_x
      - .offset:         504
        .size:           8
        .value_kind:     hidden_global_offset_y
      - .offset:         512
        .size:           8
        .value_kind:     hidden_global_offset_z
      - .offset:         520
        .size:           2
        .value_kind:     hidden_grid_dims
    .group_segment_fixed_size: 5632
    .kernarg_segment_align: 8
    .kernarg_segment_size: 712
    .language:       OpenCL C
    .language_version:
      - 2
      - 0
    .max_flat_workgroup_size: 256
    .name:           _ZN2at6native20bitonicSortKVInPlaceILi2ELin1ELi16ELi16EN3c104HalfElNS0_4LTOpIS3_Lb1EEEjEEvNS_4cuda6detail10TensorInfoIT3_T6_EESA_SA_SA_NS8_IT4_SA_EESA_T5_
    .private_segment_fixed_size: 0
    .sgpr_count:     21
    .sgpr_spill_count: 0
    .symbol:         _ZN2at6native20bitonicSortKVInPlaceILi2ELin1ELi16ELi16EN3c104HalfElNS0_4LTOpIS3_Lb1EEEjEEvNS_4cuda6detail10TensorInfoIT3_T6_EESA_SA_SA_NS8_IT4_SA_EESA_T5_.kd
    .uniform_work_group_size: 1
    .uses_dynamic_stack: false
    .vgpr_count:     34
    .vgpr_spill_count: 0
    .wavefront_size: 32
    .workgroup_processor_mode: 1
  - .args:
      - .offset:         0
        .size:           216
        .value_kind:     by_value
      - .offset:         216
        .size:           4
        .value_kind:     by_value
      - .offset:         220
        .size:           4
        .value_kind:     by_value
      - .offset:         224
        .size:           4
        .value_kind:     by_value
      - .offset:         232
        .size:           216
        .value_kind:     by_value
      - .offset:         448
        .size:           4
        .value_kind:     by_value
      - .offset:         452
        .size:           1
        .value_kind:     by_value
      - .offset:         456
        .size:           4
        .value_kind:     hidden_block_count_x
      - .offset:         460
        .size:           4
        .value_kind:     hidden_block_count_y
      - .offset:         464
        .size:           4
        .value_kind:     hidden_block_count_z
      - .offset:         468
        .size:           2
        .value_kind:     hidden_group_size_x
      - .offset:         470
        .size:           2
        .value_kind:     hidden_group_size_y
      - .offset:         472
        .size:           2
        .value_kind:     hidden_group_size_z
      - .offset:         474
        .size:           2
        .value_kind:     hidden_remainder_x
      - .offset:         476
        .size:           2
        .value_kind:     hidden_remainder_y
      - .offset:         478
        .size:           2
        .value_kind:     hidden_remainder_z
      - .offset:         496
        .size:           8
        .value_kind:     hidden_global_offset_x
      - .offset:         504
        .size:           8
        .value_kind:     hidden_global_offset_y
      - .offset:         512
        .size:           8
        .value_kind:     hidden_global_offset_z
      - .offset:         520
        .size:           2
        .value_kind:     hidden_grid_dims
    .group_segment_fixed_size: 5632
    .kernarg_segment_align: 8
    .kernarg_segment_size: 712
    .language:       OpenCL C
    .language_version:
      - 2
      - 0
    .max_flat_workgroup_size: 256
    .name:           _ZN2at6native20bitonicSortKVInPlaceILi2ELin1ELi16ELi16EN3c104HalfElNS0_4GTOpIS3_Lb1EEEjEEvNS_4cuda6detail10TensorInfoIT3_T6_EESA_SA_SA_NS8_IT4_SA_EESA_T5_
    .private_segment_fixed_size: 0
    .sgpr_count:     21
    .sgpr_spill_count: 0
    .symbol:         _ZN2at6native20bitonicSortKVInPlaceILi2ELin1ELi16ELi16EN3c104HalfElNS0_4GTOpIS3_Lb1EEEjEEvNS_4cuda6detail10TensorInfoIT3_T6_EESA_SA_SA_NS8_IT4_SA_EESA_T5_.kd
    .uniform_work_group_size: 1
    .uses_dynamic_stack: false
    .vgpr_count:     34
    .vgpr_spill_count: 0
    .wavefront_size: 32
    .workgroup_processor_mode: 1
  - .args:
      - .offset:         0
        .size:           216
        .value_kind:     by_value
      - .offset:         216
        .size:           4
        .value_kind:     by_value
      - .offset:         220
        .size:           4
        .value_kind:     by_value
      - .offset:         224
        .size:           4
        .value_kind:     by_value
      - .offset:         232
        .size:           216
        .value_kind:     by_value
      - .offset:         448
        .size:           4
        .value_kind:     by_value
      - .offset:         452
        .size:           1
        .value_kind:     by_value
      - .offset:         456
        .size:           4
        .value_kind:     hidden_block_count_x
      - .offset:         460
        .size:           4
        .value_kind:     hidden_block_count_y
      - .offset:         464
        .size:           4
        .value_kind:     hidden_block_count_z
      - .offset:         468
        .size:           2
        .value_kind:     hidden_group_size_x
      - .offset:         470
        .size:           2
        .value_kind:     hidden_group_size_y
      - .offset:         472
        .size:           2
        .value_kind:     hidden_group_size_z
      - .offset:         474
        .size:           2
        .value_kind:     hidden_remainder_x
      - .offset:         476
        .size:           2
        .value_kind:     hidden_remainder_y
      - .offset:         478
        .size:           2
        .value_kind:     hidden_remainder_z
      - .offset:         496
        .size:           8
        .value_kind:     hidden_global_offset_x
      - .offset:         504
        .size:           8
        .value_kind:     hidden_global_offset_y
      - .offset:         512
        .size:           8
        .value_kind:     hidden_global_offset_z
      - .offset:         520
        .size:           2
        .value_kind:     hidden_grid_dims
    .group_segment_fixed_size: 5632
    .kernarg_segment_align: 8
    .kernarg_segment_size: 712
    .language:       OpenCL C
    .language_version:
      - 2
      - 0
    .max_flat_workgroup_size: 256
    .name:           _ZN2at6native20bitonicSortKVInPlaceILin1ELin1ELi16ELi16EN3c104HalfElNS0_4LTOpIS3_Lb1EEEjEEvNS_4cuda6detail10TensorInfoIT3_T6_EESA_SA_SA_NS8_IT4_SA_EESA_T5_
    .private_segment_fixed_size: 0
    .sgpr_count:     18
    .sgpr_spill_count: 0
    .symbol:         _ZN2at6native20bitonicSortKVInPlaceILin1ELin1ELi16ELi16EN3c104HalfElNS0_4LTOpIS3_Lb1EEEjEEvNS_4cuda6detail10TensorInfoIT3_T6_EESA_SA_SA_NS8_IT4_SA_EESA_T5_.kd
    .uniform_work_group_size: 1
    .uses_dynamic_stack: false
    .vgpr_count:     34
    .vgpr_spill_count: 0
    .wavefront_size: 32
    .workgroup_processor_mode: 1
  - .args:
      - .offset:         0
        .size:           216
        .value_kind:     by_value
      - .offset:         216
        .size:           4
        .value_kind:     by_value
      - .offset:         220
        .size:           4
        .value_kind:     by_value
      - .offset:         224
        .size:           4
        .value_kind:     by_value
      - .offset:         232
        .size:           216
        .value_kind:     by_value
      - .offset:         448
        .size:           4
        .value_kind:     by_value
      - .offset:         452
        .size:           1
        .value_kind:     by_value
      - .offset:         456
        .size:           4
        .value_kind:     hidden_block_count_x
      - .offset:         460
        .size:           4
        .value_kind:     hidden_block_count_y
      - .offset:         464
        .size:           4
        .value_kind:     hidden_block_count_z
      - .offset:         468
        .size:           2
        .value_kind:     hidden_group_size_x
      - .offset:         470
        .size:           2
        .value_kind:     hidden_group_size_y
      - .offset:         472
        .size:           2
        .value_kind:     hidden_group_size_z
      - .offset:         474
        .size:           2
        .value_kind:     hidden_remainder_x
      - .offset:         476
        .size:           2
        .value_kind:     hidden_remainder_y
      - .offset:         478
        .size:           2
        .value_kind:     hidden_remainder_z
      - .offset:         496
        .size:           8
        .value_kind:     hidden_global_offset_x
      - .offset:         504
        .size:           8
        .value_kind:     hidden_global_offset_y
      - .offset:         512
        .size:           8
        .value_kind:     hidden_global_offset_z
      - .offset:         520
        .size:           2
        .value_kind:     hidden_grid_dims
    .group_segment_fixed_size: 5632
    .kernarg_segment_align: 8
    .kernarg_segment_size: 712
    .language:       OpenCL C
    .language_version:
      - 2
      - 0
    .max_flat_workgroup_size: 256
    .name:           _ZN2at6native20bitonicSortKVInPlaceILin1ELin1ELi16ELi16EN3c104HalfElNS0_4GTOpIS3_Lb1EEEjEEvNS_4cuda6detail10TensorInfoIT3_T6_EESA_SA_SA_NS8_IT4_SA_EESA_T5_
    .private_segment_fixed_size: 0
    .sgpr_count:     18
    .sgpr_spill_count: 0
    .symbol:         _ZN2at6native20bitonicSortKVInPlaceILin1ELin1ELi16ELi16EN3c104HalfElNS0_4GTOpIS3_Lb1EEEjEEvNS_4cuda6detail10TensorInfoIT3_T6_EESA_SA_SA_NS8_IT4_SA_EESA_T5_.kd
    .uniform_work_group_size: 1
    .uses_dynamic_stack: false
    .vgpr_count:     34
    .vgpr_spill_count: 0
    .wavefront_size: 32
    .workgroup_processor_mode: 1
  - .args:
      - .offset:         0
        .size:           416
        .value_kind:     by_value
      - .offset:         416
        .size:           8
        .value_kind:     by_value
      - .offset:         424
        .size:           8
        .value_kind:     by_value
      - .offset:         432
        .size:           8
        .value_kind:     by_value
      - .offset:         440
        .size:           416
        .value_kind:     by_value
      - .offset:         856
        .size:           8
        .value_kind:     by_value
      - .offset:         864
        .size:           1
        .value_kind:     by_value
      - .offset:         872
        .size:           4
        .value_kind:     hidden_block_count_x
      - .offset:         876
        .size:           4
        .value_kind:     hidden_block_count_y
      - .offset:         880
        .size:           4
        .value_kind:     hidden_block_count_z
      - .offset:         884
        .size:           2
        .value_kind:     hidden_group_size_x
      - .offset:         886
        .size:           2
        .value_kind:     hidden_group_size_y
      - .offset:         888
        .size:           2
        .value_kind:     hidden_group_size_z
      - .offset:         890
        .size:           2
        .value_kind:     hidden_remainder_x
      - .offset:         892
        .size:           2
        .value_kind:     hidden_remainder_y
      - .offset:         894
        .size:           2
        .value_kind:     hidden_remainder_z
      - .offset:         912
        .size:           8
        .value_kind:     hidden_global_offset_x
      - .offset:         920
        .size:           8
        .value_kind:     hidden_global_offset_y
      - .offset:         928
        .size:           8
        .value_kind:     hidden_global_offset_z
      - .offset:         936
        .size:           2
        .value_kind:     hidden_grid_dims
    .group_segment_fixed_size: 5632
    .kernarg_segment_align: 8
    .kernarg_segment_size: 1128
    .language:       OpenCL C
    .language_version:
      - 2
      - 0
    .max_flat_workgroup_size: 256
    .name:           _ZN2at6native20bitonicSortKVInPlaceILin1ELin1ELi16ELi16EN3c104HalfElNS0_4LTOpIS3_Lb1EEEmEEvNS_4cuda6detail10TensorInfoIT3_T6_EESA_SA_SA_NS8_IT4_SA_EESA_T5_
    .private_segment_fixed_size: 0
    .sgpr_count:     33
    .sgpr_spill_count: 0
    .symbol:         _ZN2at6native20bitonicSortKVInPlaceILin1ELin1ELi16ELi16EN3c104HalfElNS0_4LTOpIS3_Lb1EEEmEEvNS_4cuda6detail10TensorInfoIT3_T6_EESA_SA_SA_NS8_IT4_SA_EESA_T5_.kd
    .uniform_work_group_size: 1
    .uses_dynamic_stack: false
    .vgpr_count:     36
    .vgpr_spill_count: 0
    .wavefront_size: 32
    .workgroup_processor_mode: 1
  - .args:
      - .offset:         0
        .size:           416
        .value_kind:     by_value
      - .offset:         416
        .size:           8
        .value_kind:     by_value
      - .offset:         424
        .size:           8
        .value_kind:     by_value
      - .offset:         432
        .size:           8
        .value_kind:     by_value
      - .offset:         440
        .size:           416
        .value_kind:     by_value
      - .offset:         856
        .size:           8
        .value_kind:     by_value
      - .offset:         864
        .size:           1
        .value_kind:     by_value
      - .offset:         872
        .size:           4
        .value_kind:     hidden_block_count_x
      - .offset:         876
        .size:           4
        .value_kind:     hidden_block_count_y
      - .offset:         880
        .size:           4
        .value_kind:     hidden_block_count_z
      - .offset:         884
        .size:           2
        .value_kind:     hidden_group_size_x
      - .offset:         886
        .size:           2
        .value_kind:     hidden_group_size_y
      - .offset:         888
        .size:           2
        .value_kind:     hidden_group_size_z
      - .offset:         890
        .size:           2
        .value_kind:     hidden_remainder_x
      - .offset:         892
        .size:           2
        .value_kind:     hidden_remainder_y
      - .offset:         894
        .size:           2
        .value_kind:     hidden_remainder_z
      - .offset:         912
        .size:           8
        .value_kind:     hidden_global_offset_x
      - .offset:         920
        .size:           8
        .value_kind:     hidden_global_offset_y
      - .offset:         928
        .size:           8
        .value_kind:     hidden_global_offset_z
      - .offset:         936
        .size:           2
        .value_kind:     hidden_grid_dims
    .group_segment_fixed_size: 5632
    .kernarg_segment_align: 8
    .kernarg_segment_size: 1128
    .language:       OpenCL C
    .language_version:
      - 2
      - 0
    .max_flat_workgroup_size: 256
    .name:           _ZN2at6native20bitonicSortKVInPlaceILin1ELin1ELi16ELi16EN3c104HalfElNS0_4GTOpIS3_Lb1EEEmEEvNS_4cuda6detail10TensorInfoIT3_T6_EESA_SA_SA_NS8_IT4_SA_EESA_T5_
    .private_segment_fixed_size: 0
    .sgpr_count:     33
    .sgpr_spill_count: 0
    .symbol:         _ZN2at6native20bitonicSortKVInPlaceILin1ELin1ELi16ELi16EN3c104HalfElNS0_4GTOpIS3_Lb1EEEmEEvNS_4cuda6detail10TensorInfoIT3_T6_EESA_SA_SA_NS8_IT4_SA_EESA_T5_.kd
    .uniform_work_group_size: 1
    .uses_dynamic_stack: false
    .vgpr_count:     36
    .vgpr_spill_count: 0
    .wavefront_size: 32
    .workgroup_processor_mode: 1
  - .args:
      - .offset:         0
        .size:           216
        .value_kind:     by_value
      - .offset:         216
        .size:           4
        .value_kind:     by_value
      - .offset:         220
        .size:           4
        .value_kind:     by_value
      - .offset:         224
        .size:           4
        .value_kind:     by_value
      - .offset:         232
        .size:           216
        .value_kind:     by_value
      - .offset:         448
        .size:           4
        .value_kind:     by_value
      - .offset:         452
        .size:           1
        .value_kind:     by_value
      - .offset:         456
        .size:           4
        .value_kind:     hidden_block_count_x
      - .offset:         460
        .size:           4
        .value_kind:     hidden_block_count_y
      - .offset:         464
        .size:           4
        .value_kind:     hidden_block_count_z
      - .offset:         468
        .size:           2
        .value_kind:     hidden_group_size_x
      - .offset:         470
        .size:           2
        .value_kind:     hidden_group_size_y
      - .offset:         472
        .size:           2
        .value_kind:     hidden_group_size_z
      - .offset:         474
        .size:           2
        .value_kind:     hidden_remainder_x
      - .offset:         476
        .size:           2
        .value_kind:     hidden_remainder_y
      - .offset:         478
        .size:           2
        .value_kind:     hidden_remainder_z
      - .offset:         496
        .size:           8
        .value_kind:     hidden_global_offset_x
      - .offset:         504
        .size:           8
        .value_kind:     hidden_global_offset_y
      - .offset:         512
        .size:           8
        .value_kind:     hidden_global_offset_z
      - .offset:         520
        .size:           2
        .value_kind:     hidden_grid_dims
    .group_segment_fixed_size: 5632
    .kernarg_segment_align: 8
    .kernarg_segment_size: 712
    .language:       OpenCL C
    .language_version:
      - 2
      - 0
    .max_flat_workgroup_size: 256
    .name:           _ZN2at6native20bitonicSortKVInPlaceILin2ELin1ELi16ELi16EN3c108BFloat16ElNS0_4LTOpIS3_Lb1EEEjEEvNS_4cuda6detail10TensorInfoIT3_T6_EESA_SA_SA_NS8_IT4_SA_EESA_T5_
    .private_segment_fixed_size: 0
    .sgpr_count:     18
    .sgpr_spill_count: 0
    .symbol:         _ZN2at6native20bitonicSortKVInPlaceILin2ELin1ELi16ELi16EN3c108BFloat16ElNS0_4LTOpIS3_Lb1EEEjEEvNS_4cuda6detail10TensorInfoIT3_T6_EESA_SA_SA_NS8_IT4_SA_EESA_T5_.kd
    .uniform_work_group_size: 1
    .uses_dynamic_stack: false
    .vgpr_count:     35
    .vgpr_spill_count: 0
    .wavefront_size: 32
    .workgroup_processor_mode: 1
  - .args:
      - .offset:         0
        .size:           216
        .value_kind:     by_value
      - .offset:         216
        .size:           4
        .value_kind:     by_value
      - .offset:         220
        .size:           4
        .value_kind:     by_value
      - .offset:         224
        .size:           4
        .value_kind:     by_value
      - .offset:         232
        .size:           216
        .value_kind:     by_value
      - .offset:         448
        .size:           4
        .value_kind:     by_value
      - .offset:         452
        .size:           1
        .value_kind:     by_value
      - .offset:         456
        .size:           4
        .value_kind:     hidden_block_count_x
      - .offset:         460
        .size:           4
        .value_kind:     hidden_block_count_y
      - .offset:         464
        .size:           4
        .value_kind:     hidden_block_count_z
      - .offset:         468
        .size:           2
        .value_kind:     hidden_group_size_x
      - .offset:         470
        .size:           2
        .value_kind:     hidden_group_size_y
      - .offset:         472
        .size:           2
        .value_kind:     hidden_group_size_z
      - .offset:         474
        .size:           2
        .value_kind:     hidden_remainder_x
      - .offset:         476
        .size:           2
        .value_kind:     hidden_remainder_y
      - .offset:         478
        .size:           2
        .value_kind:     hidden_remainder_z
      - .offset:         496
        .size:           8
        .value_kind:     hidden_global_offset_x
      - .offset:         504
        .size:           8
        .value_kind:     hidden_global_offset_y
      - .offset:         512
        .size:           8
        .value_kind:     hidden_global_offset_z
      - .offset:         520
        .size:           2
        .value_kind:     hidden_grid_dims
    .group_segment_fixed_size: 5632
    .kernarg_segment_align: 8
    .kernarg_segment_size: 712
    .language:       OpenCL C
    .language_version:
      - 2
      - 0
    .max_flat_workgroup_size: 256
    .name:           _ZN2at6native20bitonicSortKVInPlaceILin2ELin1ELi16ELi16EN3c108BFloat16ElNS0_4GTOpIS3_Lb1EEEjEEvNS_4cuda6detail10TensorInfoIT3_T6_EESA_SA_SA_NS8_IT4_SA_EESA_T5_
    .private_segment_fixed_size: 0
    .sgpr_count:     18
    .sgpr_spill_count: 0
    .symbol:         _ZN2at6native20bitonicSortKVInPlaceILin2ELin1ELi16ELi16EN3c108BFloat16ElNS0_4GTOpIS3_Lb1EEEjEEvNS_4cuda6detail10TensorInfoIT3_T6_EESA_SA_SA_NS8_IT4_SA_EESA_T5_.kd
    .uniform_work_group_size: 1
    .uses_dynamic_stack: false
    .vgpr_count:     35
    .vgpr_spill_count: 0
    .wavefront_size: 32
    .workgroup_processor_mode: 1
  - .args:
      - .offset:         0
        .size:           216
        .value_kind:     by_value
      - .offset:         216
        .size:           4
        .value_kind:     by_value
      - .offset:         220
        .size:           4
        .value_kind:     by_value
      - .offset:         224
        .size:           4
        .value_kind:     by_value
      - .offset:         232
        .size:           216
        .value_kind:     by_value
      - .offset:         448
        .size:           4
        .value_kind:     by_value
      - .offset:         452
        .size:           1
        .value_kind:     by_value
      - .offset:         456
        .size:           4
        .value_kind:     hidden_block_count_x
      - .offset:         460
        .size:           4
        .value_kind:     hidden_block_count_y
      - .offset:         464
        .size:           4
        .value_kind:     hidden_block_count_z
      - .offset:         468
        .size:           2
        .value_kind:     hidden_group_size_x
      - .offset:         470
        .size:           2
        .value_kind:     hidden_group_size_y
      - .offset:         472
        .size:           2
        .value_kind:     hidden_group_size_z
      - .offset:         474
        .size:           2
        .value_kind:     hidden_remainder_x
      - .offset:         476
        .size:           2
        .value_kind:     hidden_remainder_y
      - .offset:         478
        .size:           2
        .value_kind:     hidden_remainder_z
      - .offset:         496
        .size:           8
        .value_kind:     hidden_global_offset_x
      - .offset:         504
        .size:           8
        .value_kind:     hidden_global_offset_y
      - .offset:         512
        .size:           8
        .value_kind:     hidden_global_offset_z
      - .offset:         520
        .size:           2
        .value_kind:     hidden_grid_dims
    .group_segment_fixed_size: 5632
    .kernarg_segment_align: 8
    .kernarg_segment_size: 712
    .language:       OpenCL C
    .language_version:
      - 2
      - 0
    .max_flat_workgroup_size: 256
    .name:           _ZN2at6native20bitonicSortKVInPlaceILi2ELin1ELi16ELi16EN3c108BFloat16ElNS0_4LTOpIS3_Lb1EEEjEEvNS_4cuda6detail10TensorInfoIT3_T6_EESA_SA_SA_NS8_IT4_SA_EESA_T5_
    .private_segment_fixed_size: 0
    .sgpr_count:     21
    .sgpr_spill_count: 0
    .symbol:         _ZN2at6native20bitonicSortKVInPlaceILi2ELin1ELi16ELi16EN3c108BFloat16ElNS0_4LTOpIS3_Lb1EEEjEEvNS_4cuda6detail10TensorInfoIT3_T6_EESA_SA_SA_NS8_IT4_SA_EESA_T5_.kd
    .uniform_work_group_size: 1
    .uses_dynamic_stack: false
    .vgpr_count:     35
    .vgpr_spill_count: 0
    .wavefront_size: 32
    .workgroup_processor_mode: 1
  - .args:
      - .offset:         0
        .size:           216
        .value_kind:     by_value
      - .offset:         216
        .size:           4
        .value_kind:     by_value
      - .offset:         220
        .size:           4
        .value_kind:     by_value
      - .offset:         224
        .size:           4
        .value_kind:     by_value
      - .offset:         232
        .size:           216
        .value_kind:     by_value
      - .offset:         448
        .size:           4
        .value_kind:     by_value
      - .offset:         452
        .size:           1
        .value_kind:     by_value
      - .offset:         456
        .size:           4
        .value_kind:     hidden_block_count_x
      - .offset:         460
        .size:           4
        .value_kind:     hidden_block_count_y
      - .offset:         464
        .size:           4
        .value_kind:     hidden_block_count_z
      - .offset:         468
        .size:           2
        .value_kind:     hidden_group_size_x
      - .offset:         470
        .size:           2
        .value_kind:     hidden_group_size_y
      - .offset:         472
        .size:           2
        .value_kind:     hidden_group_size_z
      - .offset:         474
        .size:           2
        .value_kind:     hidden_remainder_x
      - .offset:         476
        .size:           2
        .value_kind:     hidden_remainder_y
      - .offset:         478
        .size:           2
        .value_kind:     hidden_remainder_z
      - .offset:         496
        .size:           8
        .value_kind:     hidden_global_offset_x
      - .offset:         504
        .size:           8
        .value_kind:     hidden_global_offset_y
      - .offset:         512
        .size:           8
        .value_kind:     hidden_global_offset_z
      - .offset:         520
        .size:           2
        .value_kind:     hidden_grid_dims
    .group_segment_fixed_size: 5632
    .kernarg_segment_align: 8
    .kernarg_segment_size: 712
    .language:       OpenCL C
    .language_version:
      - 2
      - 0
    .max_flat_workgroup_size: 256
    .name:           _ZN2at6native20bitonicSortKVInPlaceILi2ELin1ELi16ELi16EN3c108BFloat16ElNS0_4GTOpIS3_Lb1EEEjEEvNS_4cuda6detail10TensorInfoIT3_T6_EESA_SA_SA_NS8_IT4_SA_EESA_T5_
    .private_segment_fixed_size: 0
    .sgpr_count:     21
    .sgpr_spill_count: 0
    .symbol:         _ZN2at6native20bitonicSortKVInPlaceILi2ELin1ELi16ELi16EN3c108BFloat16ElNS0_4GTOpIS3_Lb1EEEjEEvNS_4cuda6detail10TensorInfoIT3_T6_EESA_SA_SA_NS8_IT4_SA_EESA_T5_.kd
    .uniform_work_group_size: 1
    .uses_dynamic_stack: false
    .vgpr_count:     35
    .vgpr_spill_count: 0
    .wavefront_size: 32
    .workgroup_processor_mode: 1
  - .args:
      - .offset:         0
        .size:           216
        .value_kind:     by_value
      - .offset:         216
        .size:           4
        .value_kind:     by_value
      - .offset:         220
        .size:           4
        .value_kind:     by_value
      - .offset:         224
        .size:           4
        .value_kind:     by_value
      - .offset:         232
        .size:           216
        .value_kind:     by_value
      - .offset:         448
        .size:           4
        .value_kind:     by_value
      - .offset:         452
        .size:           1
        .value_kind:     by_value
      - .offset:         456
        .size:           4
        .value_kind:     hidden_block_count_x
      - .offset:         460
        .size:           4
        .value_kind:     hidden_block_count_y
      - .offset:         464
        .size:           4
        .value_kind:     hidden_block_count_z
      - .offset:         468
        .size:           2
        .value_kind:     hidden_group_size_x
      - .offset:         470
        .size:           2
        .value_kind:     hidden_group_size_y
      - .offset:         472
        .size:           2
        .value_kind:     hidden_group_size_z
      - .offset:         474
        .size:           2
        .value_kind:     hidden_remainder_x
      - .offset:         476
        .size:           2
        .value_kind:     hidden_remainder_y
      - .offset:         478
        .size:           2
        .value_kind:     hidden_remainder_z
      - .offset:         496
        .size:           8
        .value_kind:     hidden_global_offset_x
      - .offset:         504
        .size:           8
        .value_kind:     hidden_global_offset_y
      - .offset:         512
        .size:           8
        .value_kind:     hidden_global_offset_z
      - .offset:         520
        .size:           2
        .value_kind:     hidden_grid_dims
    .group_segment_fixed_size: 5632
    .kernarg_segment_align: 8
    .kernarg_segment_size: 712
    .language:       OpenCL C
    .language_version:
      - 2
      - 0
    .max_flat_workgroup_size: 256
    .name:           _ZN2at6native20bitonicSortKVInPlaceILin1ELin1ELi16ELi16EN3c108BFloat16ElNS0_4LTOpIS3_Lb1EEEjEEvNS_4cuda6detail10TensorInfoIT3_T6_EESA_SA_SA_NS8_IT4_SA_EESA_T5_
    .private_segment_fixed_size: 0
    .sgpr_count:     18
    .sgpr_spill_count: 0
    .symbol:         _ZN2at6native20bitonicSortKVInPlaceILin1ELin1ELi16ELi16EN3c108BFloat16ElNS0_4LTOpIS3_Lb1EEEjEEvNS_4cuda6detail10TensorInfoIT3_T6_EESA_SA_SA_NS8_IT4_SA_EESA_T5_.kd
    .uniform_work_group_size: 1
    .uses_dynamic_stack: false
    .vgpr_count:     35
    .vgpr_spill_count: 0
    .wavefront_size: 32
    .workgroup_processor_mode: 1
  - .args:
      - .offset:         0
        .size:           216
        .value_kind:     by_value
      - .offset:         216
        .size:           4
        .value_kind:     by_value
      - .offset:         220
        .size:           4
        .value_kind:     by_value
      - .offset:         224
        .size:           4
        .value_kind:     by_value
      - .offset:         232
        .size:           216
        .value_kind:     by_value
      - .offset:         448
        .size:           4
        .value_kind:     by_value
      - .offset:         452
        .size:           1
        .value_kind:     by_value
      - .offset:         456
        .size:           4
        .value_kind:     hidden_block_count_x
      - .offset:         460
        .size:           4
        .value_kind:     hidden_block_count_y
      - .offset:         464
        .size:           4
        .value_kind:     hidden_block_count_z
      - .offset:         468
        .size:           2
        .value_kind:     hidden_group_size_x
      - .offset:         470
        .size:           2
        .value_kind:     hidden_group_size_y
      - .offset:         472
        .size:           2
        .value_kind:     hidden_group_size_z
      - .offset:         474
        .size:           2
        .value_kind:     hidden_remainder_x
      - .offset:         476
        .size:           2
        .value_kind:     hidden_remainder_y
      - .offset:         478
        .size:           2
        .value_kind:     hidden_remainder_z
      - .offset:         496
        .size:           8
        .value_kind:     hidden_global_offset_x
      - .offset:         504
        .size:           8
        .value_kind:     hidden_global_offset_y
      - .offset:         512
        .size:           8
        .value_kind:     hidden_global_offset_z
      - .offset:         520
        .size:           2
        .value_kind:     hidden_grid_dims
    .group_segment_fixed_size: 5632
    .kernarg_segment_align: 8
    .kernarg_segment_size: 712
    .language:       OpenCL C
    .language_version:
      - 2
      - 0
    .max_flat_workgroup_size: 256
    .name:           _ZN2at6native20bitonicSortKVInPlaceILin1ELin1ELi16ELi16EN3c108BFloat16ElNS0_4GTOpIS3_Lb1EEEjEEvNS_4cuda6detail10TensorInfoIT3_T6_EESA_SA_SA_NS8_IT4_SA_EESA_T5_
    .private_segment_fixed_size: 0
    .sgpr_count:     18
    .sgpr_spill_count: 0
    .symbol:         _ZN2at6native20bitonicSortKVInPlaceILin1ELin1ELi16ELi16EN3c108BFloat16ElNS0_4GTOpIS3_Lb1EEEjEEvNS_4cuda6detail10TensorInfoIT3_T6_EESA_SA_SA_NS8_IT4_SA_EESA_T5_.kd
    .uniform_work_group_size: 1
    .uses_dynamic_stack: false
    .vgpr_count:     35
    .vgpr_spill_count: 0
    .wavefront_size: 32
    .workgroup_processor_mode: 1
  - .args:
      - .offset:         0
        .size:           416
        .value_kind:     by_value
      - .offset:         416
        .size:           8
        .value_kind:     by_value
      - .offset:         424
        .size:           8
        .value_kind:     by_value
      - .offset:         432
        .size:           8
        .value_kind:     by_value
      - .offset:         440
        .size:           416
        .value_kind:     by_value
      - .offset:         856
        .size:           8
        .value_kind:     by_value
      - .offset:         864
        .size:           1
        .value_kind:     by_value
      - .offset:         872
        .size:           4
        .value_kind:     hidden_block_count_x
      - .offset:         876
        .size:           4
        .value_kind:     hidden_block_count_y
      - .offset:         880
        .size:           4
        .value_kind:     hidden_block_count_z
      - .offset:         884
        .size:           2
        .value_kind:     hidden_group_size_x
      - .offset:         886
        .size:           2
        .value_kind:     hidden_group_size_y
      - .offset:         888
        .size:           2
        .value_kind:     hidden_group_size_z
      - .offset:         890
        .size:           2
        .value_kind:     hidden_remainder_x
      - .offset:         892
        .size:           2
        .value_kind:     hidden_remainder_y
      - .offset:         894
        .size:           2
        .value_kind:     hidden_remainder_z
      - .offset:         912
        .size:           8
        .value_kind:     hidden_global_offset_x
      - .offset:         920
        .size:           8
        .value_kind:     hidden_global_offset_y
      - .offset:         928
        .size:           8
        .value_kind:     hidden_global_offset_z
      - .offset:         936
        .size:           2
        .value_kind:     hidden_grid_dims
    .group_segment_fixed_size: 5632
    .kernarg_segment_align: 8
    .kernarg_segment_size: 1128
    .language:       OpenCL C
    .language_version:
      - 2
      - 0
    .max_flat_workgroup_size: 256
    .name:           _ZN2at6native20bitonicSortKVInPlaceILin1ELin1ELi16ELi16EN3c108BFloat16ElNS0_4LTOpIS3_Lb1EEEmEEvNS_4cuda6detail10TensorInfoIT3_T6_EESA_SA_SA_NS8_IT4_SA_EESA_T5_
    .private_segment_fixed_size: 0
    .sgpr_count:     33
    .sgpr_spill_count: 0
    .symbol:         _ZN2at6native20bitonicSortKVInPlaceILin1ELin1ELi16ELi16EN3c108BFloat16ElNS0_4LTOpIS3_Lb1EEEmEEvNS_4cuda6detail10TensorInfoIT3_T6_EESA_SA_SA_NS8_IT4_SA_EESA_T5_.kd
    .uniform_work_group_size: 1
    .uses_dynamic_stack: false
    .vgpr_count:     37
    .vgpr_spill_count: 0
    .wavefront_size: 32
    .workgroup_processor_mode: 1
  - .args:
      - .offset:         0
        .size:           416
        .value_kind:     by_value
      - .offset:         416
        .size:           8
        .value_kind:     by_value
      - .offset:         424
        .size:           8
        .value_kind:     by_value
      - .offset:         432
        .size:           8
        .value_kind:     by_value
      - .offset:         440
        .size:           416
        .value_kind:     by_value
      - .offset:         856
        .size:           8
        .value_kind:     by_value
      - .offset:         864
        .size:           1
        .value_kind:     by_value
      - .offset:         872
        .size:           4
        .value_kind:     hidden_block_count_x
      - .offset:         876
        .size:           4
        .value_kind:     hidden_block_count_y
      - .offset:         880
        .size:           4
        .value_kind:     hidden_block_count_z
      - .offset:         884
        .size:           2
        .value_kind:     hidden_group_size_x
      - .offset:         886
        .size:           2
        .value_kind:     hidden_group_size_y
      - .offset:         888
        .size:           2
        .value_kind:     hidden_group_size_z
      - .offset:         890
        .size:           2
        .value_kind:     hidden_remainder_x
      - .offset:         892
        .size:           2
        .value_kind:     hidden_remainder_y
      - .offset:         894
        .size:           2
        .value_kind:     hidden_remainder_z
      - .offset:         912
        .size:           8
        .value_kind:     hidden_global_offset_x
      - .offset:         920
        .size:           8
        .value_kind:     hidden_global_offset_y
      - .offset:         928
        .size:           8
        .value_kind:     hidden_global_offset_z
      - .offset:         936
        .size:           2
        .value_kind:     hidden_grid_dims
    .group_segment_fixed_size: 5632
    .kernarg_segment_align: 8
    .kernarg_segment_size: 1128
    .language:       OpenCL C
    .language_version:
      - 2
      - 0
    .max_flat_workgroup_size: 256
    .name:           _ZN2at6native20bitonicSortKVInPlaceILin1ELin1ELi16ELi16EN3c108BFloat16ElNS0_4GTOpIS3_Lb1EEEmEEvNS_4cuda6detail10TensorInfoIT3_T6_EESA_SA_SA_NS8_IT4_SA_EESA_T5_
    .private_segment_fixed_size: 0
    .sgpr_count:     33
    .sgpr_spill_count: 0
    .symbol:         _ZN2at6native20bitonicSortKVInPlaceILin1ELin1ELi16ELi16EN3c108BFloat16ElNS0_4GTOpIS3_Lb1EEEmEEvNS_4cuda6detail10TensorInfoIT3_T6_EESA_SA_SA_NS8_IT4_SA_EESA_T5_.kd
    .uniform_work_group_size: 1
    .uses_dynamic_stack: false
    .vgpr_count:     37
    .vgpr_spill_count: 0
    .wavefront_size: 32
    .workgroup_processor_mode: 1
  - .args:
      - .offset:         0
        .size:           216
        .value_kind:     by_value
      - .offset:         216
        .size:           4
        .value_kind:     by_value
      - .offset:         220
        .size:           4
        .value_kind:     by_value
      - .offset:         224
        .size:           4
        .value_kind:     by_value
      - .offset:         232
        .size:           216
        .value_kind:     by_value
      - .offset:         448
        .size:           4
        .value_kind:     by_value
      - .offset:         452
        .size:           1
        .value_kind:     by_value
      - .offset:         456
        .size:           4
        .value_kind:     hidden_block_count_x
      - .offset:         460
        .size:           4
        .value_kind:     hidden_block_count_y
      - .offset:         464
        .size:           4
        .value_kind:     hidden_block_count_z
      - .offset:         468
        .size:           2
        .value_kind:     hidden_group_size_x
      - .offset:         470
        .size:           2
        .value_kind:     hidden_group_size_y
      - .offset:         472
        .size:           2
        .value_kind:     hidden_group_size_z
      - .offset:         474
        .size:           2
        .value_kind:     hidden_remainder_x
      - .offset:         476
        .size:           2
        .value_kind:     hidden_remainder_y
      - .offset:         478
        .size:           2
        .value_kind:     hidden_remainder_z
      - .offset:         496
        .size:           8
        .value_kind:     hidden_global_offset_x
      - .offset:         504
        .size:           8
        .value_kind:     hidden_global_offset_y
      - .offset:         512
        .size:           8
        .value_kind:     hidden_global_offset_z
      - .offset:         520
        .size:           2
        .value_kind:     hidden_grid_dims
    .group_segment_fixed_size: 5120
    .kernarg_segment_align: 8
    .kernarg_segment_size: 712
    .language:       OpenCL C
    .language_version:
      - 2
      - 0
    .max_flat_workgroup_size: 256
    .name:           _ZN2at6native20bitonicSortKVInPlaceILin2ELin1ELi16ELi16EblNS0_4LTOpIbLb1EEEjEEvNS_4cuda6detail10TensorInfoIT3_T6_EES8_S8_S8_NS6_IT4_S8_EES8_T5_
    .private_segment_fixed_size: 0
    .sgpr_count:     18
    .sgpr_spill_count: 0
    .symbol:         _ZN2at6native20bitonicSortKVInPlaceILin2ELin1ELi16ELi16EblNS0_4LTOpIbLb1EEEjEEvNS_4cuda6detail10TensorInfoIT3_T6_EES8_S8_S8_NS6_IT4_S8_EES8_T5_.kd
    .uniform_work_group_size: 1
    .uses_dynamic_stack: false
    .vgpr_count:     34
    .vgpr_spill_count: 0
    .wavefront_size: 32
    .workgroup_processor_mode: 1
  - .args:
      - .offset:         0
        .size:           216
        .value_kind:     by_value
      - .offset:         216
        .size:           4
        .value_kind:     by_value
      - .offset:         220
        .size:           4
        .value_kind:     by_value
      - .offset:         224
        .size:           4
        .value_kind:     by_value
      - .offset:         232
        .size:           216
        .value_kind:     by_value
      - .offset:         448
        .size:           4
        .value_kind:     by_value
      - .offset:         452
        .size:           1
        .value_kind:     by_value
      - .offset:         456
        .size:           4
        .value_kind:     hidden_block_count_x
      - .offset:         460
        .size:           4
        .value_kind:     hidden_block_count_y
      - .offset:         464
        .size:           4
        .value_kind:     hidden_block_count_z
      - .offset:         468
        .size:           2
        .value_kind:     hidden_group_size_x
      - .offset:         470
        .size:           2
        .value_kind:     hidden_group_size_y
      - .offset:         472
        .size:           2
        .value_kind:     hidden_group_size_z
      - .offset:         474
        .size:           2
        .value_kind:     hidden_remainder_x
      - .offset:         476
        .size:           2
        .value_kind:     hidden_remainder_y
      - .offset:         478
        .size:           2
        .value_kind:     hidden_remainder_z
      - .offset:         496
        .size:           8
        .value_kind:     hidden_global_offset_x
      - .offset:         504
        .size:           8
        .value_kind:     hidden_global_offset_y
      - .offset:         512
        .size:           8
        .value_kind:     hidden_global_offset_z
      - .offset:         520
        .size:           2
        .value_kind:     hidden_grid_dims
    .group_segment_fixed_size: 5120
    .kernarg_segment_align: 8
    .kernarg_segment_size: 712
    .language:       OpenCL C
    .language_version:
      - 2
      - 0
    .max_flat_workgroup_size: 256
    .name:           _ZN2at6native20bitonicSortKVInPlaceILin2ELin1ELi16ELi16EblNS0_4GTOpIbLb1EEEjEEvNS_4cuda6detail10TensorInfoIT3_T6_EES8_S8_S8_NS6_IT4_S8_EES8_T5_
    .private_segment_fixed_size: 0
    .sgpr_count:     18
    .sgpr_spill_count: 0
    .symbol:         _ZN2at6native20bitonicSortKVInPlaceILin2ELin1ELi16ELi16EblNS0_4GTOpIbLb1EEEjEEvNS_4cuda6detail10TensorInfoIT3_T6_EES8_S8_S8_NS6_IT4_S8_EES8_T5_.kd
    .uniform_work_group_size: 1
    .uses_dynamic_stack: false
    .vgpr_count:     34
    .vgpr_spill_count: 0
    .wavefront_size: 32
    .workgroup_processor_mode: 1
  - .args:
      - .offset:         0
        .size:           216
        .value_kind:     by_value
      - .offset:         216
        .size:           4
        .value_kind:     by_value
      - .offset:         220
        .size:           4
        .value_kind:     by_value
      - .offset:         224
        .size:           4
        .value_kind:     by_value
      - .offset:         232
        .size:           216
        .value_kind:     by_value
      - .offset:         448
        .size:           4
        .value_kind:     by_value
      - .offset:         452
        .size:           1
        .value_kind:     by_value
      - .offset:         456
        .size:           4
        .value_kind:     hidden_block_count_x
      - .offset:         460
        .size:           4
        .value_kind:     hidden_block_count_y
      - .offset:         464
        .size:           4
        .value_kind:     hidden_block_count_z
      - .offset:         468
        .size:           2
        .value_kind:     hidden_group_size_x
      - .offset:         470
        .size:           2
        .value_kind:     hidden_group_size_y
      - .offset:         472
        .size:           2
        .value_kind:     hidden_group_size_z
      - .offset:         474
        .size:           2
        .value_kind:     hidden_remainder_x
      - .offset:         476
        .size:           2
        .value_kind:     hidden_remainder_y
      - .offset:         478
        .size:           2
        .value_kind:     hidden_remainder_z
      - .offset:         496
        .size:           8
        .value_kind:     hidden_global_offset_x
      - .offset:         504
        .size:           8
        .value_kind:     hidden_global_offset_y
      - .offset:         512
        .size:           8
        .value_kind:     hidden_global_offset_z
      - .offset:         520
        .size:           2
        .value_kind:     hidden_grid_dims
    .group_segment_fixed_size: 5120
    .kernarg_segment_align: 8
    .kernarg_segment_size: 712
    .language:       OpenCL C
    .language_version:
      - 2
      - 0
    .max_flat_workgroup_size: 256
    .name:           _ZN2at6native20bitonicSortKVInPlaceILi2ELin1ELi16ELi16EblNS0_4LTOpIbLb1EEEjEEvNS_4cuda6detail10TensorInfoIT3_T6_EES8_S8_S8_NS6_IT4_S8_EES8_T5_
    .private_segment_fixed_size: 0
    .sgpr_count:     21
    .sgpr_spill_count: 0
    .symbol:         _ZN2at6native20bitonicSortKVInPlaceILi2ELin1ELi16ELi16EblNS0_4LTOpIbLb1EEEjEEvNS_4cuda6detail10TensorInfoIT3_T6_EES8_S8_S8_NS6_IT4_S8_EES8_T5_.kd
    .uniform_work_group_size: 1
    .uses_dynamic_stack: false
    .vgpr_count:     34
    .vgpr_spill_count: 0
    .wavefront_size: 32
    .workgroup_processor_mode: 1
  - .args:
      - .offset:         0
        .size:           216
        .value_kind:     by_value
      - .offset:         216
        .size:           4
        .value_kind:     by_value
      - .offset:         220
        .size:           4
        .value_kind:     by_value
      - .offset:         224
        .size:           4
        .value_kind:     by_value
      - .offset:         232
        .size:           216
        .value_kind:     by_value
      - .offset:         448
        .size:           4
        .value_kind:     by_value
      - .offset:         452
        .size:           1
        .value_kind:     by_value
      - .offset:         456
        .size:           4
        .value_kind:     hidden_block_count_x
      - .offset:         460
        .size:           4
        .value_kind:     hidden_block_count_y
      - .offset:         464
        .size:           4
        .value_kind:     hidden_block_count_z
      - .offset:         468
        .size:           2
        .value_kind:     hidden_group_size_x
      - .offset:         470
        .size:           2
        .value_kind:     hidden_group_size_y
      - .offset:         472
        .size:           2
        .value_kind:     hidden_group_size_z
      - .offset:         474
        .size:           2
        .value_kind:     hidden_remainder_x
      - .offset:         476
        .size:           2
        .value_kind:     hidden_remainder_y
      - .offset:         478
        .size:           2
        .value_kind:     hidden_remainder_z
      - .offset:         496
        .size:           8
        .value_kind:     hidden_global_offset_x
      - .offset:         504
        .size:           8
        .value_kind:     hidden_global_offset_y
      - .offset:         512
        .size:           8
        .value_kind:     hidden_global_offset_z
      - .offset:         520
        .size:           2
        .value_kind:     hidden_grid_dims
    .group_segment_fixed_size: 5120
    .kernarg_segment_align: 8
    .kernarg_segment_size: 712
    .language:       OpenCL C
    .language_version:
      - 2
      - 0
    .max_flat_workgroup_size: 256
    .name:           _ZN2at6native20bitonicSortKVInPlaceILi2ELin1ELi16ELi16EblNS0_4GTOpIbLb1EEEjEEvNS_4cuda6detail10TensorInfoIT3_T6_EES8_S8_S8_NS6_IT4_S8_EES8_T5_
    .private_segment_fixed_size: 0
    .sgpr_count:     21
    .sgpr_spill_count: 0
    .symbol:         _ZN2at6native20bitonicSortKVInPlaceILi2ELin1ELi16ELi16EblNS0_4GTOpIbLb1EEEjEEvNS_4cuda6detail10TensorInfoIT3_T6_EES8_S8_S8_NS6_IT4_S8_EES8_T5_.kd
    .uniform_work_group_size: 1
    .uses_dynamic_stack: false
    .vgpr_count:     34
    .vgpr_spill_count: 0
    .wavefront_size: 32
    .workgroup_processor_mode: 1
  - .args:
      - .offset:         0
        .size:           216
        .value_kind:     by_value
      - .offset:         216
        .size:           4
        .value_kind:     by_value
      - .offset:         220
        .size:           4
        .value_kind:     by_value
      - .offset:         224
        .size:           4
        .value_kind:     by_value
      - .offset:         232
        .size:           216
        .value_kind:     by_value
      - .offset:         448
        .size:           4
        .value_kind:     by_value
      - .offset:         452
        .size:           1
        .value_kind:     by_value
      - .offset:         456
        .size:           4
        .value_kind:     hidden_block_count_x
      - .offset:         460
        .size:           4
        .value_kind:     hidden_block_count_y
      - .offset:         464
        .size:           4
        .value_kind:     hidden_block_count_z
      - .offset:         468
        .size:           2
        .value_kind:     hidden_group_size_x
      - .offset:         470
        .size:           2
        .value_kind:     hidden_group_size_y
      - .offset:         472
        .size:           2
        .value_kind:     hidden_group_size_z
      - .offset:         474
        .size:           2
        .value_kind:     hidden_remainder_x
      - .offset:         476
        .size:           2
        .value_kind:     hidden_remainder_y
      - .offset:         478
        .size:           2
        .value_kind:     hidden_remainder_z
      - .offset:         496
        .size:           8
        .value_kind:     hidden_global_offset_x
      - .offset:         504
        .size:           8
        .value_kind:     hidden_global_offset_y
      - .offset:         512
        .size:           8
        .value_kind:     hidden_global_offset_z
      - .offset:         520
        .size:           2
        .value_kind:     hidden_grid_dims
    .group_segment_fixed_size: 5120
    .kernarg_segment_align: 8
    .kernarg_segment_size: 712
    .language:       OpenCL C
    .language_version:
      - 2
      - 0
    .max_flat_workgroup_size: 256
    .name:           _ZN2at6native20bitonicSortKVInPlaceILin1ELin1ELi16ELi16EblNS0_4LTOpIbLb1EEEjEEvNS_4cuda6detail10TensorInfoIT3_T6_EES8_S8_S8_NS6_IT4_S8_EES8_T5_
    .private_segment_fixed_size: 0
    .sgpr_count:     16
    .sgpr_spill_count: 0
    .symbol:         _ZN2at6native20bitonicSortKVInPlaceILin1ELin1ELi16ELi16EblNS0_4LTOpIbLb1EEEjEEvNS_4cuda6detail10TensorInfoIT3_T6_EES8_S8_S8_NS6_IT4_S8_EES8_T5_.kd
    .uniform_work_group_size: 1
    .uses_dynamic_stack: false
    .vgpr_count:     34
    .vgpr_spill_count: 0
    .wavefront_size: 32
    .workgroup_processor_mode: 1
  - .args:
      - .offset:         0
        .size:           216
        .value_kind:     by_value
      - .offset:         216
        .size:           4
        .value_kind:     by_value
      - .offset:         220
        .size:           4
        .value_kind:     by_value
      - .offset:         224
        .size:           4
        .value_kind:     by_value
      - .offset:         232
        .size:           216
        .value_kind:     by_value
      - .offset:         448
        .size:           4
        .value_kind:     by_value
      - .offset:         452
        .size:           1
        .value_kind:     by_value
      - .offset:         456
        .size:           4
        .value_kind:     hidden_block_count_x
      - .offset:         460
        .size:           4
        .value_kind:     hidden_block_count_y
      - .offset:         464
        .size:           4
        .value_kind:     hidden_block_count_z
      - .offset:         468
        .size:           2
        .value_kind:     hidden_group_size_x
      - .offset:         470
        .size:           2
        .value_kind:     hidden_group_size_y
      - .offset:         472
        .size:           2
        .value_kind:     hidden_group_size_z
      - .offset:         474
        .size:           2
        .value_kind:     hidden_remainder_x
      - .offset:         476
        .size:           2
        .value_kind:     hidden_remainder_y
      - .offset:         478
        .size:           2
        .value_kind:     hidden_remainder_z
      - .offset:         496
        .size:           8
        .value_kind:     hidden_global_offset_x
      - .offset:         504
        .size:           8
        .value_kind:     hidden_global_offset_y
      - .offset:         512
        .size:           8
        .value_kind:     hidden_global_offset_z
      - .offset:         520
        .size:           2
        .value_kind:     hidden_grid_dims
    .group_segment_fixed_size: 5120
    .kernarg_segment_align: 8
    .kernarg_segment_size: 712
    .language:       OpenCL C
    .language_version:
      - 2
      - 0
    .max_flat_workgroup_size: 256
    .name:           _ZN2at6native20bitonicSortKVInPlaceILin1ELin1ELi16ELi16EblNS0_4GTOpIbLb1EEEjEEvNS_4cuda6detail10TensorInfoIT3_T6_EES8_S8_S8_NS6_IT4_S8_EES8_T5_
    .private_segment_fixed_size: 0
    .sgpr_count:     16
    .sgpr_spill_count: 0
    .symbol:         _ZN2at6native20bitonicSortKVInPlaceILin1ELin1ELi16ELi16EblNS0_4GTOpIbLb1EEEjEEvNS_4cuda6detail10TensorInfoIT3_T6_EES8_S8_S8_NS6_IT4_S8_EES8_T5_.kd
    .uniform_work_group_size: 1
    .uses_dynamic_stack: false
    .vgpr_count:     34
    .vgpr_spill_count: 0
    .wavefront_size: 32
    .workgroup_processor_mode: 1
  - .args:
      - .offset:         0
        .size:           416
        .value_kind:     by_value
      - .offset:         416
        .size:           8
        .value_kind:     by_value
      - .offset:         424
        .size:           8
        .value_kind:     by_value
      - .offset:         432
        .size:           8
        .value_kind:     by_value
      - .offset:         440
        .size:           416
        .value_kind:     by_value
      - .offset:         856
        .size:           8
        .value_kind:     by_value
      - .offset:         864
        .size:           1
        .value_kind:     by_value
      - .offset:         872
        .size:           4
        .value_kind:     hidden_block_count_x
      - .offset:         876
        .size:           4
        .value_kind:     hidden_block_count_y
      - .offset:         880
        .size:           4
        .value_kind:     hidden_block_count_z
      - .offset:         884
        .size:           2
        .value_kind:     hidden_group_size_x
      - .offset:         886
        .size:           2
        .value_kind:     hidden_group_size_y
      - .offset:         888
        .size:           2
        .value_kind:     hidden_group_size_z
      - .offset:         890
        .size:           2
        .value_kind:     hidden_remainder_x
      - .offset:         892
        .size:           2
        .value_kind:     hidden_remainder_y
      - .offset:         894
        .size:           2
        .value_kind:     hidden_remainder_z
      - .offset:         912
        .size:           8
        .value_kind:     hidden_global_offset_x
      - .offset:         920
        .size:           8
        .value_kind:     hidden_global_offset_y
      - .offset:         928
        .size:           8
        .value_kind:     hidden_global_offset_z
      - .offset:         936
        .size:           2
        .value_kind:     hidden_grid_dims
    .group_segment_fixed_size: 5120
    .kernarg_segment_align: 8
    .kernarg_segment_size: 1128
    .language:       OpenCL C
    .language_version:
      - 2
      - 0
    .max_flat_workgroup_size: 256
    .name:           _ZN2at6native20bitonicSortKVInPlaceILin1ELin1ELi16ELi16EblNS0_4LTOpIbLb1EEEmEEvNS_4cuda6detail10TensorInfoIT3_T6_EES8_S8_S8_NS6_IT4_S8_EES8_T5_
    .private_segment_fixed_size: 0
    .sgpr_count:     33
    .sgpr_spill_count: 0
    .symbol:         _ZN2at6native20bitonicSortKVInPlaceILin1ELin1ELi16ELi16EblNS0_4LTOpIbLb1EEEmEEvNS_4cuda6detail10TensorInfoIT3_T6_EES8_S8_S8_NS6_IT4_S8_EES8_T5_.kd
    .uniform_work_group_size: 1
    .uses_dynamic_stack: false
    .vgpr_count:     36
    .vgpr_spill_count: 0
    .wavefront_size: 32
    .workgroup_processor_mode: 1
  - .args:
      - .offset:         0
        .size:           416
        .value_kind:     by_value
      - .offset:         416
        .size:           8
        .value_kind:     by_value
      - .offset:         424
        .size:           8
        .value_kind:     by_value
      - .offset:         432
        .size:           8
        .value_kind:     by_value
      - .offset:         440
        .size:           416
        .value_kind:     by_value
      - .offset:         856
        .size:           8
        .value_kind:     by_value
      - .offset:         864
        .size:           1
        .value_kind:     by_value
      - .offset:         872
        .size:           4
        .value_kind:     hidden_block_count_x
      - .offset:         876
        .size:           4
        .value_kind:     hidden_block_count_y
      - .offset:         880
        .size:           4
        .value_kind:     hidden_block_count_z
      - .offset:         884
        .size:           2
        .value_kind:     hidden_group_size_x
      - .offset:         886
        .size:           2
        .value_kind:     hidden_group_size_y
      - .offset:         888
        .size:           2
        .value_kind:     hidden_group_size_z
      - .offset:         890
        .size:           2
        .value_kind:     hidden_remainder_x
      - .offset:         892
        .size:           2
        .value_kind:     hidden_remainder_y
      - .offset:         894
        .size:           2
        .value_kind:     hidden_remainder_z
      - .offset:         912
        .size:           8
        .value_kind:     hidden_global_offset_x
      - .offset:         920
        .size:           8
        .value_kind:     hidden_global_offset_y
      - .offset:         928
        .size:           8
        .value_kind:     hidden_global_offset_z
      - .offset:         936
        .size:           2
        .value_kind:     hidden_grid_dims
    .group_segment_fixed_size: 5120
    .kernarg_segment_align: 8
    .kernarg_segment_size: 1128
    .language:       OpenCL C
    .language_version:
      - 2
      - 0
    .max_flat_workgroup_size: 256
    .name:           _ZN2at6native20bitonicSortKVInPlaceILin1ELin1ELi16ELi16EblNS0_4GTOpIbLb1EEEmEEvNS_4cuda6detail10TensorInfoIT3_T6_EES8_S8_S8_NS6_IT4_S8_EES8_T5_
    .private_segment_fixed_size: 0
    .sgpr_count:     33
    .sgpr_spill_count: 0
    .symbol:         _ZN2at6native20bitonicSortKVInPlaceILin1ELin1ELi16ELi16EblNS0_4GTOpIbLb1EEEmEEvNS_4cuda6detail10TensorInfoIT3_T6_EES8_S8_S8_NS6_IT4_S8_EES8_T5_.kd
    .uniform_work_group_size: 1
    .uses_dynamic_stack: false
    .vgpr_count:     36
    .vgpr_spill_count: 0
    .wavefront_size: 32
    .workgroup_processor_mode: 1
  - .args:
      - .offset:         0
        .size:           216
        .value_kind:     by_value
      - .offset:         216
        .size:           4
        .value_kind:     by_value
      - .offset:         220
        .size:           4
        .value_kind:     by_value
      - .offset:         224
        .size:           4
        .value_kind:     by_value
      - .offset:         232
        .size:           216
        .value_kind:     by_value
      - .offset:         448
        .size:           4
        .value_kind:     by_value
      - .offset:         452
        .size:           1
        .value_kind:     by_value
      - .offset:         456
        .size:           4
        .value_kind:     hidden_block_count_x
      - .offset:         460
        .size:           4
        .value_kind:     hidden_block_count_y
      - .offset:         464
        .size:           4
        .value_kind:     hidden_block_count_z
      - .offset:         468
        .size:           2
        .value_kind:     hidden_group_size_x
      - .offset:         470
        .size:           2
        .value_kind:     hidden_group_size_y
      - .offset:         472
        .size:           2
        .value_kind:     hidden_group_size_z
      - .offset:         474
        .size:           2
        .value_kind:     hidden_remainder_x
      - .offset:         476
        .size:           2
        .value_kind:     hidden_remainder_y
      - .offset:         478
        .size:           2
        .value_kind:     hidden_remainder_z
      - .offset:         496
        .size:           8
        .value_kind:     hidden_global_offset_x
      - .offset:         504
        .size:           8
        .value_kind:     hidden_global_offset_y
      - .offset:         512
        .size:           8
        .value_kind:     hidden_global_offset_z
      - .offset:         520
        .size:           2
        .value_kind:     hidden_grid_dims
    .group_segment_fixed_size: 33792
    .kernarg_segment_align: 8
    .kernarg_segment_size: 712
    .language:       OpenCL C
    .language_version:
      - 2
      - 0
    .max_flat_workgroup_size: 512
    .name:           _ZN2at6native18radixSortKVInPlaceILin2ELin1ELi512ELi8EhljEEvNS_4cuda6detail10TensorInfoIT3_T5_EES6_S6_S6_NS4_IT4_S6_EES6_b
    .private_segment_fixed_size: 0
    .sgpr_count:     30
    .sgpr_spill_count: 0
    .symbol:         _ZN2at6native18radixSortKVInPlaceILin2ELin1ELi512ELi8EhljEEvNS_4cuda6detail10TensorInfoIT3_T5_EES6_S6_S6_NS4_IT4_S6_EES6_b.kd
    .uniform_work_group_size: 1
    .uses_dynamic_stack: false
    .vgpr_count:     105
    .vgpr_spill_count: 0
    .wavefront_size: 32
    .workgroup_processor_mode: 1
  - .args:
      - .offset:         0
        .size:           216
        .value_kind:     by_value
      - .offset:         216
        .size:           4
        .value_kind:     by_value
      - .offset:         220
        .size:           4
        .value_kind:     by_value
      - .offset:         224
        .size:           4
        .value_kind:     by_value
      - .offset:         232
        .size:           216
        .value_kind:     by_value
      - .offset:         448
        .size:           4
        .value_kind:     by_value
      - .offset:         452
        .size:           1
        .value_kind:     by_value
      - .offset:         456
        .size:           4
        .value_kind:     hidden_block_count_x
      - .offset:         460
        .size:           4
        .value_kind:     hidden_block_count_y
      - .offset:         464
        .size:           4
        .value_kind:     hidden_block_count_z
      - .offset:         468
        .size:           2
        .value_kind:     hidden_group_size_x
      - .offset:         470
        .size:           2
        .value_kind:     hidden_group_size_y
      - .offset:         472
        .size:           2
        .value_kind:     hidden_group_size_z
      - .offset:         474
        .size:           2
        .value_kind:     hidden_remainder_x
      - .offset:         476
        .size:           2
        .value_kind:     hidden_remainder_y
      - .offset:         478
        .size:           2
        .value_kind:     hidden_remainder_z
      - .offset:         496
        .size:           8
        .value_kind:     hidden_global_offset_x
      - .offset:         504
        .size:           8
        .value_kind:     hidden_global_offset_y
      - .offset:         512
        .size:           8
        .value_kind:     hidden_global_offset_z
      - .offset:         520
        .size:           2
        .value_kind:     hidden_grid_dims
    .group_segment_fixed_size: 16896
    .kernarg_segment_align: 8
    .kernarg_segment_size: 712
    .language:       OpenCL C
    .language_version:
      - 2
      - 0
    .max_flat_workgroup_size: 256
    .name:           _ZN2at6native18radixSortKVInPlaceILin2ELin1ELi256ELi8EhljEEvNS_4cuda6detail10TensorInfoIT3_T5_EES6_S6_S6_NS4_IT4_S6_EES6_b
    .private_segment_fixed_size: 0
    .sgpr_count:     26
    .sgpr_spill_count: 0
    .symbol:         _ZN2at6native18radixSortKVInPlaceILin2ELin1ELi256ELi8EhljEEvNS_4cuda6detail10TensorInfoIT3_T5_EES6_S6_S6_NS4_IT4_S6_EES6_b.kd
    .uniform_work_group_size: 1
    .uses_dynamic_stack: false
    .vgpr_count:     105
    .vgpr_spill_count: 0
    .wavefront_size: 32
    .workgroup_processor_mode: 1
  - .args:
      - .offset:         0
        .size:           216
        .value_kind:     by_value
      - .offset:         216
        .size:           4
        .value_kind:     by_value
      - .offset:         220
        .size:           4
        .value_kind:     by_value
      - .offset:         224
        .size:           4
        .value_kind:     by_value
      - .offset:         232
        .size:           216
        .value_kind:     by_value
      - .offset:         448
        .size:           4
        .value_kind:     by_value
      - .offset:         452
        .size:           1
        .value_kind:     by_value
      - .offset:         456
        .size:           4
        .value_kind:     hidden_block_count_x
      - .offset:         460
        .size:           4
        .value_kind:     hidden_block_count_y
      - .offset:         464
        .size:           4
        .value_kind:     hidden_block_count_z
      - .offset:         468
        .size:           2
        .value_kind:     hidden_group_size_x
      - .offset:         470
        .size:           2
        .value_kind:     hidden_group_size_y
      - .offset:         472
        .size:           2
        .value_kind:     hidden_group_size_z
      - .offset:         474
        .size:           2
        .value_kind:     hidden_remainder_x
      - .offset:         476
        .size:           2
        .value_kind:     hidden_remainder_y
      - .offset:         478
        .size:           2
        .value_kind:     hidden_remainder_z
      - .offset:         496
        .size:           8
        .value_kind:     hidden_global_offset_x
      - .offset:         504
        .size:           8
        .value_kind:     hidden_global_offset_y
      - .offset:         512
        .size:           8
        .value_kind:     hidden_global_offset_z
      - .offset:         520
        .size:           2
        .value_kind:     hidden_grid_dims
    .group_segment_fixed_size: 8448
    .kernarg_segment_align: 8
    .kernarg_segment_size: 712
    .language:       OpenCL C
    .language_version:
      - 2
      - 0
    .max_flat_workgroup_size: 128
    .name:           _ZN2at6native18radixSortKVInPlaceILin2ELin1ELi128ELi8EhljEEvNS_4cuda6detail10TensorInfoIT3_T5_EES6_S6_S6_NS4_IT4_S6_EES6_b
    .private_segment_fixed_size: 0
    .sgpr_count:     26
    .sgpr_spill_count: 0
    .symbol:         _ZN2at6native18radixSortKVInPlaceILin2ELin1ELi128ELi8EhljEEvNS_4cuda6detail10TensorInfoIT3_T5_EES6_S6_S6_NS4_IT4_S6_EES6_b.kd
    .uniform_work_group_size: 1
    .uses_dynamic_stack: false
    .vgpr_count:     105
    .vgpr_spill_count: 0
    .wavefront_size: 32
    .workgroup_processor_mode: 1
  - .args:
      - .offset:         0
        .size:           216
        .value_kind:     by_value
      - .offset:         216
        .size:           4
        .value_kind:     by_value
      - .offset:         220
        .size:           4
        .value_kind:     by_value
      - .offset:         224
        .size:           4
        .value_kind:     by_value
      - .offset:         232
        .size:           216
        .value_kind:     by_value
      - .offset:         448
        .size:           4
        .value_kind:     by_value
      - .offset:         452
        .size:           1
        .value_kind:     by_value
      - .offset:         456
        .size:           4
        .value_kind:     hidden_block_count_x
      - .offset:         460
        .size:           4
        .value_kind:     hidden_block_count_y
      - .offset:         464
        .size:           4
        .value_kind:     hidden_block_count_z
      - .offset:         468
        .size:           2
        .value_kind:     hidden_group_size_x
      - .offset:         470
        .size:           2
        .value_kind:     hidden_group_size_y
      - .offset:         472
        .size:           2
        .value_kind:     hidden_group_size_z
      - .offset:         474
        .size:           2
        .value_kind:     hidden_remainder_x
      - .offset:         476
        .size:           2
        .value_kind:     hidden_remainder_y
      - .offset:         478
        .size:           2
        .value_kind:     hidden_remainder_z
      - .offset:         496
        .size:           8
        .value_kind:     hidden_global_offset_x
      - .offset:         504
        .size:           8
        .value_kind:     hidden_global_offset_y
      - .offset:         512
        .size:           8
        .value_kind:     hidden_global_offset_z
      - .offset:         520
        .size:           2
        .value_kind:     hidden_grid_dims
    .group_segment_fixed_size: 1056
    .kernarg_segment_align: 8
    .kernarg_segment_size: 712
    .language:       OpenCL C
    .language_version:
      - 2
      - 0
    .max_flat_workgroup_size: 32
    .name:           _ZN2at6native18radixSortKVInPlaceILin2ELin1ELi32ELi4EhljEEvNS_4cuda6detail10TensorInfoIT3_T5_EES6_S6_S6_NS4_IT4_S6_EES6_b
    .private_segment_fixed_size: 0
    .sgpr_count:     22
    .sgpr_spill_count: 0
    .symbol:         _ZN2at6native18radixSortKVInPlaceILin2ELin1ELi32ELi4EhljEEvNS_4cuda6detail10TensorInfoIT3_T5_EES6_S6_S6_NS4_IT4_S6_EES6_b.kd
    .uniform_work_group_size: 1
    .uses_dynamic_stack: false
    .vgpr_count:     88
    .vgpr_spill_count: 0
    .wavefront_size: 32
    .workgroup_processor_mode: 1
  - .args:
      - .offset:         0
        .size:           216
        .value_kind:     by_value
      - .offset:         216
        .size:           4
        .value_kind:     by_value
      - .offset:         220
        .size:           4
        .value_kind:     by_value
      - .offset:         224
        .size:           4
        .value_kind:     by_value
      - .offset:         232
        .size:           216
        .value_kind:     by_value
      - .offset:         448
        .size:           4
        .value_kind:     by_value
      - .offset:         452
        .size:           1
        .value_kind:     by_value
      - .offset:         456
        .size:           4
        .value_kind:     hidden_block_count_x
      - .offset:         460
        .size:           4
        .value_kind:     hidden_block_count_y
      - .offset:         464
        .size:           4
        .value_kind:     hidden_block_count_z
      - .offset:         468
        .size:           2
        .value_kind:     hidden_group_size_x
      - .offset:         470
        .size:           2
        .value_kind:     hidden_group_size_y
      - .offset:         472
        .size:           2
        .value_kind:     hidden_group_size_z
      - .offset:         474
        .size:           2
        .value_kind:     hidden_remainder_x
      - .offset:         476
        .size:           2
        .value_kind:     hidden_remainder_y
      - .offset:         478
        .size:           2
        .value_kind:     hidden_remainder_z
      - .offset:         496
        .size:           8
        .value_kind:     hidden_global_offset_x
      - .offset:         504
        .size:           8
        .value_kind:     hidden_global_offset_y
      - .offset:         512
        .size:           8
        .value_kind:     hidden_global_offset_z
      - .offset:         520
        .size:           2
        .value_kind:     hidden_grid_dims
    .group_segment_fixed_size: 528
    .kernarg_segment_align: 8
    .kernarg_segment_size: 712
    .language:       OpenCL C
    .language_version:
      - 2
      - 0
    .max_flat_workgroup_size: 16
    .name:           _ZN2at6native18radixSortKVInPlaceILin2ELin1ELi16ELi2EhljEEvNS_4cuda6detail10TensorInfoIT3_T5_EES6_S6_S6_NS4_IT4_S6_EES6_b
    .private_segment_fixed_size: 0
    .sgpr_count:     20
    .sgpr_spill_count: 0
    .symbol:         _ZN2at6native18radixSortKVInPlaceILin2ELin1ELi16ELi2EhljEEvNS_4cuda6detail10TensorInfoIT3_T5_EES6_S6_S6_NS4_IT4_S6_EES6_b.kd
    .uniform_work_group_size: 1
    .uses_dynamic_stack: false
    .vgpr_count:     37
    .vgpr_spill_count: 0
    .wavefront_size: 32
    .workgroup_processor_mode: 1
  - .args:
      - .offset:         0
        .size:           216
        .value_kind:     by_value
      - .offset:         216
        .size:           4
        .value_kind:     by_value
      - .offset:         220
        .size:           4
        .value_kind:     by_value
      - .offset:         224
        .size:           4
        .value_kind:     by_value
      - .offset:         232
        .size:           216
        .value_kind:     by_value
      - .offset:         448
        .size:           4
        .value_kind:     by_value
      - .offset:         452
        .size:           1
        .value_kind:     by_value
      - .offset:         456
        .size:           4
        .value_kind:     hidden_block_count_x
      - .offset:         460
        .size:           4
        .value_kind:     hidden_block_count_y
      - .offset:         464
        .size:           4
        .value_kind:     hidden_block_count_z
      - .offset:         468
        .size:           2
        .value_kind:     hidden_group_size_x
      - .offset:         470
        .size:           2
        .value_kind:     hidden_group_size_y
      - .offset:         472
        .size:           2
        .value_kind:     hidden_group_size_z
      - .offset:         474
        .size:           2
        .value_kind:     hidden_remainder_x
      - .offset:         476
        .size:           2
        .value_kind:     hidden_remainder_y
      - .offset:         478
        .size:           2
        .value_kind:     hidden_remainder_z
      - .offset:         496
        .size:           8
        .value_kind:     hidden_global_offset_x
      - .offset:         504
        .size:           8
        .value_kind:     hidden_global_offset_y
      - .offset:         512
        .size:           8
        .value_kind:     hidden_global_offset_z
      - .offset:         520
        .size:           2
        .value_kind:     hidden_grid_dims
    .group_segment_fixed_size: 33792
    .kernarg_segment_align: 8
    .kernarg_segment_size: 712
    .language:       OpenCL C
    .language_version:
      - 2
      - 0
    .max_flat_workgroup_size: 512
    .name:           _ZN2at6native18radixSortKVInPlaceILi2ELin1ELi512ELi8EhljEEvNS_4cuda6detail10TensorInfoIT3_T5_EES6_S6_S6_NS4_IT4_S6_EES6_b
    .private_segment_fixed_size: 0
    .sgpr_count:     30
    .sgpr_spill_count: 0
    .symbol:         _ZN2at6native18radixSortKVInPlaceILi2ELin1ELi512ELi8EhljEEvNS_4cuda6detail10TensorInfoIT3_T5_EES6_S6_S6_NS4_IT4_S6_EES6_b.kd
    .uniform_work_group_size: 1
    .uses_dynamic_stack: false
    .vgpr_count:     105
    .vgpr_spill_count: 0
    .wavefront_size: 32
    .workgroup_processor_mode: 1
  - .args:
      - .offset:         0
        .size:           216
        .value_kind:     by_value
      - .offset:         216
        .size:           4
        .value_kind:     by_value
      - .offset:         220
        .size:           4
        .value_kind:     by_value
      - .offset:         224
        .size:           4
        .value_kind:     by_value
      - .offset:         232
        .size:           216
        .value_kind:     by_value
      - .offset:         448
        .size:           4
        .value_kind:     by_value
      - .offset:         452
        .size:           1
        .value_kind:     by_value
      - .offset:         456
        .size:           4
        .value_kind:     hidden_block_count_x
      - .offset:         460
        .size:           4
        .value_kind:     hidden_block_count_y
      - .offset:         464
        .size:           4
        .value_kind:     hidden_block_count_z
      - .offset:         468
        .size:           2
        .value_kind:     hidden_group_size_x
      - .offset:         470
        .size:           2
        .value_kind:     hidden_group_size_y
      - .offset:         472
        .size:           2
        .value_kind:     hidden_group_size_z
      - .offset:         474
        .size:           2
        .value_kind:     hidden_remainder_x
      - .offset:         476
        .size:           2
        .value_kind:     hidden_remainder_y
      - .offset:         478
        .size:           2
        .value_kind:     hidden_remainder_z
      - .offset:         496
        .size:           8
        .value_kind:     hidden_global_offset_x
      - .offset:         504
        .size:           8
        .value_kind:     hidden_global_offset_y
      - .offset:         512
        .size:           8
        .value_kind:     hidden_global_offset_z
      - .offset:         520
        .size:           2
        .value_kind:     hidden_grid_dims
    .group_segment_fixed_size: 16896
    .kernarg_segment_align: 8
    .kernarg_segment_size: 712
    .language:       OpenCL C
    .language_version:
      - 2
      - 0
    .max_flat_workgroup_size: 256
    .name:           _ZN2at6native18radixSortKVInPlaceILi2ELin1ELi256ELi8EhljEEvNS_4cuda6detail10TensorInfoIT3_T5_EES6_S6_S6_NS4_IT4_S6_EES6_b
    .private_segment_fixed_size: 0
    .sgpr_count:     26
    .sgpr_spill_count: 0
    .symbol:         _ZN2at6native18radixSortKVInPlaceILi2ELin1ELi256ELi8EhljEEvNS_4cuda6detail10TensorInfoIT3_T5_EES6_S6_S6_NS4_IT4_S6_EES6_b.kd
    .uniform_work_group_size: 1
    .uses_dynamic_stack: false
    .vgpr_count:     105
    .vgpr_spill_count: 0
    .wavefront_size: 32
    .workgroup_processor_mode: 1
  - .args:
      - .offset:         0
        .size:           216
        .value_kind:     by_value
      - .offset:         216
        .size:           4
        .value_kind:     by_value
      - .offset:         220
        .size:           4
        .value_kind:     by_value
      - .offset:         224
        .size:           4
        .value_kind:     by_value
      - .offset:         232
        .size:           216
        .value_kind:     by_value
      - .offset:         448
        .size:           4
        .value_kind:     by_value
      - .offset:         452
        .size:           1
        .value_kind:     by_value
      - .offset:         456
        .size:           4
        .value_kind:     hidden_block_count_x
      - .offset:         460
        .size:           4
        .value_kind:     hidden_block_count_y
      - .offset:         464
        .size:           4
        .value_kind:     hidden_block_count_z
      - .offset:         468
        .size:           2
        .value_kind:     hidden_group_size_x
      - .offset:         470
        .size:           2
        .value_kind:     hidden_group_size_y
      - .offset:         472
        .size:           2
        .value_kind:     hidden_group_size_z
      - .offset:         474
        .size:           2
        .value_kind:     hidden_remainder_x
      - .offset:         476
        .size:           2
        .value_kind:     hidden_remainder_y
      - .offset:         478
        .size:           2
        .value_kind:     hidden_remainder_z
      - .offset:         496
        .size:           8
        .value_kind:     hidden_global_offset_x
      - .offset:         504
        .size:           8
        .value_kind:     hidden_global_offset_y
      - .offset:         512
        .size:           8
        .value_kind:     hidden_global_offset_z
      - .offset:         520
        .size:           2
        .value_kind:     hidden_grid_dims
    .group_segment_fixed_size: 8448
    .kernarg_segment_align: 8
    .kernarg_segment_size: 712
    .language:       OpenCL C
    .language_version:
      - 2
      - 0
    .max_flat_workgroup_size: 128
    .name:           _ZN2at6native18radixSortKVInPlaceILi2ELin1ELi128ELi8EhljEEvNS_4cuda6detail10TensorInfoIT3_T5_EES6_S6_S6_NS4_IT4_S6_EES6_b
    .private_segment_fixed_size: 0
    .sgpr_count:     26
    .sgpr_spill_count: 0
    .symbol:         _ZN2at6native18radixSortKVInPlaceILi2ELin1ELi128ELi8EhljEEvNS_4cuda6detail10TensorInfoIT3_T5_EES6_S6_S6_NS4_IT4_S6_EES6_b.kd
    .uniform_work_group_size: 1
    .uses_dynamic_stack: false
    .vgpr_count:     105
    .vgpr_spill_count: 0
    .wavefront_size: 32
    .workgroup_processor_mode: 1
  - .args:
      - .offset:         0
        .size:           216
        .value_kind:     by_value
      - .offset:         216
        .size:           4
        .value_kind:     by_value
      - .offset:         220
        .size:           4
        .value_kind:     by_value
      - .offset:         224
        .size:           4
        .value_kind:     by_value
      - .offset:         232
        .size:           216
        .value_kind:     by_value
      - .offset:         448
        .size:           4
        .value_kind:     by_value
      - .offset:         452
        .size:           1
        .value_kind:     by_value
      - .offset:         456
        .size:           4
        .value_kind:     hidden_block_count_x
      - .offset:         460
        .size:           4
        .value_kind:     hidden_block_count_y
      - .offset:         464
        .size:           4
        .value_kind:     hidden_block_count_z
      - .offset:         468
        .size:           2
        .value_kind:     hidden_group_size_x
      - .offset:         470
        .size:           2
        .value_kind:     hidden_group_size_y
      - .offset:         472
        .size:           2
        .value_kind:     hidden_group_size_z
      - .offset:         474
        .size:           2
        .value_kind:     hidden_remainder_x
      - .offset:         476
        .size:           2
        .value_kind:     hidden_remainder_y
      - .offset:         478
        .size:           2
        .value_kind:     hidden_remainder_z
      - .offset:         496
        .size:           8
        .value_kind:     hidden_global_offset_x
      - .offset:         504
        .size:           8
        .value_kind:     hidden_global_offset_y
      - .offset:         512
        .size:           8
        .value_kind:     hidden_global_offset_z
      - .offset:         520
        .size:           2
        .value_kind:     hidden_grid_dims
    .group_segment_fixed_size: 1056
    .kernarg_segment_align: 8
    .kernarg_segment_size: 712
    .language:       OpenCL C
    .language_version:
      - 2
      - 0
    .max_flat_workgroup_size: 32
    .name:           _ZN2at6native18radixSortKVInPlaceILi2ELin1ELi32ELi4EhljEEvNS_4cuda6detail10TensorInfoIT3_T5_EES6_S6_S6_NS4_IT4_S6_EES6_b
    .private_segment_fixed_size: 0
    .sgpr_count:     26
    .sgpr_spill_count: 0
    .symbol:         _ZN2at6native18radixSortKVInPlaceILi2ELin1ELi32ELi4EhljEEvNS_4cuda6detail10TensorInfoIT3_T5_EES6_S6_S6_NS4_IT4_S6_EES6_b.kd
    .uniform_work_group_size: 1
    .uses_dynamic_stack: false
    .vgpr_count:     88
    .vgpr_spill_count: 0
    .wavefront_size: 32
    .workgroup_processor_mode: 1
  - .args:
      - .offset:         0
        .size:           216
        .value_kind:     by_value
      - .offset:         216
        .size:           4
        .value_kind:     by_value
      - .offset:         220
        .size:           4
        .value_kind:     by_value
      - .offset:         224
        .size:           4
        .value_kind:     by_value
      - .offset:         232
        .size:           216
        .value_kind:     by_value
      - .offset:         448
        .size:           4
        .value_kind:     by_value
      - .offset:         452
        .size:           1
        .value_kind:     by_value
      - .offset:         456
        .size:           4
        .value_kind:     hidden_block_count_x
      - .offset:         460
        .size:           4
        .value_kind:     hidden_block_count_y
      - .offset:         464
        .size:           4
        .value_kind:     hidden_block_count_z
      - .offset:         468
        .size:           2
        .value_kind:     hidden_group_size_x
      - .offset:         470
        .size:           2
        .value_kind:     hidden_group_size_y
      - .offset:         472
        .size:           2
        .value_kind:     hidden_group_size_z
      - .offset:         474
        .size:           2
        .value_kind:     hidden_remainder_x
      - .offset:         476
        .size:           2
        .value_kind:     hidden_remainder_y
      - .offset:         478
        .size:           2
        .value_kind:     hidden_remainder_z
      - .offset:         496
        .size:           8
        .value_kind:     hidden_global_offset_x
      - .offset:         504
        .size:           8
        .value_kind:     hidden_global_offset_y
      - .offset:         512
        .size:           8
        .value_kind:     hidden_global_offset_z
      - .offset:         520
        .size:           2
        .value_kind:     hidden_grid_dims
    .group_segment_fixed_size: 528
    .kernarg_segment_align: 8
    .kernarg_segment_size: 712
    .language:       OpenCL C
    .language_version:
      - 2
      - 0
    .max_flat_workgroup_size: 16
    .name:           _ZN2at6native18radixSortKVInPlaceILi2ELin1ELi16ELi2EhljEEvNS_4cuda6detail10TensorInfoIT3_T5_EES6_S6_S6_NS4_IT4_S6_EES6_b
    .private_segment_fixed_size: 0
    .sgpr_count:     26
    .sgpr_spill_count: 0
    .symbol:         _ZN2at6native18radixSortKVInPlaceILi2ELin1ELi16ELi2EhljEEvNS_4cuda6detail10TensorInfoIT3_T5_EES6_S6_S6_NS4_IT4_S6_EES6_b.kd
    .uniform_work_group_size: 1
    .uses_dynamic_stack: false
    .vgpr_count:     37
    .vgpr_spill_count: 0
    .wavefront_size: 32
    .workgroup_processor_mode: 1
  - .args:
      - .offset:         0
        .size:           216
        .value_kind:     by_value
      - .offset:         216
        .size:           4
        .value_kind:     by_value
      - .offset:         220
        .size:           4
        .value_kind:     by_value
      - .offset:         224
        .size:           4
        .value_kind:     by_value
      - .offset:         232
        .size:           216
        .value_kind:     by_value
      - .offset:         448
        .size:           4
        .value_kind:     by_value
      - .offset:         452
        .size:           1
        .value_kind:     by_value
      - .offset:         456
        .size:           4
        .value_kind:     hidden_block_count_x
      - .offset:         460
        .size:           4
        .value_kind:     hidden_block_count_y
      - .offset:         464
        .size:           4
        .value_kind:     hidden_block_count_z
      - .offset:         468
        .size:           2
        .value_kind:     hidden_group_size_x
      - .offset:         470
        .size:           2
        .value_kind:     hidden_group_size_y
      - .offset:         472
        .size:           2
        .value_kind:     hidden_group_size_z
      - .offset:         474
        .size:           2
        .value_kind:     hidden_remainder_x
      - .offset:         476
        .size:           2
        .value_kind:     hidden_remainder_y
      - .offset:         478
        .size:           2
        .value_kind:     hidden_remainder_z
      - .offset:         496
        .size:           8
        .value_kind:     hidden_global_offset_x
      - .offset:         504
        .size:           8
        .value_kind:     hidden_global_offset_y
      - .offset:         512
        .size:           8
        .value_kind:     hidden_global_offset_z
      - .offset:         520
        .size:           2
        .value_kind:     hidden_grid_dims
    .group_segment_fixed_size: 33792
    .kernarg_segment_align: 8
    .kernarg_segment_size: 712
    .language:       OpenCL C
    .language_version:
      - 2
      - 0
    .max_flat_workgroup_size: 512
    .name:           _ZN2at6native18radixSortKVInPlaceILin1ELin1ELi512ELi8EhljEEvNS_4cuda6detail10TensorInfoIT3_T5_EES6_S6_S6_NS4_IT4_S6_EES6_b
    .private_segment_fixed_size: 0
    .sgpr_count:     30
    .sgpr_spill_count: 0
    .symbol:         _ZN2at6native18radixSortKVInPlaceILin1ELin1ELi512ELi8EhljEEvNS_4cuda6detail10TensorInfoIT3_T5_EES6_S6_S6_NS4_IT4_S6_EES6_b.kd
    .uniform_work_group_size: 1
    .uses_dynamic_stack: false
    .vgpr_count:     105
    .vgpr_spill_count: 0
    .wavefront_size: 32
    .workgroup_processor_mode: 1
  - .args:
      - .offset:         0
        .size:           216
        .value_kind:     by_value
      - .offset:         216
        .size:           4
        .value_kind:     by_value
      - .offset:         220
        .size:           4
        .value_kind:     by_value
      - .offset:         224
        .size:           4
        .value_kind:     by_value
      - .offset:         232
        .size:           216
        .value_kind:     by_value
      - .offset:         448
        .size:           4
        .value_kind:     by_value
      - .offset:         452
        .size:           1
        .value_kind:     by_value
      - .offset:         456
        .size:           4
        .value_kind:     hidden_block_count_x
      - .offset:         460
        .size:           4
        .value_kind:     hidden_block_count_y
      - .offset:         464
        .size:           4
        .value_kind:     hidden_block_count_z
      - .offset:         468
        .size:           2
        .value_kind:     hidden_group_size_x
      - .offset:         470
        .size:           2
        .value_kind:     hidden_group_size_y
      - .offset:         472
        .size:           2
        .value_kind:     hidden_group_size_z
      - .offset:         474
        .size:           2
        .value_kind:     hidden_remainder_x
      - .offset:         476
        .size:           2
        .value_kind:     hidden_remainder_y
      - .offset:         478
        .size:           2
        .value_kind:     hidden_remainder_z
      - .offset:         496
        .size:           8
        .value_kind:     hidden_global_offset_x
      - .offset:         504
        .size:           8
        .value_kind:     hidden_global_offset_y
      - .offset:         512
        .size:           8
        .value_kind:     hidden_global_offset_z
      - .offset:         520
        .size:           2
        .value_kind:     hidden_grid_dims
    .group_segment_fixed_size: 16896
    .kernarg_segment_align: 8
    .kernarg_segment_size: 712
    .language:       OpenCL C
    .language_version:
      - 2
      - 0
    .max_flat_workgroup_size: 256
    .name:           _ZN2at6native18radixSortKVInPlaceILin1ELin1ELi256ELi8EhljEEvNS_4cuda6detail10TensorInfoIT3_T5_EES6_S6_S6_NS4_IT4_S6_EES6_b
    .private_segment_fixed_size: 0
    .sgpr_count:     26
    .sgpr_spill_count: 0
    .symbol:         _ZN2at6native18radixSortKVInPlaceILin1ELin1ELi256ELi8EhljEEvNS_4cuda6detail10TensorInfoIT3_T5_EES6_S6_S6_NS4_IT4_S6_EES6_b.kd
    .uniform_work_group_size: 1
    .uses_dynamic_stack: false
    .vgpr_count:     105
    .vgpr_spill_count: 0
    .wavefront_size: 32
    .workgroup_processor_mode: 1
  - .args:
      - .offset:         0
        .size:           216
        .value_kind:     by_value
      - .offset:         216
        .size:           4
        .value_kind:     by_value
      - .offset:         220
        .size:           4
        .value_kind:     by_value
      - .offset:         224
        .size:           4
        .value_kind:     by_value
      - .offset:         232
        .size:           216
        .value_kind:     by_value
      - .offset:         448
        .size:           4
        .value_kind:     by_value
      - .offset:         452
        .size:           1
        .value_kind:     by_value
      - .offset:         456
        .size:           4
        .value_kind:     hidden_block_count_x
      - .offset:         460
        .size:           4
        .value_kind:     hidden_block_count_y
      - .offset:         464
        .size:           4
        .value_kind:     hidden_block_count_z
      - .offset:         468
        .size:           2
        .value_kind:     hidden_group_size_x
      - .offset:         470
        .size:           2
        .value_kind:     hidden_group_size_y
      - .offset:         472
        .size:           2
        .value_kind:     hidden_group_size_z
      - .offset:         474
        .size:           2
        .value_kind:     hidden_remainder_x
      - .offset:         476
        .size:           2
        .value_kind:     hidden_remainder_y
      - .offset:         478
        .size:           2
        .value_kind:     hidden_remainder_z
      - .offset:         496
        .size:           8
        .value_kind:     hidden_global_offset_x
      - .offset:         504
        .size:           8
        .value_kind:     hidden_global_offset_y
      - .offset:         512
        .size:           8
        .value_kind:     hidden_global_offset_z
      - .offset:         520
        .size:           2
        .value_kind:     hidden_grid_dims
    .group_segment_fixed_size: 8448
    .kernarg_segment_align: 8
    .kernarg_segment_size: 712
    .language:       OpenCL C
    .language_version:
      - 2
      - 0
    .max_flat_workgroup_size: 128
    .name:           _ZN2at6native18radixSortKVInPlaceILin1ELin1ELi128ELi8EhljEEvNS_4cuda6detail10TensorInfoIT3_T5_EES6_S6_S6_NS4_IT4_S6_EES6_b
    .private_segment_fixed_size: 0
    .sgpr_count:     26
    .sgpr_spill_count: 0
    .symbol:         _ZN2at6native18radixSortKVInPlaceILin1ELin1ELi128ELi8EhljEEvNS_4cuda6detail10TensorInfoIT3_T5_EES6_S6_S6_NS4_IT4_S6_EES6_b.kd
    .uniform_work_group_size: 1
    .uses_dynamic_stack: false
    .vgpr_count:     105
    .vgpr_spill_count: 0
    .wavefront_size: 32
    .workgroup_processor_mode: 1
  - .args:
      - .offset:         0
        .size:           216
        .value_kind:     by_value
      - .offset:         216
        .size:           4
        .value_kind:     by_value
      - .offset:         220
        .size:           4
        .value_kind:     by_value
      - .offset:         224
        .size:           4
        .value_kind:     by_value
      - .offset:         232
        .size:           216
        .value_kind:     by_value
      - .offset:         448
        .size:           4
        .value_kind:     by_value
      - .offset:         452
        .size:           1
        .value_kind:     by_value
      - .offset:         456
        .size:           4
        .value_kind:     hidden_block_count_x
      - .offset:         460
        .size:           4
        .value_kind:     hidden_block_count_y
      - .offset:         464
        .size:           4
        .value_kind:     hidden_block_count_z
      - .offset:         468
        .size:           2
        .value_kind:     hidden_group_size_x
      - .offset:         470
        .size:           2
        .value_kind:     hidden_group_size_y
      - .offset:         472
        .size:           2
        .value_kind:     hidden_group_size_z
      - .offset:         474
        .size:           2
        .value_kind:     hidden_remainder_x
      - .offset:         476
        .size:           2
        .value_kind:     hidden_remainder_y
      - .offset:         478
        .size:           2
        .value_kind:     hidden_remainder_z
      - .offset:         496
        .size:           8
        .value_kind:     hidden_global_offset_x
      - .offset:         504
        .size:           8
        .value_kind:     hidden_global_offset_y
      - .offset:         512
        .size:           8
        .value_kind:     hidden_global_offset_z
      - .offset:         520
        .size:           2
        .value_kind:     hidden_grid_dims
    .group_segment_fixed_size: 1056
    .kernarg_segment_align: 8
    .kernarg_segment_size: 712
    .language:       OpenCL C
    .language_version:
      - 2
      - 0
    .max_flat_workgroup_size: 32
    .name:           _ZN2at6native18radixSortKVInPlaceILin1ELin1ELi32ELi4EhljEEvNS_4cuda6detail10TensorInfoIT3_T5_EES6_S6_S6_NS4_IT4_S6_EES6_b
    .private_segment_fixed_size: 0
    .sgpr_count:     22
    .sgpr_spill_count: 0
    .symbol:         _ZN2at6native18radixSortKVInPlaceILin1ELin1ELi32ELi4EhljEEvNS_4cuda6detail10TensorInfoIT3_T5_EES6_S6_S6_NS4_IT4_S6_EES6_b.kd
    .uniform_work_group_size: 1
    .uses_dynamic_stack: false
    .vgpr_count:     88
    .vgpr_spill_count: 0
    .wavefront_size: 32
    .workgroup_processor_mode: 1
  - .args:
      - .offset:         0
        .size:           216
        .value_kind:     by_value
      - .offset:         216
        .size:           4
        .value_kind:     by_value
      - .offset:         220
        .size:           4
        .value_kind:     by_value
      - .offset:         224
        .size:           4
        .value_kind:     by_value
      - .offset:         232
        .size:           216
        .value_kind:     by_value
      - .offset:         448
        .size:           4
        .value_kind:     by_value
      - .offset:         452
        .size:           1
        .value_kind:     by_value
      - .offset:         456
        .size:           4
        .value_kind:     hidden_block_count_x
      - .offset:         460
        .size:           4
        .value_kind:     hidden_block_count_y
      - .offset:         464
        .size:           4
        .value_kind:     hidden_block_count_z
      - .offset:         468
        .size:           2
        .value_kind:     hidden_group_size_x
      - .offset:         470
        .size:           2
        .value_kind:     hidden_group_size_y
      - .offset:         472
        .size:           2
        .value_kind:     hidden_group_size_z
      - .offset:         474
        .size:           2
        .value_kind:     hidden_remainder_x
      - .offset:         476
        .size:           2
        .value_kind:     hidden_remainder_y
      - .offset:         478
        .size:           2
        .value_kind:     hidden_remainder_z
      - .offset:         496
        .size:           8
        .value_kind:     hidden_global_offset_x
      - .offset:         504
        .size:           8
        .value_kind:     hidden_global_offset_y
      - .offset:         512
        .size:           8
        .value_kind:     hidden_global_offset_z
      - .offset:         520
        .size:           2
        .value_kind:     hidden_grid_dims
    .group_segment_fixed_size: 528
    .kernarg_segment_align: 8
    .kernarg_segment_size: 712
    .language:       OpenCL C
    .language_version:
      - 2
      - 0
    .max_flat_workgroup_size: 16
    .name:           _ZN2at6native18radixSortKVInPlaceILin1ELin1ELi16ELi2EhljEEvNS_4cuda6detail10TensorInfoIT3_T5_EES6_S6_S6_NS4_IT4_S6_EES6_b
    .private_segment_fixed_size: 0
    .sgpr_count:     19
    .sgpr_spill_count: 0
    .symbol:         _ZN2at6native18radixSortKVInPlaceILin1ELin1ELi16ELi2EhljEEvNS_4cuda6detail10TensorInfoIT3_T5_EES6_S6_S6_NS4_IT4_S6_EES6_b.kd
    .uniform_work_group_size: 1
    .uses_dynamic_stack: false
    .vgpr_count:     37
    .vgpr_spill_count: 0
    .wavefront_size: 32
    .workgroup_processor_mode: 1
  - .args:
      - .offset:         0
        .size:           416
        .value_kind:     by_value
      - .offset:         416
        .size:           8
        .value_kind:     by_value
      - .offset:         424
        .size:           8
        .value_kind:     by_value
      - .offset:         432
        .size:           8
        .value_kind:     by_value
      - .offset:         440
        .size:           416
        .value_kind:     by_value
      - .offset:         856
        .size:           8
        .value_kind:     by_value
      - .offset:         864
        .size:           1
        .value_kind:     by_value
      - .offset:         872
        .size:           4
        .value_kind:     hidden_block_count_x
      - .offset:         876
        .size:           4
        .value_kind:     hidden_block_count_y
      - .offset:         880
        .size:           4
        .value_kind:     hidden_block_count_z
      - .offset:         884
        .size:           2
        .value_kind:     hidden_group_size_x
      - .offset:         886
        .size:           2
        .value_kind:     hidden_group_size_y
      - .offset:         888
        .size:           2
        .value_kind:     hidden_group_size_z
      - .offset:         890
        .size:           2
        .value_kind:     hidden_remainder_x
      - .offset:         892
        .size:           2
        .value_kind:     hidden_remainder_y
      - .offset:         894
        .size:           2
        .value_kind:     hidden_remainder_z
      - .offset:         912
        .size:           8
        .value_kind:     hidden_global_offset_x
      - .offset:         920
        .size:           8
        .value_kind:     hidden_global_offset_y
      - .offset:         928
        .size:           8
        .value_kind:     hidden_global_offset_z
      - .offset:         936
        .size:           2
        .value_kind:     hidden_grid_dims
    .group_segment_fixed_size: 33792
    .kernarg_segment_align: 8
    .kernarg_segment_size: 1128
    .language:       OpenCL C
    .language_version:
      - 2
      - 0
    .max_flat_workgroup_size: 512
    .name:           _ZN2at6native18radixSortKVInPlaceILin1ELin1ELi512ELi8EhlmEEvNS_4cuda6detail10TensorInfoIT3_T5_EES6_S6_S6_NS4_IT4_S6_EES6_b
    .private_segment_fixed_size: 0
    .sgpr_count:     38
    .sgpr_spill_count: 0
    .symbol:         _ZN2at6native18radixSortKVInPlaceILin1ELin1ELi512ELi8EhlmEEvNS_4cuda6detail10TensorInfoIT3_T5_EES6_S6_S6_NS4_IT4_S6_EES6_b.kd
    .uniform_work_group_size: 1
    .uses_dynamic_stack: false
    .vgpr_count:     103
    .vgpr_spill_count: 0
    .wavefront_size: 32
    .workgroup_processor_mode: 1
  - .args:
      - .offset:         0
        .size:           416
        .value_kind:     by_value
      - .offset:         416
        .size:           8
        .value_kind:     by_value
      - .offset:         424
        .size:           8
        .value_kind:     by_value
      - .offset:         432
        .size:           8
        .value_kind:     by_value
      - .offset:         440
        .size:           416
        .value_kind:     by_value
      - .offset:         856
        .size:           8
        .value_kind:     by_value
      - .offset:         864
        .size:           1
        .value_kind:     by_value
      - .offset:         872
        .size:           4
        .value_kind:     hidden_block_count_x
      - .offset:         876
        .size:           4
        .value_kind:     hidden_block_count_y
      - .offset:         880
        .size:           4
        .value_kind:     hidden_block_count_z
      - .offset:         884
        .size:           2
        .value_kind:     hidden_group_size_x
      - .offset:         886
        .size:           2
        .value_kind:     hidden_group_size_y
      - .offset:         888
        .size:           2
        .value_kind:     hidden_group_size_z
      - .offset:         890
        .size:           2
        .value_kind:     hidden_remainder_x
      - .offset:         892
        .size:           2
        .value_kind:     hidden_remainder_y
      - .offset:         894
        .size:           2
        .value_kind:     hidden_remainder_z
      - .offset:         912
        .size:           8
        .value_kind:     hidden_global_offset_x
      - .offset:         920
        .size:           8
        .value_kind:     hidden_global_offset_y
      - .offset:         928
        .size:           8
        .value_kind:     hidden_global_offset_z
      - .offset:         936
        .size:           2
        .value_kind:     hidden_grid_dims
    .group_segment_fixed_size: 16896
    .kernarg_segment_align: 8
    .kernarg_segment_size: 1128
    .language:       OpenCL C
    .language_version:
      - 2
      - 0
    .max_flat_workgroup_size: 256
    .name:           _ZN2at6native18radixSortKVInPlaceILin1ELin1ELi256ELi8EhlmEEvNS_4cuda6detail10TensorInfoIT3_T5_EES6_S6_S6_NS4_IT4_S6_EES6_b
    .private_segment_fixed_size: 0
    .sgpr_count:     38
    .sgpr_spill_count: 0
    .symbol:         _ZN2at6native18radixSortKVInPlaceILin1ELin1ELi256ELi8EhlmEEvNS_4cuda6detail10TensorInfoIT3_T5_EES6_S6_S6_NS4_IT4_S6_EES6_b.kd
    .uniform_work_group_size: 1
    .uses_dynamic_stack: false
    .vgpr_count:     103
    .vgpr_spill_count: 0
    .wavefront_size: 32
    .workgroup_processor_mode: 1
  - .args:
      - .offset:         0
        .size:           416
        .value_kind:     by_value
      - .offset:         416
        .size:           8
        .value_kind:     by_value
      - .offset:         424
        .size:           8
        .value_kind:     by_value
      - .offset:         432
        .size:           8
        .value_kind:     by_value
      - .offset:         440
        .size:           416
        .value_kind:     by_value
      - .offset:         856
        .size:           8
        .value_kind:     by_value
      - .offset:         864
        .size:           1
        .value_kind:     by_value
      - .offset:         872
        .size:           4
        .value_kind:     hidden_block_count_x
      - .offset:         876
        .size:           4
        .value_kind:     hidden_block_count_y
      - .offset:         880
        .size:           4
        .value_kind:     hidden_block_count_z
      - .offset:         884
        .size:           2
        .value_kind:     hidden_group_size_x
      - .offset:         886
        .size:           2
        .value_kind:     hidden_group_size_y
      - .offset:         888
        .size:           2
        .value_kind:     hidden_group_size_z
      - .offset:         890
        .size:           2
        .value_kind:     hidden_remainder_x
      - .offset:         892
        .size:           2
        .value_kind:     hidden_remainder_y
      - .offset:         894
        .size:           2
        .value_kind:     hidden_remainder_z
      - .offset:         912
        .size:           8
        .value_kind:     hidden_global_offset_x
      - .offset:         920
        .size:           8
        .value_kind:     hidden_global_offset_y
      - .offset:         928
        .size:           8
        .value_kind:     hidden_global_offset_z
      - .offset:         936
        .size:           2
        .value_kind:     hidden_grid_dims
    .group_segment_fixed_size: 8448
    .kernarg_segment_align: 8
    .kernarg_segment_size: 1128
    .language:       OpenCL C
    .language_version:
      - 2
      - 0
    .max_flat_workgroup_size: 128
    .name:           _ZN2at6native18radixSortKVInPlaceILin1ELin1ELi128ELi8EhlmEEvNS_4cuda6detail10TensorInfoIT3_T5_EES6_S6_S6_NS4_IT4_S6_EES6_b
    .private_segment_fixed_size: 0
    .sgpr_count:     38
    .sgpr_spill_count: 0
    .symbol:         _ZN2at6native18radixSortKVInPlaceILin1ELin1ELi128ELi8EhlmEEvNS_4cuda6detail10TensorInfoIT3_T5_EES6_S6_S6_NS4_IT4_S6_EES6_b.kd
    .uniform_work_group_size: 1
    .uses_dynamic_stack: false
    .vgpr_count:     103
    .vgpr_spill_count: 0
    .wavefront_size: 32
    .workgroup_processor_mode: 1
  - .args:
      - .offset:         0
        .size:           416
        .value_kind:     by_value
      - .offset:         416
        .size:           8
        .value_kind:     by_value
      - .offset:         424
        .size:           8
        .value_kind:     by_value
      - .offset:         432
        .size:           8
        .value_kind:     by_value
      - .offset:         440
        .size:           416
        .value_kind:     by_value
      - .offset:         856
        .size:           8
        .value_kind:     by_value
      - .offset:         864
        .size:           1
        .value_kind:     by_value
      - .offset:         872
        .size:           4
        .value_kind:     hidden_block_count_x
      - .offset:         876
        .size:           4
        .value_kind:     hidden_block_count_y
      - .offset:         880
        .size:           4
        .value_kind:     hidden_block_count_z
      - .offset:         884
        .size:           2
        .value_kind:     hidden_group_size_x
      - .offset:         886
        .size:           2
        .value_kind:     hidden_group_size_y
      - .offset:         888
        .size:           2
        .value_kind:     hidden_group_size_z
      - .offset:         890
        .size:           2
        .value_kind:     hidden_remainder_x
      - .offset:         892
        .size:           2
        .value_kind:     hidden_remainder_y
      - .offset:         894
        .size:           2
        .value_kind:     hidden_remainder_z
      - .offset:         912
        .size:           8
        .value_kind:     hidden_global_offset_x
      - .offset:         920
        .size:           8
        .value_kind:     hidden_global_offset_y
      - .offset:         928
        .size:           8
        .value_kind:     hidden_global_offset_z
      - .offset:         936
        .size:           2
        .value_kind:     hidden_grid_dims
    .group_segment_fixed_size: 1056
    .kernarg_segment_align: 8
    .kernarg_segment_size: 1128
    .language:       OpenCL C
    .language_version:
      - 2
      - 0
    .max_flat_workgroup_size: 32
    .name:           _ZN2at6native18radixSortKVInPlaceILin1ELin1ELi32ELi4EhlmEEvNS_4cuda6detail10TensorInfoIT3_T5_EES6_S6_S6_NS4_IT4_S6_EES6_b
    .private_segment_fixed_size: 0
    .sgpr_count:     38
    .sgpr_spill_count: 0
    .symbol:         _ZN2at6native18radixSortKVInPlaceILin1ELin1ELi32ELi4EhlmEEvNS_4cuda6detail10TensorInfoIT3_T5_EES6_S6_S6_NS4_IT4_S6_EES6_b.kd
    .uniform_work_group_size: 1
    .uses_dynamic_stack: false
    .vgpr_count:     86
    .vgpr_spill_count: 0
    .wavefront_size: 32
    .workgroup_processor_mode: 1
  - .args:
      - .offset:         0
        .size:           416
        .value_kind:     by_value
      - .offset:         416
        .size:           8
        .value_kind:     by_value
      - .offset:         424
        .size:           8
        .value_kind:     by_value
      - .offset:         432
        .size:           8
        .value_kind:     by_value
      - .offset:         440
        .size:           416
        .value_kind:     by_value
      - .offset:         856
        .size:           8
        .value_kind:     by_value
      - .offset:         864
        .size:           1
        .value_kind:     by_value
      - .offset:         872
        .size:           4
        .value_kind:     hidden_block_count_x
      - .offset:         876
        .size:           4
        .value_kind:     hidden_block_count_y
      - .offset:         880
        .size:           4
        .value_kind:     hidden_block_count_z
      - .offset:         884
        .size:           2
        .value_kind:     hidden_group_size_x
      - .offset:         886
        .size:           2
        .value_kind:     hidden_group_size_y
      - .offset:         888
        .size:           2
        .value_kind:     hidden_group_size_z
      - .offset:         890
        .size:           2
        .value_kind:     hidden_remainder_x
      - .offset:         892
        .size:           2
        .value_kind:     hidden_remainder_y
      - .offset:         894
        .size:           2
        .value_kind:     hidden_remainder_z
      - .offset:         912
        .size:           8
        .value_kind:     hidden_global_offset_x
      - .offset:         920
        .size:           8
        .value_kind:     hidden_global_offset_y
      - .offset:         928
        .size:           8
        .value_kind:     hidden_global_offset_z
      - .offset:         936
        .size:           2
        .value_kind:     hidden_grid_dims
    .group_segment_fixed_size: 528
    .kernarg_segment_align: 8
    .kernarg_segment_size: 1128
    .language:       OpenCL C
    .language_version:
      - 2
      - 0
    .max_flat_workgroup_size: 16
    .name:           _ZN2at6native18radixSortKVInPlaceILin1ELin1ELi16ELi2EhlmEEvNS_4cuda6detail10TensorInfoIT3_T5_EES6_S6_S6_NS4_IT4_S6_EES6_b
    .private_segment_fixed_size: 0
    .sgpr_count:     36
    .sgpr_spill_count: 0
    .symbol:         _ZN2at6native18radixSortKVInPlaceILin1ELin1ELi16ELi2EhlmEEvNS_4cuda6detail10TensorInfoIT3_T5_EES6_S6_S6_NS4_IT4_S6_EES6_b.kd
    .uniform_work_group_size: 1
    .uses_dynamic_stack: false
    .vgpr_count:     35
    .vgpr_spill_count: 0
    .wavefront_size: 32
    .workgroup_processor_mode: 1
  - .args:
      - .offset:         0
        .size:           216
        .value_kind:     by_value
      - .offset:         216
        .size:           4
        .value_kind:     by_value
      - .offset:         220
        .size:           4
        .value_kind:     by_value
      - .offset:         224
        .size:           4
        .value_kind:     by_value
      - .offset:         232
        .size:           216
        .value_kind:     by_value
      - .offset:         448
        .size:           4
        .value_kind:     by_value
      - .offset:         452
        .size:           1
        .value_kind:     by_value
      - .offset:         456
        .size:           4
        .value_kind:     hidden_block_count_x
      - .offset:         460
        .size:           4
        .value_kind:     hidden_block_count_y
      - .offset:         464
        .size:           4
        .value_kind:     hidden_block_count_z
      - .offset:         468
        .size:           2
        .value_kind:     hidden_group_size_x
      - .offset:         470
        .size:           2
        .value_kind:     hidden_group_size_y
      - .offset:         472
        .size:           2
        .value_kind:     hidden_group_size_z
      - .offset:         474
        .size:           2
        .value_kind:     hidden_remainder_x
      - .offset:         476
        .size:           2
        .value_kind:     hidden_remainder_y
      - .offset:         478
        .size:           2
        .value_kind:     hidden_remainder_z
      - .offset:         496
        .size:           8
        .value_kind:     hidden_global_offset_x
      - .offset:         504
        .size:           8
        .value_kind:     hidden_global_offset_y
      - .offset:         512
        .size:           8
        .value_kind:     hidden_global_offset_z
      - .offset:         520
        .size:           2
        .value_kind:     hidden_grid_dims
    .group_segment_fixed_size: 33792
    .kernarg_segment_align: 8
    .kernarg_segment_size: 712
    .language:       OpenCL C
    .language_version:
      - 2
      - 0
    .max_flat_workgroup_size: 512
    .name:           _ZN2at6native18radixSortKVInPlaceILin2ELin1ELi512ELi8EaljEEvNS_4cuda6detail10TensorInfoIT3_T5_EES6_S6_S6_NS4_IT4_S6_EES6_b
    .private_segment_fixed_size: 0
    .sgpr_count:     26
    .sgpr_spill_count: 0
    .symbol:         _ZN2at6native18radixSortKVInPlaceILin2ELin1ELi512ELi8EaljEEvNS_4cuda6detail10TensorInfoIT3_T5_EES6_S6_S6_NS4_IT4_S6_EES6_b.kd
    .uniform_work_group_size: 1
    .uses_dynamic_stack: false
    .vgpr_count:     114
    .vgpr_spill_count: 0
    .wavefront_size: 32
    .workgroup_processor_mode: 1
  - .args:
      - .offset:         0
        .size:           216
        .value_kind:     by_value
      - .offset:         216
        .size:           4
        .value_kind:     by_value
      - .offset:         220
        .size:           4
        .value_kind:     by_value
      - .offset:         224
        .size:           4
        .value_kind:     by_value
      - .offset:         232
        .size:           216
        .value_kind:     by_value
      - .offset:         448
        .size:           4
        .value_kind:     by_value
      - .offset:         452
        .size:           1
        .value_kind:     by_value
      - .offset:         456
        .size:           4
        .value_kind:     hidden_block_count_x
      - .offset:         460
        .size:           4
        .value_kind:     hidden_block_count_y
      - .offset:         464
        .size:           4
        .value_kind:     hidden_block_count_z
      - .offset:         468
        .size:           2
        .value_kind:     hidden_group_size_x
      - .offset:         470
        .size:           2
        .value_kind:     hidden_group_size_y
      - .offset:         472
        .size:           2
        .value_kind:     hidden_group_size_z
      - .offset:         474
        .size:           2
        .value_kind:     hidden_remainder_x
      - .offset:         476
        .size:           2
        .value_kind:     hidden_remainder_y
      - .offset:         478
        .size:           2
        .value_kind:     hidden_remainder_z
      - .offset:         496
        .size:           8
        .value_kind:     hidden_global_offset_x
      - .offset:         504
        .size:           8
        .value_kind:     hidden_global_offset_y
      - .offset:         512
        .size:           8
        .value_kind:     hidden_global_offset_z
      - .offset:         520
        .size:           2
        .value_kind:     hidden_grid_dims
    .group_segment_fixed_size: 16896
    .kernarg_segment_align: 8
    .kernarg_segment_size: 712
    .language:       OpenCL C
    .language_version:
      - 2
      - 0
    .max_flat_workgroup_size: 256
    .name:           _ZN2at6native18radixSortKVInPlaceILin2ELin1ELi256ELi8EaljEEvNS_4cuda6detail10TensorInfoIT3_T5_EES6_S6_S6_NS4_IT4_S6_EES6_b
    .private_segment_fixed_size: 0
    .sgpr_count:     26
    .sgpr_spill_count: 0
    .symbol:         _ZN2at6native18radixSortKVInPlaceILin2ELin1ELi256ELi8EaljEEvNS_4cuda6detail10TensorInfoIT3_T5_EES6_S6_S6_NS4_IT4_S6_EES6_b.kd
    .uniform_work_group_size: 1
    .uses_dynamic_stack: false
    .vgpr_count:     114
    .vgpr_spill_count: 0
    .wavefront_size: 32
    .workgroup_processor_mode: 1
  - .args:
      - .offset:         0
        .size:           216
        .value_kind:     by_value
      - .offset:         216
        .size:           4
        .value_kind:     by_value
      - .offset:         220
        .size:           4
        .value_kind:     by_value
      - .offset:         224
        .size:           4
        .value_kind:     by_value
      - .offset:         232
        .size:           216
        .value_kind:     by_value
      - .offset:         448
        .size:           4
        .value_kind:     by_value
      - .offset:         452
        .size:           1
        .value_kind:     by_value
      - .offset:         456
        .size:           4
        .value_kind:     hidden_block_count_x
      - .offset:         460
        .size:           4
        .value_kind:     hidden_block_count_y
      - .offset:         464
        .size:           4
        .value_kind:     hidden_block_count_z
      - .offset:         468
        .size:           2
        .value_kind:     hidden_group_size_x
      - .offset:         470
        .size:           2
        .value_kind:     hidden_group_size_y
      - .offset:         472
        .size:           2
        .value_kind:     hidden_group_size_z
      - .offset:         474
        .size:           2
        .value_kind:     hidden_remainder_x
      - .offset:         476
        .size:           2
        .value_kind:     hidden_remainder_y
      - .offset:         478
        .size:           2
        .value_kind:     hidden_remainder_z
      - .offset:         496
        .size:           8
        .value_kind:     hidden_global_offset_x
      - .offset:         504
        .size:           8
        .value_kind:     hidden_global_offset_y
      - .offset:         512
        .size:           8
        .value_kind:     hidden_global_offset_z
      - .offset:         520
        .size:           2
        .value_kind:     hidden_grid_dims
    .group_segment_fixed_size: 8448
    .kernarg_segment_align: 8
    .kernarg_segment_size: 712
    .language:       OpenCL C
    .language_version:
      - 2
      - 0
    .max_flat_workgroup_size: 128
    .name:           _ZN2at6native18radixSortKVInPlaceILin2ELin1ELi128ELi8EaljEEvNS_4cuda6detail10TensorInfoIT3_T5_EES6_S6_S6_NS4_IT4_S6_EES6_b
    .private_segment_fixed_size: 0
    .sgpr_count:     26
    .sgpr_spill_count: 0
    .symbol:         _ZN2at6native18radixSortKVInPlaceILin2ELin1ELi128ELi8EaljEEvNS_4cuda6detail10TensorInfoIT3_T5_EES6_S6_S6_NS4_IT4_S6_EES6_b.kd
    .uniform_work_group_size: 1
    .uses_dynamic_stack: false
    .vgpr_count:     114
    .vgpr_spill_count: 0
    .wavefront_size: 32
    .workgroup_processor_mode: 1
  - .args:
      - .offset:         0
        .size:           216
        .value_kind:     by_value
      - .offset:         216
        .size:           4
        .value_kind:     by_value
      - .offset:         220
        .size:           4
        .value_kind:     by_value
      - .offset:         224
        .size:           4
        .value_kind:     by_value
      - .offset:         232
        .size:           216
        .value_kind:     by_value
      - .offset:         448
        .size:           4
        .value_kind:     by_value
      - .offset:         452
        .size:           1
        .value_kind:     by_value
      - .offset:         456
        .size:           4
        .value_kind:     hidden_block_count_x
      - .offset:         460
        .size:           4
        .value_kind:     hidden_block_count_y
      - .offset:         464
        .size:           4
        .value_kind:     hidden_block_count_z
      - .offset:         468
        .size:           2
        .value_kind:     hidden_group_size_x
      - .offset:         470
        .size:           2
        .value_kind:     hidden_group_size_y
      - .offset:         472
        .size:           2
        .value_kind:     hidden_group_size_z
      - .offset:         474
        .size:           2
        .value_kind:     hidden_remainder_x
      - .offset:         476
        .size:           2
        .value_kind:     hidden_remainder_y
      - .offset:         478
        .size:           2
        .value_kind:     hidden_remainder_z
      - .offset:         496
        .size:           8
        .value_kind:     hidden_global_offset_x
      - .offset:         504
        .size:           8
        .value_kind:     hidden_global_offset_y
      - .offset:         512
        .size:           8
        .value_kind:     hidden_global_offset_z
      - .offset:         520
        .size:           2
        .value_kind:     hidden_grid_dims
    .group_segment_fixed_size: 1056
    .kernarg_segment_align: 8
    .kernarg_segment_size: 712
    .language:       OpenCL C
    .language_version:
      - 2
      - 0
    .max_flat_workgroup_size: 32
    .name:           _ZN2at6native18radixSortKVInPlaceILin2ELin1ELi32ELi4EaljEEvNS_4cuda6detail10TensorInfoIT3_T5_EES6_S6_S6_NS4_IT4_S6_EES6_b
    .private_segment_fixed_size: 0
    .sgpr_count:     22
    .sgpr_spill_count: 0
    .symbol:         _ZN2at6native18radixSortKVInPlaceILin2ELin1ELi32ELi4EaljEEvNS_4cuda6detail10TensorInfoIT3_T5_EES6_S6_S6_NS4_IT4_S6_EES6_b.kd
    .uniform_work_group_size: 1
    .uses_dynamic_stack: false
    .vgpr_count:     90
    .vgpr_spill_count: 0
    .wavefront_size: 32
    .workgroup_processor_mode: 1
  - .args:
      - .offset:         0
        .size:           216
        .value_kind:     by_value
      - .offset:         216
        .size:           4
        .value_kind:     by_value
      - .offset:         220
        .size:           4
        .value_kind:     by_value
      - .offset:         224
        .size:           4
        .value_kind:     by_value
      - .offset:         232
        .size:           216
        .value_kind:     by_value
      - .offset:         448
        .size:           4
        .value_kind:     by_value
      - .offset:         452
        .size:           1
        .value_kind:     by_value
      - .offset:         456
        .size:           4
        .value_kind:     hidden_block_count_x
      - .offset:         460
        .size:           4
        .value_kind:     hidden_block_count_y
      - .offset:         464
        .size:           4
        .value_kind:     hidden_block_count_z
      - .offset:         468
        .size:           2
        .value_kind:     hidden_group_size_x
      - .offset:         470
        .size:           2
        .value_kind:     hidden_group_size_y
      - .offset:         472
        .size:           2
        .value_kind:     hidden_group_size_z
      - .offset:         474
        .size:           2
        .value_kind:     hidden_remainder_x
      - .offset:         476
        .size:           2
        .value_kind:     hidden_remainder_y
      - .offset:         478
        .size:           2
        .value_kind:     hidden_remainder_z
      - .offset:         496
        .size:           8
        .value_kind:     hidden_global_offset_x
      - .offset:         504
        .size:           8
        .value_kind:     hidden_global_offset_y
      - .offset:         512
        .size:           8
        .value_kind:     hidden_global_offset_z
      - .offset:         520
        .size:           2
        .value_kind:     hidden_grid_dims
    .group_segment_fixed_size: 528
    .kernarg_segment_align: 8
    .kernarg_segment_size: 712
    .language:       OpenCL C
    .language_version:
      - 2
      - 0
    .max_flat_workgroup_size: 16
    .name:           _ZN2at6native18radixSortKVInPlaceILin2ELin1ELi16ELi2EaljEEvNS_4cuda6detail10TensorInfoIT3_T5_EES6_S6_S6_NS4_IT4_S6_EES6_b
    .private_segment_fixed_size: 0
    .sgpr_count:     21
    .sgpr_spill_count: 0
    .symbol:         _ZN2at6native18radixSortKVInPlaceILin2ELin1ELi16ELi2EaljEEvNS_4cuda6detail10TensorInfoIT3_T5_EES6_S6_S6_NS4_IT4_S6_EES6_b.kd
    .uniform_work_group_size: 1
    .uses_dynamic_stack: false
    .vgpr_count:     37
    .vgpr_spill_count: 0
    .wavefront_size: 32
    .workgroup_processor_mode: 1
  - .args:
      - .offset:         0
        .size:           216
        .value_kind:     by_value
      - .offset:         216
        .size:           4
        .value_kind:     by_value
      - .offset:         220
        .size:           4
        .value_kind:     by_value
      - .offset:         224
        .size:           4
        .value_kind:     by_value
      - .offset:         232
        .size:           216
        .value_kind:     by_value
      - .offset:         448
        .size:           4
        .value_kind:     by_value
      - .offset:         452
        .size:           1
        .value_kind:     by_value
      - .offset:         456
        .size:           4
        .value_kind:     hidden_block_count_x
      - .offset:         460
        .size:           4
        .value_kind:     hidden_block_count_y
      - .offset:         464
        .size:           4
        .value_kind:     hidden_block_count_z
      - .offset:         468
        .size:           2
        .value_kind:     hidden_group_size_x
      - .offset:         470
        .size:           2
        .value_kind:     hidden_group_size_y
      - .offset:         472
        .size:           2
        .value_kind:     hidden_group_size_z
      - .offset:         474
        .size:           2
        .value_kind:     hidden_remainder_x
      - .offset:         476
        .size:           2
        .value_kind:     hidden_remainder_y
      - .offset:         478
        .size:           2
        .value_kind:     hidden_remainder_z
      - .offset:         496
        .size:           8
        .value_kind:     hidden_global_offset_x
      - .offset:         504
        .size:           8
        .value_kind:     hidden_global_offset_y
      - .offset:         512
        .size:           8
        .value_kind:     hidden_global_offset_z
      - .offset:         520
        .size:           2
        .value_kind:     hidden_grid_dims
    .group_segment_fixed_size: 33792
    .kernarg_segment_align: 8
    .kernarg_segment_size: 712
    .language:       OpenCL C
    .language_version:
      - 2
      - 0
    .max_flat_workgroup_size: 512
    .name:           _ZN2at6native18radixSortKVInPlaceILi2ELin1ELi512ELi8EaljEEvNS_4cuda6detail10TensorInfoIT3_T5_EES6_S6_S6_NS4_IT4_S6_EES6_b
    .private_segment_fixed_size: 0
    .sgpr_count:     26
    .sgpr_spill_count: 0
    .symbol:         _ZN2at6native18radixSortKVInPlaceILi2ELin1ELi512ELi8EaljEEvNS_4cuda6detail10TensorInfoIT3_T5_EES6_S6_S6_NS4_IT4_S6_EES6_b.kd
    .uniform_work_group_size: 1
    .uses_dynamic_stack: false
    .vgpr_count:     114
    .vgpr_spill_count: 0
    .wavefront_size: 32
    .workgroup_processor_mode: 1
  - .args:
      - .offset:         0
        .size:           216
        .value_kind:     by_value
      - .offset:         216
        .size:           4
        .value_kind:     by_value
      - .offset:         220
        .size:           4
        .value_kind:     by_value
      - .offset:         224
        .size:           4
        .value_kind:     by_value
      - .offset:         232
        .size:           216
        .value_kind:     by_value
      - .offset:         448
        .size:           4
        .value_kind:     by_value
      - .offset:         452
        .size:           1
        .value_kind:     by_value
      - .offset:         456
        .size:           4
        .value_kind:     hidden_block_count_x
      - .offset:         460
        .size:           4
        .value_kind:     hidden_block_count_y
      - .offset:         464
        .size:           4
        .value_kind:     hidden_block_count_z
      - .offset:         468
        .size:           2
        .value_kind:     hidden_group_size_x
      - .offset:         470
        .size:           2
        .value_kind:     hidden_group_size_y
      - .offset:         472
        .size:           2
        .value_kind:     hidden_group_size_z
      - .offset:         474
        .size:           2
        .value_kind:     hidden_remainder_x
      - .offset:         476
        .size:           2
        .value_kind:     hidden_remainder_y
      - .offset:         478
        .size:           2
        .value_kind:     hidden_remainder_z
      - .offset:         496
        .size:           8
        .value_kind:     hidden_global_offset_x
      - .offset:         504
        .size:           8
        .value_kind:     hidden_global_offset_y
      - .offset:         512
        .size:           8
        .value_kind:     hidden_global_offset_z
      - .offset:         520
        .size:           2
        .value_kind:     hidden_grid_dims
    .group_segment_fixed_size: 16896
    .kernarg_segment_align: 8
    .kernarg_segment_size: 712
    .language:       OpenCL C
    .language_version:
      - 2
      - 0
    .max_flat_workgroup_size: 256
    .name:           _ZN2at6native18radixSortKVInPlaceILi2ELin1ELi256ELi8EaljEEvNS_4cuda6detail10TensorInfoIT3_T5_EES6_S6_S6_NS4_IT4_S6_EES6_b
    .private_segment_fixed_size: 0
    .sgpr_count:     26
    .sgpr_spill_count: 0
    .symbol:         _ZN2at6native18radixSortKVInPlaceILi2ELin1ELi256ELi8EaljEEvNS_4cuda6detail10TensorInfoIT3_T5_EES6_S6_S6_NS4_IT4_S6_EES6_b.kd
    .uniform_work_group_size: 1
    .uses_dynamic_stack: false
    .vgpr_count:     114
    .vgpr_spill_count: 0
    .wavefront_size: 32
    .workgroup_processor_mode: 1
  - .args:
      - .offset:         0
        .size:           216
        .value_kind:     by_value
      - .offset:         216
        .size:           4
        .value_kind:     by_value
      - .offset:         220
        .size:           4
        .value_kind:     by_value
      - .offset:         224
        .size:           4
        .value_kind:     by_value
      - .offset:         232
        .size:           216
        .value_kind:     by_value
      - .offset:         448
        .size:           4
        .value_kind:     by_value
      - .offset:         452
        .size:           1
        .value_kind:     by_value
      - .offset:         456
        .size:           4
        .value_kind:     hidden_block_count_x
      - .offset:         460
        .size:           4
        .value_kind:     hidden_block_count_y
      - .offset:         464
        .size:           4
        .value_kind:     hidden_block_count_z
      - .offset:         468
        .size:           2
        .value_kind:     hidden_group_size_x
      - .offset:         470
        .size:           2
        .value_kind:     hidden_group_size_y
      - .offset:         472
        .size:           2
        .value_kind:     hidden_group_size_z
      - .offset:         474
        .size:           2
        .value_kind:     hidden_remainder_x
      - .offset:         476
        .size:           2
        .value_kind:     hidden_remainder_y
      - .offset:         478
        .size:           2
        .value_kind:     hidden_remainder_z
      - .offset:         496
        .size:           8
        .value_kind:     hidden_global_offset_x
      - .offset:         504
        .size:           8
        .value_kind:     hidden_global_offset_y
      - .offset:         512
        .size:           8
        .value_kind:     hidden_global_offset_z
      - .offset:         520
        .size:           2
        .value_kind:     hidden_grid_dims
    .group_segment_fixed_size: 8448
    .kernarg_segment_align: 8
    .kernarg_segment_size: 712
    .language:       OpenCL C
    .language_version:
      - 2
      - 0
    .max_flat_workgroup_size: 128
    .name:           _ZN2at6native18radixSortKVInPlaceILi2ELin1ELi128ELi8EaljEEvNS_4cuda6detail10TensorInfoIT3_T5_EES6_S6_S6_NS4_IT4_S6_EES6_b
    .private_segment_fixed_size: 0
    .sgpr_count:     26
    .sgpr_spill_count: 0
    .symbol:         _ZN2at6native18radixSortKVInPlaceILi2ELin1ELi128ELi8EaljEEvNS_4cuda6detail10TensorInfoIT3_T5_EES6_S6_S6_NS4_IT4_S6_EES6_b.kd
    .uniform_work_group_size: 1
    .uses_dynamic_stack: false
    .vgpr_count:     114
    .vgpr_spill_count: 0
    .wavefront_size: 32
    .workgroup_processor_mode: 1
  - .args:
      - .offset:         0
        .size:           216
        .value_kind:     by_value
      - .offset:         216
        .size:           4
        .value_kind:     by_value
      - .offset:         220
        .size:           4
        .value_kind:     by_value
      - .offset:         224
        .size:           4
        .value_kind:     by_value
      - .offset:         232
        .size:           216
        .value_kind:     by_value
      - .offset:         448
        .size:           4
        .value_kind:     by_value
      - .offset:         452
        .size:           1
        .value_kind:     by_value
      - .offset:         456
        .size:           4
        .value_kind:     hidden_block_count_x
      - .offset:         460
        .size:           4
        .value_kind:     hidden_block_count_y
      - .offset:         464
        .size:           4
        .value_kind:     hidden_block_count_z
      - .offset:         468
        .size:           2
        .value_kind:     hidden_group_size_x
      - .offset:         470
        .size:           2
        .value_kind:     hidden_group_size_y
      - .offset:         472
        .size:           2
        .value_kind:     hidden_group_size_z
      - .offset:         474
        .size:           2
        .value_kind:     hidden_remainder_x
      - .offset:         476
        .size:           2
        .value_kind:     hidden_remainder_y
      - .offset:         478
        .size:           2
        .value_kind:     hidden_remainder_z
      - .offset:         496
        .size:           8
        .value_kind:     hidden_global_offset_x
      - .offset:         504
        .size:           8
        .value_kind:     hidden_global_offset_y
      - .offset:         512
        .size:           8
        .value_kind:     hidden_global_offset_z
      - .offset:         520
        .size:           2
        .value_kind:     hidden_grid_dims
    .group_segment_fixed_size: 1056
    .kernarg_segment_align: 8
    .kernarg_segment_size: 712
    .language:       OpenCL C
    .language_version:
      - 2
      - 0
    .max_flat_workgroup_size: 32
    .name:           _ZN2at6native18radixSortKVInPlaceILi2ELin1ELi32ELi4EaljEEvNS_4cuda6detail10TensorInfoIT3_T5_EES6_S6_S6_NS4_IT4_S6_EES6_b
    .private_segment_fixed_size: 0
    .sgpr_count:     26
    .sgpr_spill_count: 0
    .symbol:         _ZN2at6native18radixSortKVInPlaceILi2ELin1ELi32ELi4EaljEEvNS_4cuda6detail10TensorInfoIT3_T5_EES6_S6_S6_NS4_IT4_S6_EES6_b.kd
    .uniform_work_group_size: 1
    .uses_dynamic_stack: false
    .vgpr_count:     90
    .vgpr_spill_count: 0
    .wavefront_size: 32
    .workgroup_processor_mode: 1
  - .args:
      - .offset:         0
        .size:           216
        .value_kind:     by_value
      - .offset:         216
        .size:           4
        .value_kind:     by_value
      - .offset:         220
        .size:           4
        .value_kind:     by_value
      - .offset:         224
        .size:           4
        .value_kind:     by_value
      - .offset:         232
        .size:           216
        .value_kind:     by_value
      - .offset:         448
        .size:           4
        .value_kind:     by_value
      - .offset:         452
        .size:           1
        .value_kind:     by_value
      - .offset:         456
        .size:           4
        .value_kind:     hidden_block_count_x
      - .offset:         460
        .size:           4
        .value_kind:     hidden_block_count_y
      - .offset:         464
        .size:           4
        .value_kind:     hidden_block_count_z
      - .offset:         468
        .size:           2
        .value_kind:     hidden_group_size_x
      - .offset:         470
        .size:           2
        .value_kind:     hidden_group_size_y
      - .offset:         472
        .size:           2
        .value_kind:     hidden_group_size_z
      - .offset:         474
        .size:           2
        .value_kind:     hidden_remainder_x
      - .offset:         476
        .size:           2
        .value_kind:     hidden_remainder_y
      - .offset:         478
        .size:           2
        .value_kind:     hidden_remainder_z
      - .offset:         496
        .size:           8
        .value_kind:     hidden_global_offset_x
      - .offset:         504
        .size:           8
        .value_kind:     hidden_global_offset_y
      - .offset:         512
        .size:           8
        .value_kind:     hidden_global_offset_z
      - .offset:         520
        .size:           2
        .value_kind:     hidden_grid_dims
    .group_segment_fixed_size: 528
    .kernarg_segment_align: 8
    .kernarg_segment_size: 712
    .language:       OpenCL C
    .language_version:
      - 2
      - 0
    .max_flat_workgroup_size: 16
    .name:           _ZN2at6native18radixSortKVInPlaceILi2ELin1ELi16ELi2EaljEEvNS_4cuda6detail10TensorInfoIT3_T5_EES6_S6_S6_NS4_IT4_S6_EES6_b
    .private_segment_fixed_size: 0
    .sgpr_count:     26
    .sgpr_spill_count: 0
    .symbol:         _ZN2at6native18radixSortKVInPlaceILi2ELin1ELi16ELi2EaljEEvNS_4cuda6detail10TensorInfoIT3_T5_EES6_S6_S6_NS4_IT4_S6_EES6_b.kd
    .uniform_work_group_size: 1
    .uses_dynamic_stack: false
    .vgpr_count:     37
    .vgpr_spill_count: 0
    .wavefront_size: 32
    .workgroup_processor_mode: 1
  - .args:
      - .offset:         0
        .size:           216
        .value_kind:     by_value
      - .offset:         216
        .size:           4
        .value_kind:     by_value
      - .offset:         220
        .size:           4
        .value_kind:     by_value
      - .offset:         224
        .size:           4
        .value_kind:     by_value
      - .offset:         232
        .size:           216
        .value_kind:     by_value
      - .offset:         448
        .size:           4
        .value_kind:     by_value
      - .offset:         452
        .size:           1
        .value_kind:     by_value
      - .offset:         456
        .size:           4
        .value_kind:     hidden_block_count_x
      - .offset:         460
        .size:           4
        .value_kind:     hidden_block_count_y
      - .offset:         464
        .size:           4
        .value_kind:     hidden_block_count_z
      - .offset:         468
        .size:           2
        .value_kind:     hidden_group_size_x
      - .offset:         470
        .size:           2
        .value_kind:     hidden_group_size_y
      - .offset:         472
        .size:           2
        .value_kind:     hidden_group_size_z
      - .offset:         474
        .size:           2
        .value_kind:     hidden_remainder_x
      - .offset:         476
        .size:           2
        .value_kind:     hidden_remainder_y
      - .offset:         478
        .size:           2
        .value_kind:     hidden_remainder_z
      - .offset:         496
        .size:           8
        .value_kind:     hidden_global_offset_x
      - .offset:         504
        .size:           8
        .value_kind:     hidden_global_offset_y
      - .offset:         512
        .size:           8
        .value_kind:     hidden_global_offset_z
      - .offset:         520
        .size:           2
        .value_kind:     hidden_grid_dims
    .group_segment_fixed_size: 33792
    .kernarg_segment_align: 8
    .kernarg_segment_size: 712
    .language:       OpenCL C
    .language_version:
      - 2
      - 0
    .max_flat_workgroup_size: 512
    .name:           _ZN2at6native18radixSortKVInPlaceILin1ELin1ELi512ELi8EaljEEvNS_4cuda6detail10TensorInfoIT3_T5_EES6_S6_S6_NS4_IT4_S6_EES6_b
    .private_segment_fixed_size: 0
    .sgpr_count:     28
    .sgpr_spill_count: 0
    .symbol:         _ZN2at6native18radixSortKVInPlaceILin1ELin1ELi512ELi8EaljEEvNS_4cuda6detail10TensorInfoIT3_T5_EES6_S6_S6_NS4_IT4_S6_EES6_b.kd
    .uniform_work_group_size: 1
    .uses_dynamic_stack: false
    .vgpr_count:     114
    .vgpr_spill_count: 0
    .wavefront_size: 32
    .workgroup_processor_mode: 1
  - .args:
      - .offset:         0
        .size:           216
        .value_kind:     by_value
      - .offset:         216
        .size:           4
        .value_kind:     by_value
      - .offset:         220
        .size:           4
        .value_kind:     by_value
      - .offset:         224
        .size:           4
        .value_kind:     by_value
      - .offset:         232
        .size:           216
        .value_kind:     by_value
      - .offset:         448
        .size:           4
        .value_kind:     by_value
      - .offset:         452
        .size:           1
        .value_kind:     by_value
      - .offset:         456
        .size:           4
        .value_kind:     hidden_block_count_x
      - .offset:         460
        .size:           4
        .value_kind:     hidden_block_count_y
      - .offset:         464
        .size:           4
        .value_kind:     hidden_block_count_z
      - .offset:         468
        .size:           2
        .value_kind:     hidden_group_size_x
      - .offset:         470
        .size:           2
        .value_kind:     hidden_group_size_y
      - .offset:         472
        .size:           2
        .value_kind:     hidden_group_size_z
      - .offset:         474
        .size:           2
        .value_kind:     hidden_remainder_x
      - .offset:         476
        .size:           2
        .value_kind:     hidden_remainder_y
      - .offset:         478
        .size:           2
        .value_kind:     hidden_remainder_z
      - .offset:         496
        .size:           8
        .value_kind:     hidden_global_offset_x
      - .offset:         504
        .size:           8
        .value_kind:     hidden_global_offset_y
      - .offset:         512
        .size:           8
        .value_kind:     hidden_global_offset_z
      - .offset:         520
        .size:           2
        .value_kind:     hidden_grid_dims
    .group_segment_fixed_size: 16896
    .kernarg_segment_align: 8
    .kernarg_segment_size: 712
    .language:       OpenCL C
    .language_version:
      - 2
      - 0
    .max_flat_workgroup_size: 256
    .name:           _ZN2at6native18radixSortKVInPlaceILin1ELin1ELi256ELi8EaljEEvNS_4cuda6detail10TensorInfoIT3_T5_EES6_S6_S6_NS4_IT4_S6_EES6_b
    .private_segment_fixed_size: 0
    .sgpr_count:     26
    .sgpr_spill_count: 0
    .symbol:         _ZN2at6native18radixSortKVInPlaceILin1ELin1ELi256ELi8EaljEEvNS_4cuda6detail10TensorInfoIT3_T5_EES6_S6_S6_NS4_IT4_S6_EES6_b.kd
    .uniform_work_group_size: 1
    .uses_dynamic_stack: false
    .vgpr_count:     114
    .vgpr_spill_count: 0
    .wavefront_size: 32
    .workgroup_processor_mode: 1
  - .args:
      - .offset:         0
        .size:           216
        .value_kind:     by_value
      - .offset:         216
        .size:           4
        .value_kind:     by_value
      - .offset:         220
        .size:           4
        .value_kind:     by_value
      - .offset:         224
        .size:           4
        .value_kind:     by_value
      - .offset:         232
        .size:           216
        .value_kind:     by_value
      - .offset:         448
        .size:           4
        .value_kind:     by_value
      - .offset:         452
        .size:           1
        .value_kind:     by_value
      - .offset:         456
        .size:           4
        .value_kind:     hidden_block_count_x
      - .offset:         460
        .size:           4
        .value_kind:     hidden_block_count_y
      - .offset:         464
        .size:           4
        .value_kind:     hidden_block_count_z
      - .offset:         468
        .size:           2
        .value_kind:     hidden_group_size_x
      - .offset:         470
        .size:           2
        .value_kind:     hidden_group_size_y
      - .offset:         472
        .size:           2
        .value_kind:     hidden_group_size_z
      - .offset:         474
        .size:           2
        .value_kind:     hidden_remainder_x
      - .offset:         476
        .size:           2
        .value_kind:     hidden_remainder_y
      - .offset:         478
        .size:           2
        .value_kind:     hidden_remainder_z
      - .offset:         496
        .size:           8
        .value_kind:     hidden_global_offset_x
      - .offset:         504
        .size:           8
        .value_kind:     hidden_global_offset_y
      - .offset:         512
        .size:           8
        .value_kind:     hidden_global_offset_z
      - .offset:         520
        .size:           2
        .value_kind:     hidden_grid_dims
    .group_segment_fixed_size: 8448
    .kernarg_segment_align: 8
    .kernarg_segment_size: 712
    .language:       OpenCL C
    .language_version:
      - 2
      - 0
    .max_flat_workgroup_size: 128
    .name:           _ZN2at6native18radixSortKVInPlaceILin1ELin1ELi128ELi8EaljEEvNS_4cuda6detail10TensorInfoIT3_T5_EES6_S6_S6_NS4_IT4_S6_EES6_b
    .private_segment_fixed_size: 0
    .sgpr_count:     26
    .sgpr_spill_count: 0
    .symbol:         _ZN2at6native18radixSortKVInPlaceILin1ELin1ELi128ELi8EaljEEvNS_4cuda6detail10TensorInfoIT3_T5_EES6_S6_S6_NS4_IT4_S6_EES6_b.kd
    .uniform_work_group_size: 1
    .uses_dynamic_stack: false
    .vgpr_count:     114
    .vgpr_spill_count: 0
    .wavefront_size: 32
    .workgroup_processor_mode: 1
  - .args:
      - .offset:         0
        .size:           216
        .value_kind:     by_value
      - .offset:         216
        .size:           4
        .value_kind:     by_value
      - .offset:         220
        .size:           4
        .value_kind:     by_value
      - .offset:         224
        .size:           4
        .value_kind:     by_value
      - .offset:         232
        .size:           216
        .value_kind:     by_value
      - .offset:         448
        .size:           4
        .value_kind:     by_value
      - .offset:         452
        .size:           1
        .value_kind:     by_value
      - .offset:         456
        .size:           4
        .value_kind:     hidden_block_count_x
      - .offset:         460
        .size:           4
        .value_kind:     hidden_block_count_y
      - .offset:         464
        .size:           4
        .value_kind:     hidden_block_count_z
      - .offset:         468
        .size:           2
        .value_kind:     hidden_group_size_x
      - .offset:         470
        .size:           2
        .value_kind:     hidden_group_size_y
      - .offset:         472
        .size:           2
        .value_kind:     hidden_group_size_z
      - .offset:         474
        .size:           2
        .value_kind:     hidden_remainder_x
      - .offset:         476
        .size:           2
        .value_kind:     hidden_remainder_y
      - .offset:         478
        .size:           2
        .value_kind:     hidden_remainder_z
      - .offset:         496
        .size:           8
        .value_kind:     hidden_global_offset_x
      - .offset:         504
        .size:           8
        .value_kind:     hidden_global_offset_y
      - .offset:         512
        .size:           8
        .value_kind:     hidden_global_offset_z
      - .offset:         520
        .size:           2
        .value_kind:     hidden_grid_dims
    .group_segment_fixed_size: 1056
    .kernarg_segment_align: 8
    .kernarg_segment_size: 712
    .language:       OpenCL C
    .language_version:
      - 2
      - 0
    .max_flat_workgroup_size: 32
    .name:           _ZN2at6native18radixSortKVInPlaceILin1ELin1ELi32ELi4EaljEEvNS_4cuda6detail10TensorInfoIT3_T5_EES6_S6_S6_NS4_IT4_S6_EES6_b
    .private_segment_fixed_size: 0
    .sgpr_count:     22
    .sgpr_spill_count: 0
    .symbol:         _ZN2at6native18radixSortKVInPlaceILin1ELin1ELi32ELi4EaljEEvNS_4cuda6detail10TensorInfoIT3_T5_EES6_S6_S6_NS4_IT4_S6_EES6_b.kd
    .uniform_work_group_size: 1
    .uses_dynamic_stack: false
    .vgpr_count:     90
    .vgpr_spill_count: 0
    .wavefront_size: 32
    .workgroup_processor_mode: 1
  - .args:
      - .offset:         0
        .size:           216
        .value_kind:     by_value
      - .offset:         216
        .size:           4
        .value_kind:     by_value
      - .offset:         220
        .size:           4
        .value_kind:     by_value
      - .offset:         224
        .size:           4
        .value_kind:     by_value
      - .offset:         232
        .size:           216
        .value_kind:     by_value
      - .offset:         448
        .size:           4
        .value_kind:     by_value
      - .offset:         452
        .size:           1
        .value_kind:     by_value
      - .offset:         456
        .size:           4
        .value_kind:     hidden_block_count_x
      - .offset:         460
        .size:           4
        .value_kind:     hidden_block_count_y
      - .offset:         464
        .size:           4
        .value_kind:     hidden_block_count_z
      - .offset:         468
        .size:           2
        .value_kind:     hidden_group_size_x
      - .offset:         470
        .size:           2
        .value_kind:     hidden_group_size_y
      - .offset:         472
        .size:           2
        .value_kind:     hidden_group_size_z
      - .offset:         474
        .size:           2
        .value_kind:     hidden_remainder_x
      - .offset:         476
        .size:           2
        .value_kind:     hidden_remainder_y
      - .offset:         478
        .size:           2
        .value_kind:     hidden_remainder_z
      - .offset:         496
        .size:           8
        .value_kind:     hidden_global_offset_x
      - .offset:         504
        .size:           8
        .value_kind:     hidden_global_offset_y
      - .offset:         512
        .size:           8
        .value_kind:     hidden_global_offset_z
      - .offset:         520
        .size:           2
        .value_kind:     hidden_grid_dims
    .group_segment_fixed_size: 528
    .kernarg_segment_align: 8
    .kernarg_segment_size: 712
    .language:       OpenCL C
    .language_version:
      - 2
      - 0
    .max_flat_workgroup_size: 16
    .name:           _ZN2at6native18radixSortKVInPlaceILin1ELin1ELi16ELi2EaljEEvNS_4cuda6detail10TensorInfoIT3_T5_EES6_S6_S6_NS4_IT4_S6_EES6_b
    .private_segment_fixed_size: 0
    .sgpr_count:     21
    .sgpr_spill_count: 0
    .symbol:         _ZN2at6native18radixSortKVInPlaceILin1ELin1ELi16ELi2EaljEEvNS_4cuda6detail10TensorInfoIT3_T5_EES6_S6_S6_NS4_IT4_S6_EES6_b.kd
    .uniform_work_group_size: 1
    .uses_dynamic_stack: false
    .vgpr_count:     37
    .vgpr_spill_count: 0
    .wavefront_size: 32
    .workgroup_processor_mode: 1
  - .args:
      - .offset:         0
        .size:           416
        .value_kind:     by_value
      - .offset:         416
        .size:           8
        .value_kind:     by_value
      - .offset:         424
        .size:           8
        .value_kind:     by_value
      - .offset:         432
        .size:           8
        .value_kind:     by_value
      - .offset:         440
        .size:           416
        .value_kind:     by_value
      - .offset:         856
        .size:           8
        .value_kind:     by_value
      - .offset:         864
        .size:           1
        .value_kind:     by_value
      - .offset:         872
        .size:           4
        .value_kind:     hidden_block_count_x
      - .offset:         876
        .size:           4
        .value_kind:     hidden_block_count_y
      - .offset:         880
        .size:           4
        .value_kind:     hidden_block_count_z
      - .offset:         884
        .size:           2
        .value_kind:     hidden_group_size_x
      - .offset:         886
        .size:           2
        .value_kind:     hidden_group_size_y
      - .offset:         888
        .size:           2
        .value_kind:     hidden_group_size_z
      - .offset:         890
        .size:           2
        .value_kind:     hidden_remainder_x
      - .offset:         892
        .size:           2
        .value_kind:     hidden_remainder_y
      - .offset:         894
        .size:           2
        .value_kind:     hidden_remainder_z
      - .offset:         912
        .size:           8
        .value_kind:     hidden_global_offset_x
      - .offset:         920
        .size:           8
        .value_kind:     hidden_global_offset_y
      - .offset:         928
        .size:           8
        .value_kind:     hidden_global_offset_z
      - .offset:         936
        .size:           2
        .value_kind:     hidden_grid_dims
    .group_segment_fixed_size: 33792
    .kernarg_segment_align: 8
    .kernarg_segment_size: 1128
    .language:       OpenCL C
    .language_version:
      - 2
      - 0
    .max_flat_workgroup_size: 512
    .name:           _ZN2at6native18radixSortKVInPlaceILin1ELin1ELi512ELi8EalmEEvNS_4cuda6detail10TensorInfoIT3_T5_EES6_S6_S6_NS4_IT4_S6_EES6_b
    .private_segment_fixed_size: 0
    .sgpr_count:     38
    .sgpr_spill_count: 0
    .symbol:         _ZN2at6native18radixSortKVInPlaceILin1ELin1ELi512ELi8EalmEEvNS_4cuda6detail10TensorInfoIT3_T5_EES6_S6_S6_NS4_IT4_S6_EES6_b.kd
    .uniform_work_group_size: 1
    .uses_dynamic_stack: false
    .vgpr_count:     112
    .vgpr_spill_count: 0
    .wavefront_size: 32
    .workgroup_processor_mode: 1
  - .args:
      - .offset:         0
        .size:           416
        .value_kind:     by_value
      - .offset:         416
        .size:           8
        .value_kind:     by_value
      - .offset:         424
        .size:           8
        .value_kind:     by_value
      - .offset:         432
        .size:           8
        .value_kind:     by_value
      - .offset:         440
        .size:           416
        .value_kind:     by_value
      - .offset:         856
        .size:           8
        .value_kind:     by_value
      - .offset:         864
        .size:           1
        .value_kind:     by_value
      - .offset:         872
        .size:           4
        .value_kind:     hidden_block_count_x
      - .offset:         876
        .size:           4
        .value_kind:     hidden_block_count_y
      - .offset:         880
        .size:           4
        .value_kind:     hidden_block_count_z
      - .offset:         884
        .size:           2
        .value_kind:     hidden_group_size_x
      - .offset:         886
        .size:           2
        .value_kind:     hidden_group_size_y
      - .offset:         888
        .size:           2
        .value_kind:     hidden_group_size_z
      - .offset:         890
        .size:           2
        .value_kind:     hidden_remainder_x
      - .offset:         892
        .size:           2
        .value_kind:     hidden_remainder_y
      - .offset:         894
        .size:           2
        .value_kind:     hidden_remainder_z
      - .offset:         912
        .size:           8
        .value_kind:     hidden_global_offset_x
      - .offset:         920
        .size:           8
        .value_kind:     hidden_global_offset_y
      - .offset:         928
        .size:           8
        .value_kind:     hidden_global_offset_z
      - .offset:         936
        .size:           2
        .value_kind:     hidden_grid_dims
    .group_segment_fixed_size: 16896
    .kernarg_segment_align: 8
    .kernarg_segment_size: 1128
    .language:       OpenCL C
    .language_version:
      - 2
      - 0
    .max_flat_workgroup_size: 256
    .name:           _ZN2at6native18radixSortKVInPlaceILin1ELin1ELi256ELi8EalmEEvNS_4cuda6detail10TensorInfoIT3_T5_EES6_S6_S6_NS4_IT4_S6_EES6_b
    .private_segment_fixed_size: 0
    .sgpr_count:     38
    .sgpr_spill_count: 0
    .symbol:         _ZN2at6native18radixSortKVInPlaceILin1ELin1ELi256ELi8EalmEEvNS_4cuda6detail10TensorInfoIT3_T5_EES6_S6_S6_NS4_IT4_S6_EES6_b.kd
    .uniform_work_group_size: 1
    .uses_dynamic_stack: false
    .vgpr_count:     112
    .vgpr_spill_count: 0
    .wavefront_size: 32
    .workgroup_processor_mode: 1
  - .args:
      - .offset:         0
        .size:           416
        .value_kind:     by_value
      - .offset:         416
        .size:           8
        .value_kind:     by_value
      - .offset:         424
        .size:           8
        .value_kind:     by_value
      - .offset:         432
        .size:           8
        .value_kind:     by_value
      - .offset:         440
        .size:           416
        .value_kind:     by_value
      - .offset:         856
        .size:           8
        .value_kind:     by_value
      - .offset:         864
        .size:           1
        .value_kind:     by_value
      - .offset:         872
        .size:           4
        .value_kind:     hidden_block_count_x
      - .offset:         876
        .size:           4
        .value_kind:     hidden_block_count_y
      - .offset:         880
        .size:           4
        .value_kind:     hidden_block_count_z
      - .offset:         884
        .size:           2
        .value_kind:     hidden_group_size_x
      - .offset:         886
        .size:           2
        .value_kind:     hidden_group_size_y
      - .offset:         888
        .size:           2
        .value_kind:     hidden_group_size_z
      - .offset:         890
        .size:           2
        .value_kind:     hidden_remainder_x
      - .offset:         892
        .size:           2
        .value_kind:     hidden_remainder_y
      - .offset:         894
        .size:           2
        .value_kind:     hidden_remainder_z
      - .offset:         912
        .size:           8
        .value_kind:     hidden_global_offset_x
      - .offset:         920
        .size:           8
        .value_kind:     hidden_global_offset_y
      - .offset:         928
        .size:           8
        .value_kind:     hidden_global_offset_z
      - .offset:         936
        .size:           2
        .value_kind:     hidden_grid_dims
    .group_segment_fixed_size: 8448
    .kernarg_segment_align: 8
    .kernarg_segment_size: 1128
    .language:       OpenCL C
    .language_version:
      - 2
      - 0
    .max_flat_workgroup_size: 128
    .name:           _ZN2at6native18radixSortKVInPlaceILin1ELin1ELi128ELi8EalmEEvNS_4cuda6detail10TensorInfoIT3_T5_EES6_S6_S6_NS4_IT4_S6_EES6_b
    .private_segment_fixed_size: 0
    .sgpr_count:     38
    .sgpr_spill_count: 0
    .symbol:         _ZN2at6native18radixSortKVInPlaceILin1ELin1ELi128ELi8EalmEEvNS_4cuda6detail10TensorInfoIT3_T5_EES6_S6_S6_NS4_IT4_S6_EES6_b.kd
    .uniform_work_group_size: 1
    .uses_dynamic_stack: false
    .vgpr_count:     112
    .vgpr_spill_count: 0
    .wavefront_size: 32
    .workgroup_processor_mode: 1
  - .args:
      - .offset:         0
        .size:           416
        .value_kind:     by_value
      - .offset:         416
        .size:           8
        .value_kind:     by_value
      - .offset:         424
        .size:           8
        .value_kind:     by_value
      - .offset:         432
        .size:           8
        .value_kind:     by_value
      - .offset:         440
        .size:           416
        .value_kind:     by_value
      - .offset:         856
        .size:           8
        .value_kind:     by_value
      - .offset:         864
        .size:           1
        .value_kind:     by_value
      - .offset:         872
        .size:           4
        .value_kind:     hidden_block_count_x
      - .offset:         876
        .size:           4
        .value_kind:     hidden_block_count_y
      - .offset:         880
        .size:           4
        .value_kind:     hidden_block_count_z
      - .offset:         884
        .size:           2
        .value_kind:     hidden_group_size_x
      - .offset:         886
        .size:           2
        .value_kind:     hidden_group_size_y
      - .offset:         888
        .size:           2
        .value_kind:     hidden_group_size_z
      - .offset:         890
        .size:           2
        .value_kind:     hidden_remainder_x
      - .offset:         892
        .size:           2
        .value_kind:     hidden_remainder_y
      - .offset:         894
        .size:           2
        .value_kind:     hidden_remainder_z
      - .offset:         912
        .size:           8
        .value_kind:     hidden_global_offset_x
      - .offset:         920
        .size:           8
        .value_kind:     hidden_global_offset_y
      - .offset:         928
        .size:           8
        .value_kind:     hidden_global_offset_z
      - .offset:         936
        .size:           2
        .value_kind:     hidden_grid_dims
    .group_segment_fixed_size: 1056
    .kernarg_segment_align: 8
    .kernarg_segment_size: 1128
    .language:       OpenCL C
    .language_version:
      - 2
      - 0
    .max_flat_workgroup_size: 32
    .name:           _ZN2at6native18radixSortKVInPlaceILin1ELin1ELi32ELi4EalmEEvNS_4cuda6detail10TensorInfoIT3_T5_EES6_S6_S6_NS4_IT4_S6_EES6_b
    .private_segment_fixed_size: 0
    .sgpr_count:     38
    .sgpr_spill_count: 0
    .symbol:         _ZN2at6native18radixSortKVInPlaceILin1ELin1ELi32ELi4EalmEEvNS_4cuda6detail10TensorInfoIT3_T5_EES6_S6_S6_NS4_IT4_S6_EES6_b.kd
    .uniform_work_group_size: 1
    .uses_dynamic_stack: false
    .vgpr_count:     88
    .vgpr_spill_count: 0
    .wavefront_size: 32
    .workgroup_processor_mode: 1
  - .args:
      - .offset:         0
        .size:           416
        .value_kind:     by_value
      - .offset:         416
        .size:           8
        .value_kind:     by_value
      - .offset:         424
        .size:           8
        .value_kind:     by_value
      - .offset:         432
        .size:           8
        .value_kind:     by_value
      - .offset:         440
        .size:           416
        .value_kind:     by_value
      - .offset:         856
        .size:           8
        .value_kind:     by_value
      - .offset:         864
        .size:           1
        .value_kind:     by_value
      - .offset:         872
        .size:           4
        .value_kind:     hidden_block_count_x
      - .offset:         876
        .size:           4
        .value_kind:     hidden_block_count_y
      - .offset:         880
        .size:           4
        .value_kind:     hidden_block_count_z
      - .offset:         884
        .size:           2
        .value_kind:     hidden_group_size_x
      - .offset:         886
        .size:           2
        .value_kind:     hidden_group_size_y
      - .offset:         888
        .size:           2
        .value_kind:     hidden_group_size_z
      - .offset:         890
        .size:           2
        .value_kind:     hidden_remainder_x
      - .offset:         892
        .size:           2
        .value_kind:     hidden_remainder_y
      - .offset:         894
        .size:           2
        .value_kind:     hidden_remainder_z
      - .offset:         912
        .size:           8
        .value_kind:     hidden_global_offset_x
      - .offset:         920
        .size:           8
        .value_kind:     hidden_global_offset_y
      - .offset:         928
        .size:           8
        .value_kind:     hidden_global_offset_z
      - .offset:         936
        .size:           2
        .value_kind:     hidden_grid_dims
    .group_segment_fixed_size: 528
    .kernarg_segment_align: 8
    .kernarg_segment_size: 1128
    .language:       OpenCL C
    .language_version:
      - 2
      - 0
    .max_flat_workgroup_size: 16
    .name:           _ZN2at6native18radixSortKVInPlaceILin1ELin1ELi16ELi2EalmEEvNS_4cuda6detail10TensorInfoIT3_T5_EES6_S6_S6_NS4_IT4_S6_EES6_b
    .private_segment_fixed_size: 0
    .sgpr_count:     36
    .sgpr_spill_count: 0
    .symbol:         _ZN2at6native18radixSortKVInPlaceILin1ELin1ELi16ELi2EalmEEvNS_4cuda6detail10TensorInfoIT3_T5_EES6_S6_S6_NS4_IT4_S6_EES6_b.kd
    .uniform_work_group_size: 1
    .uses_dynamic_stack: false
    .vgpr_count:     35
    .vgpr_spill_count: 0
    .wavefront_size: 32
    .workgroup_processor_mode: 1
  - .args:
      - .offset:         0
        .size:           216
        .value_kind:     by_value
      - .offset:         216
        .size:           4
        .value_kind:     by_value
      - .offset:         220
        .size:           4
        .value_kind:     by_value
      - .offset:         224
        .size:           4
        .value_kind:     by_value
      - .offset:         232
        .size:           216
        .value_kind:     by_value
      - .offset:         448
        .size:           4
        .value_kind:     by_value
      - .offset:         452
        .size:           1
        .value_kind:     by_value
      - .offset:         456
        .size:           4
        .value_kind:     hidden_block_count_x
      - .offset:         460
        .size:           4
        .value_kind:     hidden_block_count_y
      - .offset:         464
        .size:           4
        .value_kind:     hidden_block_count_z
      - .offset:         468
        .size:           2
        .value_kind:     hidden_group_size_x
      - .offset:         470
        .size:           2
        .value_kind:     hidden_group_size_y
      - .offset:         472
        .size:           2
        .value_kind:     hidden_group_size_z
      - .offset:         474
        .size:           2
        .value_kind:     hidden_remainder_x
      - .offset:         476
        .size:           2
        .value_kind:     hidden_remainder_y
      - .offset:         478
        .size:           2
        .value_kind:     hidden_remainder_z
      - .offset:         496
        .size:           8
        .value_kind:     hidden_global_offset_x
      - .offset:         504
        .size:           8
        .value_kind:     hidden_global_offset_y
      - .offset:         512
        .size:           8
        .value_kind:     hidden_global_offset_z
      - .offset:         520
        .size:           2
        .value_kind:     hidden_grid_dims
    .group_segment_fixed_size: 33792
    .kernarg_segment_align: 8
    .kernarg_segment_size: 712
    .language:       OpenCL C
    .language_version:
      - 2
      - 0
    .max_flat_workgroup_size: 512
    .name:           _ZN2at6native18radixSortKVInPlaceILin2ELin1ELi512ELi8EiljEEvNS_4cuda6detail10TensorInfoIT3_T5_EES6_S6_S6_NS4_IT4_S6_EES6_b
    .private_segment_fixed_size: 0
    .sgpr_count:     38
    .sgpr_spill_count: 0
    .symbol:         _ZN2at6native18radixSortKVInPlaceILin2ELin1ELi512ELi8EiljEEvNS_4cuda6detail10TensorInfoIT3_T5_EES6_S6_S6_NS4_IT4_S6_EES6_b.kd
    .uniform_work_group_size: 1
    .uses_dynamic_stack: false
    .vgpr_count:     127
    .vgpr_spill_count: 0
    .wavefront_size: 32
    .workgroup_processor_mode: 1
  - .args:
      - .offset:         0
        .size:           216
        .value_kind:     by_value
      - .offset:         216
        .size:           4
        .value_kind:     by_value
      - .offset:         220
        .size:           4
        .value_kind:     by_value
      - .offset:         224
        .size:           4
        .value_kind:     by_value
      - .offset:         232
        .size:           216
        .value_kind:     by_value
      - .offset:         448
        .size:           4
        .value_kind:     by_value
      - .offset:         452
        .size:           1
        .value_kind:     by_value
      - .offset:         456
        .size:           4
        .value_kind:     hidden_block_count_x
      - .offset:         460
        .size:           4
        .value_kind:     hidden_block_count_y
      - .offset:         464
        .size:           4
        .value_kind:     hidden_block_count_z
      - .offset:         468
        .size:           2
        .value_kind:     hidden_group_size_x
      - .offset:         470
        .size:           2
        .value_kind:     hidden_group_size_y
      - .offset:         472
        .size:           2
        .value_kind:     hidden_group_size_z
      - .offset:         474
        .size:           2
        .value_kind:     hidden_remainder_x
      - .offset:         476
        .size:           2
        .value_kind:     hidden_remainder_y
      - .offset:         478
        .size:           2
        .value_kind:     hidden_remainder_z
      - .offset:         496
        .size:           8
        .value_kind:     hidden_global_offset_x
      - .offset:         504
        .size:           8
        .value_kind:     hidden_global_offset_y
      - .offset:         512
        .size:           8
        .value_kind:     hidden_global_offset_z
      - .offset:         520
        .size:           2
        .value_kind:     hidden_grid_dims
    .group_segment_fixed_size: 16896
    .kernarg_segment_align: 8
    .kernarg_segment_size: 712
    .language:       OpenCL C
    .language_version:
      - 2
      - 0
    .max_flat_workgroup_size: 256
    .name:           _ZN2at6native18radixSortKVInPlaceILin2ELin1ELi256ELi8EiljEEvNS_4cuda6detail10TensorInfoIT3_T5_EES6_S6_S6_NS4_IT4_S6_EES6_b
    .private_segment_fixed_size: 0
    .sgpr_count:     40
    .sgpr_spill_count: 0
    .symbol:         _ZN2at6native18radixSortKVInPlaceILin2ELin1ELi256ELi8EiljEEvNS_4cuda6detail10TensorInfoIT3_T5_EES6_S6_S6_NS4_IT4_S6_EES6_b.kd
    .uniform_work_group_size: 1
    .uses_dynamic_stack: false
    .vgpr_count:     128
    .vgpr_spill_count: 0
    .wavefront_size: 32
    .workgroup_processor_mode: 1
  - .args:
      - .offset:         0
        .size:           216
        .value_kind:     by_value
      - .offset:         216
        .size:           4
        .value_kind:     by_value
      - .offset:         220
        .size:           4
        .value_kind:     by_value
      - .offset:         224
        .size:           4
        .value_kind:     by_value
      - .offset:         232
        .size:           216
        .value_kind:     by_value
      - .offset:         448
        .size:           4
        .value_kind:     by_value
      - .offset:         452
        .size:           1
        .value_kind:     by_value
      - .offset:         456
        .size:           4
        .value_kind:     hidden_block_count_x
      - .offset:         460
        .size:           4
        .value_kind:     hidden_block_count_y
      - .offset:         464
        .size:           4
        .value_kind:     hidden_block_count_z
      - .offset:         468
        .size:           2
        .value_kind:     hidden_group_size_x
      - .offset:         470
        .size:           2
        .value_kind:     hidden_group_size_y
      - .offset:         472
        .size:           2
        .value_kind:     hidden_group_size_z
      - .offset:         474
        .size:           2
        .value_kind:     hidden_remainder_x
      - .offset:         476
        .size:           2
        .value_kind:     hidden_remainder_y
      - .offset:         478
        .size:           2
        .value_kind:     hidden_remainder_z
      - .offset:         496
        .size:           8
        .value_kind:     hidden_global_offset_x
      - .offset:         504
        .size:           8
        .value_kind:     hidden_global_offset_y
      - .offset:         512
        .size:           8
        .value_kind:     hidden_global_offset_z
      - .offset:         520
        .size:           2
        .value_kind:     hidden_grid_dims
    .group_segment_fixed_size: 8448
    .kernarg_segment_align: 8
    .kernarg_segment_size: 712
    .language:       OpenCL C
    .language_version:
      - 2
      - 0
    .max_flat_workgroup_size: 128
    .name:           _ZN2at6native18radixSortKVInPlaceILin2ELin1ELi128ELi8EiljEEvNS_4cuda6detail10TensorInfoIT3_T5_EES6_S6_S6_NS4_IT4_S6_EES6_b
    .private_segment_fixed_size: 0
    .sgpr_count:     42
    .sgpr_spill_count: 0
    .symbol:         _ZN2at6native18radixSortKVInPlaceILin2ELin1ELi128ELi8EiljEEvNS_4cuda6detail10TensorInfoIT3_T5_EES6_S6_S6_NS4_IT4_S6_EES6_b.kd
    .uniform_work_group_size: 1
    .uses_dynamic_stack: false
    .vgpr_count:     128
    .vgpr_spill_count: 0
    .wavefront_size: 32
    .workgroup_processor_mode: 1
  - .args:
      - .offset:         0
        .size:           216
        .value_kind:     by_value
      - .offset:         216
        .size:           4
        .value_kind:     by_value
      - .offset:         220
        .size:           4
        .value_kind:     by_value
      - .offset:         224
        .size:           4
        .value_kind:     by_value
      - .offset:         232
        .size:           216
        .value_kind:     by_value
      - .offset:         448
        .size:           4
        .value_kind:     by_value
      - .offset:         452
        .size:           1
        .value_kind:     by_value
      - .offset:         456
        .size:           4
        .value_kind:     hidden_block_count_x
      - .offset:         460
        .size:           4
        .value_kind:     hidden_block_count_y
      - .offset:         464
        .size:           4
        .value_kind:     hidden_block_count_z
      - .offset:         468
        .size:           2
        .value_kind:     hidden_group_size_x
      - .offset:         470
        .size:           2
        .value_kind:     hidden_group_size_y
      - .offset:         472
        .size:           2
        .value_kind:     hidden_group_size_z
      - .offset:         474
        .size:           2
        .value_kind:     hidden_remainder_x
      - .offset:         476
        .size:           2
        .value_kind:     hidden_remainder_y
      - .offset:         478
        .size:           2
        .value_kind:     hidden_remainder_z
      - .offset:         496
        .size:           8
        .value_kind:     hidden_global_offset_x
      - .offset:         504
        .size:           8
        .value_kind:     hidden_global_offset_y
      - .offset:         512
        .size:           8
        .value_kind:     hidden_global_offset_z
      - .offset:         520
        .size:           2
        .value_kind:     hidden_grid_dims
    .group_segment_fixed_size: 1056
    .kernarg_segment_align: 8
    .kernarg_segment_size: 712
    .language:       OpenCL C
    .language_version:
      - 2
      - 0
    .max_flat_workgroup_size: 32
    .name:           _ZN2at6native18radixSortKVInPlaceILin2ELin1ELi32ELi4EiljEEvNS_4cuda6detail10TensorInfoIT3_T5_EES6_S6_S6_NS4_IT4_S6_EES6_b
    .private_segment_fixed_size: 0
    .sgpr_count:     30
    .sgpr_spill_count: 0
    .symbol:         _ZN2at6native18radixSortKVInPlaceILin2ELin1ELi32ELi4EiljEEvNS_4cuda6detail10TensorInfoIT3_T5_EES6_S6_S6_NS4_IT4_S6_EES6_b.kd
    .uniform_work_group_size: 1
    .uses_dynamic_stack: false
    .vgpr_count:     74
    .vgpr_spill_count: 0
    .wavefront_size: 32
    .workgroup_processor_mode: 1
  - .args:
      - .offset:         0
        .size:           216
        .value_kind:     by_value
      - .offset:         216
        .size:           4
        .value_kind:     by_value
      - .offset:         220
        .size:           4
        .value_kind:     by_value
      - .offset:         224
        .size:           4
        .value_kind:     by_value
      - .offset:         232
        .size:           216
        .value_kind:     by_value
      - .offset:         448
        .size:           4
        .value_kind:     by_value
      - .offset:         452
        .size:           1
        .value_kind:     by_value
      - .offset:         456
        .size:           4
        .value_kind:     hidden_block_count_x
      - .offset:         460
        .size:           4
        .value_kind:     hidden_block_count_y
      - .offset:         464
        .size:           4
        .value_kind:     hidden_block_count_z
      - .offset:         468
        .size:           2
        .value_kind:     hidden_group_size_x
      - .offset:         470
        .size:           2
        .value_kind:     hidden_group_size_y
      - .offset:         472
        .size:           2
        .value_kind:     hidden_group_size_z
      - .offset:         474
        .size:           2
        .value_kind:     hidden_remainder_x
      - .offset:         476
        .size:           2
        .value_kind:     hidden_remainder_y
      - .offset:         478
        .size:           2
        .value_kind:     hidden_remainder_z
      - .offset:         496
        .size:           8
        .value_kind:     hidden_global_offset_x
      - .offset:         504
        .size:           8
        .value_kind:     hidden_global_offset_y
      - .offset:         512
        .size:           8
        .value_kind:     hidden_global_offset_z
      - .offset:         520
        .size:           2
        .value_kind:     hidden_grid_dims
    .group_segment_fixed_size: 528
    .kernarg_segment_align: 8
    .kernarg_segment_size: 712
    .language:       OpenCL C
    .language_version:
      - 2
      - 0
    .max_flat_workgroup_size: 16
    .name:           _ZN2at6native18radixSortKVInPlaceILin2ELin1ELi16ELi2EiljEEvNS_4cuda6detail10TensorInfoIT3_T5_EES6_S6_S6_NS4_IT4_S6_EES6_b
    .private_segment_fixed_size: 0
    .sgpr_count:     28
    .sgpr_spill_count: 0
    .symbol:         _ZN2at6native18radixSortKVInPlaceILin2ELin1ELi16ELi2EiljEEvNS_4cuda6detail10TensorInfoIT3_T5_EES6_S6_S6_NS4_IT4_S6_EES6_b.kd
    .uniform_work_group_size: 1
    .uses_dynamic_stack: false
    .vgpr_count:     41
    .vgpr_spill_count: 0
    .wavefront_size: 32
    .workgroup_processor_mode: 1
  - .args:
      - .offset:         0
        .size:           216
        .value_kind:     by_value
      - .offset:         216
        .size:           4
        .value_kind:     by_value
      - .offset:         220
        .size:           4
        .value_kind:     by_value
      - .offset:         224
        .size:           4
        .value_kind:     by_value
      - .offset:         232
        .size:           216
        .value_kind:     by_value
      - .offset:         448
        .size:           4
        .value_kind:     by_value
      - .offset:         452
        .size:           1
        .value_kind:     by_value
      - .offset:         456
        .size:           4
        .value_kind:     hidden_block_count_x
      - .offset:         460
        .size:           4
        .value_kind:     hidden_block_count_y
      - .offset:         464
        .size:           4
        .value_kind:     hidden_block_count_z
      - .offset:         468
        .size:           2
        .value_kind:     hidden_group_size_x
      - .offset:         470
        .size:           2
        .value_kind:     hidden_group_size_y
      - .offset:         472
        .size:           2
        .value_kind:     hidden_group_size_z
      - .offset:         474
        .size:           2
        .value_kind:     hidden_remainder_x
      - .offset:         476
        .size:           2
        .value_kind:     hidden_remainder_y
      - .offset:         478
        .size:           2
        .value_kind:     hidden_remainder_z
      - .offset:         496
        .size:           8
        .value_kind:     hidden_global_offset_x
      - .offset:         504
        .size:           8
        .value_kind:     hidden_global_offset_y
      - .offset:         512
        .size:           8
        .value_kind:     hidden_global_offset_z
      - .offset:         520
        .size:           2
        .value_kind:     hidden_grid_dims
    .group_segment_fixed_size: 33792
    .kernarg_segment_align: 8
    .kernarg_segment_size: 712
    .language:       OpenCL C
    .language_version:
      - 2
      - 0
    .max_flat_workgroup_size: 512
    .name:           _ZN2at6native18radixSortKVInPlaceILi2ELin1ELi512ELi8EiljEEvNS_4cuda6detail10TensorInfoIT3_T5_EES6_S6_S6_NS4_IT4_S6_EES6_b
    .private_segment_fixed_size: 0
    .sgpr_count:     38
    .sgpr_spill_count: 0
    .symbol:         _ZN2at6native18radixSortKVInPlaceILi2ELin1ELi512ELi8EiljEEvNS_4cuda6detail10TensorInfoIT3_T5_EES6_S6_S6_NS4_IT4_S6_EES6_b.kd
    .uniform_work_group_size: 1
    .uses_dynamic_stack: false
    .vgpr_count:     127
    .vgpr_spill_count: 0
    .wavefront_size: 32
    .workgroup_processor_mode: 1
  - .args:
      - .offset:         0
        .size:           216
        .value_kind:     by_value
      - .offset:         216
        .size:           4
        .value_kind:     by_value
      - .offset:         220
        .size:           4
        .value_kind:     by_value
      - .offset:         224
        .size:           4
        .value_kind:     by_value
      - .offset:         232
        .size:           216
        .value_kind:     by_value
      - .offset:         448
        .size:           4
        .value_kind:     by_value
      - .offset:         452
        .size:           1
        .value_kind:     by_value
      - .offset:         456
        .size:           4
        .value_kind:     hidden_block_count_x
      - .offset:         460
        .size:           4
        .value_kind:     hidden_block_count_y
      - .offset:         464
        .size:           4
        .value_kind:     hidden_block_count_z
      - .offset:         468
        .size:           2
        .value_kind:     hidden_group_size_x
      - .offset:         470
        .size:           2
        .value_kind:     hidden_group_size_y
      - .offset:         472
        .size:           2
        .value_kind:     hidden_group_size_z
      - .offset:         474
        .size:           2
        .value_kind:     hidden_remainder_x
      - .offset:         476
        .size:           2
        .value_kind:     hidden_remainder_y
      - .offset:         478
        .size:           2
        .value_kind:     hidden_remainder_z
      - .offset:         496
        .size:           8
        .value_kind:     hidden_global_offset_x
      - .offset:         504
        .size:           8
        .value_kind:     hidden_global_offset_y
      - .offset:         512
        .size:           8
        .value_kind:     hidden_global_offset_z
      - .offset:         520
        .size:           2
        .value_kind:     hidden_grid_dims
    .group_segment_fixed_size: 16896
    .kernarg_segment_align: 8
    .kernarg_segment_size: 712
    .language:       OpenCL C
    .language_version:
      - 2
      - 0
    .max_flat_workgroup_size: 256
    .name:           _ZN2at6native18radixSortKVInPlaceILi2ELin1ELi256ELi8EiljEEvNS_4cuda6detail10TensorInfoIT3_T5_EES6_S6_S6_NS4_IT4_S6_EES6_b
    .private_segment_fixed_size: 0
    .sgpr_count:     40
    .sgpr_spill_count: 0
    .symbol:         _ZN2at6native18radixSortKVInPlaceILi2ELin1ELi256ELi8EiljEEvNS_4cuda6detail10TensorInfoIT3_T5_EES6_S6_S6_NS4_IT4_S6_EES6_b.kd
    .uniform_work_group_size: 1
    .uses_dynamic_stack: false
    .vgpr_count:     128
    .vgpr_spill_count: 0
    .wavefront_size: 32
    .workgroup_processor_mode: 1
  - .args:
      - .offset:         0
        .size:           216
        .value_kind:     by_value
      - .offset:         216
        .size:           4
        .value_kind:     by_value
      - .offset:         220
        .size:           4
        .value_kind:     by_value
      - .offset:         224
        .size:           4
        .value_kind:     by_value
      - .offset:         232
        .size:           216
        .value_kind:     by_value
      - .offset:         448
        .size:           4
        .value_kind:     by_value
      - .offset:         452
        .size:           1
        .value_kind:     by_value
      - .offset:         456
        .size:           4
        .value_kind:     hidden_block_count_x
      - .offset:         460
        .size:           4
        .value_kind:     hidden_block_count_y
      - .offset:         464
        .size:           4
        .value_kind:     hidden_block_count_z
      - .offset:         468
        .size:           2
        .value_kind:     hidden_group_size_x
      - .offset:         470
        .size:           2
        .value_kind:     hidden_group_size_y
      - .offset:         472
        .size:           2
        .value_kind:     hidden_group_size_z
      - .offset:         474
        .size:           2
        .value_kind:     hidden_remainder_x
      - .offset:         476
        .size:           2
        .value_kind:     hidden_remainder_y
      - .offset:         478
        .size:           2
        .value_kind:     hidden_remainder_z
      - .offset:         496
        .size:           8
        .value_kind:     hidden_global_offset_x
      - .offset:         504
        .size:           8
        .value_kind:     hidden_global_offset_y
      - .offset:         512
        .size:           8
        .value_kind:     hidden_global_offset_z
      - .offset:         520
        .size:           2
        .value_kind:     hidden_grid_dims
    .group_segment_fixed_size: 8448
    .kernarg_segment_align: 8
    .kernarg_segment_size: 712
    .language:       OpenCL C
    .language_version:
      - 2
      - 0
    .max_flat_workgroup_size: 128
    .name:           _ZN2at6native18radixSortKVInPlaceILi2ELin1ELi128ELi8EiljEEvNS_4cuda6detail10TensorInfoIT3_T5_EES6_S6_S6_NS4_IT4_S6_EES6_b
    .private_segment_fixed_size: 0
    .sgpr_count:     42
    .sgpr_spill_count: 0
    .symbol:         _ZN2at6native18radixSortKVInPlaceILi2ELin1ELi128ELi8EiljEEvNS_4cuda6detail10TensorInfoIT3_T5_EES6_S6_S6_NS4_IT4_S6_EES6_b.kd
    .uniform_work_group_size: 1
    .uses_dynamic_stack: false
    .vgpr_count:     128
    .vgpr_spill_count: 0
    .wavefront_size: 32
    .workgroup_processor_mode: 1
  - .args:
      - .offset:         0
        .size:           216
        .value_kind:     by_value
      - .offset:         216
        .size:           4
        .value_kind:     by_value
      - .offset:         220
        .size:           4
        .value_kind:     by_value
      - .offset:         224
        .size:           4
        .value_kind:     by_value
      - .offset:         232
        .size:           216
        .value_kind:     by_value
      - .offset:         448
        .size:           4
        .value_kind:     by_value
      - .offset:         452
        .size:           1
        .value_kind:     by_value
      - .offset:         456
        .size:           4
        .value_kind:     hidden_block_count_x
      - .offset:         460
        .size:           4
        .value_kind:     hidden_block_count_y
      - .offset:         464
        .size:           4
        .value_kind:     hidden_block_count_z
      - .offset:         468
        .size:           2
        .value_kind:     hidden_group_size_x
      - .offset:         470
        .size:           2
        .value_kind:     hidden_group_size_y
      - .offset:         472
        .size:           2
        .value_kind:     hidden_group_size_z
      - .offset:         474
        .size:           2
        .value_kind:     hidden_remainder_x
      - .offset:         476
        .size:           2
        .value_kind:     hidden_remainder_y
      - .offset:         478
        .size:           2
        .value_kind:     hidden_remainder_z
      - .offset:         496
        .size:           8
        .value_kind:     hidden_global_offset_x
      - .offset:         504
        .size:           8
        .value_kind:     hidden_global_offset_y
      - .offset:         512
        .size:           8
        .value_kind:     hidden_global_offset_z
      - .offset:         520
        .size:           2
        .value_kind:     hidden_grid_dims
    .group_segment_fixed_size: 1056
    .kernarg_segment_align: 8
    .kernarg_segment_size: 712
    .language:       OpenCL C
    .language_version:
      - 2
      - 0
    .max_flat_workgroup_size: 32
    .name:           _ZN2at6native18radixSortKVInPlaceILi2ELin1ELi32ELi4EiljEEvNS_4cuda6detail10TensorInfoIT3_T5_EES6_S6_S6_NS4_IT4_S6_EES6_b
    .private_segment_fixed_size: 0
    .sgpr_count:     30
    .sgpr_spill_count: 0
    .symbol:         _ZN2at6native18radixSortKVInPlaceILi2ELin1ELi32ELi4EiljEEvNS_4cuda6detail10TensorInfoIT3_T5_EES6_S6_S6_NS4_IT4_S6_EES6_b.kd
    .uniform_work_group_size: 1
    .uses_dynamic_stack: false
    .vgpr_count:     74
    .vgpr_spill_count: 0
    .wavefront_size: 32
    .workgroup_processor_mode: 1
  - .args:
      - .offset:         0
        .size:           216
        .value_kind:     by_value
      - .offset:         216
        .size:           4
        .value_kind:     by_value
      - .offset:         220
        .size:           4
        .value_kind:     by_value
      - .offset:         224
        .size:           4
        .value_kind:     by_value
      - .offset:         232
        .size:           216
        .value_kind:     by_value
      - .offset:         448
        .size:           4
        .value_kind:     by_value
      - .offset:         452
        .size:           1
        .value_kind:     by_value
      - .offset:         456
        .size:           4
        .value_kind:     hidden_block_count_x
      - .offset:         460
        .size:           4
        .value_kind:     hidden_block_count_y
      - .offset:         464
        .size:           4
        .value_kind:     hidden_block_count_z
      - .offset:         468
        .size:           2
        .value_kind:     hidden_group_size_x
      - .offset:         470
        .size:           2
        .value_kind:     hidden_group_size_y
      - .offset:         472
        .size:           2
        .value_kind:     hidden_group_size_z
      - .offset:         474
        .size:           2
        .value_kind:     hidden_remainder_x
      - .offset:         476
        .size:           2
        .value_kind:     hidden_remainder_y
      - .offset:         478
        .size:           2
        .value_kind:     hidden_remainder_z
      - .offset:         496
        .size:           8
        .value_kind:     hidden_global_offset_x
      - .offset:         504
        .size:           8
        .value_kind:     hidden_global_offset_y
      - .offset:         512
        .size:           8
        .value_kind:     hidden_global_offset_z
      - .offset:         520
        .size:           2
        .value_kind:     hidden_grid_dims
    .group_segment_fixed_size: 528
    .kernarg_segment_align: 8
    .kernarg_segment_size: 712
    .language:       OpenCL C
    .language_version:
      - 2
      - 0
    .max_flat_workgroup_size: 16
    .name:           _ZN2at6native18radixSortKVInPlaceILi2ELin1ELi16ELi2EiljEEvNS_4cuda6detail10TensorInfoIT3_T5_EES6_S6_S6_NS4_IT4_S6_EES6_b
    .private_segment_fixed_size: 0
    .sgpr_count:     28
    .sgpr_spill_count: 0
    .symbol:         _ZN2at6native18radixSortKVInPlaceILi2ELin1ELi16ELi2EiljEEvNS_4cuda6detail10TensorInfoIT3_T5_EES6_S6_S6_NS4_IT4_S6_EES6_b.kd
    .uniform_work_group_size: 1
    .uses_dynamic_stack: false
    .vgpr_count:     41
    .vgpr_spill_count: 0
    .wavefront_size: 32
    .workgroup_processor_mode: 1
  - .args:
      - .offset:         0
        .size:           216
        .value_kind:     by_value
      - .offset:         216
        .size:           4
        .value_kind:     by_value
      - .offset:         220
        .size:           4
        .value_kind:     by_value
      - .offset:         224
        .size:           4
        .value_kind:     by_value
      - .offset:         232
        .size:           216
        .value_kind:     by_value
      - .offset:         448
        .size:           4
        .value_kind:     by_value
      - .offset:         452
        .size:           1
        .value_kind:     by_value
      - .offset:         456
        .size:           4
        .value_kind:     hidden_block_count_x
      - .offset:         460
        .size:           4
        .value_kind:     hidden_block_count_y
      - .offset:         464
        .size:           4
        .value_kind:     hidden_block_count_z
      - .offset:         468
        .size:           2
        .value_kind:     hidden_group_size_x
      - .offset:         470
        .size:           2
        .value_kind:     hidden_group_size_y
      - .offset:         472
        .size:           2
        .value_kind:     hidden_group_size_z
      - .offset:         474
        .size:           2
        .value_kind:     hidden_remainder_x
      - .offset:         476
        .size:           2
        .value_kind:     hidden_remainder_y
      - .offset:         478
        .size:           2
        .value_kind:     hidden_remainder_z
      - .offset:         496
        .size:           8
        .value_kind:     hidden_global_offset_x
      - .offset:         504
        .size:           8
        .value_kind:     hidden_global_offset_y
      - .offset:         512
        .size:           8
        .value_kind:     hidden_global_offset_z
      - .offset:         520
        .size:           2
        .value_kind:     hidden_grid_dims
    .group_segment_fixed_size: 33792
    .kernarg_segment_align: 8
    .kernarg_segment_size: 712
    .language:       OpenCL C
    .language_version:
      - 2
      - 0
    .max_flat_workgroup_size: 512
    .name:           _ZN2at6native18radixSortKVInPlaceILin1ELin1ELi512ELi8EiljEEvNS_4cuda6detail10TensorInfoIT3_T5_EES6_S6_S6_NS4_IT4_S6_EES6_b
    .private_segment_fixed_size: 0
    .sgpr_count:     38
    .sgpr_spill_count: 0
    .symbol:         _ZN2at6native18radixSortKVInPlaceILin1ELin1ELi512ELi8EiljEEvNS_4cuda6detail10TensorInfoIT3_T5_EES6_S6_S6_NS4_IT4_S6_EES6_b.kd
    .uniform_work_group_size: 1
    .uses_dynamic_stack: false
    .vgpr_count:     127
    .vgpr_spill_count: 0
    .wavefront_size: 32
    .workgroup_processor_mode: 1
  - .args:
      - .offset:         0
        .size:           216
        .value_kind:     by_value
      - .offset:         216
        .size:           4
        .value_kind:     by_value
      - .offset:         220
        .size:           4
        .value_kind:     by_value
      - .offset:         224
        .size:           4
        .value_kind:     by_value
      - .offset:         232
        .size:           216
        .value_kind:     by_value
      - .offset:         448
        .size:           4
        .value_kind:     by_value
      - .offset:         452
        .size:           1
        .value_kind:     by_value
      - .offset:         456
        .size:           4
        .value_kind:     hidden_block_count_x
      - .offset:         460
        .size:           4
        .value_kind:     hidden_block_count_y
      - .offset:         464
        .size:           4
        .value_kind:     hidden_block_count_z
      - .offset:         468
        .size:           2
        .value_kind:     hidden_group_size_x
      - .offset:         470
        .size:           2
        .value_kind:     hidden_group_size_y
      - .offset:         472
        .size:           2
        .value_kind:     hidden_group_size_z
      - .offset:         474
        .size:           2
        .value_kind:     hidden_remainder_x
      - .offset:         476
        .size:           2
        .value_kind:     hidden_remainder_y
      - .offset:         478
        .size:           2
        .value_kind:     hidden_remainder_z
      - .offset:         496
        .size:           8
        .value_kind:     hidden_global_offset_x
      - .offset:         504
        .size:           8
        .value_kind:     hidden_global_offset_y
      - .offset:         512
        .size:           8
        .value_kind:     hidden_global_offset_z
      - .offset:         520
        .size:           2
        .value_kind:     hidden_grid_dims
    .group_segment_fixed_size: 16896
    .kernarg_segment_align: 8
    .kernarg_segment_size: 712
    .language:       OpenCL C
    .language_version:
      - 2
      - 0
    .max_flat_workgroup_size: 256
    .name:           _ZN2at6native18radixSortKVInPlaceILin1ELin1ELi256ELi8EiljEEvNS_4cuda6detail10TensorInfoIT3_T5_EES6_S6_S6_NS4_IT4_S6_EES6_b
    .private_segment_fixed_size: 0
    .sgpr_count:     40
    .sgpr_spill_count: 0
    .symbol:         _ZN2at6native18radixSortKVInPlaceILin1ELin1ELi256ELi8EiljEEvNS_4cuda6detail10TensorInfoIT3_T5_EES6_S6_S6_NS4_IT4_S6_EES6_b.kd
    .uniform_work_group_size: 1
    .uses_dynamic_stack: false
    .vgpr_count:     128
    .vgpr_spill_count: 0
    .wavefront_size: 32
    .workgroup_processor_mode: 1
  - .args:
      - .offset:         0
        .size:           216
        .value_kind:     by_value
      - .offset:         216
        .size:           4
        .value_kind:     by_value
      - .offset:         220
        .size:           4
        .value_kind:     by_value
      - .offset:         224
        .size:           4
        .value_kind:     by_value
      - .offset:         232
        .size:           216
        .value_kind:     by_value
      - .offset:         448
        .size:           4
        .value_kind:     by_value
      - .offset:         452
        .size:           1
        .value_kind:     by_value
      - .offset:         456
        .size:           4
        .value_kind:     hidden_block_count_x
      - .offset:         460
        .size:           4
        .value_kind:     hidden_block_count_y
      - .offset:         464
        .size:           4
        .value_kind:     hidden_block_count_z
      - .offset:         468
        .size:           2
        .value_kind:     hidden_group_size_x
      - .offset:         470
        .size:           2
        .value_kind:     hidden_group_size_y
      - .offset:         472
        .size:           2
        .value_kind:     hidden_group_size_z
      - .offset:         474
        .size:           2
        .value_kind:     hidden_remainder_x
      - .offset:         476
        .size:           2
        .value_kind:     hidden_remainder_y
      - .offset:         478
        .size:           2
        .value_kind:     hidden_remainder_z
      - .offset:         496
        .size:           8
        .value_kind:     hidden_global_offset_x
      - .offset:         504
        .size:           8
        .value_kind:     hidden_global_offset_y
      - .offset:         512
        .size:           8
        .value_kind:     hidden_global_offset_z
      - .offset:         520
        .size:           2
        .value_kind:     hidden_grid_dims
    .group_segment_fixed_size: 8448
    .kernarg_segment_align: 8
    .kernarg_segment_size: 712
    .language:       OpenCL C
    .language_version:
      - 2
      - 0
    .max_flat_workgroup_size: 128
    .name:           _ZN2at6native18radixSortKVInPlaceILin1ELin1ELi128ELi8EiljEEvNS_4cuda6detail10TensorInfoIT3_T5_EES6_S6_S6_NS4_IT4_S6_EES6_b
    .private_segment_fixed_size: 0
    .sgpr_count:     42
    .sgpr_spill_count: 0
    .symbol:         _ZN2at6native18radixSortKVInPlaceILin1ELin1ELi128ELi8EiljEEvNS_4cuda6detail10TensorInfoIT3_T5_EES6_S6_S6_NS4_IT4_S6_EES6_b.kd
    .uniform_work_group_size: 1
    .uses_dynamic_stack: false
    .vgpr_count:     128
    .vgpr_spill_count: 0
    .wavefront_size: 32
    .workgroup_processor_mode: 1
  - .args:
      - .offset:         0
        .size:           216
        .value_kind:     by_value
      - .offset:         216
        .size:           4
        .value_kind:     by_value
      - .offset:         220
        .size:           4
        .value_kind:     by_value
      - .offset:         224
        .size:           4
        .value_kind:     by_value
      - .offset:         232
        .size:           216
        .value_kind:     by_value
      - .offset:         448
        .size:           4
        .value_kind:     by_value
      - .offset:         452
        .size:           1
        .value_kind:     by_value
      - .offset:         456
        .size:           4
        .value_kind:     hidden_block_count_x
      - .offset:         460
        .size:           4
        .value_kind:     hidden_block_count_y
      - .offset:         464
        .size:           4
        .value_kind:     hidden_block_count_z
      - .offset:         468
        .size:           2
        .value_kind:     hidden_group_size_x
      - .offset:         470
        .size:           2
        .value_kind:     hidden_group_size_y
      - .offset:         472
        .size:           2
        .value_kind:     hidden_group_size_z
      - .offset:         474
        .size:           2
        .value_kind:     hidden_remainder_x
      - .offset:         476
        .size:           2
        .value_kind:     hidden_remainder_y
      - .offset:         478
        .size:           2
        .value_kind:     hidden_remainder_z
      - .offset:         496
        .size:           8
        .value_kind:     hidden_global_offset_x
      - .offset:         504
        .size:           8
        .value_kind:     hidden_global_offset_y
      - .offset:         512
        .size:           8
        .value_kind:     hidden_global_offset_z
      - .offset:         520
        .size:           2
        .value_kind:     hidden_grid_dims
    .group_segment_fixed_size: 1056
    .kernarg_segment_align: 8
    .kernarg_segment_size: 712
    .language:       OpenCL C
    .language_version:
      - 2
      - 0
    .max_flat_workgroup_size: 32
    .name:           _ZN2at6native18radixSortKVInPlaceILin1ELin1ELi32ELi4EiljEEvNS_4cuda6detail10TensorInfoIT3_T5_EES6_S6_S6_NS4_IT4_S6_EES6_b
    .private_segment_fixed_size: 0
    .sgpr_count:     30
    .sgpr_spill_count: 0
    .symbol:         _ZN2at6native18radixSortKVInPlaceILin1ELin1ELi32ELi4EiljEEvNS_4cuda6detail10TensorInfoIT3_T5_EES6_S6_S6_NS4_IT4_S6_EES6_b.kd
    .uniform_work_group_size: 1
    .uses_dynamic_stack: false
    .vgpr_count:     74
    .vgpr_spill_count: 0
    .wavefront_size: 32
    .workgroup_processor_mode: 1
  - .args:
      - .offset:         0
        .size:           216
        .value_kind:     by_value
      - .offset:         216
        .size:           4
        .value_kind:     by_value
      - .offset:         220
        .size:           4
        .value_kind:     by_value
      - .offset:         224
        .size:           4
        .value_kind:     by_value
      - .offset:         232
        .size:           216
        .value_kind:     by_value
      - .offset:         448
        .size:           4
        .value_kind:     by_value
      - .offset:         452
        .size:           1
        .value_kind:     by_value
      - .offset:         456
        .size:           4
        .value_kind:     hidden_block_count_x
      - .offset:         460
        .size:           4
        .value_kind:     hidden_block_count_y
      - .offset:         464
        .size:           4
        .value_kind:     hidden_block_count_z
      - .offset:         468
        .size:           2
        .value_kind:     hidden_group_size_x
      - .offset:         470
        .size:           2
        .value_kind:     hidden_group_size_y
      - .offset:         472
        .size:           2
        .value_kind:     hidden_group_size_z
      - .offset:         474
        .size:           2
        .value_kind:     hidden_remainder_x
      - .offset:         476
        .size:           2
        .value_kind:     hidden_remainder_y
      - .offset:         478
        .size:           2
        .value_kind:     hidden_remainder_z
      - .offset:         496
        .size:           8
        .value_kind:     hidden_global_offset_x
      - .offset:         504
        .size:           8
        .value_kind:     hidden_global_offset_y
      - .offset:         512
        .size:           8
        .value_kind:     hidden_global_offset_z
      - .offset:         520
        .size:           2
        .value_kind:     hidden_grid_dims
    .group_segment_fixed_size: 528
    .kernarg_segment_align: 8
    .kernarg_segment_size: 712
    .language:       OpenCL C
    .language_version:
      - 2
      - 0
    .max_flat_workgroup_size: 16
    .name:           _ZN2at6native18radixSortKVInPlaceILin1ELin1ELi16ELi2EiljEEvNS_4cuda6detail10TensorInfoIT3_T5_EES6_S6_S6_NS4_IT4_S6_EES6_b
    .private_segment_fixed_size: 0
    .sgpr_count:     28
    .sgpr_spill_count: 0
    .symbol:         _ZN2at6native18radixSortKVInPlaceILin1ELin1ELi16ELi2EiljEEvNS_4cuda6detail10TensorInfoIT3_T5_EES6_S6_S6_NS4_IT4_S6_EES6_b.kd
    .uniform_work_group_size: 1
    .uses_dynamic_stack: false
    .vgpr_count:     41
    .vgpr_spill_count: 0
    .wavefront_size: 32
    .workgroup_processor_mode: 1
  - .args:
      - .offset:         0
        .size:           416
        .value_kind:     by_value
      - .offset:         416
        .size:           8
        .value_kind:     by_value
      - .offset:         424
        .size:           8
        .value_kind:     by_value
      - .offset:         432
        .size:           8
        .value_kind:     by_value
      - .offset:         440
        .size:           416
        .value_kind:     by_value
      - .offset:         856
        .size:           8
        .value_kind:     by_value
      - .offset:         864
        .size:           1
        .value_kind:     by_value
      - .offset:         872
        .size:           4
        .value_kind:     hidden_block_count_x
      - .offset:         876
        .size:           4
        .value_kind:     hidden_block_count_y
      - .offset:         880
        .size:           4
        .value_kind:     hidden_block_count_z
      - .offset:         884
        .size:           2
        .value_kind:     hidden_group_size_x
      - .offset:         886
        .size:           2
        .value_kind:     hidden_group_size_y
      - .offset:         888
        .size:           2
        .value_kind:     hidden_group_size_z
      - .offset:         890
        .size:           2
        .value_kind:     hidden_remainder_x
      - .offset:         892
        .size:           2
        .value_kind:     hidden_remainder_y
      - .offset:         894
        .size:           2
        .value_kind:     hidden_remainder_z
      - .offset:         912
        .size:           8
        .value_kind:     hidden_global_offset_x
      - .offset:         920
        .size:           8
        .value_kind:     hidden_global_offset_y
      - .offset:         928
        .size:           8
        .value_kind:     hidden_global_offset_z
      - .offset:         936
        .size:           2
        .value_kind:     hidden_grid_dims
    .group_segment_fixed_size: 33792
    .kernarg_segment_align: 8
    .kernarg_segment_size: 1128
    .language:       OpenCL C
    .language_version:
      - 2
      - 0
    .max_flat_workgroup_size: 512
    .name:           _ZN2at6native18radixSortKVInPlaceILin1ELin1ELi512ELi8EilmEEvNS_4cuda6detail10TensorInfoIT3_T5_EES6_S6_S6_NS4_IT4_S6_EES6_b
    .private_segment_fixed_size: 0
    .sgpr_count:     38
    .sgpr_spill_count: 0
    .symbol:         _ZN2at6native18radixSortKVInPlaceILin1ELin1ELi512ELi8EilmEEvNS_4cuda6detail10TensorInfoIT3_T5_EES6_S6_S6_NS4_IT4_S6_EES6_b.kd
    .uniform_work_group_size: 1
    .uses_dynamic_stack: false
    .vgpr_count:     125
    .vgpr_spill_count: 0
    .wavefront_size: 32
    .workgroup_processor_mode: 1
  - .args:
      - .offset:         0
        .size:           416
        .value_kind:     by_value
      - .offset:         416
        .size:           8
        .value_kind:     by_value
      - .offset:         424
        .size:           8
        .value_kind:     by_value
      - .offset:         432
        .size:           8
        .value_kind:     by_value
      - .offset:         440
        .size:           416
        .value_kind:     by_value
      - .offset:         856
        .size:           8
        .value_kind:     by_value
      - .offset:         864
        .size:           1
        .value_kind:     by_value
      - .offset:         872
        .size:           4
        .value_kind:     hidden_block_count_x
      - .offset:         876
        .size:           4
        .value_kind:     hidden_block_count_y
      - .offset:         880
        .size:           4
        .value_kind:     hidden_block_count_z
      - .offset:         884
        .size:           2
        .value_kind:     hidden_group_size_x
      - .offset:         886
        .size:           2
        .value_kind:     hidden_group_size_y
      - .offset:         888
        .size:           2
        .value_kind:     hidden_group_size_z
      - .offset:         890
        .size:           2
        .value_kind:     hidden_remainder_x
      - .offset:         892
        .size:           2
        .value_kind:     hidden_remainder_y
      - .offset:         894
        .size:           2
        .value_kind:     hidden_remainder_z
      - .offset:         912
        .size:           8
        .value_kind:     hidden_global_offset_x
      - .offset:         920
        .size:           8
        .value_kind:     hidden_global_offset_y
      - .offset:         928
        .size:           8
        .value_kind:     hidden_global_offset_z
      - .offset:         936
        .size:           2
        .value_kind:     hidden_grid_dims
    .group_segment_fixed_size: 16896
    .kernarg_segment_align: 8
    .kernarg_segment_size: 1128
    .language:       OpenCL C
    .language_version:
      - 2
      - 0
    .max_flat_workgroup_size: 256
    .name:           _ZN2at6native18radixSortKVInPlaceILin1ELin1ELi256ELi8EilmEEvNS_4cuda6detail10TensorInfoIT3_T5_EES6_S6_S6_NS4_IT4_S6_EES6_b
    .private_segment_fixed_size: 0
    .sgpr_count:     42
    .sgpr_spill_count: 0
    .symbol:         _ZN2at6native18radixSortKVInPlaceILin1ELin1ELi256ELi8EilmEEvNS_4cuda6detail10TensorInfoIT3_T5_EES6_S6_S6_NS4_IT4_S6_EES6_b.kd
    .uniform_work_group_size: 1
    .uses_dynamic_stack: false
    .vgpr_count:     126
    .vgpr_spill_count: 0
    .wavefront_size: 32
    .workgroup_processor_mode: 1
  - .args:
      - .offset:         0
        .size:           416
        .value_kind:     by_value
      - .offset:         416
        .size:           8
        .value_kind:     by_value
      - .offset:         424
        .size:           8
        .value_kind:     by_value
      - .offset:         432
        .size:           8
        .value_kind:     by_value
      - .offset:         440
        .size:           416
        .value_kind:     by_value
      - .offset:         856
        .size:           8
        .value_kind:     by_value
      - .offset:         864
        .size:           1
        .value_kind:     by_value
      - .offset:         872
        .size:           4
        .value_kind:     hidden_block_count_x
      - .offset:         876
        .size:           4
        .value_kind:     hidden_block_count_y
      - .offset:         880
        .size:           4
        .value_kind:     hidden_block_count_z
      - .offset:         884
        .size:           2
        .value_kind:     hidden_group_size_x
      - .offset:         886
        .size:           2
        .value_kind:     hidden_group_size_y
      - .offset:         888
        .size:           2
        .value_kind:     hidden_group_size_z
      - .offset:         890
        .size:           2
        .value_kind:     hidden_remainder_x
      - .offset:         892
        .size:           2
        .value_kind:     hidden_remainder_y
      - .offset:         894
        .size:           2
        .value_kind:     hidden_remainder_z
      - .offset:         912
        .size:           8
        .value_kind:     hidden_global_offset_x
      - .offset:         920
        .size:           8
        .value_kind:     hidden_global_offset_y
      - .offset:         928
        .size:           8
        .value_kind:     hidden_global_offset_z
      - .offset:         936
        .size:           2
        .value_kind:     hidden_grid_dims
    .group_segment_fixed_size: 8448
    .kernarg_segment_align: 8
    .kernarg_segment_size: 1128
    .language:       OpenCL C
    .language_version:
      - 2
      - 0
    .max_flat_workgroup_size: 128
    .name:           _ZN2at6native18radixSortKVInPlaceILin1ELin1ELi128ELi8EilmEEvNS_4cuda6detail10TensorInfoIT3_T5_EES6_S6_S6_NS4_IT4_S6_EES6_b
    .private_segment_fixed_size: 0
    .sgpr_count:     42
    .sgpr_spill_count: 0
    .symbol:         _ZN2at6native18radixSortKVInPlaceILin1ELin1ELi128ELi8EilmEEvNS_4cuda6detail10TensorInfoIT3_T5_EES6_S6_S6_NS4_IT4_S6_EES6_b.kd
    .uniform_work_group_size: 1
    .uses_dynamic_stack: false
    .vgpr_count:     126
    .vgpr_spill_count: 0
    .wavefront_size: 32
    .workgroup_processor_mode: 1
  - .args:
      - .offset:         0
        .size:           416
        .value_kind:     by_value
      - .offset:         416
        .size:           8
        .value_kind:     by_value
      - .offset:         424
        .size:           8
        .value_kind:     by_value
      - .offset:         432
        .size:           8
        .value_kind:     by_value
      - .offset:         440
        .size:           416
        .value_kind:     by_value
      - .offset:         856
        .size:           8
        .value_kind:     by_value
      - .offset:         864
        .size:           1
        .value_kind:     by_value
      - .offset:         872
        .size:           4
        .value_kind:     hidden_block_count_x
      - .offset:         876
        .size:           4
        .value_kind:     hidden_block_count_y
      - .offset:         880
        .size:           4
        .value_kind:     hidden_block_count_z
      - .offset:         884
        .size:           2
        .value_kind:     hidden_group_size_x
      - .offset:         886
        .size:           2
        .value_kind:     hidden_group_size_y
      - .offset:         888
        .size:           2
        .value_kind:     hidden_group_size_z
      - .offset:         890
        .size:           2
        .value_kind:     hidden_remainder_x
      - .offset:         892
        .size:           2
        .value_kind:     hidden_remainder_y
      - .offset:         894
        .size:           2
        .value_kind:     hidden_remainder_z
      - .offset:         912
        .size:           8
        .value_kind:     hidden_global_offset_x
      - .offset:         920
        .size:           8
        .value_kind:     hidden_global_offset_y
      - .offset:         928
        .size:           8
        .value_kind:     hidden_global_offset_z
      - .offset:         936
        .size:           2
        .value_kind:     hidden_grid_dims
    .group_segment_fixed_size: 1056
    .kernarg_segment_align: 8
    .kernarg_segment_size: 1128
    .language:       OpenCL C
    .language_version:
      - 2
      - 0
    .max_flat_workgroup_size: 32
    .name:           _ZN2at6native18radixSortKVInPlaceILin1ELin1ELi32ELi4EilmEEvNS_4cuda6detail10TensorInfoIT3_T5_EES6_S6_S6_NS4_IT4_S6_EES6_b
    .private_segment_fixed_size: 0
    .sgpr_count:     38
    .sgpr_spill_count: 0
    .symbol:         _ZN2at6native18radixSortKVInPlaceILin1ELin1ELi32ELi4EilmEEvNS_4cuda6detail10TensorInfoIT3_T5_EES6_S6_S6_NS4_IT4_S6_EES6_b.kd
    .uniform_work_group_size: 1
    .uses_dynamic_stack: false
    .vgpr_count:     72
    .vgpr_spill_count: 0
    .wavefront_size: 32
    .workgroup_processor_mode: 1
  - .args:
      - .offset:         0
        .size:           416
        .value_kind:     by_value
      - .offset:         416
        .size:           8
        .value_kind:     by_value
      - .offset:         424
        .size:           8
        .value_kind:     by_value
      - .offset:         432
        .size:           8
        .value_kind:     by_value
      - .offset:         440
        .size:           416
        .value_kind:     by_value
      - .offset:         856
        .size:           8
        .value_kind:     by_value
      - .offset:         864
        .size:           1
        .value_kind:     by_value
      - .offset:         872
        .size:           4
        .value_kind:     hidden_block_count_x
      - .offset:         876
        .size:           4
        .value_kind:     hidden_block_count_y
      - .offset:         880
        .size:           4
        .value_kind:     hidden_block_count_z
      - .offset:         884
        .size:           2
        .value_kind:     hidden_group_size_x
      - .offset:         886
        .size:           2
        .value_kind:     hidden_group_size_y
      - .offset:         888
        .size:           2
        .value_kind:     hidden_group_size_z
      - .offset:         890
        .size:           2
        .value_kind:     hidden_remainder_x
      - .offset:         892
        .size:           2
        .value_kind:     hidden_remainder_y
      - .offset:         894
        .size:           2
        .value_kind:     hidden_remainder_z
      - .offset:         912
        .size:           8
        .value_kind:     hidden_global_offset_x
      - .offset:         920
        .size:           8
        .value_kind:     hidden_global_offset_y
      - .offset:         928
        .size:           8
        .value_kind:     hidden_global_offset_z
      - .offset:         936
        .size:           2
        .value_kind:     hidden_grid_dims
    .group_segment_fixed_size: 528
    .kernarg_segment_align: 8
    .kernarg_segment_size: 1128
    .language:       OpenCL C
    .language_version:
      - 2
      - 0
    .max_flat_workgroup_size: 16
    .name:           _ZN2at6native18radixSortKVInPlaceILin1ELin1ELi16ELi2EilmEEvNS_4cuda6detail10TensorInfoIT3_T5_EES6_S6_S6_NS4_IT4_S6_EES6_b
    .private_segment_fixed_size: 0
    .sgpr_count:     36
    .sgpr_spill_count: 0
    .symbol:         _ZN2at6native18radixSortKVInPlaceILin1ELin1ELi16ELi2EilmEEvNS_4cuda6detail10TensorInfoIT3_T5_EES6_S6_S6_NS4_IT4_S6_EES6_b.kd
    .uniform_work_group_size: 1
    .uses_dynamic_stack: false
    .vgpr_count:     39
    .vgpr_spill_count: 0
    .wavefront_size: 32
    .workgroup_processor_mode: 1
  - .args:
      - .offset:         0
        .size:           216
        .value_kind:     by_value
      - .offset:         216
        .size:           4
        .value_kind:     by_value
      - .offset:         220
        .size:           4
        .value_kind:     by_value
      - .offset:         224
        .size:           4
        .value_kind:     by_value
      - .offset:         232
        .size:           216
        .value_kind:     by_value
      - .offset:         448
        .size:           4
        .value_kind:     by_value
      - .offset:         452
        .size:           1
        .value_kind:     by_value
      - .offset:         456
        .size:           4
        .value_kind:     hidden_block_count_x
      - .offset:         460
        .size:           4
        .value_kind:     hidden_block_count_y
      - .offset:         464
        .size:           4
        .value_kind:     hidden_block_count_z
      - .offset:         468
        .size:           2
        .value_kind:     hidden_group_size_x
      - .offset:         470
        .size:           2
        .value_kind:     hidden_group_size_y
      - .offset:         472
        .size:           2
        .value_kind:     hidden_group_size_z
      - .offset:         474
        .size:           2
        .value_kind:     hidden_remainder_x
      - .offset:         476
        .size:           2
        .value_kind:     hidden_remainder_y
      - .offset:         478
        .size:           2
        .value_kind:     hidden_remainder_z
      - .offset:         496
        .size:           8
        .value_kind:     hidden_global_offset_x
      - .offset:         504
        .size:           8
        .value_kind:     hidden_global_offset_y
      - .offset:         512
        .size:           8
        .value_kind:     hidden_global_offset_z
      - .offset:         520
        .size:           2
        .value_kind:     hidden_grid_dims
    .group_segment_fixed_size: 33792
    .kernarg_segment_align: 8
    .kernarg_segment_size: 712
    .language:       OpenCL C
    .language_version:
      - 2
      - 0
    .max_flat_workgroup_size: 512
    .name:           _ZN2at6native18radixSortKVInPlaceILin2ELin1ELi512ELi8ElljEEvNS_4cuda6detail10TensorInfoIT3_T5_EES6_S6_S6_NS4_IT4_S6_EES6_b
    .private_segment_fixed_size: 0
    .sgpr_count:     38
    .sgpr_spill_count: 0
    .symbol:         _ZN2at6native18radixSortKVInPlaceILin2ELin1ELi512ELi8ElljEEvNS_4cuda6detail10TensorInfoIT3_T5_EES6_S6_S6_NS4_IT4_S6_EES6_b.kd
    .uniform_work_group_size: 1
    .uses_dynamic_stack: false
    .vgpr_count:     140
    .vgpr_spill_count: 0
    .wavefront_size: 32
    .workgroup_processor_mode: 1
  - .args:
      - .offset:         0
        .size:           216
        .value_kind:     by_value
      - .offset:         216
        .size:           4
        .value_kind:     by_value
      - .offset:         220
        .size:           4
        .value_kind:     by_value
      - .offset:         224
        .size:           4
        .value_kind:     by_value
      - .offset:         232
        .size:           216
        .value_kind:     by_value
      - .offset:         448
        .size:           4
        .value_kind:     by_value
      - .offset:         452
        .size:           1
        .value_kind:     by_value
      - .offset:         456
        .size:           4
        .value_kind:     hidden_block_count_x
      - .offset:         460
        .size:           4
        .value_kind:     hidden_block_count_y
      - .offset:         464
        .size:           4
        .value_kind:     hidden_block_count_z
      - .offset:         468
        .size:           2
        .value_kind:     hidden_group_size_x
      - .offset:         470
        .size:           2
        .value_kind:     hidden_group_size_y
      - .offset:         472
        .size:           2
        .value_kind:     hidden_group_size_z
      - .offset:         474
        .size:           2
        .value_kind:     hidden_remainder_x
      - .offset:         476
        .size:           2
        .value_kind:     hidden_remainder_y
      - .offset:         478
        .size:           2
        .value_kind:     hidden_remainder_z
      - .offset:         496
        .size:           8
        .value_kind:     hidden_global_offset_x
      - .offset:         504
        .size:           8
        .value_kind:     hidden_global_offset_y
      - .offset:         512
        .size:           8
        .value_kind:     hidden_global_offset_z
      - .offset:         520
        .size:           2
        .value_kind:     hidden_grid_dims
    .group_segment_fixed_size: 16896
    .kernarg_segment_align: 8
    .kernarg_segment_size: 712
    .language:       OpenCL C
    .language_version:
      - 2
      - 0
    .max_flat_workgroup_size: 256
    .name:           _ZN2at6native18radixSortKVInPlaceILin2ELin1ELi256ELi8ElljEEvNS_4cuda6detail10TensorInfoIT3_T5_EES6_S6_S6_NS4_IT4_S6_EES6_b
    .private_segment_fixed_size: 0
    .sgpr_count:     40
    .sgpr_spill_count: 0
    .symbol:         _ZN2at6native18radixSortKVInPlaceILin2ELin1ELi256ELi8ElljEEvNS_4cuda6detail10TensorInfoIT3_T5_EES6_S6_S6_NS4_IT4_S6_EES6_b.kd
    .uniform_work_group_size: 1
    .uses_dynamic_stack: false
    .vgpr_count:     141
    .vgpr_spill_count: 0
    .wavefront_size: 32
    .workgroup_processor_mode: 1
  - .args:
      - .offset:         0
        .size:           216
        .value_kind:     by_value
      - .offset:         216
        .size:           4
        .value_kind:     by_value
      - .offset:         220
        .size:           4
        .value_kind:     by_value
      - .offset:         224
        .size:           4
        .value_kind:     by_value
      - .offset:         232
        .size:           216
        .value_kind:     by_value
      - .offset:         448
        .size:           4
        .value_kind:     by_value
      - .offset:         452
        .size:           1
        .value_kind:     by_value
      - .offset:         456
        .size:           4
        .value_kind:     hidden_block_count_x
      - .offset:         460
        .size:           4
        .value_kind:     hidden_block_count_y
      - .offset:         464
        .size:           4
        .value_kind:     hidden_block_count_z
      - .offset:         468
        .size:           2
        .value_kind:     hidden_group_size_x
      - .offset:         470
        .size:           2
        .value_kind:     hidden_group_size_y
      - .offset:         472
        .size:           2
        .value_kind:     hidden_group_size_z
      - .offset:         474
        .size:           2
        .value_kind:     hidden_remainder_x
      - .offset:         476
        .size:           2
        .value_kind:     hidden_remainder_y
      - .offset:         478
        .size:           2
        .value_kind:     hidden_remainder_z
      - .offset:         496
        .size:           8
        .value_kind:     hidden_global_offset_x
      - .offset:         504
        .size:           8
        .value_kind:     hidden_global_offset_y
      - .offset:         512
        .size:           8
        .value_kind:     hidden_global_offset_z
      - .offset:         520
        .size:           2
        .value_kind:     hidden_grid_dims
    .group_segment_fixed_size: 8448
    .kernarg_segment_align: 8
    .kernarg_segment_size: 712
    .language:       OpenCL C
    .language_version:
      - 2
      - 0
    .max_flat_workgroup_size: 128
    .name:           _ZN2at6native18radixSortKVInPlaceILin2ELin1ELi128ELi8ElljEEvNS_4cuda6detail10TensorInfoIT3_T5_EES6_S6_S6_NS4_IT4_S6_EES6_b
    .private_segment_fixed_size: 0
    .sgpr_count:     42
    .sgpr_spill_count: 0
    .symbol:         _ZN2at6native18radixSortKVInPlaceILin2ELin1ELi128ELi8ElljEEvNS_4cuda6detail10TensorInfoIT3_T5_EES6_S6_S6_NS4_IT4_S6_EES6_b.kd
    .uniform_work_group_size: 1
    .uses_dynamic_stack: false
    .vgpr_count:     141
    .vgpr_spill_count: 0
    .wavefront_size: 32
    .workgroup_processor_mode: 1
  - .args:
      - .offset:         0
        .size:           216
        .value_kind:     by_value
      - .offset:         216
        .size:           4
        .value_kind:     by_value
      - .offset:         220
        .size:           4
        .value_kind:     by_value
      - .offset:         224
        .size:           4
        .value_kind:     by_value
      - .offset:         232
        .size:           216
        .value_kind:     by_value
      - .offset:         448
        .size:           4
        .value_kind:     by_value
      - .offset:         452
        .size:           1
        .value_kind:     by_value
      - .offset:         456
        .size:           4
        .value_kind:     hidden_block_count_x
      - .offset:         460
        .size:           4
        .value_kind:     hidden_block_count_y
      - .offset:         464
        .size:           4
        .value_kind:     hidden_block_count_z
      - .offset:         468
        .size:           2
        .value_kind:     hidden_group_size_x
      - .offset:         470
        .size:           2
        .value_kind:     hidden_group_size_y
      - .offset:         472
        .size:           2
        .value_kind:     hidden_group_size_z
      - .offset:         474
        .size:           2
        .value_kind:     hidden_remainder_x
      - .offset:         476
        .size:           2
        .value_kind:     hidden_remainder_y
      - .offset:         478
        .size:           2
        .value_kind:     hidden_remainder_z
      - .offset:         496
        .size:           8
        .value_kind:     hidden_global_offset_x
      - .offset:         504
        .size:           8
        .value_kind:     hidden_global_offset_y
      - .offset:         512
        .size:           8
        .value_kind:     hidden_global_offset_z
      - .offset:         520
        .size:           2
        .value_kind:     hidden_grid_dims
    .group_segment_fixed_size: 1056
    .kernarg_segment_align: 8
    .kernarg_segment_size: 712
    .language:       OpenCL C
    .language_version:
      - 2
      - 0
    .max_flat_workgroup_size: 32
    .name:           _ZN2at6native18radixSortKVInPlaceILin2ELin1ELi32ELi4ElljEEvNS_4cuda6detail10TensorInfoIT3_T5_EES6_S6_S6_NS4_IT4_S6_EES6_b
    .private_segment_fixed_size: 0
    .sgpr_count:     28
    .sgpr_spill_count: 0
    .symbol:         _ZN2at6native18radixSortKVInPlaceILin2ELin1ELi32ELi4ElljEEvNS_4cuda6detail10TensorInfoIT3_T5_EES6_S6_S6_NS4_IT4_S6_EES6_b.kd
    .uniform_work_group_size: 1
    .uses_dynamic_stack: false
    .vgpr_count:     72
    .vgpr_spill_count: 0
    .wavefront_size: 32
    .workgroup_processor_mode: 1
  - .args:
      - .offset:         0
        .size:           216
        .value_kind:     by_value
      - .offset:         216
        .size:           4
        .value_kind:     by_value
      - .offset:         220
        .size:           4
        .value_kind:     by_value
      - .offset:         224
        .size:           4
        .value_kind:     by_value
      - .offset:         232
        .size:           216
        .value_kind:     by_value
      - .offset:         448
        .size:           4
        .value_kind:     by_value
      - .offset:         452
        .size:           1
        .value_kind:     by_value
      - .offset:         456
        .size:           4
        .value_kind:     hidden_block_count_x
      - .offset:         460
        .size:           4
        .value_kind:     hidden_block_count_y
      - .offset:         464
        .size:           4
        .value_kind:     hidden_block_count_z
      - .offset:         468
        .size:           2
        .value_kind:     hidden_group_size_x
      - .offset:         470
        .size:           2
        .value_kind:     hidden_group_size_y
      - .offset:         472
        .size:           2
        .value_kind:     hidden_group_size_z
      - .offset:         474
        .size:           2
        .value_kind:     hidden_remainder_x
      - .offset:         476
        .size:           2
        .value_kind:     hidden_remainder_y
      - .offset:         478
        .size:           2
        .value_kind:     hidden_remainder_z
      - .offset:         496
        .size:           8
        .value_kind:     hidden_global_offset_x
      - .offset:         504
        .size:           8
        .value_kind:     hidden_global_offset_y
      - .offset:         512
        .size:           8
        .value_kind:     hidden_global_offset_z
      - .offset:         520
        .size:           2
        .value_kind:     hidden_grid_dims
    .group_segment_fixed_size: 528
    .kernarg_segment_align: 8
    .kernarg_segment_size: 712
    .language:       OpenCL C
    .language_version:
      - 2
      - 0
    .max_flat_workgroup_size: 16
    .name:           _ZN2at6native18radixSortKVInPlaceILin2ELin1ELi16ELi2ElljEEvNS_4cuda6detail10TensorInfoIT3_T5_EES6_S6_S6_NS4_IT4_S6_EES6_b
    .private_segment_fixed_size: 0
    .sgpr_count:     27
    .sgpr_spill_count: 0
    .symbol:         _ZN2at6native18radixSortKVInPlaceILin2ELin1ELi16ELi2ElljEEvNS_4cuda6detail10TensorInfoIT3_T5_EES6_S6_S6_NS4_IT4_S6_EES6_b.kd
    .uniform_work_group_size: 1
    .uses_dynamic_stack: false
    .vgpr_count:     44
    .vgpr_spill_count: 0
    .wavefront_size: 32
    .workgroup_processor_mode: 1
  - .args:
      - .offset:         0
        .size:           216
        .value_kind:     by_value
      - .offset:         216
        .size:           4
        .value_kind:     by_value
      - .offset:         220
        .size:           4
        .value_kind:     by_value
      - .offset:         224
        .size:           4
        .value_kind:     by_value
      - .offset:         232
        .size:           216
        .value_kind:     by_value
      - .offset:         448
        .size:           4
        .value_kind:     by_value
      - .offset:         452
        .size:           1
        .value_kind:     by_value
      - .offset:         456
        .size:           4
        .value_kind:     hidden_block_count_x
      - .offset:         460
        .size:           4
        .value_kind:     hidden_block_count_y
      - .offset:         464
        .size:           4
        .value_kind:     hidden_block_count_z
      - .offset:         468
        .size:           2
        .value_kind:     hidden_group_size_x
      - .offset:         470
        .size:           2
        .value_kind:     hidden_group_size_y
      - .offset:         472
        .size:           2
        .value_kind:     hidden_group_size_z
      - .offset:         474
        .size:           2
        .value_kind:     hidden_remainder_x
      - .offset:         476
        .size:           2
        .value_kind:     hidden_remainder_y
      - .offset:         478
        .size:           2
        .value_kind:     hidden_remainder_z
      - .offset:         496
        .size:           8
        .value_kind:     hidden_global_offset_x
      - .offset:         504
        .size:           8
        .value_kind:     hidden_global_offset_y
      - .offset:         512
        .size:           8
        .value_kind:     hidden_global_offset_z
      - .offset:         520
        .size:           2
        .value_kind:     hidden_grid_dims
    .group_segment_fixed_size: 33792
    .kernarg_segment_align: 8
    .kernarg_segment_size: 712
    .language:       OpenCL C
    .language_version:
      - 2
      - 0
    .max_flat_workgroup_size: 512
    .name:           _ZN2at6native18radixSortKVInPlaceILi2ELin1ELi512ELi8ElljEEvNS_4cuda6detail10TensorInfoIT3_T5_EES6_S6_S6_NS4_IT4_S6_EES6_b
    .private_segment_fixed_size: 0
    .sgpr_count:     38
    .sgpr_spill_count: 0
    .symbol:         _ZN2at6native18radixSortKVInPlaceILi2ELin1ELi512ELi8ElljEEvNS_4cuda6detail10TensorInfoIT3_T5_EES6_S6_S6_NS4_IT4_S6_EES6_b.kd
    .uniform_work_group_size: 1
    .uses_dynamic_stack: false
    .vgpr_count:     140
    .vgpr_spill_count: 0
    .wavefront_size: 32
    .workgroup_processor_mode: 1
  - .args:
      - .offset:         0
        .size:           216
        .value_kind:     by_value
      - .offset:         216
        .size:           4
        .value_kind:     by_value
      - .offset:         220
        .size:           4
        .value_kind:     by_value
      - .offset:         224
        .size:           4
        .value_kind:     by_value
      - .offset:         232
        .size:           216
        .value_kind:     by_value
      - .offset:         448
        .size:           4
        .value_kind:     by_value
      - .offset:         452
        .size:           1
        .value_kind:     by_value
      - .offset:         456
        .size:           4
        .value_kind:     hidden_block_count_x
      - .offset:         460
        .size:           4
        .value_kind:     hidden_block_count_y
      - .offset:         464
        .size:           4
        .value_kind:     hidden_block_count_z
      - .offset:         468
        .size:           2
        .value_kind:     hidden_group_size_x
      - .offset:         470
        .size:           2
        .value_kind:     hidden_group_size_y
      - .offset:         472
        .size:           2
        .value_kind:     hidden_group_size_z
      - .offset:         474
        .size:           2
        .value_kind:     hidden_remainder_x
      - .offset:         476
        .size:           2
        .value_kind:     hidden_remainder_y
      - .offset:         478
        .size:           2
        .value_kind:     hidden_remainder_z
      - .offset:         496
        .size:           8
        .value_kind:     hidden_global_offset_x
      - .offset:         504
        .size:           8
        .value_kind:     hidden_global_offset_y
      - .offset:         512
        .size:           8
        .value_kind:     hidden_global_offset_z
      - .offset:         520
        .size:           2
        .value_kind:     hidden_grid_dims
    .group_segment_fixed_size: 16896
    .kernarg_segment_align: 8
    .kernarg_segment_size: 712
    .language:       OpenCL C
    .language_version:
      - 2
      - 0
    .max_flat_workgroup_size: 256
    .name:           _ZN2at6native18radixSortKVInPlaceILi2ELin1ELi256ELi8ElljEEvNS_4cuda6detail10TensorInfoIT3_T5_EES6_S6_S6_NS4_IT4_S6_EES6_b
    .private_segment_fixed_size: 0
    .sgpr_count:     40
    .sgpr_spill_count: 0
    .symbol:         _ZN2at6native18radixSortKVInPlaceILi2ELin1ELi256ELi8ElljEEvNS_4cuda6detail10TensorInfoIT3_T5_EES6_S6_S6_NS4_IT4_S6_EES6_b.kd
    .uniform_work_group_size: 1
    .uses_dynamic_stack: false
    .vgpr_count:     141
    .vgpr_spill_count: 0
    .wavefront_size: 32
    .workgroup_processor_mode: 1
  - .args:
      - .offset:         0
        .size:           216
        .value_kind:     by_value
      - .offset:         216
        .size:           4
        .value_kind:     by_value
      - .offset:         220
        .size:           4
        .value_kind:     by_value
      - .offset:         224
        .size:           4
        .value_kind:     by_value
      - .offset:         232
        .size:           216
        .value_kind:     by_value
      - .offset:         448
        .size:           4
        .value_kind:     by_value
      - .offset:         452
        .size:           1
        .value_kind:     by_value
      - .offset:         456
        .size:           4
        .value_kind:     hidden_block_count_x
      - .offset:         460
        .size:           4
        .value_kind:     hidden_block_count_y
      - .offset:         464
        .size:           4
        .value_kind:     hidden_block_count_z
      - .offset:         468
        .size:           2
        .value_kind:     hidden_group_size_x
      - .offset:         470
        .size:           2
        .value_kind:     hidden_group_size_y
      - .offset:         472
        .size:           2
        .value_kind:     hidden_group_size_z
      - .offset:         474
        .size:           2
        .value_kind:     hidden_remainder_x
      - .offset:         476
        .size:           2
        .value_kind:     hidden_remainder_y
      - .offset:         478
        .size:           2
        .value_kind:     hidden_remainder_z
      - .offset:         496
        .size:           8
        .value_kind:     hidden_global_offset_x
      - .offset:         504
        .size:           8
        .value_kind:     hidden_global_offset_y
      - .offset:         512
        .size:           8
        .value_kind:     hidden_global_offset_z
      - .offset:         520
        .size:           2
        .value_kind:     hidden_grid_dims
    .group_segment_fixed_size: 8448
    .kernarg_segment_align: 8
    .kernarg_segment_size: 712
    .language:       OpenCL C
    .language_version:
      - 2
      - 0
    .max_flat_workgroup_size: 128
    .name:           _ZN2at6native18radixSortKVInPlaceILi2ELin1ELi128ELi8ElljEEvNS_4cuda6detail10TensorInfoIT3_T5_EES6_S6_S6_NS4_IT4_S6_EES6_b
    .private_segment_fixed_size: 0
    .sgpr_count:     42
    .sgpr_spill_count: 0
    .symbol:         _ZN2at6native18radixSortKVInPlaceILi2ELin1ELi128ELi8ElljEEvNS_4cuda6detail10TensorInfoIT3_T5_EES6_S6_S6_NS4_IT4_S6_EES6_b.kd
    .uniform_work_group_size: 1
    .uses_dynamic_stack: false
    .vgpr_count:     141
    .vgpr_spill_count: 0
    .wavefront_size: 32
    .workgroup_processor_mode: 1
  - .args:
      - .offset:         0
        .size:           216
        .value_kind:     by_value
      - .offset:         216
        .size:           4
        .value_kind:     by_value
      - .offset:         220
        .size:           4
        .value_kind:     by_value
      - .offset:         224
        .size:           4
        .value_kind:     by_value
      - .offset:         232
        .size:           216
        .value_kind:     by_value
      - .offset:         448
        .size:           4
        .value_kind:     by_value
      - .offset:         452
        .size:           1
        .value_kind:     by_value
      - .offset:         456
        .size:           4
        .value_kind:     hidden_block_count_x
      - .offset:         460
        .size:           4
        .value_kind:     hidden_block_count_y
      - .offset:         464
        .size:           4
        .value_kind:     hidden_block_count_z
      - .offset:         468
        .size:           2
        .value_kind:     hidden_group_size_x
      - .offset:         470
        .size:           2
        .value_kind:     hidden_group_size_y
      - .offset:         472
        .size:           2
        .value_kind:     hidden_group_size_z
      - .offset:         474
        .size:           2
        .value_kind:     hidden_remainder_x
      - .offset:         476
        .size:           2
        .value_kind:     hidden_remainder_y
      - .offset:         478
        .size:           2
        .value_kind:     hidden_remainder_z
      - .offset:         496
        .size:           8
        .value_kind:     hidden_global_offset_x
      - .offset:         504
        .size:           8
        .value_kind:     hidden_global_offset_y
      - .offset:         512
        .size:           8
        .value_kind:     hidden_global_offset_z
      - .offset:         520
        .size:           2
        .value_kind:     hidden_grid_dims
    .group_segment_fixed_size: 1056
    .kernarg_segment_align: 8
    .kernarg_segment_size: 712
    .language:       OpenCL C
    .language_version:
      - 2
      - 0
    .max_flat_workgroup_size: 32
    .name:           _ZN2at6native18radixSortKVInPlaceILi2ELin1ELi32ELi4ElljEEvNS_4cuda6detail10TensorInfoIT3_T5_EES6_S6_S6_NS4_IT4_S6_EES6_b
    .private_segment_fixed_size: 0
    .sgpr_count:     28
    .sgpr_spill_count: 0
    .symbol:         _ZN2at6native18radixSortKVInPlaceILi2ELin1ELi32ELi4ElljEEvNS_4cuda6detail10TensorInfoIT3_T5_EES6_S6_S6_NS4_IT4_S6_EES6_b.kd
    .uniform_work_group_size: 1
    .uses_dynamic_stack: false
    .vgpr_count:     72
    .vgpr_spill_count: 0
    .wavefront_size: 32
    .workgroup_processor_mode: 1
  - .args:
      - .offset:         0
        .size:           216
        .value_kind:     by_value
      - .offset:         216
        .size:           4
        .value_kind:     by_value
      - .offset:         220
        .size:           4
        .value_kind:     by_value
      - .offset:         224
        .size:           4
        .value_kind:     by_value
      - .offset:         232
        .size:           216
        .value_kind:     by_value
      - .offset:         448
        .size:           4
        .value_kind:     by_value
      - .offset:         452
        .size:           1
        .value_kind:     by_value
      - .offset:         456
        .size:           4
        .value_kind:     hidden_block_count_x
      - .offset:         460
        .size:           4
        .value_kind:     hidden_block_count_y
      - .offset:         464
        .size:           4
        .value_kind:     hidden_block_count_z
      - .offset:         468
        .size:           2
        .value_kind:     hidden_group_size_x
      - .offset:         470
        .size:           2
        .value_kind:     hidden_group_size_y
      - .offset:         472
        .size:           2
        .value_kind:     hidden_group_size_z
      - .offset:         474
        .size:           2
        .value_kind:     hidden_remainder_x
      - .offset:         476
        .size:           2
        .value_kind:     hidden_remainder_y
      - .offset:         478
        .size:           2
        .value_kind:     hidden_remainder_z
      - .offset:         496
        .size:           8
        .value_kind:     hidden_global_offset_x
      - .offset:         504
        .size:           8
        .value_kind:     hidden_global_offset_y
      - .offset:         512
        .size:           8
        .value_kind:     hidden_global_offset_z
      - .offset:         520
        .size:           2
        .value_kind:     hidden_grid_dims
    .group_segment_fixed_size: 528
    .kernarg_segment_align: 8
    .kernarg_segment_size: 712
    .language:       OpenCL C
    .language_version:
      - 2
      - 0
    .max_flat_workgroup_size: 16
    .name:           _ZN2at6native18radixSortKVInPlaceILi2ELin1ELi16ELi2ElljEEvNS_4cuda6detail10TensorInfoIT3_T5_EES6_S6_S6_NS4_IT4_S6_EES6_b
    .private_segment_fixed_size: 0
    .sgpr_count:     27
    .sgpr_spill_count: 0
    .symbol:         _ZN2at6native18radixSortKVInPlaceILi2ELin1ELi16ELi2ElljEEvNS_4cuda6detail10TensorInfoIT3_T5_EES6_S6_S6_NS4_IT4_S6_EES6_b.kd
    .uniform_work_group_size: 1
    .uses_dynamic_stack: false
    .vgpr_count:     44
    .vgpr_spill_count: 0
    .wavefront_size: 32
    .workgroup_processor_mode: 1
  - .args:
      - .offset:         0
        .size:           216
        .value_kind:     by_value
      - .offset:         216
        .size:           4
        .value_kind:     by_value
      - .offset:         220
        .size:           4
        .value_kind:     by_value
      - .offset:         224
        .size:           4
        .value_kind:     by_value
      - .offset:         232
        .size:           216
        .value_kind:     by_value
      - .offset:         448
        .size:           4
        .value_kind:     by_value
      - .offset:         452
        .size:           1
        .value_kind:     by_value
      - .offset:         456
        .size:           4
        .value_kind:     hidden_block_count_x
      - .offset:         460
        .size:           4
        .value_kind:     hidden_block_count_y
      - .offset:         464
        .size:           4
        .value_kind:     hidden_block_count_z
      - .offset:         468
        .size:           2
        .value_kind:     hidden_group_size_x
      - .offset:         470
        .size:           2
        .value_kind:     hidden_group_size_y
      - .offset:         472
        .size:           2
        .value_kind:     hidden_group_size_z
      - .offset:         474
        .size:           2
        .value_kind:     hidden_remainder_x
      - .offset:         476
        .size:           2
        .value_kind:     hidden_remainder_y
      - .offset:         478
        .size:           2
        .value_kind:     hidden_remainder_z
      - .offset:         496
        .size:           8
        .value_kind:     hidden_global_offset_x
      - .offset:         504
        .size:           8
        .value_kind:     hidden_global_offset_y
      - .offset:         512
        .size:           8
        .value_kind:     hidden_global_offset_z
      - .offset:         520
        .size:           2
        .value_kind:     hidden_grid_dims
    .group_segment_fixed_size: 33792
    .kernarg_segment_align: 8
    .kernarg_segment_size: 712
    .language:       OpenCL C
    .language_version:
      - 2
      - 0
    .max_flat_workgroup_size: 512
    .name:           _ZN2at6native18radixSortKVInPlaceILin1ELin1ELi512ELi8ElljEEvNS_4cuda6detail10TensorInfoIT3_T5_EES6_S6_S6_NS4_IT4_S6_EES6_b
    .private_segment_fixed_size: 0
    .sgpr_count:     40
    .sgpr_spill_count: 0
    .symbol:         _ZN2at6native18radixSortKVInPlaceILin1ELin1ELi512ELi8ElljEEvNS_4cuda6detail10TensorInfoIT3_T5_EES6_S6_S6_NS4_IT4_S6_EES6_b.kd
    .uniform_work_group_size: 1
    .uses_dynamic_stack: false
    .vgpr_count:     140
    .vgpr_spill_count: 0
    .wavefront_size: 32
    .workgroup_processor_mode: 1
  - .args:
      - .offset:         0
        .size:           216
        .value_kind:     by_value
      - .offset:         216
        .size:           4
        .value_kind:     by_value
      - .offset:         220
        .size:           4
        .value_kind:     by_value
      - .offset:         224
        .size:           4
        .value_kind:     by_value
      - .offset:         232
        .size:           216
        .value_kind:     by_value
      - .offset:         448
        .size:           4
        .value_kind:     by_value
      - .offset:         452
        .size:           1
        .value_kind:     by_value
      - .offset:         456
        .size:           4
        .value_kind:     hidden_block_count_x
      - .offset:         460
        .size:           4
        .value_kind:     hidden_block_count_y
      - .offset:         464
        .size:           4
        .value_kind:     hidden_block_count_z
      - .offset:         468
        .size:           2
        .value_kind:     hidden_group_size_x
      - .offset:         470
        .size:           2
        .value_kind:     hidden_group_size_y
      - .offset:         472
        .size:           2
        .value_kind:     hidden_group_size_z
      - .offset:         474
        .size:           2
        .value_kind:     hidden_remainder_x
      - .offset:         476
        .size:           2
        .value_kind:     hidden_remainder_y
      - .offset:         478
        .size:           2
        .value_kind:     hidden_remainder_z
      - .offset:         496
        .size:           8
        .value_kind:     hidden_global_offset_x
      - .offset:         504
        .size:           8
        .value_kind:     hidden_global_offset_y
      - .offset:         512
        .size:           8
        .value_kind:     hidden_global_offset_z
      - .offset:         520
        .size:           2
        .value_kind:     hidden_grid_dims
    .group_segment_fixed_size: 16896
    .kernarg_segment_align: 8
    .kernarg_segment_size: 712
    .language:       OpenCL C
    .language_version:
      - 2
      - 0
    .max_flat_workgroup_size: 256
    .name:           _ZN2at6native18radixSortKVInPlaceILin1ELin1ELi256ELi8ElljEEvNS_4cuda6detail10TensorInfoIT3_T5_EES6_S6_S6_NS4_IT4_S6_EES6_b
    .private_segment_fixed_size: 0
    .sgpr_count:     40
    .sgpr_spill_count: 0
    .symbol:         _ZN2at6native18radixSortKVInPlaceILin1ELin1ELi256ELi8ElljEEvNS_4cuda6detail10TensorInfoIT3_T5_EES6_S6_S6_NS4_IT4_S6_EES6_b.kd
    .uniform_work_group_size: 1
    .uses_dynamic_stack: false
    .vgpr_count:     141
    .vgpr_spill_count: 0
    .wavefront_size: 32
    .workgroup_processor_mode: 1
  - .args:
      - .offset:         0
        .size:           216
        .value_kind:     by_value
      - .offset:         216
        .size:           4
        .value_kind:     by_value
      - .offset:         220
        .size:           4
        .value_kind:     by_value
      - .offset:         224
        .size:           4
        .value_kind:     by_value
      - .offset:         232
        .size:           216
        .value_kind:     by_value
      - .offset:         448
        .size:           4
        .value_kind:     by_value
      - .offset:         452
        .size:           1
        .value_kind:     by_value
      - .offset:         456
        .size:           4
        .value_kind:     hidden_block_count_x
      - .offset:         460
        .size:           4
        .value_kind:     hidden_block_count_y
      - .offset:         464
        .size:           4
        .value_kind:     hidden_block_count_z
      - .offset:         468
        .size:           2
        .value_kind:     hidden_group_size_x
      - .offset:         470
        .size:           2
        .value_kind:     hidden_group_size_y
      - .offset:         472
        .size:           2
        .value_kind:     hidden_group_size_z
      - .offset:         474
        .size:           2
        .value_kind:     hidden_remainder_x
      - .offset:         476
        .size:           2
        .value_kind:     hidden_remainder_y
      - .offset:         478
        .size:           2
        .value_kind:     hidden_remainder_z
      - .offset:         496
        .size:           8
        .value_kind:     hidden_global_offset_x
      - .offset:         504
        .size:           8
        .value_kind:     hidden_global_offset_y
      - .offset:         512
        .size:           8
        .value_kind:     hidden_global_offset_z
      - .offset:         520
        .size:           2
        .value_kind:     hidden_grid_dims
    .group_segment_fixed_size: 8448
    .kernarg_segment_align: 8
    .kernarg_segment_size: 712
    .language:       OpenCL C
    .language_version:
      - 2
      - 0
    .max_flat_workgroup_size: 128
    .name:           _ZN2at6native18radixSortKVInPlaceILin1ELin1ELi128ELi8ElljEEvNS_4cuda6detail10TensorInfoIT3_T5_EES6_S6_S6_NS4_IT4_S6_EES6_b
    .private_segment_fixed_size: 0
    .sgpr_count:     42
    .sgpr_spill_count: 0
    .symbol:         _ZN2at6native18radixSortKVInPlaceILin1ELin1ELi128ELi8ElljEEvNS_4cuda6detail10TensorInfoIT3_T5_EES6_S6_S6_NS4_IT4_S6_EES6_b.kd
    .uniform_work_group_size: 1
    .uses_dynamic_stack: false
    .vgpr_count:     141
    .vgpr_spill_count: 0
    .wavefront_size: 32
    .workgroup_processor_mode: 1
  - .args:
      - .offset:         0
        .size:           216
        .value_kind:     by_value
      - .offset:         216
        .size:           4
        .value_kind:     by_value
      - .offset:         220
        .size:           4
        .value_kind:     by_value
      - .offset:         224
        .size:           4
        .value_kind:     by_value
      - .offset:         232
        .size:           216
        .value_kind:     by_value
      - .offset:         448
        .size:           4
        .value_kind:     by_value
      - .offset:         452
        .size:           1
        .value_kind:     by_value
      - .offset:         456
        .size:           4
        .value_kind:     hidden_block_count_x
      - .offset:         460
        .size:           4
        .value_kind:     hidden_block_count_y
      - .offset:         464
        .size:           4
        .value_kind:     hidden_block_count_z
      - .offset:         468
        .size:           2
        .value_kind:     hidden_group_size_x
      - .offset:         470
        .size:           2
        .value_kind:     hidden_group_size_y
      - .offset:         472
        .size:           2
        .value_kind:     hidden_group_size_z
      - .offset:         474
        .size:           2
        .value_kind:     hidden_remainder_x
      - .offset:         476
        .size:           2
        .value_kind:     hidden_remainder_y
      - .offset:         478
        .size:           2
        .value_kind:     hidden_remainder_z
      - .offset:         496
        .size:           8
        .value_kind:     hidden_global_offset_x
      - .offset:         504
        .size:           8
        .value_kind:     hidden_global_offset_y
      - .offset:         512
        .size:           8
        .value_kind:     hidden_global_offset_z
      - .offset:         520
        .size:           2
        .value_kind:     hidden_grid_dims
    .group_segment_fixed_size: 1056
    .kernarg_segment_align: 8
    .kernarg_segment_size: 712
    .language:       OpenCL C
    .language_version:
      - 2
      - 0
    .max_flat_workgroup_size: 32
    .name:           _ZN2at6native18radixSortKVInPlaceILin1ELin1ELi32ELi4ElljEEvNS_4cuda6detail10TensorInfoIT3_T5_EES6_S6_S6_NS4_IT4_S6_EES6_b
    .private_segment_fixed_size: 0
    .sgpr_count:     28
    .sgpr_spill_count: 0
    .symbol:         _ZN2at6native18radixSortKVInPlaceILin1ELin1ELi32ELi4ElljEEvNS_4cuda6detail10TensorInfoIT3_T5_EES6_S6_S6_NS4_IT4_S6_EES6_b.kd
    .uniform_work_group_size: 1
    .uses_dynamic_stack: false
    .vgpr_count:     72
    .vgpr_spill_count: 0
    .wavefront_size: 32
    .workgroup_processor_mode: 1
  - .args:
      - .offset:         0
        .size:           216
        .value_kind:     by_value
      - .offset:         216
        .size:           4
        .value_kind:     by_value
      - .offset:         220
        .size:           4
        .value_kind:     by_value
      - .offset:         224
        .size:           4
        .value_kind:     by_value
      - .offset:         232
        .size:           216
        .value_kind:     by_value
      - .offset:         448
        .size:           4
        .value_kind:     by_value
      - .offset:         452
        .size:           1
        .value_kind:     by_value
      - .offset:         456
        .size:           4
        .value_kind:     hidden_block_count_x
      - .offset:         460
        .size:           4
        .value_kind:     hidden_block_count_y
      - .offset:         464
        .size:           4
        .value_kind:     hidden_block_count_z
      - .offset:         468
        .size:           2
        .value_kind:     hidden_group_size_x
      - .offset:         470
        .size:           2
        .value_kind:     hidden_group_size_y
      - .offset:         472
        .size:           2
        .value_kind:     hidden_group_size_z
      - .offset:         474
        .size:           2
        .value_kind:     hidden_remainder_x
      - .offset:         476
        .size:           2
        .value_kind:     hidden_remainder_y
      - .offset:         478
        .size:           2
        .value_kind:     hidden_remainder_z
      - .offset:         496
        .size:           8
        .value_kind:     hidden_global_offset_x
      - .offset:         504
        .size:           8
        .value_kind:     hidden_global_offset_y
      - .offset:         512
        .size:           8
        .value_kind:     hidden_global_offset_z
      - .offset:         520
        .size:           2
        .value_kind:     hidden_grid_dims
    .group_segment_fixed_size: 528
    .kernarg_segment_align: 8
    .kernarg_segment_size: 712
    .language:       OpenCL C
    .language_version:
      - 2
      - 0
    .max_flat_workgroup_size: 16
    .name:           _ZN2at6native18radixSortKVInPlaceILin1ELin1ELi16ELi2ElljEEvNS_4cuda6detail10TensorInfoIT3_T5_EES6_S6_S6_NS4_IT4_S6_EES6_b
    .private_segment_fixed_size: 0
    .sgpr_count:     27
    .sgpr_spill_count: 0
    .symbol:         _ZN2at6native18radixSortKVInPlaceILin1ELin1ELi16ELi2ElljEEvNS_4cuda6detail10TensorInfoIT3_T5_EES6_S6_S6_NS4_IT4_S6_EES6_b.kd
    .uniform_work_group_size: 1
    .uses_dynamic_stack: false
    .vgpr_count:     44
    .vgpr_spill_count: 0
    .wavefront_size: 32
    .workgroup_processor_mode: 1
  - .args:
      - .offset:         0
        .size:           416
        .value_kind:     by_value
      - .offset:         416
        .size:           8
        .value_kind:     by_value
      - .offset:         424
        .size:           8
        .value_kind:     by_value
      - .offset:         432
        .size:           8
        .value_kind:     by_value
      - .offset:         440
        .size:           416
        .value_kind:     by_value
      - .offset:         856
        .size:           8
        .value_kind:     by_value
      - .offset:         864
        .size:           1
        .value_kind:     by_value
      - .offset:         872
        .size:           4
        .value_kind:     hidden_block_count_x
      - .offset:         876
        .size:           4
        .value_kind:     hidden_block_count_y
      - .offset:         880
        .size:           4
        .value_kind:     hidden_block_count_z
      - .offset:         884
        .size:           2
        .value_kind:     hidden_group_size_x
      - .offset:         886
        .size:           2
        .value_kind:     hidden_group_size_y
      - .offset:         888
        .size:           2
        .value_kind:     hidden_group_size_z
      - .offset:         890
        .size:           2
        .value_kind:     hidden_remainder_x
      - .offset:         892
        .size:           2
        .value_kind:     hidden_remainder_y
      - .offset:         894
        .size:           2
        .value_kind:     hidden_remainder_z
      - .offset:         912
        .size:           8
        .value_kind:     hidden_global_offset_x
      - .offset:         920
        .size:           8
        .value_kind:     hidden_global_offset_y
      - .offset:         928
        .size:           8
        .value_kind:     hidden_global_offset_z
      - .offset:         936
        .size:           2
        .value_kind:     hidden_grid_dims
    .group_segment_fixed_size: 33792
    .kernarg_segment_align: 8
    .kernarg_segment_size: 1128
    .language:       OpenCL C
    .language_version:
      - 2
      - 0
    .max_flat_workgroup_size: 512
    .name:           _ZN2at6native18radixSortKVInPlaceILin1ELin1ELi512ELi8EllmEEvNS_4cuda6detail10TensorInfoIT3_T5_EES6_S6_S6_NS4_IT4_S6_EES6_b
    .private_segment_fixed_size: 0
    .sgpr_count:     40
    .sgpr_spill_count: 0
    .symbol:         _ZN2at6native18radixSortKVInPlaceILin1ELin1ELi512ELi8EllmEEvNS_4cuda6detail10TensorInfoIT3_T5_EES6_S6_S6_NS4_IT4_S6_EES6_b.kd
    .uniform_work_group_size: 1
    .uses_dynamic_stack: false
    .vgpr_count:     138
    .vgpr_spill_count: 0
    .wavefront_size: 32
    .workgroup_processor_mode: 1
  - .args:
      - .offset:         0
        .size:           416
        .value_kind:     by_value
      - .offset:         416
        .size:           8
        .value_kind:     by_value
      - .offset:         424
        .size:           8
        .value_kind:     by_value
      - .offset:         432
        .size:           8
        .value_kind:     by_value
      - .offset:         440
        .size:           416
        .value_kind:     by_value
      - .offset:         856
        .size:           8
        .value_kind:     by_value
      - .offset:         864
        .size:           1
        .value_kind:     by_value
      - .offset:         872
        .size:           4
        .value_kind:     hidden_block_count_x
      - .offset:         876
        .size:           4
        .value_kind:     hidden_block_count_y
      - .offset:         880
        .size:           4
        .value_kind:     hidden_block_count_z
      - .offset:         884
        .size:           2
        .value_kind:     hidden_group_size_x
      - .offset:         886
        .size:           2
        .value_kind:     hidden_group_size_y
      - .offset:         888
        .size:           2
        .value_kind:     hidden_group_size_z
      - .offset:         890
        .size:           2
        .value_kind:     hidden_remainder_x
      - .offset:         892
        .size:           2
        .value_kind:     hidden_remainder_y
      - .offset:         894
        .size:           2
        .value_kind:     hidden_remainder_z
      - .offset:         912
        .size:           8
        .value_kind:     hidden_global_offset_x
      - .offset:         920
        .size:           8
        .value_kind:     hidden_global_offset_y
      - .offset:         928
        .size:           8
        .value_kind:     hidden_global_offset_z
      - .offset:         936
        .size:           2
        .value_kind:     hidden_grid_dims
    .group_segment_fixed_size: 16896
    .kernarg_segment_align: 8
    .kernarg_segment_size: 1128
    .language:       OpenCL C
    .language_version:
      - 2
      - 0
    .max_flat_workgroup_size: 256
    .name:           _ZN2at6native18radixSortKVInPlaceILin1ELin1ELi256ELi8EllmEEvNS_4cuda6detail10TensorInfoIT3_T5_EES6_S6_S6_NS4_IT4_S6_EES6_b
    .private_segment_fixed_size: 0
    .sgpr_count:     42
    .sgpr_spill_count: 0
    .symbol:         _ZN2at6native18radixSortKVInPlaceILin1ELin1ELi256ELi8EllmEEvNS_4cuda6detail10TensorInfoIT3_T5_EES6_S6_S6_NS4_IT4_S6_EES6_b.kd
    .uniform_work_group_size: 1
    .uses_dynamic_stack: false
    .vgpr_count:     139
    .vgpr_spill_count: 0
    .wavefront_size: 32
    .workgroup_processor_mode: 1
  - .args:
      - .offset:         0
        .size:           416
        .value_kind:     by_value
      - .offset:         416
        .size:           8
        .value_kind:     by_value
      - .offset:         424
        .size:           8
        .value_kind:     by_value
      - .offset:         432
        .size:           8
        .value_kind:     by_value
      - .offset:         440
        .size:           416
        .value_kind:     by_value
      - .offset:         856
        .size:           8
        .value_kind:     by_value
      - .offset:         864
        .size:           1
        .value_kind:     by_value
      - .offset:         872
        .size:           4
        .value_kind:     hidden_block_count_x
      - .offset:         876
        .size:           4
        .value_kind:     hidden_block_count_y
      - .offset:         880
        .size:           4
        .value_kind:     hidden_block_count_z
      - .offset:         884
        .size:           2
        .value_kind:     hidden_group_size_x
      - .offset:         886
        .size:           2
        .value_kind:     hidden_group_size_y
      - .offset:         888
        .size:           2
        .value_kind:     hidden_group_size_z
      - .offset:         890
        .size:           2
        .value_kind:     hidden_remainder_x
      - .offset:         892
        .size:           2
        .value_kind:     hidden_remainder_y
      - .offset:         894
        .size:           2
        .value_kind:     hidden_remainder_z
      - .offset:         912
        .size:           8
        .value_kind:     hidden_global_offset_x
      - .offset:         920
        .size:           8
        .value_kind:     hidden_global_offset_y
      - .offset:         928
        .size:           8
        .value_kind:     hidden_global_offset_z
      - .offset:         936
        .size:           2
        .value_kind:     hidden_grid_dims
    .group_segment_fixed_size: 8448
    .kernarg_segment_align: 8
    .kernarg_segment_size: 1128
    .language:       OpenCL C
    .language_version:
      - 2
      - 0
    .max_flat_workgroup_size: 128
    .name:           _ZN2at6native18radixSortKVInPlaceILin1ELin1ELi128ELi8EllmEEvNS_4cuda6detail10TensorInfoIT3_T5_EES6_S6_S6_NS4_IT4_S6_EES6_b
    .private_segment_fixed_size: 0
    .sgpr_count:     42
    .sgpr_spill_count: 0
    .symbol:         _ZN2at6native18radixSortKVInPlaceILin1ELin1ELi128ELi8EllmEEvNS_4cuda6detail10TensorInfoIT3_T5_EES6_S6_S6_NS4_IT4_S6_EES6_b.kd
    .uniform_work_group_size: 1
    .uses_dynamic_stack: false
    .vgpr_count:     139
    .vgpr_spill_count: 0
    .wavefront_size: 32
    .workgroup_processor_mode: 1
  - .args:
      - .offset:         0
        .size:           416
        .value_kind:     by_value
      - .offset:         416
        .size:           8
        .value_kind:     by_value
      - .offset:         424
        .size:           8
        .value_kind:     by_value
      - .offset:         432
        .size:           8
        .value_kind:     by_value
      - .offset:         440
        .size:           416
        .value_kind:     by_value
      - .offset:         856
        .size:           8
        .value_kind:     by_value
      - .offset:         864
        .size:           1
        .value_kind:     by_value
      - .offset:         872
        .size:           4
        .value_kind:     hidden_block_count_x
      - .offset:         876
        .size:           4
        .value_kind:     hidden_block_count_y
      - .offset:         880
        .size:           4
        .value_kind:     hidden_block_count_z
      - .offset:         884
        .size:           2
        .value_kind:     hidden_group_size_x
      - .offset:         886
        .size:           2
        .value_kind:     hidden_group_size_y
      - .offset:         888
        .size:           2
        .value_kind:     hidden_group_size_z
      - .offset:         890
        .size:           2
        .value_kind:     hidden_remainder_x
      - .offset:         892
        .size:           2
        .value_kind:     hidden_remainder_y
      - .offset:         894
        .size:           2
        .value_kind:     hidden_remainder_z
      - .offset:         912
        .size:           8
        .value_kind:     hidden_global_offset_x
      - .offset:         920
        .size:           8
        .value_kind:     hidden_global_offset_y
      - .offset:         928
        .size:           8
        .value_kind:     hidden_global_offset_z
      - .offset:         936
        .size:           2
        .value_kind:     hidden_grid_dims
    .group_segment_fixed_size: 1056
    .kernarg_segment_align: 8
    .kernarg_segment_size: 1128
    .language:       OpenCL C
    .language_version:
      - 2
      - 0
    .max_flat_workgroup_size: 32
    .name:           _ZN2at6native18radixSortKVInPlaceILin1ELin1ELi32ELi4EllmEEvNS_4cuda6detail10TensorInfoIT3_T5_EES6_S6_S6_NS4_IT4_S6_EES6_b
    .private_segment_fixed_size: 0
    .sgpr_count:     38
    .sgpr_spill_count: 0
    .symbol:         _ZN2at6native18radixSortKVInPlaceILin1ELin1ELi32ELi4EllmEEvNS_4cuda6detail10TensorInfoIT3_T5_EES6_S6_S6_NS4_IT4_S6_EES6_b.kd
    .uniform_work_group_size: 1
    .uses_dynamic_stack: false
    .vgpr_count:     70
    .vgpr_spill_count: 0
    .wavefront_size: 32
    .workgroup_processor_mode: 1
  - .args:
      - .offset:         0
        .size:           416
        .value_kind:     by_value
      - .offset:         416
        .size:           8
        .value_kind:     by_value
      - .offset:         424
        .size:           8
        .value_kind:     by_value
      - .offset:         432
        .size:           8
        .value_kind:     by_value
      - .offset:         440
        .size:           416
        .value_kind:     by_value
      - .offset:         856
        .size:           8
        .value_kind:     by_value
      - .offset:         864
        .size:           1
        .value_kind:     by_value
      - .offset:         872
        .size:           4
        .value_kind:     hidden_block_count_x
      - .offset:         876
        .size:           4
        .value_kind:     hidden_block_count_y
      - .offset:         880
        .size:           4
        .value_kind:     hidden_block_count_z
      - .offset:         884
        .size:           2
        .value_kind:     hidden_group_size_x
      - .offset:         886
        .size:           2
        .value_kind:     hidden_group_size_y
      - .offset:         888
        .size:           2
        .value_kind:     hidden_group_size_z
      - .offset:         890
        .size:           2
        .value_kind:     hidden_remainder_x
      - .offset:         892
        .size:           2
        .value_kind:     hidden_remainder_y
      - .offset:         894
        .size:           2
        .value_kind:     hidden_remainder_z
      - .offset:         912
        .size:           8
        .value_kind:     hidden_global_offset_x
      - .offset:         920
        .size:           8
        .value_kind:     hidden_global_offset_y
      - .offset:         928
        .size:           8
        .value_kind:     hidden_global_offset_z
      - .offset:         936
        .size:           2
        .value_kind:     hidden_grid_dims
    .group_segment_fixed_size: 528
    .kernarg_segment_align: 8
    .kernarg_segment_size: 1128
    .language:       OpenCL C
    .language_version:
      - 2
      - 0
    .max_flat_workgroup_size: 16
    .name:           _ZN2at6native18radixSortKVInPlaceILin1ELin1ELi16ELi2EllmEEvNS_4cuda6detail10TensorInfoIT3_T5_EES6_S6_S6_NS4_IT4_S6_EES6_b
    .private_segment_fixed_size: 0
    .sgpr_count:     36
    .sgpr_spill_count: 0
    .symbol:         _ZN2at6native18radixSortKVInPlaceILin1ELin1ELi16ELi2EllmEEvNS_4cuda6detail10TensorInfoIT3_T5_EES6_S6_S6_NS4_IT4_S6_EES6_b.kd
    .uniform_work_group_size: 1
    .uses_dynamic_stack: false
    .vgpr_count:     42
    .vgpr_spill_count: 0
    .wavefront_size: 32
    .workgroup_processor_mode: 1
  - .args:
      - .offset:         0
        .size:           216
        .value_kind:     by_value
      - .offset:         216
        .size:           4
        .value_kind:     by_value
      - .offset:         220
        .size:           4
        .value_kind:     by_value
      - .offset:         224
        .size:           4
        .value_kind:     by_value
      - .offset:         232
        .size:           216
        .value_kind:     by_value
      - .offset:         448
        .size:           4
        .value_kind:     by_value
      - .offset:         452
        .size:           1
        .value_kind:     by_value
      - .offset:         456
        .size:           4
        .value_kind:     hidden_block_count_x
      - .offset:         460
        .size:           4
        .value_kind:     hidden_block_count_y
      - .offset:         464
        .size:           4
        .value_kind:     hidden_block_count_z
      - .offset:         468
        .size:           2
        .value_kind:     hidden_group_size_x
      - .offset:         470
        .size:           2
        .value_kind:     hidden_group_size_y
      - .offset:         472
        .size:           2
        .value_kind:     hidden_group_size_z
      - .offset:         474
        .size:           2
        .value_kind:     hidden_remainder_x
      - .offset:         476
        .size:           2
        .value_kind:     hidden_remainder_y
      - .offset:         478
        .size:           2
        .value_kind:     hidden_remainder_z
      - .offset:         496
        .size:           8
        .value_kind:     hidden_global_offset_x
      - .offset:         504
        .size:           8
        .value_kind:     hidden_global_offset_y
      - .offset:         512
        .size:           8
        .value_kind:     hidden_global_offset_z
      - .offset:         520
        .size:           2
        .value_kind:     hidden_grid_dims
    .group_segment_fixed_size: 33792
    .kernarg_segment_align: 8
    .kernarg_segment_size: 712
    .language:       OpenCL C
    .language_version:
      - 2
      - 0
    .max_flat_workgroup_size: 512
    .name:           _ZN2at6native18radixSortKVInPlaceILin2ELin1ELi512ELi8EsljEEvNS_4cuda6detail10TensorInfoIT3_T5_EES6_S6_S6_NS4_IT4_S6_EES6_b
    .private_segment_fixed_size: 0
    .sgpr_count:     38
    .sgpr_spill_count: 0
    .symbol:         _ZN2at6native18radixSortKVInPlaceILin2ELin1ELi512ELi8EsljEEvNS_4cuda6detail10TensorInfoIT3_T5_EES6_S6_S6_NS4_IT4_S6_EES6_b.kd
    .uniform_work_group_size: 1
    .uses_dynamic_stack: false
    .vgpr_count:     117
    .vgpr_spill_count: 0
    .wavefront_size: 32
    .workgroup_processor_mode: 1
  - .args:
      - .offset:         0
        .size:           216
        .value_kind:     by_value
      - .offset:         216
        .size:           4
        .value_kind:     by_value
      - .offset:         220
        .size:           4
        .value_kind:     by_value
      - .offset:         224
        .size:           4
        .value_kind:     by_value
      - .offset:         232
        .size:           216
        .value_kind:     by_value
      - .offset:         448
        .size:           4
        .value_kind:     by_value
      - .offset:         452
        .size:           1
        .value_kind:     by_value
      - .offset:         456
        .size:           4
        .value_kind:     hidden_block_count_x
      - .offset:         460
        .size:           4
        .value_kind:     hidden_block_count_y
      - .offset:         464
        .size:           4
        .value_kind:     hidden_block_count_z
      - .offset:         468
        .size:           2
        .value_kind:     hidden_group_size_x
      - .offset:         470
        .size:           2
        .value_kind:     hidden_group_size_y
      - .offset:         472
        .size:           2
        .value_kind:     hidden_group_size_z
      - .offset:         474
        .size:           2
        .value_kind:     hidden_remainder_x
      - .offset:         476
        .size:           2
        .value_kind:     hidden_remainder_y
      - .offset:         478
        .size:           2
        .value_kind:     hidden_remainder_z
      - .offset:         496
        .size:           8
        .value_kind:     hidden_global_offset_x
      - .offset:         504
        .size:           8
        .value_kind:     hidden_global_offset_y
      - .offset:         512
        .size:           8
        .value_kind:     hidden_global_offset_z
      - .offset:         520
        .size:           2
        .value_kind:     hidden_grid_dims
    .group_segment_fixed_size: 16896
    .kernarg_segment_align: 8
    .kernarg_segment_size: 712
    .language:       OpenCL C
    .language_version:
      - 2
      - 0
    .max_flat_workgroup_size: 256
    .name:           _ZN2at6native18radixSortKVInPlaceILin2ELin1ELi256ELi8EsljEEvNS_4cuda6detail10TensorInfoIT3_T5_EES6_S6_S6_NS4_IT4_S6_EES6_b
    .private_segment_fixed_size: 0
    .sgpr_count:     40
    .sgpr_spill_count: 0
    .symbol:         _ZN2at6native18radixSortKVInPlaceILin2ELin1ELi256ELi8EsljEEvNS_4cuda6detail10TensorInfoIT3_T5_EES6_S6_S6_NS4_IT4_S6_EES6_b.kd
    .uniform_work_group_size: 1
    .uses_dynamic_stack: false
    .vgpr_count:     117
    .vgpr_spill_count: 0
    .wavefront_size: 32
    .workgroup_processor_mode: 1
  - .args:
      - .offset:         0
        .size:           216
        .value_kind:     by_value
      - .offset:         216
        .size:           4
        .value_kind:     by_value
      - .offset:         220
        .size:           4
        .value_kind:     by_value
      - .offset:         224
        .size:           4
        .value_kind:     by_value
      - .offset:         232
        .size:           216
        .value_kind:     by_value
      - .offset:         448
        .size:           4
        .value_kind:     by_value
      - .offset:         452
        .size:           1
        .value_kind:     by_value
      - .offset:         456
        .size:           4
        .value_kind:     hidden_block_count_x
      - .offset:         460
        .size:           4
        .value_kind:     hidden_block_count_y
      - .offset:         464
        .size:           4
        .value_kind:     hidden_block_count_z
      - .offset:         468
        .size:           2
        .value_kind:     hidden_group_size_x
      - .offset:         470
        .size:           2
        .value_kind:     hidden_group_size_y
      - .offset:         472
        .size:           2
        .value_kind:     hidden_group_size_z
      - .offset:         474
        .size:           2
        .value_kind:     hidden_remainder_x
      - .offset:         476
        .size:           2
        .value_kind:     hidden_remainder_y
      - .offset:         478
        .size:           2
        .value_kind:     hidden_remainder_z
      - .offset:         496
        .size:           8
        .value_kind:     hidden_global_offset_x
      - .offset:         504
        .size:           8
        .value_kind:     hidden_global_offset_y
      - .offset:         512
        .size:           8
        .value_kind:     hidden_global_offset_z
      - .offset:         520
        .size:           2
        .value_kind:     hidden_grid_dims
    .group_segment_fixed_size: 8448
    .kernarg_segment_align: 8
    .kernarg_segment_size: 712
    .language:       OpenCL C
    .language_version:
      - 2
      - 0
    .max_flat_workgroup_size: 128
    .name:           _ZN2at6native18radixSortKVInPlaceILin2ELin1ELi128ELi8EsljEEvNS_4cuda6detail10TensorInfoIT3_T5_EES6_S6_S6_NS4_IT4_S6_EES6_b
    .private_segment_fixed_size: 0
    .sgpr_count:     40
    .sgpr_spill_count: 0
    .symbol:         _ZN2at6native18radixSortKVInPlaceILin2ELin1ELi128ELi8EsljEEvNS_4cuda6detail10TensorInfoIT3_T5_EES6_S6_S6_NS4_IT4_S6_EES6_b.kd
    .uniform_work_group_size: 1
    .uses_dynamic_stack: false
    .vgpr_count:     117
    .vgpr_spill_count: 0
    .wavefront_size: 32
    .workgroup_processor_mode: 1
  - .args:
      - .offset:         0
        .size:           216
        .value_kind:     by_value
      - .offset:         216
        .size:           4
        .value_kind:     by_value
      - .offset:         220
        .size:           4
        .value_kind:     by_value
      - .offset:         224
        .size:           4
        .value_kind:     by_value
      - .offset:         232
        .size:           216
        .value_kind:     by_value
      - .offset:         448
        .size:           4
        .value_kind:     by_value
      - .offset:         452
        .size:           1
        .value_kind:     by_value
      - .offset:         456
        .size:           4
        .value_kind:     hidden_block_count_x
      - .offset:         460
        .size:           4
        .value_kind:     hidden_block_count_y
      - .offset:         464
        .size:           4
        .value_kind:     hidden_block_count_z
      - .offset:         468
        .size:           2
        .value_kind:     hidden_group_size_x
      - .offset:         470
        .size:           2
        .value_kind:     hidden_group_size_y
      - .offset:         472
        .size:           2
        .value_kind:     hidden_group_size_z
      - .offset:         474
        .size:           2
        .value_kind:     hidden_remainder_x
      - .offset:         476
        .size:           2
        .value_kind:     hidden_remainder_y
      - .offset:         478
        .size:           2
        .value_kind:     hidden_remainder_z
      - .offset:         496
        .size:           8
        .value_kind:     hidden_global_offset_x
      - .offset:         504
        .size:           8
        .value_kind:     hidden_global_offset_y
      - .offset:         512
        .size:           8
        .value_kind:     hidden_global_offset_z
      - .offset:         520
        .size:           2
        .value_kind:     hidden_grid_dims
    .group_segment_fixed_size: 1056
    .kernarg_segment_align: 8
    .kernarg_segment_size: 712
    .language:       OpenCL C
    .language_version:
      - 2
      - 0
    .max_flat_workgroup_size: 32
    .name:           _ZN2at6native18radixSortKVInPlaceILin2ELin1ELi32ELi4EsljEEvNS_4cuda6detail10TensorInfoIT3_T5_EES6_S6_S6_NS4_IT4_S6_EES6_b
    .private_segment_fixed_size: 0
    .sgpr_count:     26
    .sgpr_spill_count: 0
    .symbol:         _ZN2at6native18radixSortKVInPlaceILin2ELin1ELi32ELi4EsljEEvNS_4cuda6detail10TensorInfoIT3_T5_EES6_S6_S6_NS4_IT4_S6_EES6_b.kd
    .uniform_work_group_size: 1
    .uses_dynamic_stack: false
    .vgpr_count:     94
    .vgpr_spill_count: 0
    .wavefront_size: 32
    .workgroup_processor_mode: 1
  - .args:
      - .offset:         0
        .size:           216
        .value_kind:     by_value
      - .offset:         216
        .size:           4
        .value_kind:     by_value
      - .offset:         220
        .size:           4
        .value_kind:     by_value
      - .offset:         224
        .size:           4
        .value_kind:     by_value
      - .offset:         232
        .size:           216
        .value_kind:     by_value
      - .offset:         448
        .size:           4
        .value_kind:     by_value
      - .offset:         452
        .size:           1
        .value_kind:     by_value
      - .offset:         456
        .size:           4
        .value_kind:     hidden_block_count_x
      - .offset:         460
        .size:           4
        .value_kind:     hidden_block_count_y
      - .offset:         464
        .size:           4
        .value_kind:     hidden_block_count_z
      - .offset:         468
        .size:           2
        .value_kind:     hidden_group_size_x
      - .offset:         470
        .size:           2
        .value_kind:     hidden_group_size_y
      - .offset:         472
        .size:           2
        .value_kind:     hidden_group_size_z
      - .offset:         474
        .size:           2
        .value_kind:     hidden_remainder_x
      - .offset:         476
        .size:           2
        .value_kind:     hidden_remainder_y
      - .offset:         478
        .size:           2
        .value_kind:     hidden_remainder_z
      - .offset:         496
        .size:           8
        .value_kind:     hidden_global_offset_x
      - .offset:         504
        .size:           8
        .value_kind:     hidden_global_offset_y
      - .offset:         512
        .size:           8
        .value_kind:     hidden_global_offset_z
      - .offset:         520
        .size:           2
        .value_kind:     hidden_grid_dims
    .group_segment_fixed_size: 528
    .kernarg_segment_align: 8
    .kernarg_segment_size: 712
    .language:       OpenCL C
    .language_version:
      - 2
      - 0
    .max_flat_workgroup_size: 16
    .name:           _ZN2at6native18radixSortKVInPlaceILin2ELin1ELi16ELi2EsljEEvNS_4cuda6detail10TensorInfoIT3_T5_EES6_S6_S6_NS4_IT4_S6_EES6_b
    .private_segment_fixed_size: 0
    .sgpr_count:     20
    .sgpr_spill_count: 0
    .symbol:         _ZN2at6native18radixSortKVInPlaceILin2ELin1ELi16ELi2EsljEEvNS_4cuda6detail10TensorInfoIT3_T5_EES6_S6_S6_NS4_IT4_S6_EES6_b.kd
    .uniform_work_group_size: 1
    .uses_dynamic_stack: false
    .vgpr_count:     38
    .vgpr_spill_count: 0
    .wavefront_size: 32
    .workgroup_processor_mode: 1
  - .args:
      - .offset:         0
        .size:           216
        .value_kind:     by_value
      - .offset:         216
        .size:           4
        .value_kind:     by_value
      - .offset:         220
        .size:           4
        .value_kind:     by_value
      - .offset:         224
        .size:           4
        .value_kind:     by_value
      - .offset:         232
        .size:           216
        .value_kind:     by_value
      - .offset:         448
        .size:           4
        .value_kind:     by_value
      - .offset:         452
        .size:           1
        .value_kind:     by_value
      - .offset:         456
        .size:           4
        .value_kind:     hidden_block_count_x
      - .offset:         460
        .size:           4
        .value_kind:     hidden_block_count_y
      - .offset:         464
        .size:           4
        .value_kind:     hidden_block_count_z
      - .offset:         468
        .size:           2
        .value_kind:     hidden_group_size_x
      - .offset:         470
        .size:           2
        .value_kind:     hidden_group_size_y
      - .offset:         472
        .size:           2
        .value_kind:     hidden_group_size_z
      - .offset:         474
        .size:           2
        .value_kind:     hidden_remainder_x
      - .offset:         476
        .size:           2
        .value_kind:     hidden_remainder_y
      - .offset:         478
        .size:           2
        .value_kind:     hidden_remainder_z
      - .offset:         496
        .size:           8
        .value_kind:     hidden_global_offset_x
      - .offset:         504
        .size:           8
        .value_kind:     hidden_global_offset_y
      - .offset:         512
        .size:           8
        .value_kind:     hidden_global_offset_z
      - .offset:         520
        .size:           2
        .value_kind:     hidden_grid_dims
    .group_segment_fixed_size: 33792
    .kernarg_segment_align: 8
    .kernarg_segment_size: 712
    .language:       OpenCL C
    .language_version:
      - 2
      - 0
    .max_flat_workgroup_size: 512
    .name:           _ZN2at6native18radixSortKVInPlaceILi2ELin1ELi512ELi8EsljEEvNS_4cuda6detail10TensorInfoIT3_T5_EES6_S6_S6_NS4_IT4_S6_EES6_b
    .private_segment_fixed_size: 0
    .sgpr_count:     38
    .sgpr_spill_count: 0
    .symbol:         _ZN2at6native18radixSortKVInPlaceILi2ELin1ELi512ELi8EsljEEvNS_4cuda6detail10TensorInfoIT3_T5_EES6_S6_S6_NS4_IT4_S6_EES6_b.kd
    .uniform_work_group_size: 1
    .uses_dynamic_stack: false
    .vgpr_count:     117
    .vgpr_spill_count: 0
    .wavefront_size: 32
    .workgroup_processor_mode: 1
  - .args:
      - .offset:         0
        .size:           216
        .value_kind:     by_value
      - .offset:         216
        .size:           4
        .value_kind:     by_value
      - .offset:         220
        .size:           4
        .value_kind:     by_value
      - .offset:         224
        .size:           4
        .value_kind:     by_value
      - .offset:         232
        .size:           216
        .value_kind:     by_value
      - .offset:         448
        .size:           4
        .value_kind:     by_value
      - .offset:         452
        .size:           1
        .value_kind:     by_value
      - .offset:         456
        .size:           4
        .value_kind:     hidden_block_count_x
      - .offset:         460
        .size:           4
        .value_kind:     hidden_block_count_y
      - .offset:         464
        .size:           4
        .value_kind:     hidden_block_count_z
      - .offset:         468
        .size:           2
        .value_kind:     hidden_group_size_x
      - .offset:         470
        .size:           2
        .value_kind:     hidden_group_size_y
      - .offset:         472
        .size:           2
        .value_kind:     hidden_group_size_z
      - .offset:         474
        .size:           2
        .value_kind:     hidden_remainder_x
      - .offset:         476
        .size:           2
        .value_kind:     hidden_remainder_y
      - .offset:         478
        .size:           2
        .value_kind:     hidden_remainder_z
      - .offset:         496
        .size:           8
        .value_kind:     hidden_global_offset_x
      - .offset:         504
        .size:           8
        .value_kind:     hidden_global_offset_y
      - .offset:         512
        .size:           8
        .value_kind:     hidden_global_offset_z
      - .offset:         520
        .size:           2
        .value_kind:     hidden_grid_dims
    .group_segment_fixed_size: 16896
    .kernarg_segment_align: 8
    .kernarg_segment_size: 712
    .language:       OpenCL C
    .language_version:
      - 2
      - 0
    .max_flat_workgroup_size: 256
    .name:           _ZN2at6native18radixSortKVInPlaceILi2ELin1ELi256ELi8EsljEEvNS_4cuda6detail10TensorInfoIT3_T5_EES6_S6_S6_NS4_IT4_S6_EES6_b
    .private_segment_fixed_size: 0
    .sgpr_count:     40
    .sgpr_spill_count: 0
    .symbol:         _ZN2at6native18radixSortKVInPlaceILi2ELin1ELi256ELi8EsljEEvNS_4cuda6detail10TensorInfoIT3_T5_EES6_S6_S6_NS4_IT4_S6_EES6_b.kd
    .uniform_work_group_size: 1
    .uses_dynamic_stack: false
    .vgpr_count:     117
    .vgpr_spill_count: 0
    .wavefront_size: 32
    .workgroup_processor_mode: 1
  - .args:
      - .offset:         0
        .size:           216
        .value_kind:     by_value
      - .offset:         216
        .size:           4
        .value_kind:     by_value
      - .offset:         220
        .size:           4
        .value_kind:     by_value
      - .offset:         224
        .size:           4
        .value_kind:     by_value
      - .offset:         232
        .size:           216
        .value_kind:     by_value
      - .offset:         448
        .size:           4
        .value_kind:     by_value
      - .offset:         452
        .size:           1
        .value_kind:     by_value
      - .offset:         456
        .size:           4
        .value_kind:     hidden_block_count_x
      - .offset:         460
        .size:           4
        .value_kind:     hidden_block_count_y
      - .offset:         464
        .size:           4
        .value_kind:     hidden_block_count_z
      - .offset:         468
        .size:           2
        .value_kind:     hidden_group_size_x
      - .offset:         470
        .size:           2
        .value_kind:     hidden_group_size_y
      - .offset:         472
        .size:           2
        .value_kind:     hidden_group_size_z
      - .offset:         474
        .size:           2
        .value_kind:     hidden_remainder_x
      - .offset:         476
        .size:           2
        .value_kind:     hidden_remainder_y
      - .offset:         478
        .size:           2
        .value_kind:     hidden_remainder_z
      - .offset:         496
        .size:           8
        .value_kind:     hidden_global_offset_x
      - .offset:         504
        .size:           8
        .value_kind:     hidden_global_offset_y
      - .offset:         512
        .size:           8
        .value_kind:     hidden_global_offset_z
      - .offset:         520
        .size:           2
        .value_kind:     hidden_grid_dims
    .group_segment_fixed_size: 8448
    .kernarg_segment_align: 8
    .kernarg_segment_size: 712
    .language:       OpenCL C
    .language_version:
      - 2
      - 0
    .max_flat_workgroup_size: 128
    .name:           _ZN2at6native18radixSortKVInPlaceILi2ELin1ELi128ELi8EsljEEvNS_4cuda6detail10TensorInfoIT3_T5_EES6_S6_S6_NS4_IT4_S6_EES6_b
    .private_segment_fixed_size: 0
    .sgpr_count:     40
    .sgpr_spill_count: 0
    .symbol:         _ZN2at6native18radixSortKVInPlaceILi2ELin1ELi128ELi8EsljEEvNS_4cuda6detail10TensorInfoIT3_T5_EES6_S6_S6_NS4_IT4_S6_EES6_b.kd
    .uniform_work_group_size: 1
    .uses_dynamic_stack: false
    .vgpr_count:     117
    .vgpr_spill_count: 0
    .wavefront_size: 32
    .workgroup_processor_mode: 1
  - .args:
      - .offset:         0
        .size:           216
        .value_kind:     by_value
      - .offset:         216
        .size:           4
        .value_kind:     by_value
      - .offset:         220
        .size:           4
        .value_kind:     by_value
      - .offset:         224
        .size:           4
        .value_kind:     by_value
      - .offset:         232
        .size:           216
        .value_kind:     by_value
      - .offset:         448
        .size:           4
        .value_kind:     by_value
      - .offset:         452
        .size:           1
        .value_kind:     by_value
      - .offset:         456
        .size:           4
        .value_kind:     hidden_block_count_x
      - .offset:         460
        .size:           4
        .value_kind:     hidden_block_count_y
      - .offset:         464
        .size:           4
        .value_kind:     hidden_block_count_z
      - .offset:         468
        .size:           2
        .value_kind:     hidden_group_size_x
      - .offset:         470
        .size:           2
        .value_kind:     hidden_group_size_y
      - .offset:         472
        .size:           2
        .value_kind:     hidden_group_size_z
      - .offset:         474
        .size:           2
        .value_kind:     hidden_remainder_x
      - .offset:         476
        .size:           2
        .value_kind:     hidden_remainder_y
      - .offset:         478
        .size:           2
        .value_kind:     hidden_remainder_z
      - .offset:         496
        .size:           8
        .value_kind:     hidden_global_offset_x
      - .offset:         504
        .size:           8
        .value_kind:     hidden_global_offset_y
      - .offset:         512
        .size:           8
        .value_kind:     hidden_global_offset_z
      - .offset:         520
        .size:           2
        .value_kind:     hidden_grid_dims
    .group_segment_fixed_size: 1056
    .kernarg_segment_align: 8
    .kernarg_segment_size: 712
    .language:       OpenCL C
    .language_version:
      - 2
      - 0
    .max_flat_workgroup_size: 32
    .name:           _ZN2at6native18radixSortKVInPlaceILi2ELin1ELi32ELi4EsljEEvNS_4cuda6detail10TensorInfoIT3_T5_EES6_S6_S6_NS4_IT4_S6_EES6_b
    .private_segment_fixed_size: 0
    .sgpr_count:     26
    .sgpr_spill_count: 0
    .symbol:         _ZN2at6native18radixSortKVInPlaceILi2ELin1ELi32ELi4EsljEEvNS_4cuda6detail10TensorInfoIT3_T5_EES6_S6_S6_NS4_IT4_S6_EES6_b.kd
    .uniform_work_group_size: 1
    .uses_dynamic_stack: false
    .vgpr_count:     94
    .vgpr_spill_count: 0
    .wavefront_size: 32
    .workgroup_processor_mode: 1
  - .args:
      - .offset:         0
        .size:           216
        .value_kind:     by_value
      - .offset:         216
        .size:           4
        .value_kind:     by_value
      - .offset:         220
        .size:           4
        .value_kind:     by_value
      - .offset:         224
        .size:           4
        .value_kind:     by_value
      - .offset:         232
        .size:           216
        .value_kind:     by_value
      - .offset:         448
        .size:           4
        .value_kind:     by_value
      - .offset:         452
        .size:           1
        .value_kind:     by_value
      - .offset:         456
        .size:           4
        .value_kind:     hidden_block_count_x
      - .offset:         460
        .size:           4
        .value_kind:     hidden_block_count_y
      - .offset:         464
        .size:           4
        .value_kind:     hidden_block_count_z
      - .offset:         468
        .size:           2
        .value_kind:     hidden_group_size_x
      - .offset:         470
        .size:           2
        .value_kind:     hidden_group_size_y
      - .offset:         472
        .size:           2
        .value_kind:     hidden_group_size_z
      - .offset:         474
        .size:           2
        .value_kind:     hidden_remainder_x
      - .offset:         476
        .size:           2
        .value_kind:     hidden_remainder_y
      - .offset:         478
        .size:           2
        .value_kind:     hidden_remainder_z
      - .offset:         496
        .size:           8
        .value_kind:     hidden_global_offset_x
      - .offset:         504
        .size:           8
        .value_kind:     hidden_global_offset_y
      - .offset:         512
        .size:           8
        .value_kind:     hidden_global_offset_z
      - .offset:         520
        .size:           2
        .value_kind:     hidden_grid_dims
    .group_segment_fixed_size: 528
    .kernarg_segment_align: 8
    .kernarg_segment_size: 712
    .language:       OpenCL C
    .language_version:
      - 2
      - 0
    .max_flat_workgroup_size: 16
    .name:           _ZN2at6native18radixSortKVInPlaceILi2ELin1ELi16ELi2EsljEEvNS_4cuda6detail10TensorInfoIT3_T5_EES6_S6_S6_NS4_IT4_S6_EES6_b
    .private_segment_fixed_size: 0
    .sgpr_count:     26
    .sgpr_spill_count: 0
    .symbol:         _ZN2at6native18radixSortKVInPlaceILi2ELin1ELi16ELi2EsljEEvNS_4cuda6detail10TensorInfoIT3_T5_EES6_S6_S6_NS4_IT4_S6_EES6_b.kd
    .uniform_work_group_size: 1
    .uses_dynamic_stack: false
    .vgpr_count:     38
    .vgpr_spill_count: 0
    .wavefront_size: 32
    .workgroup_processor_mode: 1
  - .args:
      - .offset:         0
        .size:           216
        .value_kind:     by_value
      - .offset:         216
        .size:           4
        .value_kind:     by_value
      - .offset:         220
        .size:           4
        .value_kind:     by_value
      - .offset:         224
        .size:           4
        .value_kind:     by_value
      - .offset:         232
        .size:           216
        .value_kind:     by_value
      - .offset:         448
        .size:           4
        .value_kind:     by_value
      - .offset:         452
        .size:           1
        .value_kind:     by_value
      - .offset:         456
        .size:           4
        .value_kind:     hidden_block_count_x
      - .offset:         460
        .size:           4
        .value_kind:     hidden_block_count_y
      - .offset:         464
        .size:           4
        .value_kind:     hidden_block_count_z
      - .offset:         468
        .size:           2
        .value_kind:     hidden_group_size_x
      - .offset:         470
        .size:           2
        .value_kind:     hidden_group_size_y
      - .offset:         472
        .size:           2
        .value_kind:     hidden_group_size_z
      - .offset:         474
        .size:           2
        .value_kind:     hidden_remainder_x
      - .offset:         476
        .size:           2
        .value_kind:     hidden_remainder_y
      - .offset:         478
        .size:           2
        .value_kind:     hidden_remainder_z
      - .offset:         496
        .size:           8
        .value_kind:     hidden_global_offset_x
      - .offset:         504
        .size:           8
        .value_kind:     hidden_global_offset_y
      - .offset:         512
        .size:           8
        .value_kind:     hidden_global_offset_z
      - .offset:         520
        .size:           2
        .value_kind:     hidden_grid_dims
    .group_segment_fixed_size: 33792
    .kernarg_segment_align: 8
    .kernarg_segment_size: 712
    .language:       OpenCL C
    .language_version:
      - 2
      - 0
    .max_flat_workgroup_size: 512
    .name:           _ZN2at6native18radixSortKVInPlaceILin1ELin1ELi512ELi8EsljEEvNS_4cuda6detail10TensorInfoIT3_T5_EES6_S6_S6_NS4_IT4_S6_EES6_b
    .private_segment_fixed_size: 0
    .sgpr_count:     38
    .sgpr_spill_count: 0
    .symbol:         _ZN2at6native18radixSortKVInPlaceILin1ELin1ELi512ELi8EsljEEvNS_4cuda6detail10TensorInfoIT3_T5_EES6_S6_S6_NS4_IT4_S6_EES6_b.kd
    .uniform_work_group_size: 1
    .uses_dynamic_stack: false
    .vgpr_count:     117
    .vgpr_spill_count: 0
    .wavefront_size: 32
    .workgroup_processor_mode: 1
  - .args:
      - .offset:         0
        .size:           216
        .value_kind:     by_value
      - .offset:         216
        .size:           4
        .value_kind:     by_value
      - .offset:         220
        .size:           4
        .value_kind:     by_value
      - .offset:         224
        .size:           4
        .value_kind:     by_value
      - .offset:         232
        .size:           216
        .value_kind:     by_value
      - .offset:         448
        .size:           4
        .value_kind:     by_value
      - .offset:         452
        .size:           1
        .value_kind:     by_value
      - .offset:         456
        .size:           4
        .value_kind:     hidden_block_count_x
      - .offset:         460
        .size:           4
        .value_kind:     hidden_block_count_y
      - .offset:         464
        .size:           4
        .value_kind:     hidden_block_count_z
      - .offset:         468
        .size:           2
        .value_kind:     hidden_group_size_x
      - .offset:         470
        .size:           2
        .value_kind:     hidden_group_size_y
      - .offset:         472
        .size:           2
        .value_kind:     hidden_group_size_z
      - .offset:         474
        .size:           2
        .value_kind:     hidden_remainder_x
      - .offset:         476
        .size:           2
        .value_kind:     hidden_remainder_y
      - .offset:         478
        .size:           2
        .value_kind:     hidden_remainder_z
      - .offset:         496
        .size:           8
        .value_kind:     hidden_global_offset_x
      - .offset:         504
        .size:           8
        .value_kind:     hidden_global_offset_y
      - .offset:         512
        .size:           8
        .value_kind:     hidden_global_offset_z
      - .offset:         520
        .size:           2
        .value_kind:     hidden_grid_dims
    .group_segment_fixed_size: 16896
    .kernarg_segment_align: 8
    .kernarg_segment_size: 712
    .language:       OpenCL C
    .language_version:
      - 2
      - 0
    .max_flat_workgroup_size: 256
    .name:           _ZN2at6native18radixSortKVInPlaceILin1ELin1ELi256ELi8EsljEEvNS_4cuda6detail10TensorInfoIT3_T5_EES6_S6_S6_NS4_IT4_S6_EES6_b
    .private_segment_fixed_size: 0
    .sgpr_count:     40
    .sgpr_spill_count: 0
    .symbol:         _ZN2at6native18radixSortKVInPlaceILin1ELin1ELi256ELi8EsljEEvNS_4cuda6detail10TensorInfoIT3_T5_EES6_S6_S6_NS4_IT4_S6_EES6_b.kd
    .uniform_work_group_size: 1
    .uses_dynamic_stack: false
    .vgpr_count:     117
    .vgpr_spill_count: 0
    .wavefront_size: 32
    .workgroup_processor_mode: 1
  - .args:
      - .offset:         0
        .size:           216
        .value_kind:     by_value
      - .offset:         216
        .size:           4
        .value_kind:     by_value
      - .offset:         220
        .size:           4
        .value_kind:     by_value
      - .offset:         224
        .size:           4
        .value_kind:     by_value
      - .offset:         232
        .size:           216
        .value_kind:     by_value
      - .offset:         448
        .size:           4
        .value_kind:     by_value
      - .offset:         452
        .size:           1
        .value_kind:     by_value
      - .offset:         456
        .size:           4
        .value_kind:     hidden_block_count_x
      - .offset:         460
        .size:           4
        .value_kind:     hidden_block_count_y
      - .offset:         464
        .size:           4
        .value_kind:     hidden_block_count_z
      - .offset:         468
        .size:           2
        .value_kind:     hidden_group_size_x
      - .offset:         470
        .size:           2
        .value_kind:     hidden_group_size_y
      - .offset:         472
        .size:           2
        .value_kind:     hidden_group_size_z
      - .offset:         474
        .size:           2
        .value_kind:     hidden_remainder_x
      - .offset:         476
        .size:           2
        .value_kind:     hidden_remainder_y
      - .offset:         478
        .size:           2
        .value_kind:     hidden_remainder_z
      - .offset:         496
        .size:           8
        .value_kind:     hidden_global_offset_x
      - .offset:         504
        .size:           8
        .value_kind:     hidden_global_offset_y
      - .offset:         512
        .size:           8
        .value_kind:     hidden_global_offset_z
      - .offset:         520
        .size:           2
        .value_kind:     hidden_grid_dims
    .group_segment_fixed_size: 8448
    .kernarg_segment_align: 8
    .kernarg_segment_size: 712
    .language:       OpenCL C
    .language_version:
      - 2
      - 0
    .max_flat_workgroup_size: 128
    .name:           _ZN2at6native18radixSortKVInPlaceILin1ELin1ELi128ELi8EsljEEvNS_4cuda6detail10TensorInfoIT3_T5_EES6_S6_S6_NS4_IT4_S6_EES6_b
    .private_segment_fixed_size: 0
    .sgpr_count:     40
    .sgpr_spill_count: 0
    .symbol:         _ZN2at6native18radixSortKVInPlaceILin1ELin1ELi128ELi8EsljEEvNS_4cuda6detail10TensorInfoIT3_T5_EES6_S6_S6_NS4_IT4_S6_EES6_b.kd
    .uniform_work_group_size: 1
    .uses_dynamic_stack: false
    .vgpr_count:     117
    .vgpr_spill_count: 0
    .wavefront_size: 32
    .workgroup_processor_mode: 1
  - .args:
      - .offset:         0
        .size:           216
        .value_kind:     by_value
      - .offset:         216
        .size:           4
        .value_kind:     by_value
      - .offset:         220
        .size:           4
        .value_kind:     by_value
      - .offset:         224
        .size:           4
        .value_kind:     by_value
      - .offset:         232
        .size:           216
        .value_kind:     by_value
      - .offset:         448
        .size:           4
        .value_kind:     by_value
      - .offset:         452
        .size:           1
        .value_kind:     by_value
      - .offset:         456
        .size:           4
        .value_kind:     hidden_block_count_x
      - .offset:         460
        .size:           4
        .value_kind:     hidden_block_count_y
      - .offset:         464
        .size:           4
        .value_kind:     hidden_block_count_z
      - .offset:         468
        .size:           2
        .value_kind:     hidden_group_size_x
      - .offset:         470
        .size:           2
        .value_kind:     hidden_group_size_y
      - .offset:         472
        .size:           2
        .value_kind:     hidden_group_size_z
      - .offset:         474
        .size:           2
        .value_kind:     hidden_remainder_x
      - .offset:         476
        .size:           2
        .value_kind:     hidden_remainder_y
      - .offset:         478
        .size:           2
        .value_kind:     hidden_remainder_z
      - .offset:         496
        .size:           8
        .value_kind:     hidden_global_offset_x
      - .offset:         504
        .size:           8
        .value_kind:     hidden_global_offset_y
      - .offset:         512
        .size:           8
        .value_kind:     hidden_global_offset_z
      - .offset:         520
        .size:           2
        .value_kind:     hidden_grid_dims
    .group_segment_fixed_size: 1056
    .kernarg_segment_align: 8
    .kernarg_segment_size: 712
    .language:       OpenCL C
    .language_version:
      - 2
      - 0
    .max_flat_workgroup_size: 32
    .name:           _ZN2at6native18radixSortKVInPlaceILin1ELin1ELi32ELi4EsljEEvNS_4cuda6detail10TensorInfoIT3_T5_EES6_S6_S6_NS4_IT4_S6_EES6_b
    .private_segment_fixed_size: 0
    .sgpr_count:     26
    .sgpr_spill_count: 0
    .symbol:         _ZN2at6native18radixSortKVInPlaceILin1ELin1ELi32ELi4EsljEEvNS_4cuda6detail10TensorInfoIT3_T5_EES6_S6_S6_NS4_IT4_S6_EES6_b.kd
    .uniform_work_group_size: 1
    .uses_dynamic_stack: false
    .vgpr_count:     94
    .vgpr_spill_count: 0
    .wavefront_size: 32
    .workgroup_processor_mode: 1
  - .args:
      - .offset:         0
        .size:           216
        .value_kind:     by_value
      - .offset:         216
        .size:           4
        .value_kind:     by_value
      - .offset:         220
        .size:           4
        .value_kind:     by_value
      - .offset:         224
        .size:           4
        .value_kind:     by_value
      - .offset:         232
        .size:           216
        .value_kind:     by_value
      - .offset:         448
        .size:           4
        .value_kind:     by_value
      - .offset:         452
        .size:           1
        .value_kind:     by_value
      - .offset:         456
        .size:           4
        .value_kind:     hidden_block_count_x
      - .offset:         460
        .size:           4
        .value_kind:     hidden_block_count_y
      - .offset:         464
        .size:           4
        .value_kind:     hidden_block_count_z
      - .offset:         468
        .size:           2
        .value_kind:     hidden_group_size_x
      - .offset:         470
        .size:           2
        .value_kind:     hidden_group_size_y
      - .offset:         472
        .size:           2
        .value_kind:     hidden_group_size_z
      - .offset:         474
        .size:           2
        .value_kind:     hidden_remainder_x
      - .offset:         476
        .size:           2
        .value_kind:     hidden_remainder_y
      - .offset:         478
        .size:           2
        .value_kind:     hidden_remainder_z
      - .offset:         496
        .size:           8
        .value_kind:     hidden_global_offset_x
      - .offset:         504
        .size:           8
        .value_kind:     hidden_global_offset_y
      - .offset:         512
        .size:           8
        .value_kind:     hidden_global_offset_z
      - .offset:         520
        .size:           2
        .value_kind:     hidden_grid_dims
    .group_segment_fixed_size: 528
    .kernarg_segment_align: 8
    .kernarg_segment_size: 712
    .language:       OpenCL C
    .language_version:
      - 2
      - 0
    .max_flat_workgroup_size: 16
    .name:           _ZN2at6native18radixSortKVInPlaceILin1ELin1ELi16ELi2EsljEEvNS_4cuda6detail10TensorInfoIT3_T5_EES6_S6_S6_NS4_IT4_S6_EES6_b
    .private_segment_fixed_size: 0
    .sgpr_count:     20
    .sgpr_spill_count: 0
    .symbol:         _ZN2at6native18radixSortKVInPlaceILin1ELin1ELi16ELi2EsljEEvNS_4cuda6detail10TensorInfoIT3_T5_EES6_S6_S6_NS4_IT4_S6_EES6_b.kd
    .uniform_work_group_size: 1
    .uses_dynamic_stack: false
    .vgpr_count:     38
    .vgpr_spill_count: 0
    .wavefront_size: 32
    .workgroup_processor_mode: 1
  - .args:
      - .offset:         0
        .size:           416
        .value_kind:     by_value
      - .offset:         416
        .size:           8
        .value_kind:     by_value
      - .offset:         424
        .size:           8
        .value_kind:     by_value
      - .offset:         432
        .size:           8
        .value_kind:     by_value
      - .offset:         440
        .size:           416
        .value_kind:     by_value
      - .offset:         856
        .size:           8
        .value_kind:     by_value
      - .offset:         864
        .size:           1
        .value_kind:     by_value
      - .offset:         872
        .size:           4
        .value_kind:     hidden_block_count_x
      - .offset:         876
        .size:           4
        .value_kind:     hidden_block_count_y
      - .offset:         880
        .size:           4
        .value_kind:     hidden_block_count_z
      - .offset:         884
        .size:           2
        .value_kind:     hidden_group_size_x
      - .offset:         886
        .size:           2
        .value_kind:     hidden_group_size_y
      - .offset:         888
        .size:           2
        .value_kind:     hidden_group_size_z
      - .offset:         890
        .size:           2
        .value_kind:     hidden_remainder_x
      - .offset:         892
        .size:           2
        .value_kind:     hidden_remainder_y
      - .offset:         894
        .size:           2
        .value_kind:     hidden_remainder_z
      - .offset:         912
        .size:           8
        .value_kind:     hidden_global_offset_x
      - .offset:         920
        .size:           8
        .value_kind:     hidden_global_offset_y
      - .offset:         928
        .size:           8
        .value_kind:     hidden_global_offset_z
      - .offset:         936
        .size:           2
        .value_kind:     hidden_grid_dims
    .group_segment_fixed_size: 33792
    .kernarg_segment_align: 8
    .kernarg_segment_size: 1128
    .language:       OpenCL C
    .language_version:
      - 2
      - 0
    .max_flat_workgroup_size: 512
    .name:           _ZN2at6native18radixSortKVInPlaceILin1ELin1ELi512ELi8EslmEEvNS_4cuda6detail10TensorInfoIT3_T5_EES6_S6_S6_NS4_IT4_S6_EES6_b
    .private_segment_fixed_size: 0
    .sgpr_count:     38
    .sgpr_spill_count: 0
    .symbol:         _ZN2at6native18radixSortKVInPlaceILin1ELin1ELi512ELi8EslmEEvNS_4cuda6detail10TensorInfoIT3_T5_EES6_S6_S6_NS4_IT4_S6_EES6_b.kd
    .uniform_work_group_size: 1
    .uses_dynamic_stack: false
    .vgpr_count:     115
    .vgpr_spill_count: 0
    .wavefront_size: 32
    .workgroup_processor_mode: 1
  - .args:
      - .offset:         0
        .size:           416
        .value_kind:     by_value
      - .offset:         416
        .size:           8
        .value_kind:     by_value
      - .offset:         424
        .size:           8
        .value_kind:     by_value
      - .offset:         432
        .size:           8
        .value_kind:     by_value
      - .offset:         440
        .size:           416
        .value_kind:     by_value
      - .offset:         856
        .size:           8
        .value_kind:     by_value
      - .offset:         864
        .size:           1
        .value_kind:     by_value
      - .offset:         872
        .size:           4
        .value_kind:     hidden_block_count_x
      - .offset:         876
        .size:           4
        .value_kind:     hidden_block_count_y
      - .offset:         880
        .size:           4
        .value_kind:     hidden_block_count_z
      - .offset:         884
        .size:           2
        .value_kind:     hidden_group_size_x
      - .offset:         886
        .size:           2
        .value_kind:     hidden_group_size_y
      - .offset:         888
        .size:           2
        .value_kind:     hidden_group_size_z
      - .offset:         890
        .size:           2
        .value_kind:     hidden_remainder_x
      - .offset:         892
        .size:           2
        .value_kind:     hidden_remainder_y
      - .offset:         894
        .size:           2
        .value_kind:     hidden_remainder_z
      - .offset:         912
        .size:           8
        .value_kind:     hidden_global_offset_x
      - .offset:         920
        .size:           8
        .value_kind:     hidden_global_offset_y
      - .offset:         928
        .size:           8
        .value_kind:     hidden_global_offset_z
      - .offset:         936
        .size:           2
        .value_kind:     hidden_grid_dims
    .group_segment_fixed_size: 16896
    .kernarg_segment_align: 8
    .kernarg_segment_size: 1128
    .language:       OpenCL C
    .language_version:
      - 2
      - 0
    .max_flat_workgroup_size: 256
    .name:           _ZN2at6native18radixSortKVInPlaceILin1ELin1ELi256ELi8EslmEEvNS_4cuda6detail10TensorInfoIT3_T5_EES6_S6_S6_NS4_IT4_S6_EES6_b
    .private_segment_fixed_size: 0
    .sgpr_count:     40
    .sgpr_spill_count: 0
    .symbol:         _ZN2at6native18radixSortKVInPlaceILin1ELin1ELi256ELi8EslmEEvNS_4cuda6detail10TensorInfoIT3_T5_EES6_S6_S6_NS4_IT4_S6_EES6_b.kd
    .uniform_work_group_size: 1
    .uses_dynamic_stack: false
    .vgpr_count:     115
    .vgpr_spill_count: 0
    .wavefront_size: 32
    .workgroup_processor_mode: 1
  - .args:
      - .offset:         0
        .size:           416
        .value_kind:     by_value
      - .offset:         416
        .size:           8
        .value_kind:     by_value
      - .offset:         424
        .size:           8
        .value_kind:     by_value
      - .offset:         432
        .size:           8
        .value_kind:     by_value
      - .offset:         440
        .size:           416
        .value_kind:     by_value
      - .offset:         856
        .size:           8
        .value_kind:     by_value
      - .offset:         864
        .size:           1
        .value_kind:     by_value
      - .offset:         872
        .size:           4
        .value_kind:     hidden_block_count_x
      - .offset:         876
        .size:           4
        .value_kind:     hidden_block_count_y
      - .offset:         880
        .size:           4
        .value_kind:     hidden_block_count_z
      - .offset:         884
        .size:           2
        .value_kind:     hidden_group_size_x
      - .offset:         886
        .size:           2
        .value_kind:     hidden_group_size_y
      - .offset:         888
        .size:           2
        .value_kind:     hidden_group_size_z
      - .offset:         890
        .size:           2
        .value_kind:     hidden_remainder_x
      - .offset:         892
        .size:           2
        .value_kind:     hidden_remainder_y
      - .offset:         894
        .size:           2
        .value_kind:     hidden_remainder_z
      - .offset:         912
        .size:           8
        .value_kind:     hidden_global_offset_x
      - .offset:         920
        .size:           8
        .value_kind:     hidden_global_offset_y
      - .offset:         928
        .size:           8
        .value_kind:     hidden_global_offset_z
      - .offset:         936
        .size:           2
        .value_kind:     hidden_grid_dims
    .group_segment_fixed_size: 8448
    .kernarg_segment_align: 8
    .kernarg_segment_size: 1128
    .language:       OpenCL C
    .language_version:
      - 2
      - 0
    .max_flat_workgroup_size: 128
    .name:           _ZN2at6native18radixSortKVInPlaceILin1ELin1ELi128ELi8EslmEEvNS_4cuda6detail10TensorInfoIT3_T5_EES6_S6_S6_NS4_IT4_S6_EES6_b
    .private_segment_fixed_size: 0
    .sgpr_count:     40
    .sgpr_spill_count: 0
    .symbol:         _ZN2at6native18radixSortKVInPlaceILin1ELin1ELi128ELi8EslmEEvNS_4cuda6detail10TensorInfoIT3_T5_EES6_S6_S6_NS4_IT4_S6_EES6_b.kd
    .uniform_work_group_size: 1
    .uses_dynamic_stack: false
    .vgpr_count:     115
    .vgpr_spill_count: 0
    .wavefront_size: 32
    .workgroup_processor_mode: 1
  - .args:
      - .offset:         0
        .size:           416
        .value_kind:     by_value
      - .offset:         416
        .size:           8
        .value_kind:     by_value
      - .offset:         424
        .size:           8
        .value_kind:     by_value
      - .offset:         432
        .size:           8
        .value_kind:     by_value
      - .offset:         440
        .size:           416
        .value_kind:     by_value
      - .offset:         856
        .size:           8
        .value_kind:     by_value
      - .offset:         864
        .size:           1
        .value_kind:     by_value
      - .offset:         872
        .size:           4
        .value_kind:     hidden_block_count_x
      - .offset:         876
        .size:           4
        .value_kind:     hidden_block_count_y
      - .offset:         880
        .size:           4
        .value_kind:     hidden_block_count_z
      - .offset:         884
        .size:           2
        .value_kind:     hidden_group_size_x
      - .offset:         886
        .size:           2
        .value_kind:     hidden_group_size_y
      - .offset:         888
        .size:           2
        .value_kind:     hidden_group_size_z
      - .offset:         890
        .size:           2
        .value_kind:     hidden_remainder_x
      - .offset:         892
        .size:           2
        .value_kind:     hidden_remainder_y
      - .offset:         894
        .size:           2
        .value_kind:     hidden_remainder_z
      - .offset:         912
        .size:           8
        .value_kind:     hidden_global_offset_x
      - .offset:         920
        .size:           8
        .value_kind:     hidden_global_offset_y
      - .offset:         928
        .size:           8
        .value_kind:     hidden_global_offset_z
      - .offset:         936
        .size:           2
        .value_kind:     hidden_grid_dims
    .group_segment_fixed_size: 1056
    .kernarg_segment_align: 8
    .kernarg_segment_size: 1128
    .language:       OpenCL C
    .language_version:
      - 2
      - 0
    .max_flat_workgroup_size: 32
    .name:           _ZN2at6native18radixSortKVInPlaceILin1ELin1ELi32ELi4EslmEEvNS_4cuda6detail10TensorInfoIT3_T5_EES6_S6_S6_NS4_IT4_S6_EES6_b
    .private_segment_fixed_size: 0
    .sgpr_count:     38
    .sgpr_spill_count: 0
    .symbol:         _ZN2at6native18radixSortKVInPlaceILin1ELin1ELi32ELi4EslmEEvNS_4cuda6detail10TensorInfoIT3_T5_EES6_S6_S6_NS4_IT4_S6_EES6_b.kd
    .uniform_work_group_size: 1
    .uses_dynamic_stack: false
    .vgpr_count:     92
    .vgpr_spill_count: 0
    .wavefront_size: 32
    .workgroup_processor_mode: 1
  - .args:
      - .offset:         0
        .size:           416
        .value_kind:     by_value
      - .offset:         416
        .size:           8
        .value_kind:     by_value
      - .offset:         424
        .size:           8
        .value_kind:     by_value
      - .offset:         432
        .size:           8
        .value_kind:     by_value
      - .offset:         440
        .size:           416
        .value_kind:     by_value
      - .offset:         856
        .size:           8
        .value_kind:     by_value
      - .offset:         864
        .size:           1
        .value_kind:     by_value
      - .offset:         872
        .size:           4
        .value_kind:     hidden_block_count_x
      - .offset:         876
        .size:           4
        .value_kind:     hidden_block_count_y
      - .offset:         880
        .size:           4
        .value_kind:     hidden_block_count_z
      - .offset:         884
        .size:           2
        .value_kind:     hidden_group_size_x
      - .offset:         886
        .size:           2
        .value_kind:     hidden_group_size_y
      - .offset:         888
        .size:           2
        .value_kind:     hidden_group_size_z
      - .offset:         890
        .size:           2
        .value_kind:     hidden_remainder_x
      - .offset:         892
        .size:           2
        .value_kind:     hidden_remainder_y
      - .offset:         894
        .size:           2
        .value_kind:     hidden_remainder_z
      - .offset:         912
        .size:           8
        .value_kind:     hidden_global_offset_x
      - .offset:         920
        .size:           8
        .value_kind:     hidden_global_offset_y
      - .offset:         928
        .size:           8
        .value_kind:     hidden_global_offset_z
      - .offset:         936
        .size:           2
        .value_kind:     hidden_grid_dims
    .group_segment_fixed_size: 528
    .kernarg_segment_align: 8
    .kernarg_segment_size: 1128
    .language:       OpenCL C
    .language_version:
      - 2
      - 0
    .max_flat_workgroup_size: 16
    .name:           _ZN2at6native18radixSortKVInPlaceILin1ELin1ELi16ELi2EslmEEvNS_4cuda6detail10TensorInfoIT3_T5_EES6_S6_S6_NS4_IT4_S6_EES6_b
    .private_segment_fixed_size: 0
    .sgpr_count:     36
    .sgpr_spill_count: 0
    .symbol:         _ZN2at6native18radixSortKVInPlaceILin1ELin1ELi16ELi2EslmEEvNS_4cuda6detail10TensorInfoIT3_T5_EES6_S6_S6_NS4_IT4_S6_EES6_b.kd
    .uniform_work_group_size: 1
    .uses_dynamic_stack: false
    .vgpr_count:     36
    .vgpr_spill_count: 0
    .wavefront_size: 32
    .workgroup_processor_mode: 1
  - .args:
      - .offset:         0
        .size:           216
        .value_kind:     by_value
      - .offset:         216
        .size:           4
        .value_kind:     by_value
      - .offset:         220
        .size:           4
        .value_kind:     by_value
      - .offset:         224
        .size:           4
        .value_kind:     by_value
      - .offset:         232
        .size:           216
        .value_kind:     by_value
      - .offset:         448
        .size:           4
        .value_kind:     by_value
      - .offset:         452
        .size:           1
        .value_kind:     by_value
      - .offset:         456
        .size:           4
        .value_kind:     hidden_block_count_x
      - .offset:         460
        .size:           4
        .value_kind:     hidden_block_count_y
      - .offset:         464
        .size:           4
        .value_kind:     hidden_block_count_z
      - .offset:         468
        .size:           2
        .value_kind:     hidden_group_size_x
      - .offset:         470
        .size:           2
        .value_kind:     hidden_group_size_y
      - .offset:         472
        .size:           2
        .value_kind:     hidden_group_size_z
      - .offset:         474
        .size:           2
        .value_kind:     hidden_remainder_x
      - .offset:         476
        .size:           2
        .value_kind:     hidden_remainder_y
      - .offset:         478
        .size:           2
        .value_kind:     hidden_remainder_z
      - .offset:         496
        .size:           8
        .value_kind:     hidden_global_offset_x
      - .offset:         504
        .size:           8
        .value_kind:     hidden_global_offset_y
      - .offset:         512
        .size:           8
        .value_kind:     hidden_global_offset_z
      - .offset:         520
        .size:           2
        .value_kind:     hidden_grid_dims
    .group_segment_fixed_size: 33792
    .kernarg_segment_align: 8
    .kernarg_segment_size: 712
    .language:       OpenCL C
    .language_version:
      - 2
      - 0
    .max_flat_workgroup_size: 512
    .name:           _ZN2at6native18radixSortKVInPlaceILin2ELin1ELi512ELi8EdljEEvNS_4cuda6detail10TensorInfoIT3_T5_EES6_S6_S6_NS4_IT4_S6_EES6_b
    .private_segment_fixed_size: 0
    .sgpr_count:     42
    .sgpr_spill_count: 0
    .symbol:         _ZN2at6native18radixSortKVInPlaceILin2ELin1ELi512ELi8EdljEEvNS_4cuda6detail10TensorInfoIT3_T5_EES6_S6_S6_NS4_IT4_S6_EES6_b.kd
    .uniform_work_group_size: 1
    .uses_dynamic_stack: false
    .vgpr_count:     143
    .vgpr_spill_count: 0
    .wavefront_size: 32
    .workgroup_processor_mode: 1
  - .args:
      - .offset:         0
        .size:           216
        .value_kind:     by_value
      - .offset:         216
        .size:           4
        .value_kind:     by_value
      - .offset:         220
        .size:           4
        .value_kind:     by_value
      - .offset:         224
        .size:           4
        .value_kind:     by_value
      - .offset:         232
        .size:           216
        .value_kind:     by_value
      - .offset:         448
        .size:           4
        .value_kind:     by_value
      - .offset:         452
        .size:           1
        .value_kind:     by_value
      - .offset:         456
        .size:           4
        .value_kind:     hidden_block_count_x
      - .offset:         460
        .size:           4
        .value_kind:     hidden_block_count_y
      - .offset:         464
        .size:           4
        .value_kind:     hidden_block_count_z
      - .offset:         468
        .size:           2
        .value_kind:     hidden_group_size_x
      - .offset:         470
        .size:           2
        .value_kind:     hidden_group_size_y
      - .offset:         472
        .size:           2
        .value_kind:     hidden_group_size_z
      - .offset:         474
        .size:           2
        .value_kind:     hidden_remainder_x
      - .offset:         476
        .size:           2
        .value_kind:     hidden_remainder_y
      - .offset:         478
        .size:           2
        .value_kind:     hidden_remainder_z
      - .offset:         496
        .size:           8
        .value_kind:     hidden_global_offset_x
      - .offset:         504
        .size:           8
        .value_kind:     hidden_global_offset_y
      - .offset:         512
        .size:           8
        .value_kind:     hidden_global_offset_z
      - .offset:         520
        .size:           2
        .value_kind:     hidden_grid_dims
    .group_segment_fixed_size: 16896
    .kernarg_segment_align: 8
    .kernarg_segment_size: 712
    .language:       OpenCL C
    .language_version:
      - 2
      - 0
    .max_flat_workgroup_size: 256
    .name:           _ZN2at6native18radixSortKVInPlaceILin2ELin1ELi256ELi8EdljEEvNS_4cuda6detail10TensorInfoIT3_T5_EES6_S6_S6_NS4_IT4_S6_EES6_b
    .private_segment_fixed_size: 0
    .sgpr_count:     42
    .sgpr_spill_count: 0
    .symbol:         _ZN2at6native18radixSortKVInPlaceILin2ELin1ELi256ELi8EdljEEvNS_4cuda6detail10TensorInfoIT3_T5_EES6_S6_S6_NS4_IT4_S6_EES6_b.kd
    .uniform_work_group_size: 1
    .uses_dynamic_stack: false
    .vgpr_count:     143
    .vgpr_spill_count: 0
    .wavefront_size: 32
    .workgroup_processor_mode: 1
  - .args:
      - .offset:         0
        .size:           216
        .value_kind:     by_value
      - .offset:         216
        .size:           4
        .value_kind:     by_value
      - .offset:         220
        .size:           4
        .value_kind:     by_value
      - .offset:         224
        .size:           4
        .value_kind:     by_value
      - .offset:         232
        .size:           216
        .value_kind:     by_value
      - .offset:         448
        .size:           4
        .value_kind:     by_value
      - .offset:         452
        .size:           1
        .value_kind:     by_value
      - .offset:         456
        .size:           4
        .value_kind:     hidden_block_count_x
      - .offset:         460
        .size:           4
        .value_kind:     hidden_block_count_y
      - .offset:         464
        .size:           4
        .value_kind:     hidden_block_count_z
      - .offset:         468
        .size:           2
        .value_kind:     hidden_group_size_x
      - .offset:         470
        .size:           2
        .value_kind:     hidden_group_size_y
      - .offset:         472
        .size:           2
        .value_kind:     hidden_group_size_z
      - .offset:         474
        .size:           2
        .value_kind:     hidden_remainder_x
      - .offset:         476
        .size:           2
        .value_kind:     hidden_remainder_y
      - .offset:         478
        .size:           2
        .value_kind:     hidden_remainder_z
      - .offset:         496
        .size:           8
        .value_kind:     hidden_global_offset_x
      - .offset:         504
        .size:           8
        .value_kind:     hidden_global_offset_y
      - .offset:         512
        .size:           8
        .value_kind:     hidden_global_offset_z
      - .offset:         520
        .size:           2
        .value_kind:     hidden_grid_dims
    .group_segment_fixed_size: 8448
    .kernarg_segment_align: 8
    .kernarg_segment_size: 712
    .language:       OpenCL C
    .language_version:
      - 2
      - 0
    .max_flat_workgroup_size: 128
    .name:           _ZN2at6native18radixSortKVInPlaceILin2ELin1ELi128ELi8EdljEEvNS_4cuda6detail10TensorInfoIT3_T5_EES6_S6_S6_NS4_IT4_S6_EES6_b
    .private_segment_fixed_size: 0
    .sgpr_count:     42
    .sgpr_spill_count: 0
    .symbol:         _ZN2at6native18radixSortKVInPlaceILin2ELin1ELi128ELi8EdljEEvNS_4cuda6detail10TensorInfoIT3_T5_EES6_S6_S6_NS4_IT4_S6_EES6_b.kd
    .uniform_work_group_size: 1
    .uses_dynamic_stack: false
    .vgpr_count:     143
    .vgpr_spill_count: 0
    .wavefront_size: 32
    .workgroup_processor_mode: 1
  - .args:
      - .offset:         0
        .size:           216
        .value_kind:     by_value
      - .offset:         216
        .size:           4
        .value_kind:     by_value
      - .offset:         220
        .size:           4
        .value_kind:     by_value
      - .offset:         224
        .size:           4
        .value_kind:     by_value
      - .offset:         232
        .size:           216
        .value_kind:     by_value
      - .offset:         448
        .size:           4
        .value_kind:     by_value
      - .offset:         452
        .size:           1
        .value_kind:     by_value
      - .offset:         456
        .size:           4
        .value_kind:     hidden_block_count_x
      - .offset:         460
        .size:           4
        .value_kind:     hidden_block_count_y
      - .offset:         464
        .size:           4
        .value_kind:     hidden_block_count_z
      - .offset:         468
        .size:           2
        .value_kind:     hidden_group_size_x
      - .offset:         470
        .size:           2
        .value_kind:     hidden_group_size_y
      - .offset:         472
        .size:           2
        .value_kind:     hidden_group_size_z
      - .offset:         474
        .size:           2
        .value_kind:     hidden_remainder_x
      - .offset:         476
        .size:           2
        .value_kind:     hidden_remainder_y
      - .offset:         478
        .size:           2
        .value_kind:     hidden_remainder_z
      - .offset:         496
        .size:           8
        .value_kind:     hidden_global_offset_x
      - .offset:         504
        .size:           8
        .value_kind:     hidden_global_offset_y
      - .offset:         512
        .size:           8
        .value_kind:     hidden_global_offset_z
      - .offset:         520
        .size:           2
        .value_kind:     hidden_grid_dims
    .group_segment_fixed_size: 1056
    .kernarg_segment_align: 8
    .kernarg_segment_size: 712
    .language:       OpenCL C
    .language_version:
      - 2
      - 0
    .max_flat_workgroup_size: 32
    .name:           _ZN2at6native18radixSortKVInPlaceILin2ELin1ELi32ELi4EdljEEvNS_4cuda6detail10TensorInfoIT3_T5_EES6_S6_S6_NS4_IT4_S6_EES6_b
    .private_segment_fixed_size: 0
    .sgpr_count:     28
    .sgpr_spill_count: 0
    .symbol:         _ZN2at6native18radixSortKVInPlaceILin2ELin1ELi32ELi4EdljEEvNS_4cuda6detail10TensorInfoIT3_T5_EES6_S6_S6_NS4_IT4_S6_EES6_b.kd
    .uniform_work_group_size: 1
    .uses_dynamic_stack: false
    .vgpr_count:     81
    .vgpr_spill_count: 0
    .wavefront_size: 32
    .workgroup_processor_mode: 1
  - .args:
      - .offset:         0
        .size:           216
        .value_kind:     by_value
      - .offset:         216
        .size:           4
        .value_kind:     by_value
      - .offset:         220
        .size:           4
        .value_kind:     by_value
      - .offset:         224
        .size:           4
        .value_kind:     by_value
      - .offset:         232
        .size:           216
        .value_kind:     by_value
      - .offset:         448
        .size:           4
        .value_kind:     by_value
      - .offset:         452
        .size:           1
        .value_kind:     by_value
      - .offset:         456
        .size:           4
        .value_kind:     hidden_block_count_x
      - .offset:         460
        .size:           4
        .value_kind:     hidden_block_count_y
      - .offset:         464
        .size:           4
        .value_kind:     hidden_block_count_z
      - .offset:         468
        .size:           2
        .value_kind:     hidden_group_size_x
      - .offset:         470
        .size:           2
        .value_kind:     hidden_group_size_y
      - .offset:         472
        .size:           2
        .value_kind:     hidden_group_size_z
      - .offset:         474
        .size:           2
        .value_kind:     hidden_remainder_x
      - .offset:         476
        .size:           2
        .value_kind:     hidden_remainder_y
      - .offset:         478
        .size:           2
        .value_kind:     hidden_remainder_z
      - .offset:         496
        .size:           8
        .value_kind:     hidden_global_offset_x
      - .offset:         504
        .size:           8
        .value_kind:     hidden_global_offset_y
      - .offset:         512
        .size:           8
        .value_kind:     hidden_global_offset_z
      - .offset:         520
        .size:           2
        .value_kind:     hidden_grid_dims
    .group_segment_fixed_size: 528
    .kernarg_segment_align: 8
    .kernarg_segment_size: 712
    .language:       OpenCL C
    .language_version:
      - 2
      - 0
    .max_flat_workgroup_size: 16
    .name:           _ZN2at6native18radixSortKVInPlaceILin2ELin1ELi16ELi2EdljEEvNS_4cuda6detail10TensorInfoIT3_T5_EES6_S6_S6_NS4_IT4_S6_EES6_b
    .private_segment_fixed_size: 0
    .sgpr_count:     29
    .sgpr_spill_count: 0
    .symbol:         _ZN2at6native18radixSortKVInPlaceILin2ELin1ELi16ELi2EdljEEvNS_4cuda6detail10TensorInfoIT3_T5_EES6_S6_S6_NS4_IT4_S6_EES6_b.kd
    .uniform_work_group_size: 1
    .uses_dynamic_stack: false
    .vgpr_count:     46
    .vgpr_spill_count: 0
    .wavefront_size: 32
    .workgroup_processor_mode: 1
  - .args:
      - .offset:         0
        .size:           216
        .value_kind:     by_value
      - .offset:         216
        .size:           4
        .value_kind:     by_value
      - .offset:         220
        .size:           4
        .value_kind:     by_value
      - .offset:         224
        .size:           4
        .value_kind:     by_value
      - .offset:         232
        .size:           216
        .value_kind:     by_value
      - .offset:         448
        .size:           4
        .value_kind:     by_value
      - .offset:         452
        .size:           1
        .value_kind:     by_value
      - .offset:         456
        .size:           4
        .value_kind:     hidden_block_count_x
      - .offset:         460
        .size:           4
        .value_kind:     hidden_block_count_y
      - .offset:         464
        .size:           4
        .value_kind:     hidden_block_count_z
      - .offset:         468
        .size:           2
        .value_kind:     hidden_group_size_x
      - .offset:         470
        .size:           2
        .value_kind:     hidden_group_size_y
      - .offset:         472
        .size:           2
        .value_kind:     hidden_group_size_z
      - .offset:         474
        .size:           2
        .value_kind:     hidden_remainder_x
      - .offset:         476
        .size:           2
        .value_kind:     hidden_remainder_y
      - .offset:         478
        .size:           2
        .value_kind:     hidden_remainder_z
      - .offset:         496
        .size:           8
        .value_kind:     hidden_global_offset_x
      - .offset:         504
        .size:           8
        .value_kind:     hidden_global_offset_y
      - .offset:         512
        .size:           8
        .value_kind:     hidden_global_offset_z
      - .offset:         520
        .size:           2
        .value_kind:     hidden_grid_dims
    .group_segment_fixed_size: 33792
    .kernarg_segment_align: 8
    .kernarg_segment_size: 712
    .language:       OpenCL C
    .language_version:
      - 2
      - 0
    .max_flat_workgroup_size: 512
    .name:           _ZN2at6native18radixSortKVInPlaceILi2ELin1ELi512ELi8EdljEEvNS_4cuda6detail10TensorInfoIT3_T5_EES6_S6_S6_NS4_IT4_S6_EES6_b
    .private_segment_fixed_size: 0
    .sgpr_count:     42
    .sgpr_spill_count: 0
    .symbol:         _ZN2at6native18radixSortKVInPlaceILi2ELin1ELi512ELi8EdljEEvNS_4cuda6detail10TensorInfoIT3_T5_EES6_S6_S6_NS4_IT4_S6_EES6_b.kd
    .uniform_work_group_size: 1
    .uses_dynamic_stack: false
    .vgpr_count:     143
    .vgpr_spill_count: 0
    .wavefront_size: 32
    .workgroup_processor_mode: 1
  - .args:
      - .offset:         0
        .size:           216
        .value_kind:     by_value
      - .offset:         216
        .size:           4
        .value_kind:     by_value
      - .offset:         220
        .size:           4
        .value_kind:     by_value
      - .offset:         224
        .size:           4
        .value_kind:     by_value
      - .offset:         232
        .size:           216
        .value_kind:     by_value
      - .offset:         448
        .size:           4
        .value_kind:     by_value
      - .offset:         452
        .size:           1
        .value_kind:     by_value
      - .offset:         456
        .size:           4
        .value_kind:     hidden_block_count_x
      - .offset:         460
        .size:           4
        .value_kind:     hidden_block_count_y
      - .offset:         464
        .size:           4
        .value_kind:     hidden_block_count_z
      - .offset:         468
        .size:           2
        .value_kind:     hidden_group_size_x
      - .offset:         470
        .size:           2
        .value_kind:     hidden_group_size_y
      - .offset:         472
        .size:           2
        .value_kind:     hidden_group_size_z
      - .offset:         474
        .size:           2
        .value_kind:     hidden_remainder_x
      - .offset:         476
        .size:           2
        .value_kind:     hidden_remainder_y
      - .offset:         478
        .size:           2
        .value_kind:     hidden_remainder_z
      - .offset:         496
        .size:           8
        .value_kind:     hidden_global_offset_x
      - .offset:         504
        .size:           8
        .value_kind:     hidden_global_offset_y
      - .offset:         512
        .size:           8
        .value_kind:     hidden_global_offset_z
      - .offset:         520
        .size:           2
        .value_kind:     hidden_grid_dims
    .group_segment_fixed_size: 16896
    .kernarg_segment_align: 8
    .kernarg_segment_size: 712
    .language:       OpenCL C
    .language_version:
      - 2
      - 0
    .max_flat_workgroup_size: 256
    .name:           _ZN2at6native18radixSortKVInPlaceILi2ELin1ELi256ELi8EdljEEvNS_4cuda6detail10TensorInfoIT3_T5_EES6_S6_S6_NS4_IT4_S6_EES6_b
    .private_segment_fixed_size: 0
    .sgpr_count:     42
    .sgpr_spill_count: 0
    .symbol:         _ZN2at6native18radixSortKVInPlaceILi2ELin1ELi256ELi8EdljEEvNS_4cuda6detail10TensorInfoIT3_T5_EES6_S6_S6_NS4_IT4_S6_EES6_b.kd
    .uniform_work_group_size: 1
    .uses_dynamic_stack: false
    .vgpr_count:     143
    .vgpr_spill_count: 0
    .wavefront_size: 32
    .workgroup_processor_mode: 1
  - .args:
      - .offset:         0
        .size:           216
        .value_kind:     by_value
      - .offset:         216
        .size:           4
        .value_kind:     by_value
      - .offset:         220
        .size:           4
        .value_kind:     by_value
      - .offset:         224
        .size:           4
        .value_kind:     by_value
      - .offset:         232
        .size:           216
        .value_kind:     by_value
      - .offset:         448
        .size:           4
        .value_kind:     by_value
      - .offset:         452
        .size:           1
        .value_kind:     by_value
      - .offset:         456
        .size:           4
        .value_kind:     hidden_block_count_x
      - .offset:         460
        .size:           4
        .value_kind:     hidden_block_count_y
      - .offset:         464
        .size:           4
        .value_kind:     hidden_block_count_z
      - .offset:         468
        .size:           2
        .value_kind:     hidden_group_size_x
      - .offset:         470
        .size:           2
        .value_kind:     hidden_group_size_y
      - .offset:         472
        .size:           2
        .value_kind:     hidden_group_size_z
      - .offset:         474
        .size:           2
        .value_kind:     hidden_remainder_x
      - .offset:         476
        .size:           2
        .value_kind:     hidden_remainder_y
      - .offset:         478
        .size:           2
        .value_kind:     hidden_remainder_z
      - .offset:         496
        .size:           8
        .value_kind:     hidden_global_offset_x
      - .offset:         504
        .size:           8
        .value_kind:     hidden_global_offset_y
      - .offset:         512
        .size:           8
        .value_kind:     hidden_global_offset_z
      - .offset:         520
        .size:           2
        .value_kind:     hidden_grid_dims
    .group_segment_fixed_size: 8448
    .kernarg_segment_align: 8
    .kernarg_segment_size: 712
    .language:       OpenCL C
    .language_version:
      - 2
      - 0
    .max_flat_workgroup_size: 128
    .name:           _ZN2at6native18radixSortKVInPlaceILi2ELin1ELi128ELi8EdljEEvNS_4cuda6detail10TensorInfoIT3_T5_EES6_S6_S6_NS4_IT4_S6_EES6_b
    .private_segment_fixed_size: 0
    .sgpr_count:     42
    .sgpr_spill_count: 0
    .symbol:         _ZN2at6native18radixSortKVInPlaceILi2ELin1ELi128ELi8EdljEEvNS_4cuda6detail10TensorInfoIT3_T5_EES6_S6_S6_NS4_IT4_S6_EES6_b.kd
    .uniform_work_group_size: 1
    .uses_dynamic_stack: false
    .vgpr_count:     143
    .vgpr_spill_count: 0
    .wavefront_size: 32
    .workgroup_processor_mode: 1
  - .args:
      - .offset:         0
        .size:           216
        .value_kind:     by_value
      - .offset:         216
        .size:           4
        .value_kind:     by_value
      - .offset:         220
        .size:           4
        .value_kind:     by_value
      - .offset:         224
        .size:           4
        .value_kind:     by_value
      - .offset:         232
        .size:           216
        .value_kind:     by_value
      - .offset:         448
        .size:           4
        .value_kind:     by_value
      - .offset:         452
        .size:           1
        .value_kind:     by_value
      - .offset:         456
        .size:           4
        .value_kind:     hidden_block_count_x
      - .offset:         460
        .size:           4
        .value_kind:     hidden_block_count_y
      - .offset:         464
        .size:           4
        .value_kind:     hidden_block_count_z
      - .offset:         468
        .size:           2
        .value_kind:     hidden_group_size_x
      - .offset:         470
        .size:           2
        .value_kind:     hidden_group_size_y
      - .offset:         472
        .size:           2
        .value_kind:     hidden_group_size_z
      - .offset:         474
        .size:           2
        .value_kind:     hidden_remainder_x
      - .offset:         476
        .size:           2
        .value_kind:     hidden_remainder_y
      - .offset:         478
        .size:           2
        .value_kind:     hidden_remainder_z
      - .offset:         496
        .size:           8
        .value_kind:     hidden_global_offset_x
      - .offset:         504
        .size:           8
        .value_kind:     hidden_global_offset_y
      - .offset:         512
        .size:           8
        .value_kind:     hidden_global_offset_z
      - .offset:         520
        .size:           2
        .value_kind:     hidden_grid_dims
    .group_segment_fixed_size: 1056
    .kernarg_segment_align: 8
    .kernarg_segment_size: 712
    .language:       OpenCL C
    .language_version:
      - 2
      - 0
    .max_flat_workgroup_size: 32
    .name:           _ZN2at6native18radixSortKVInPlaceILi2ELin1ELi32ELi4EdljEEvNS_4cuda6detail10TensorInfoIT3_T5_EES6_S6_S6_NS4_IT4_S6_EES6_b
    .private_segment_fixed_size: 0
    .sgpr_count:     28
    .sgpr_spill_count: 0
    .symbol:         _ZN2at6native18radixSortKVInPlaceILi2ELin1ELi32ELi4EdljEEvNS_4cuda6detail10TensorInfoIT3_T5_EES6_S6_S6_NS4_IT4_S6_EES6_b.kd
    .uniform_work_group_size: 1
    .uses_dynamic_stack: false
    .vgpr_count:     81
    .vgpr_spill_count: 0
    .wavefront_size: 32
    .workgroup_processor_mode: 1
  - .args:
      - .offset:         0
        .size:           216
        .value_kind:     by_value
      - .offset:         216
        .size:           4
        .value_kind:     by_value
      - .offset:         220
        .size:           4
        .value_kind:     by_value
      - .offset:         224
        .size:           4
        .value_kind:     by_value
      - .offset:         232
        .size:           216
        .value_kind:     by_value
      - .offset:         448
        .size:           4
        .value_kind:     by_value
      - .offset:         452
        .size:           1
        .value_kind:     by_value
      - .offset:         456
        .size:           4
        .value_kind:     hidden_block_count_x
      - .offset:         460
        .size:           4
        .value_kind:     hidden_block_count_y
      - .offset:         464
        .size:           4
        .value_kind:     hidden_block_count_z
      - .offset:         468
        .size:           2
        .value_kind:     hidden_group_size_x
      - .offset:         470
        .size:           2
        .value_kind:     hidden_group_size_y
      - .offset:         472
        .size:           2
        .value_kind:     hidden_group_size_z
      - .offset:         474
        .size:           2
        .value_kind:     hidden_remainder_x
      - .offset:         476
        .size:           2
        .value_kind:     hidden_remainder_y
      - .offset:         478
        .size:           2
        .value_kind:     hidden_remainder_z
      - .offset:         496
        .size:           8
        .value_kind:     hidden_global_offset_x
      - .offset:         504
        .size:           8
        .value_kind:     hidden_global_offset_y
      - .offset:         512
        .size:           8
        .value_kind:     hidden_global_offset_z
      - .offset:         520
        .size:           2
        .value_kind:     hidden_grid_dims
    .group_segment_fixed_size: 528
    .kernarg_segment_align: 8
    .kernarg_segment_size: 712
    .language:       OpenCL C
    .language_version:
      - 2
      - 0
    .max_flat_workgroup_size: 16
    .name:           _ZN2at6native18radixSortKVInPlaceILi2ELin1ELi16ELi2EdljEEvNS_4cuda6detail10TensorInfoIT3_T5_EES6_S6_S6_NS4_IT4_S6_EES6_b
    .private_segment_fixed_size: 0
    .sgpr_count:     29
    .sgpr_spill_count: 0
    .symbol:         _ZN2at6native18radixSortKVInPlaceILi2ELin1ELi16ELi2EdljEEvNS_4cuda6detail10TensorInfoIT3_T5_EES6_S6_S6_NS4_IT4_S6_EES6_b.kd
    .uniform_work_group_size: 1
    .uses_dynamic_stack: false
    .vgpr_count:     46
    .vgpr_spill_count: 0
    .wavefront_size: 32
    .workgroup_processor_mode: 1
  - .args:
      - .offset:         0
        .size:           216
        .value_kind:     by_value
      - .offset:         216
        .size:           4
        .value_kind:     by_value
      - .offset:         220
        .size:           4
        .value_kind:     by_value
      - .offset:         224
        .size:           4
        .value_kind:     by_value
      - .offset:         232
        .size:           216
        .value_kind:     by_value
      - .offset:         448
        .size:           4
        .value_kind:     by_value
      - .offset:         452
        .size:           1
        .value_kind:     by_value
      - .offset:         456
        .size:           4
        .value_kind:     hidden_block_count_x
      - .offset:         460
        .size:           4
        .value_kind:     hidden_block_count_y
      - .offset:         464
        .size:           4
        .value_kind:     hidden_block_count_z
      - .offset:         468
        .size:           2
        .value_kind:     hidden_group_size_x
      - .offset:         470
        .size:           2
        .value_kind:     hidden_group_size_y
      - .offset:         472
        .size:           2
        .value_kind:     hidden_group_size_z
      - .offset:         474
        .size:           2
        .value_kind:     hidden_remainder_x
      - .offset:         476
        .size:           2
        .value_kind:     hidden_remainder_y
      - .offset:         478
        .size:           2
        .value_kind:     hidden_remainder_z
      - .offset:         496
        .size:           8
        .value_kind:     hidden_global_offset_x
      - .offset:         504
        .size:           8
        .value_kind:     hidden_global_offset_y
      - .offset:         512
        .size:           8
        .value_kind:     hidden_global_offset_z
      - .offset:         520
        .size:           2
        .value_kind:     hidden_grid_dims
    .group_segment_fixed_size: 33792
    .kernarg_segment_align: 8
    .kernarg_segment_size: 712
    .language:       OpenCL C
    .language_version:
      - 2
      - 0
    .max_flat_workgroup_size: 512
    .name:           _ZN2at6native18radixSortKVInPlaceILin1ELin1ELi512ELi8EdljEEvNS_4cuda6detail10TensorInfoIT3_T5_EES6_S6_S6_NS4_IT4_S6_EES6_b
    .private_segment_fixed_size: 0
    .sgpr_count:     42
    .sgpr_spill_count: 0
    .symbol:         _ZN2at6native18radixSortKVInPlaceILin1ELin1ELi512ELi8EdljEEvNS_4cuda6detail10TensorInfoIT3_T5_EES6_S6_S6_NS4_IT4_S6_EES6_b.kd
    .uniform_work_group_size: 1
    .uses_dynamic_stack: false
    .vgpr_count:     143
    .vgpr_spill_count: 0
    .wavefront_size: 32
    .workgroup_processor_mode: 1
  - .args:
      - .offset:         0
        .size:           216
        .value_kind:     by_value
      - .offset:         216
        .size:           4
        .value_kind:     by_value
      - .offset:         220
        .size:           4
        .value_kind:     by_value
      - .offset:         224
        .size:           4
        .value_kind:     by_value
      - .offset:         232
        .size:           216
        .value_kind:     by_value
      - .offset:         448
        .size:           4
        .value_kind:     by_value
      - .offset:         452
        .size:           1
        .value_kind:     by_value
      - .offset:         456
        .size:           4
        .value_kind:     hidden_block_count_x
      - .offset:         460
        .size:           4
        .value_kind:     hidden_block_count_y
      - .offset:         464
        .size:           4
        .value_kind:     hidden_block_count_z
      - .offset:         468
        .size:           2
        .value_kind:     hidden_group_size_x
      - .offset:         470
        .size:           2
        .value_kind:     hidden_group_size_y
      - .offset:         472
        .size:           2
        .value_kind:     hidden_group_size_z
      - .offset:         474
        .size:           2
        .value_kind:     hidden_remainder_x
      - .offset:         476
        .size:           2
        .value_kind:     hidden_remainder_y
      - .offset:         478
        .size:           2
        .value_kind:     hidden_remainder_z
      - .offset:         496
        .size:           8
        .value_kind:     hidden_global_offset_x
      - .offset:         504
        .size:           8
        .value_kind:     hidden_global_offset_y
      - .offset:         512
        .size:           8
        .value_kind:     hidden_global_offset_z
      - .offset:         520
        .size:           2
        .value_kind:     hidden_grid_dims
    .group_segment_fixed_size: 16896
    .kernarg_segment_align: 8
    .kernarg_segment_size: 712
    .language:       OpenCL C
    .language_version:
      - 2
      - 0
    .max_flat_workgroup_size: 256
    .name:           _ZN2at6native18radixSortKVInPlaceILin1ELin1ELi256ELi8EdljEEvNS_4cuda6detail10TensorInfoIT3_T5_EES6_S6_S6_NS4_IT4_S6_EES6_b
    .private_segment_fixed_size: 0
    .sgpr_count:     42
    .sgpr_spill_count: 0
    .symbol:         _ZN2at6native18radixSortKVInPlaceILin1ELin1ELi256ELi8EdljEEvNS_4cuda6detail10TensorInfoIT3_T5_EES6_S6_S6_NS4_IT4_S6_EES6_b.kd
    .uniform_work_group_size: 1
    .uses_dynamic_stack: false
    .vgpr_count:     143
    .vgpr_spill_count: 0
    .wavefront_size: 32
    .workgroup_processor_mode: 1
  - .args:
      - .offset:         0
        .size:           216
        .value_kind:     by_value
      - .offset:         216
        .size:           4
        .value_kind:     by_value
      - .offset:         220
        .size:           4
        .value_kind:     by_value
      - .offset:         224
        .size:           4
        .value_kind:     by_value
      - .offset:         232
        .size:           216
        .value_kind:     by_value
      - .offset:         448
        .size:           4
        .value_kind:     by_value
      - .offset:         452
        .size:           1
        .value_kind:     by_value
      - .offset:         456
        .size:           4
        .value_kind:     hidden_block_count_x
      - .offset:         460
        .size:           4
        .value_kind:     hidden_block_count_y
      - .offset:         464
        .size:           4
        .value_kind:     hidden_block_count_z
      - .offset:         468
        .size:           2
        .value_kind:     hidden_group_size_x
      - .offset:         470
        .size:           2
        .value_kind:     hidden_group_size_y
      - .offset:         472
        .size:           2
        .value_kind:     hidden_group_size_z
      - .offset:         474
        .size:           2
        .value_kind:     hidden_remainder_x
      - .offset:         476
        .size:           2
        .value_kind:     hidden_remainder_y
      - .offset:         478
        .size:           2
        .value_kind:     hidden_remainder_z
      - .offset:         496
        .size:           8
        .value_kind:     hidden_global_offset_x
      - .offset:         504
        .size:           8
        .value_kind:     hidden_global_offset_y
      - .offset:         512
        .size:           8
        .value_kind:     hidden_global_offset_z
      - .offset:         520
        .size:           2
        .value_kind:     hidden_grid_dims
    .group_segment_fixed_size: 8448
    .kernarg_segment_align: 8
    .kernarg_segment_size: 712
    .language:       OpenCL C
    .language_version:
      - 2
      - 0
    .max_flat_workgroup_size: 128
    .name:           _ZN2at6native18radixSortKVInPlaceILin1ELin1ELi128ELi8EdljEEvNS_4cuda6detail10TensorInfoIT3_T5_EES6_S6_S6_NS4_IT4_S6_EES6_b
    .private_segment_fixed_size: 0
    .sgpr_count:     42
    .sgpr_spill_count: 0
    .symbol:         _ZN2at6native18radixSortKVInPlaceILin1ELin1ELi128ELi8EdljEEvNS_4cuda6detail10TensorInfoIT3_T5_EES6_S6_S6_NS4_IT4_S6_EES6_b.kd
    .uniform_work_group_size: 1
    .uses_dynamic_stack: false
    .vgpr_count:     143
    .vgpr_spill_count: 0
    .wavefront_size: 32
    .workgroup_processor_mode: 1
  - .args:
      - .offset:         0
        .size:           216
        .value_kind:     by_value
      - .offset:         216
        .size:           4
        .value_kind:     by_value
      - .offset:         220
        .size:           4
        .value_kind:     by_value
      - .offset:         224
        .size:           4
        .value_kind:     by_value
      - .offset:         232
        .size:           216
        .value_kind:     by_value
      - .offset:         448
        .size:           4
        .value_kind:     by_value
      - .offset:         452
        .size:           1
        .value_kind:     by_value
      - .offset:         456
        .size:           4
        .value_kind:     hidden_block_count_x
      - .offset:         460
        .size:           4
        .value_kind:     hidden_block_count_y
      - .offset:         464
        .size:           4
        .value_kind:     hidden_block_count_z
      - .offset:         468
        .size:           2
        .value_kind:     hidden_group_size_x
      - .offset:         470
        .size:           2
        .value_kind:     hidden_group_size_y
      - .offset:         472
        .size:           2
        .value_kind:     hidden_group_size_z
      - .offset:         474
        .size:           2
        .value_kind:     hidden_remainder_x
      - .offset:         476
        .size:           2
        .value_kind:     hidden_remainder_y
      - .offset:         478
        .size:           2
        .value_kind:     hidden_remainder_z
      - .offset:         496
        .size:           8
        .value_kind:     hidden_global_offset_x
      - .offset:         504
        .size:           8
        .value_kind:     hidden_global_offset_y
      - .offset:         512
        .size:           8
        .value_kind:     hidden_global_offset_z
      - .offset:         520
        .size:           2
        .value_kind:     hidden_grid_dims
    .group_segment_fixed_size: 1056
    .kernarg_segment_align: 8
    .kernarg_segment_size: 712
    .language:       OpenCL C
    .language_version:
      - 2
      - 0
    .max_flat_workgroup_size: 32
    .name:           _ZN2at6native18radixSortKVInPlaceILin1ELin1ELi32ELi4EdljEEvNS_4cuda6detail10TensorInfoIT3_T5_EES6_S6_S6_NS4_IT4_S6_EES6_b
    .private_segment_fixed_size: 0
    .sgpr_count:     28
    .sgpr_spill_count: 0
    .symbol:         _ZN2at6native18radixSortKVInPlaceILin1ELin1ELi32ELi4EdljEEvNS_4cuda6detail10TensorInfoIT3_T5_EES6_S6_S6_NS4_IT4_S6_EES6_b.kd
    .uniform_work_group_size: 1
    .uses_dynamic_stack: false
    .vgpr_count:     81
    .vgpr_spill_count: 0
    .wavefront_size: 32
    .workgroup_processor_mode: 1
  - .args:
      - .offset:         0
        .size:           216
        .value_kind:     by_value
      - .offset:         216
        .size:           4
        .value_kind:     by_value
      - .offset:         220
        .size:           4
        .value_kind:     by_value
      - .offset:         224
        .size:           4
        .value_kind:     by_value
      - .offset:         232
        .size:           216
        .value_kind:     by_value
      - .offset:         448
        .size:           4
        .value_kind:     by_value
      - .offset:         452
        .size:           1
        .value_kind:     by_value
      - .offset:         456
        .size:           4
        .value_kind:     hidden_block_count_x
      - .offset:         460
        .size:           4
        .value_kind:     hidden_block_count_y
      - .offset:         464
        .size:           4
        .value_kind:     hidden_block_count_z
      - .offset:         468
        .size:           2
        .value_kind:     hidden_group_size_x
      - .offset:         470
        .size:           2
        .value_kind:     hidden_group_size_y
      - .offset:         472
        .size:           2
        .value_kind:     hidden_group_size_z
      - .offset:         474
        .size:           2
        .value_kind:     hidden_remainder_x
      - .offset:         476
        .size:           2
        .value_kind:     hidden_remainder_y
      - .offset:         478
        .size:           2
        .value_kind:     hidden_remainder_z
      - .offset:         496
        .size:           8
        .value_kind:     hidden_global_offset_x
      - .offset:         504
        .size:           8
        .value_kind:     hidden_global_offset_y
      - .offset:         512
        .size:           8
        .value_kind:     hidden_global_offset_z
      - .offset:         520
        .size:           2
        .value_kind:     hidden_grid_dims
    .group_segment_fixed_size: 528
    .kernarg_segment_align: 8
    .kernarg_segment_size: 712
    .language:       OpenCL C
    .language_version:
      - 2
      - 0
    .max_flat_workgroup_size: 16
    .name:           _ZN2at6native18radixSortKVInPlaceILin1ELin1ELi16ELi2EdljEEvNS_4cuda6detail10TensorInfoIT3_T5_EES6_S6_S6_NS4_IT4_S6_EES6_b
    .private_segment_fixed_size: 0
    .sgpr_count:     29
    .sgpr_spill_count: 0
    .symbol:         _ZN2at6native18radixSortKVInPlaceILin1ELin1ELi16ELi2EdljEEvNS_4cuda6detail10TensorInfoIT3_T5_EES6_S6_S6_NS4_IT4_S6_EES6_b.kd
    .uniform_work_group_size: 1
    .uses_dynamic_stack: false
    .vgpr_count:     46
    .vgpr_spill_count: 0
    .wavefront_size: 32
    .workgroup_processor_mode: 1
  - .args:
      - .offset:         0
        .size:           416
        .value_kind:     by_value
      - .offset:         416
        .size:           8
        .value_kind:     by_value
      - .offset:         424
        .size:           8
        .value_kind:     by_value
      - .offset:         432
        .size:           8
        .value_kind:     by_value
      - .offset:         440
        .size:           416
        .value_kind:     by_value
      - .offset:         856
        .size:           8
        .value_kind:     by_value
      - .offset:         864
        .size:           1
        .value_kind:     by_value
      - .offset:         872
        .size:           4
        .value_kind:     hidden_block_count_x
      - .offset:         876
        .size:           4
        .value_kind:     hidden_block_count_y
      - .offset:         880
        .size:           4
        .value_kind:     hidden_block_count_z
      - .offset:         884
        .size:           2
        .value_kind:     hidden_group_size_x
      - .offset:         886
        .size:           2
        .value_kind:     hidden_group_size_y
      - .offset:         888
        .size:           2
        .value_kind:     hidden_group_size_z
      - .offset:         890
        .size:           2
        .value_kind:     hidden_remainder_x
      - .offset:         892
        .size:           2
        .value_kind:     hidden_remainder_y
      - .offset:         894
        .size:           2
        .value_kind:     hidden_remainder_z
      - .offset:         912
        .size:           8
        .value_kind:     hidden_global_offset_x
      - .offset:         920
        .size:           8
        .value_kind:     hidden_global_offset_y
      - .offset:         928
        .size:           8
        .value_kind:     hidden_global_offset_z
      - .offset:         936
        .size:           2
        .value_kind:     hidden_grid_dims
    .group_segment_fixed_size: 33792
    .kernarg_segment_align: 8
    .kernarg_segment_size: 1128
    .language:       OpenCL C
    .language_version:
      - 2
      - 0
    .max_flat_workgroup_size: 512
    .name:           _ZN2at6native18radixSortKVInPlaceILin1ELin1ELi512ELi8EdlmEEvNS_4cuda6detail10TensorInfoIT3_T5_EES6_S6_S6_NS4_IT4_S6_EES6_b
    .private_segment_fixed_size: 0
    .sgpr_count:     42
    .sgpr_spill_count: 0
    .symbol:         _ZN2at6native18radixSortKVInPlaceILin1ELin1ELi512ELi8EdlmEEvNS_4cuda6detail10TensorInfoIT3_T5_EES6_S6_S6_NS4_IT4_S6_EES6_b.kd
    .uniform_work_group_size: 1
    .uses_dynamic_stack: false
    .vgpr_count:     141
    .vgpr_spill_count: 0
    .wavefront_size: 32
    .workgroup_processor_mode: 1
  - .args:
      - .offset:         0
        .size:           416
        .value_kind:     by_value
      - .offset:         416
        .size:           8
        .value_kind:     by_value
      - .offset:         424
        .size:           8
        .value_kind:     by_value
      - .offset:         432
        .size:           8
        .value_kind:     by_value
      - .offset:         440
        .size:           416
        .value_kind:     by_value
      - .offset:         856
        .size:           8
        .value_kind:     by_value
      - .offset:         864
        .size:           1
        .value_kind:     by_value
      - .offset:         872
        .size:           4
        .value_kind:     hidden_block_count_x
      - .offset:         876
        .size:           4
        .value_kind:     hidden_block_count_y
      - .offset:         880
        .size:           4
        .value_kind:     hidden_block_count_z
      - .offset:         884
        .size:           2
        .value_kind:     hidden_group_size_x
      - .offset:         886
        .size:           2
        .value_kind:     hidden_group_size_y
      - .offset:         888
        .size:           2
        .value_kind:     hidden_group_size_z
      - .offset:         890
        .size:           2
        .value_kind:     hidden_remainder_x
      - .offset:         892
        .size:           2
        .value_kind:     hidden_remainder_y
      - .offset:         894
        .size:           2
        .value_kind:     hidden_remainder_z
      - .offset:         912
        .size:           8
        .value_kind:     hidden_global_offset_x
      - .offset:         920
        .size:           8
        .value_kind:     hidden_global_offset_y
      - .offset:         928
        .size:           8
        .value_kind:     hidden_global_offset_z
      - .offset:         936
        .size:           2
        .value_kind:     hidden_grid_dims
    .group_segment_fixed_size: 16896
    .kernarg_segment_align: 8
    .kernarg_segment_size: 1128
    .language:       OpenCL C
    .language_version:
      - 2
      - 0
    .max_flat_workgroup_size: 256
    .name:           _ZN2at6native18radixSortKVInPlaceILin1ELin1ELi256ELi8EdlmEEvNS_4cuda6detail10TensorInfoIT3_T5_EES6_S6_S6_NS4_IT4_S6_EES6_b
    .private_segment_fixed_size: 0
    .sgpr_count:     42
    .sgpr_spill_count: 0
    .symbol:         _ZN2at6native18radixSortKVInPlaceILin1ELin1ELi256ELi8EdlmEEvNS_4cuda6detail10TensorInfoIT3_T5_EES6_S6_S6_NS4_IT4_S6_EES6_b.kd
    .uniform_work_group_size: 1
    .uses_dynamic_stack: false
    .vgpr_count:     141
    .vgpr_spill_count: 0
    .wavefront_size: 32
    .workgroup_processor_mode: 1
  - .args:
      - .offset:         0
        .size:           416
        .value_kind:     by_value
      - .offset:         416
        .size:           8
        .value_kind:     by_value
      - .offset:         424
        .size:           8
        .value_kind:     by_value
      - .offset:         432
        .size:           8
        .value_kind:     by_value
      - .offset:         440
        .size:           416
        .value_kind:     by_value
      - .offset:         856
        .size:           8
        .value_kind:     by_value
      - .offset:         864
        .size:           1
        .value_kind:     by_value
      - .offset:         872
        .size:           4
        .value_kind:     hidden_block_count_x
      - .offset:         876
        .size:           4
        .value_kind:     hidden_block_count_y
      - .offset:         880
        .size:           4
        .value_kind:     hidden_block_count_z
      - .offset:         884
        .size:           2
        .value_kind:     hidden_group_size_x
      - .offset:         886
        .size:           2
        .value_kind:     hidden_group_size_y
      - .offset:         888
        .size:           2
        .value_kind:     hidden_group_size_z
      - .offset:         890
        .size:           2
        .value_kind:     hidden_remainder_x
      - .offset:         892
        .size:           2
        .value_kind:     hidden_remainder_y
      - .offset:         894
        .size:           2
        .value_kind:     hidden_remainder_z
      - .offset:         912
        .size:           8
        .value_kind:     hidden_global_offset_x
      - .offset:         920
        .size:           8
        .value_kind:     hidden_global_offset_y
      - .offset:         928
        .size:           8
        .value_kind:     hidden_global_offset_z
      - .offset:         936
        .size:           2
        .value_kind:     hidden_grid_dims
    .group_segment_fixed_size: 8448
    .kernarg_segment_align: 8
    .kernarg_segment_size: 1128
    .language:       OpenCL C
    .language_version:
      - 2
      - 0
    .max_flat_workgroup_size: 128
    .name:           _ZN2at6native18radixSortKVInPlaceILin1ELin1ELi128ELi8EdlmEEvNS_4cuda6detail10TensorInfoIT3_T5_EES6_S6_S6_NS4_IT4_S6_EES6_b
    .private_segment_fixed_size: 0
    .sgpr_count:     42
    .sgpr_spill_count: 0
    .symbol:         _ZN2at6native18radixSortKVInPlaceILin1ELin1ELi128ELi8EdlmEEvNS_4cuda6detail10TensorInfoIT3_T5_EES6_S6_S6_NS4_IT4_S6_EES6_b.kd
    .uniform_work_group_size: 1
    .uses_dynamic_stack: false
    .vgpr_count:     141
    .vgpr_spill_count: 0
    .wavefront_size: 32
    .workgroup_processor_mode: 1
  - .args:
      - .offset:         0
        .size:           416
        .value_kind:     by_value
      - .offset:         416
        .size:           8
        .value_kind:     by_value
      - .offset:         424
        .size:           8
        .value_kind:     by_value
      - .offset:         432
        .size:           8
        .value_kind:     by_value
      - .offset:         440
        .size:           416
        .value_kind:     by_value
      - .offset:         856
        .size:           8
        .value_kind:     by_value
      - .offset:         864
        .size:           1
        .value_kind:     by_value
      - .offset:         872
        .size:           4
        .value_kind:     hidden_block_count_x
      - .offset:         876
        .size:           4
        .value_kind:     hidden_block_count_y
      - .offset:         880
        .size:           4
        .value_kind:     hidden_block_count_z
      - .offset:         884
        .size:           2
        .value_kind:     hidden_group_size_x
      - .offset:         886
        .size:           2
        .value_kind:     hidden_group_size_y
      - .offset:         888
        .size:           2
        .value_kind:     hidden_group_size_z
      - .offset:         890
        .size:           2
        .value_kind:     hidden_remainder_x
      - .offset:         892
        .size:           2
        .value_kind:     hidden_remainder_y
      - .offset:         894
        .size:           2
        .value_kind:     hidden_remainder_z
      - .offset:         912
        .size:           8
        .value_kind:     hidden_global_offset_x
      - .offset:         920
        .size:           8
        .value_kind:     hidden_global_offset_y
      - .offset:         928
        .size:           8
        .value_kind:     hidden_global_offset_z
      - .offset:         936
        .size:           2
        .value_kind:     hidden_grid_dims
    .group_segment_fixed_size: 1056
    .kernarg_segment_align: 8
    .kernarg_segment_size: 1128
    .language:       OpenCL C
    .language_version:
      - 2
      - 0
    .max_flat_workgroup_size: 32
    .name:           _ZN2at6native18radixSortKVInPlaceILin1ELin1ELi32ELi4EdlmEEvNS_4cuda6detail10TensorInfoIT3_T5_EES6_S6_S6_NS4_IT4_S6_EES6_b
    .private_segment_fixed_size: 0
    .sgpr_count:     38
    .sgpr_spill_count: 0
    .symbol:         _ZN2at6native18radixSortKVInPlaceILin1ELin1ELi32ELi4EdlmEEvNS_4cuda6detail10TensorInfoIT3_T5_EES6_S6_S6_NS4_IT4_S6_EES6_b.kd
    .uniform_work_group_size: 1
    .uses_dynamic_stack: false
    .vgpr_count:     79
    .vgpr_spill_count: 0
    .wavefront_size: 32
    .workgroup_processor_mode: 1
  - .args:
      - .offset:         0
        .size:           416
        .value_kind:     by_value
      - .offset:         416
        .size:           8
        .value_kind:     by_value
      - .offset:         424
        .size:           8
        .value_kind:     by_value
      - .offset:         432
        .size:           8
        .value_kind:     by_value
      - .offset:         440
        .size:           416
        .value_kind:     by_value
      - .offset:         856
        .size:           8
        .value_kind:     by_value
      - .offset:         864
        .size:           1
        .value_kind:     by_value
      - .offset:         872
        .size:           4
        .value_kind:     hidden_block_count_x
      - .offset:         876
        .size:           4
        .value_kind:     hidden_block_count_y
      - .offset:         880
        .size:           4
        .value_kind:     hidden_block_count_z
      - .offset:         884
        .size:           2
        .value_kind:     hidden_group_size_x
      - .offset:         886
        .size:           2
        .value_kind:     hidden_group_size_y
      - .offset:         888
        .size:           2
        .value_kind:     hidden_group_size_z
      - .offset:         890
        .size:           2
        .value_kind:     hidden_remainder_x
      - .offset:         892
        .size:           2
        .value_kind:     hidden_remainder_y
      - .offset:         894
        .size:           2
        .value_kind:     hidden_remainder_z
      - .offset:         912
        .size:           8
        .value_kind:     hidden_global_offset_x
      - .offset:         920
        .size:           8
        .value_kind:     hidden_global_offset_y
      - .offset:         928
        .size:           8
        .value_kind:     hidden_global_offset_z
      - .offset:         936
        .size:           2
        .value_kind:     hidden_grid_dims
    .group_segment_fixed_size: 528
    .kernarg_segment_align: 8
    .kernarg_segment_size: 1128
    .language:       OpenCL C
    .language_version:
      - 2
      - 0
    .max_flat_workgroup_size: 16
    .name:           _ZN2at6native18radixSortKVInPlaceILin1ELin1ELi16ELi2EdlmEEvNS_4cuda6detail10TensorInfoIT3_T5_EES6_S6_S6_NS4_IT4_S6_EES6_b
    .private_segment_fixed_size: 0
    .sgpr_count:     36
    .sgpr_spill_count: 0
    .symbol:         _ZN2at6native18radixSortKVInPlaceILin1ELin1ELi16ELi2EdlmEEvNS_4cuda6detail10TensorInfoIT3_T5_EES6_S6_S6_NS4_IT4_S6_EES6_b.kd
    .uniform_work_group_size: 1
    .uses_dynamic_stack: false
    .vgpr_count:     44
    .vgpr_spill_count: 0
    .wavefront_size: 32
    .workgroup_processor_mode: 1
  - .args:
      - .offset:         0
        .size:           216
        .value_kind:     by_value
      - .offset:         216
        .size:           4
        .value_kind:     by_value
      - .offset:         220
        .size:           4
        .value_kind:     by_value
      - .offset:         224
        .size:           4
        .value_kind:     by_value
      - .offset:         232
        .size:           216
        .value_kind:     by_value
      - .offset:         448
        .size:           4
        .value_kind:     by_value
      - .offset:         452
        .size:           1
        .value_kind:     by_value
      - .offset:         456
        .size:           4
        .value_kind:     hidden_block_count_x
      - .offset:         460
        .size:           4
        .value_kind:     hidden_block_count_y
      - .offset:         464
        .size:           4
        .value_kind:     hidden_block_count_z
      - .offset:         468
        .size:           2
        .value_kind:     hidden_group_size_x
      - .offset:         470
        .size:           2
        .value_kind:     hidden_group_size_y
      - .offset:         472
        .size:           2
        .value_kind:     hidden_group_size_z
      - .offset:         474
        .size:           2
        .value_kind:     hidden_remainder_x
      - .offset:         476
        .size:           2
        .value_kind:     hidden_remainder_y
      - .offset:         478
        .size:           2
        .value_kind:     hidden_remainder_z
      - .offset:         496
        .size:           8
        .value_kind:     hidden_global_offset_x
      - .offset:         504
        .size:           8
        .value_kind:     hidden_global_offset_y
      - .offset:         512
        .size:           8
        .value_kind:     hidden_global_offset_z
      - .offset:         520
        .size:           2
        .value_kind:     hidden_grid_dims
    .group_segment_fixed_size: 33792
    .kernarg_segment_align: 8
    .kernarg_segment_size: 712
    .language:       OpenCL C
    .language_version:
      - 2
      - 0
    .max_flat_workgroup_size: 512
    .name:           _ZN2at6native18radixSortKVInPlaceILin2ELin1ELi512ELi8EfljEEvNS_4cuda6detail10TensorInfoIT3_T5_EES6_S6_S6_NS4_IT4_S6_EES6_b
    .private_segment_fixed_size: 0
    .sgpr_count:     38
    .sgpr_spill_count: 0
    .symbol:         _ZN2at6native18radixSortKVInPlaceILin2ELin1ELi512ELi8EfljEEvNS_4cuda6detail10TensorInfoIT3_T5_EES6_S6_S6_NS4_IT4_S6_EES6_b.kd
    .uniform_work_group_size: 1
    .uses_dynamic_stack: false
    .vgpr_count:     121
    .vgpr_spill_count: 0
    .wavefront_size: 32
    .workgroup_processor_mode: 1
  - .args:
      - .offset:         0
        .size:           216
        .value_kind:     by_value
      - .offset:         216
        .size:           4
        .value_kind:     by_value
      - .offset:         220
        .size:           4
        .value_kind:     by_value
      - .offset:         224
        .size:           4
        .value_kind:     by_value
      - .offset:         232
        .size:           216
        .value_kind:     by_value
      - .offset:         448
        .size:           4
        .value_kind:     by_value
      - .offset:         452
        .size:           1
        .value_kind:     by_value
      - .offset:         456
        .size:           4
        .value_kind:     hidden_block_count_x
      - .offset:         460
        .size:           4
        .value_kind:     hidden_block_count_y
      - .offset:         464
        .size:           4
        .value_kind:     hidden_block_count_z
      - .offset:         468
        .size:           2
        .value_kind:     hidden_group_size_x
      - .offset:         470
        .size:           2
        .value_kind:     hidden_group_size_y
      - .offset:         472
        .size:           2
        .value_kind:     hidden_group_size_z
      - .offset:         474
        .size:           2
        .value_kind:     hidden_remainder_x
      - .offset:         476
        .size:           2
        .value_kind:     hidden_remainder_y
      - .offset:         478
        .size:           2
        .value_kind:     hidden_remainder_z
      - .offset:         496
        .size:           8
        .value_kind:     hidden_global_offset_x
      - .offset:         504
        .size:           8
        .value_kind:     hidden_global_offset_y
      - .offset:         512
        .size:           8
        .value_kind:     hidden_global_offset_z
      - .offset:         520
        .size:           2
        .value_kind:     hidden_grid_dims
    .group_segment_fixed_size: 16896
    .kernarg_segment_align: 8
    .kernarg_segment_size: 712
    .language:       OpenCL C
    .language_version:
      - 2
      - 0
    .max_flat_workgroup_size: 256
    .name:           _ZN2at6native18radixSortKVInPlaceILin2ELin1ELi256ELi8EfljEEvNS_4cuda6detail10TensorInfoIT3_T5_EES6_S6_S6_NS4_IT4_S6_EES6_b
    .private_segment_fixed_size: 0
    .sgpr_count:     40
    .sgpr_spill_count: 0
    .symbol:         _ZN2at6native18radixSortKVInPlaceILin2ELin1ELi256ELi8EfljEEvNS_4cuda6detail10TensorInfoIT3_T5_EES6_S6_S6_NS4_IT4_S6_EES6_b.kd
    .uniform_work_group_size: 1
    .uses_dynamic_stack: false
    .vgpr_count:     121
    .vgpr_spill_count: 0
    .wavefront_size: 32
    .workgroup_processor_mode: 1
  - .args:
      - .offset:         0
        .size:           216
        .value_kind:     by_value
      - .offset:         216
        .size:           4
        .value_kind:     by_value
      - .offset:         220
        .size:           4
        .value_kind:     by_value
      - .offset:         224
        .size:           4
        .value_kind:     by_value
      - .offset:         232
        .size:           216
        .value_kind:     by_value
      - .offset:         448
        .size:           4
        .value_kind:     by_value
      - .offset:         452
        .size:           1
        .value_kind:     by_value
      - .offset:         456
        .size:           4
        .value_kind:     hidden_block_count_x
      - .offset:         460
        .size:           4
        .value_kind:     hidden_block_count_y
      - .offset:         464
        .size:           4
        .value_kind:     hidden_block_count_z
      - .offset:         468
        .size:           2
        .value_kind:     hidden_group_size_x
      - .offset:         470
        .size:           2
        .value_kind:     hidden_group_size_y
      - .offset:         472
        .size:           2
        .value_kind:     hidden_group_size_z
      - .offset:         474
        .size:           2
        .value_kind:     hidden_remainder_x
      - .offset:         476
        .size:           2
        .value_kind:     hidden_remainder_y
      - .offset:         478
        .size:           2
        .value_kind:     hidden_remainder_z
      - .offset:         496
        .size:           8
        .value_kind:     hidden_global_offset_x
      - .offset:         504
        .size:           8
        .value_kind:     hidden_global_offset_y
      - .offset:         512
        .size:           8
        .value_kind:     hidden_global_offset_z
      - .offset:         520
        .size:           2
        .value_kind:     hidden_grid_dims
    .group_segment_fixed_size: 8448
    .kernarg_segment_align: 8
    .kernarg_segment_size: 712
    .language:       OpenCL C
    .language_version:
      - 2
      - 0
    .max_flat_workgroup_size: 128
    .name:           _ZN2at6native18radixSortKVInPlaceILin2ELin1ELi128ELi8EfljEEvNS_4cuda6detail10TensorInfoIT3_T5_EES6_S6_S6_NS4_IT4_S6_EES6_b
    .private_segment_fixed_size: 0
    .sgpr_count:     40
    .sgpr_spill_count: 0
    .symbol:         _ZN2at6native18radixSortKVInPlaceILin2ELin1ELi128ELi8EfljEEvNS_4cuda6detail10TensorInfoIT3_T5_EES6_S6_S6_NS4_IT4_S6_EES6_b.kd
    .uniform_work_group_size: 1
    .uses_dynamic_stack: false
    .vgpr_count:     121
    .vgpr_spill_count: 0
    .wavefront_size: 32
    .workgroup_processor_mode: 1
  - .args:
      - .offset:         0
        .size:           216
        .value_kind:     by_value
      - .offset:         216
        .size:           4
        .value_kind:     by_value
      - .offset:         220
        .size:           4
        .value_kind:     by_value
      - .offset:         224
        .size:           4
        .value_kind:     by_value
      - .offset:         232
        .size:           216
        .value_kind:     by_value
      - .offset:         448
        .size:           4
        .value_kind:     by_value
      - .offset:         452
        .size:           1
        .value_kind:     by_value
      - .offset:         456
        .size:           4
        .value_kind:     hidden_block_count_x
      - .offset:         460
        .size:           4
        .value_kind:     hidden_block_count_y
      - .offset:         464
        .size:           4
        .value_kind:     hidden_block_count_z
      - .offset:         468
        .size:           2
        .value_kind:     hidden_group_size_x
      - .offset:         470
        .size:           2
        .value_kind:     hidden_group_size_y
      - .offset:         472
        .size:           2
        .value_kind:     hidden_group_size_z
      - .offset:         474
        .size:           2
        .value_kind:     hidden_remainder_x
      - .offset:         476
        .size:           2
        .value_kind:     hidden_remainder_y
      - .offset:         478
        .size:           2
        .value_kind:     hidden_remainder_z
      - .offset:         496
        .size:           8
        .value_kind:     hidden_global_offset_x
      - .offset:         504
        .size:           8
        .value_kind:     hidden_global_offset_y
      - .offset:         512
        .size:           8
        .value_kind:     hidden_global_offset_z
      - .offset:         520
        .size:           2
        .value_kind:     hidden_grid_dims
    .group_segment_fixed_size: 1056
    .kernarg_segment_align: 8
    .kernarg_segment_size: 712
    .language:       OpenCL C
    .language_version:
      - 2
      - 0
    .max_flat_workgroup_size: 32
    .name:           _ZN2at6native18radixSortKVInPlaceILin2ELin1ELi32ELi4EfljEEvNS_4cuda6detail10TensorInfoIT3_T5_EES6_S6_S6_NS4_IT4_S6_EES6_b
    .private_segment_fixed_size: 0
    .sgpr_count:     29
    .sgpr_spill_count: 0
    .symbol:         _ZN2at6native18radixSortKVInPlaceILin2ELin1ELi32ELi4EfljEEvNS_4cuda6detail10TensorInfoIT3_T5_EES6_S6_S6_NS4_IT4_S6_EES6_b.kd
    .uniform_work_group_size: 1
    .uses_dynamic_stack: false
    .vgpr_count:     72
    .vgpr_spill_count: 0
    .wavefront_size: 32
    .workgroup_processor_mode: 1
  - .args:
      - .offset:         0
        .size:           216
        .value_kind:     by_value
      - .offset:         216
        .size:           4
        .value_kind:     by_value
      - .offset:         220
        .size:           4
        .value_kind:     by_value
      - .offset:         224
        .size:           4
        .value_kind:     by_value
      - .offset:         232
        .size:           216
        .value_kind:     by_value
      - .offset:         448
        .size:           4
        .value_kind:     by_value
      - .offset:         452
        .size:           1
        .value_kind:     by_value
      - .offset:         456
        .size:           4
        .value_kind:     hidden_block_count_x
      - .offset:         460
        .size:           4
        .value_kind:     hidden_block_count_y
      - .offset:         464
        .size:           4
        .value_kind:     hidden_block_count_z
      - .offset:         468
        .size:           2
        .value_kind:     hidden_group_size_x
      - .offset:         470
        .size:           2
        .value_kind:     hidden_group_size_y
      - .offset:         472
        .size:           2
        .value_kind:     hidden_group_size_z
      - .offset:         474
        .size:           2
        .value_kind:     hidden_remainder_x
      - .offset:         476
        .size:           2
        .value_kind:     hidden_remainder_y
      - .offset:         478
        .size:           2
        .value_kind:     hidden_remainder_z
      - .offset:         496
        .size:           8
        .value_kind:     hidden_global_offset_x
      - .offset:         504
        .size:           8
        .value_kind:     hidden_global_offset_y
      - .offset:         512
        .size:           8
        .value_kind:     hidden_global_offset_z
      - .offset:         520
        .size:           2
        .value_kind:     hidden_grid_dims
    .group_segment_fixed_size: 528
    .kernarg_segment_align: 8
    .kernarg_segment_size: 712
    .language:       OpenCL C
    .language_version:
      - 2
      - 0
    .max_flat_workgroup_size: 16
    .name:           _ZN2at6native18radixSortKVInPlaceILin2ELin1ELi16ELi2EfljEEvNS_4cuda6detail10TensorInfoIT3_T5_EES6_S6_S6_NS4_IT4_S6_EES6_b
    .private_segment_fixed_size: 0
    .sgpr_count:     28
    .sgpr_spill_count: 0
    .symbol:         _ZN2at6native18radixSortKVInPlaceILin2ELin1ELi16ELi2EfljEEvNS_4cuda6detail10TensorInfoIT3_T5_EES6_S6_S6_NS4_IT4_S6_EES6_b.kd
    .uniform_work_group_size: 1
    .uses_dynamic_stack: false
    .vgpr_count:     40
    .vgpr_spill_count: 0
    .wavefront_size: 32
    .workgroup_processor_mode: 1
  - .args:
      - .offset:         0
        .size:           216
        .value_kind:     by_value
      - .offset:         216
        .size:           4
        .value_kind:     by_value
      - .offset:         220
        .size:           4
        .value_kind:     by_value
      - .offset:         224
        .size:           4
        .value_kind:     by_value
      - .offset:         232
        .size:           216
        .value_kind:     by_value
      - .offset:         448
        .size:           4
        .value_kind:     by_value
      - .offset:         452
        .size:           1
        .value_kind:     by_value
      - .offset:         456
        .size:           4
        .value_kind:     hidden_block_count_x
      - .offset:         460
        .size:           4
        .value_kind:     hidden_block_count_y
      - .offset:         464
        .size:           4
        .value_kind:     hidden_block_count_z
      - .offset:         468
        .size:           2
        .value_kind:     hidden_group_size_x
      - .offset:         470
        .size:           2
        .value_kind:     hidden_group_size_y
      - .offset:         472
        .size:           2
        .value_kind:     hidden_group_size_z
      - .offset:         474
        .size:           2
        .value_kind:     hidden_remainder_x
      - .offset:         476
        .size:           2
        .value_kind:     hidden_remainder_y
      - .offset:         478
        .size:           2
        .value_kind:     hidden_remainder_z
      - .offset:         496
        .size:           8
        .value_kind:     hidden_global_offset_x
      - .offset:         504
        .size:           8
        .value_kind:     hidden_global_offset_y
      - .offset:         512
        .size:           8
        .value_kind:     hidden_global_offset_z
      - .offset:         520
        .size:           2
        .value_kind:     hidden_grid_dims
    .group_segment_fixed_size: 33792
    .kernarg_segment_align: 8
    .kernarg_segment_size: 712
    .language:       OpenCL C
    .language_version:
      - 2
      - 0
    .max_flat_workgroup_size: 512
    .name:           _ZN2at6native18radixSortKVInPlaceILi2ELin1ELi512ELi8EfljEEvNS_4cuda6detail10TensorInfoIT3_T5_EES6_S6_S6_NS4_IT4_S6_EES6_b
    .private_segment_fixed_size: 0
    .sgpr_count:     38
    .sgpr_spill_count: 0
    .symbol:         _ZN2at6native18radixSortKVInPlaceILi2ELin1ELi512ELi8EfljEEvNS_4cuda6detail10TensorInfoIT3_T5_EES6_S6_S6_NS4_IT4_S6_EES6_b.kd
    .uniform_work_group_size: 1
    .uses_dynamic_stack: false
    .vgpr_count:     121
    .vgpr_spill_count: 0
    .wavefront_size: 32
    .workgroup_processor_mode: 1
  - .args:
      - .offset:         0
        .size:           216
        .value_kind:     by_value
      - .offset:         216
        .size:           4
        .value_kind:     by_value
      - .offset:         220
        .size:           4
        .value_kind:     by_value
      - .offset:         224
        .size:           4
        .value_kind:     by_value
      - .offset:         232
        .size:           216
        .value_kind:     by_value
      - .offset:         448
        .size:           4
        .value_kind:     by_value
      - .offset:         452
        .size:           1
        .value_kind:     by_value
      - .offset:         456
        .size:           4
        .value_kind:     hidden_block_count_x
      - .offset:         460
        .size:           4
        .value_kind:     hidden_block_count_y
      - .offset:         464
        .size:           4
        .value_kind:     hidden_block_count_z
      - .offset:         468
        .size:           2
        .value_kind:     hidden_group_size_x
      - .offset:         470
        .size:           2
        .value_kind:     hidden_group_size_y
      - .offset:         472
        .size:           2
        .value_kind:     hidden_group_size_z
      - .offset:         474
        .size:           2
        .value_kind:     hidden_remainder_x
      - .offset:         476
        .size:           2
        .value_kind:     hidden_remainder_y
      - .offset:         478
        .size:           2
        .value_kind:     hidden_remainder_z
      - .offset:         496
        .size:           8
        .value_kind:     hidden_global_offset_x
      - .offset:         504
        .size:           8
        .value_kind:     hidden_global_offset_y
      - .offset:         512
        .size:           8
        .value_kind:     hidden_global_offset_z
      - .offset:         520
        .size:           2
        .value_kind:     hidden_grid_dims
    .group_segment_fixed_size: 16896
    .kernarg_segment_align: 8
    .kernarg_segment_size: 712
    .language:       OpenCL C
    .language_version:
      - 2
      - 0
    .max_flat_workgroup_size: 256
    .name:           _ZN2at6native18radixSortKVInPlaceILi2ELin1ELi256ELi8EfljEEvNS_4cuda6detail10TensorInfoIT3_T5_EES6_S6_S6_NS4_IT4_S6_EES6_b
    .private_segment_fixed_size: 0
    .sgpr_count:     40
    .sgpr_spill_count: 0
    .symbol:         _ZN2at6native18radixSortKVInPlaceILi2ELin1ELi256ELi8EfljEEvNS_4cuda6detail10TensorInfoIT3_T5_EES6_S6_S6_NS4_IT4_S6_EES6_b.kd
    .uniform_work_group_size: 1
    .uses_dynamic_stack: false
    .vgpr_count:     121
    .vgpr_spill_count: 0
    .wavefront_size: 32
    .workgroup_processor_mode: 1
  - .args:
      - .offset:         0
        .size:           216
        .value_kind:     by_value
      - .offset:         216
        .size:           4
        .value_kind:     by_value
      - .offset:         220
        .size:           4
        .value_kind:     by_value
      - .offset:         224
        .size:           4
        .value_kind:     by_value
      - .offset:         232
        .size:           216
        .value_kind:     by_value
      - .offset:         448
        .size:           4
        .value_kind:     by_value
      - .offset:         452
        .size:           1
        .value_kind:     by_value
      - .offset:         456
        .size:           4
        .value_kind:     hidden_block_count_x
      - .offset:         460
        .size:           4
        .value_kind:     hidden_block_count_y
      - .offset:         464
        .size:           4
        .value_kind:     hidden_block_count_z
      - .offset:         468
        .size:           2
        .value_kind:     hidden_group_size_x
      - .offset:         470
        .size:           2
        .value_kind:     hidden_group_size_y
      - .offset:         472
        .size:           2
        .value_kind:     hidden_group_size_z
      - .offset:         474
        .size:           2
        .value_kind:     hidden_remainder_x
      - .offset:         476
        .size:           2
        .value_kind:     hidden_remainder_y
      - .offset:         478
        .size:           2
        .value_kind:     hidden_remainder_z
      - .offset:         496
        .size:           8
        .value_kind:     hidden_global_offset_x
      - .offset:         504
        .size:           8
        .value_kind:     hidden_global_offset_y
      - .offset:         512
        .size:           8
        .value_kind:     hidden_global_offset_z
      - .offset:         520
        .size:           2
        .value_kind:     hidden_grid_dims
    .group_segment_fixed_size: 8448
    .kernarg_segment_align: 8
    .kernarg_segment_size: 712
    .language:       OpenCL C
    .language_version:
      - 2
      - 0
    .max_flat_workgroup_size: 128
    .name:           _ZN2at6native18radixSortKVInPlaceILi2ELin1ELi128ELi8EfljEEvNS_4cuda6detail10TensorInfoIT3_T5_EES6_S6_S6_NS4_IT4_S6_EES6_b
    .private_segment_fixed_size: 0
    .sgpr_count:     40
    .sgpr_spill_count: 0
    .symbol:         _ZN2at6native18radixSortKVInPlaceILi2ELin1ELi128ELi8EfljEEvNS_4cuda6detail10TensorInfoIT3_T5_EES6_S6_S6_NS4_IT4_S6_EES6_b.kd
    .uniform_work_group_size: 1
    .uses_dynamic_stack: false
    .vgpr_count:     121
    .vgpr_spill_count: 0
    .wavefront_size: 32
    .workgroup_processor_mode: 1
  - .args:
      - .offset:         0
        .size:           216
        .value_kind:     by_value
      - .offset:         216
        .size:           4
        .value_kind:     by_value
      - .offset:         220
        .size:           4
        .value_kind:     by_value
      - .offset:         224
        .size:           4
        .value_kind:     by_value
      - .offset:         232
        .size:           216
        .value_kind:     by_value
      - .offset:         448
        .size:           4
        .value_kind:     by_value
      - .offset:         452
        .size:           1
        .value_kind:     by_value
      - .offset:         456
        .size:           4
        .value_kind:     hidden_block_count_x
      - .offset:         460
        .size:           4
        .value_kind:     hidden_block_count_y
      - .offset:         464
        .size:           4
        .value_kind:     hidden_block_count_z
      - .offset:         468
        .size:           2
        .value_kind:     hidden_group_size_x
      - .offset:         470
        .size:           2
        .value_kind:     hidden_group_size_y
      - .offset:         472
        .size:           2
        .value_kind:     hidden_group_size_z
      - .offset:         474
        .size:           2
        .value_kind:     hidden_remainder_x
      - .offset:         476
        .size:           2
        .value_kind:     hidden_remainder_y
      - .offset:         478
        .size:           2
        .value_kind:     hidden_remainder_z
      - .offset:         496
        .size:           8
        .value_kind:     hidden_global_offset_x
      - .offset:         504
        .size:           8
        .value_kind:     hidden_global_offset_y
      - .offset:         512
        .size:           8
        .value_kind:     hidden_global_offset_z
      - .offset:         520
        .size:           2
        .value_kind:     hidden_grid_dims
    .group_segment_fixed_size: 1056
    .kernarg_segment_align: 8
    .kernarg_segment_size: 712
    .language:       OpenCL C
    .language_version:
      - 2
      - 0
    .max_flat_workgroup_size: 32
    .name:           _ZN2at6native18radixSortKVInPlaceILi2ELin1ELi32ELi4EfljEEvNS_4cuda6detail10TensorInfoIT3_T5_EES6_S6_S6_NS4_IT4_S6_EES6_b
    .private_segment_fixed_size: 0
    .sgpr_count:     29
    .sgpr_spill_count: 0
    .symbol:         _ZN2at6native18radixSortKVInPlaceILi2ELin1ELi32ELi4EfljEEvNS_4cuda6detail10TensorInfoIT3_T5_EES6_S6_S6_NS4_IT4_S6_EES6_b.kd
    .uniform_work_group_size: 1
    .uses_dynamic_stack: false
    .vgpr_count:     72
    .vgpr_spill_count: 0
    .wavefront_size: 32
    .workgroup_processor_mode: 1
  - .args:
      - .offset:         0
        .size:           216
        .value_kind:     by_value
      - .offset:         216
        .size:           4
        .value_kind:     by_value
      - .offset:         220
        .size:           4
        .value_kind:     by_value
      - .offset:         224
        .size:           4
        .value_kind:     by_value
      - .offset:         232
        .size:           216
        .value_kind:     by_value
      - .offset:         448
        .size:           4
        .value_kind:     by_value
      - .offset:         452
        .size:           1
        .value_kind:     by_value
      - .offset:         456
        .size:           4
        .value_kind:     hidden_block_count_x
      - .offset:         460
        .size:           4
        .value_kind:     hidden_block_count_y
      - .offset:         464
        .size:           4
        .value_kind:     hidden_block_count_z
      - .offset:         468
        .size:           2
        .value_kind:     hidden_group_size_x
      - .offset:         470
        .size:           2
        .value_kind:     hidden_group_size_y
      - .offset:         472
        .size:           2
        .value_kind:     hidden_group_size_z
      - .offset:         474
        .size:           2
        .value_kind:     hidden_remainder_x
      - .offset:         476
        .size:           2
        .value_kind:     hidden_remainder_y
      - .offset:         478
        .size:           2
        .value_kind:     hidden_remainder_z
      - .offset:         496
        .size:           8
        .value_kind:     hidden_global_offset_x
      - .offset:         504
        .size:           8
        .value_kind:     hidden_global_offset_y
      - .offset:         512
        .size:           8
        .value_kind:     hidden_global_offset_z
      - .offset:         520
        .size:           2
        .value_kind:     hidden_grid_dims
    .group_segment_fixed_size: 528
    .kernarg_segment_align: 8
    .kernarg_segment_size: 712
    .language:       OpenCL C
    .language_version:
      - 2
      - 0
    .max_flat_workgroup_size: 16
    .name:           _ZN2at6native18radixSortKVInPlaceILi2ELin1ELi16ELi2EfljEEvNS_4cuda6detail10TensorInfoIT3_T5_EES6_S6_S6_NS4_IT4_S6_EES6_b
    .private_segment_fixed_size: 0
    .sgpr_count:     28
    .sgpr_spill_count: 0
    .symbol:         _ZN2at6native18radixSortKVInPlaceILi2ELin1ELi16ELi2EfljEEvNS_4cuda6detail10TensorInfoIT3_T5_EES6_S6_S6_NS4_IT4_S6_EES6_b.kd
    .uniform_work_group_size: 1
    .uses_dynamic_stack: false
    .vgpr_count:     40
    .vgpr_spill_count: 0
    .wavefront_size: 32
    .workgroup_processor_mode: 1
  - .args:
      - .offset:         0
        .size:           216
        .value_kind:     by_value
      - .offset:         216
        .size:           4
        .value_kind:     by_value
      - .offset:         220
        .size:           4
        .value_kind:     by_value
      - .offset:         224
        .size:           4
        .value_kind:     by_value
      - .offset:         232
        .size:           216
        .value_kind:     by_value
      - .offset:         448
        .size:           4
        .value_kind:     by_value
      - .offset:         452
        .size:           1
        .value_kind:     by_value
      - .offset:         456
        .size:           4
        .value_kind:     hidden_block_count_x
      - .offset:         460
        .size:           4
        .value_kind:     hidden_block_count_y
      - .offset:         464
        .size:           4
        .value_kind:     hidden_block_count_z
      - .offset:         468
        .size:           2
        .value_kind:     hidden_group_size_x
      - .offset:         470
        .size:           2
        .value_kind:     hidden_group_size_y
      - .offset:         472
        .size:           2
        .value_kind:     hidden_group_size_z
      - .offset:         474
        .size:           2
        .value_kind:     hidden_remainder_x
      - .offset:         476
        .size:           2
        .value_kind:     hidden_remainder_y
      - .offset:         478
        .size:           2
        .value_kind:     hidden_remainder_z
      - .offset:         496
        .size:           8
        .value_kind:     hidden_global_offset_x
      - .offset:         504
        .size:           8
        .value_kind:     hidden_global_offset_y
      - .offset:         512
        .size:           8
        .value_kind:     hidden_global_offset_z
      - .offset:         520
        .size:           2
        .value_kind:     hidden_grid_dims
    .group_segment_fixed_size: 33792
    .kernarg_segment_align: 8
    .kernarg_segment_size: 712
    .language:       OpenCL C
    .language_version:
      - 2
      - 0
    .max_flat_workgroup_size: 512
    .name:           _ZN2at6native18radixSortKVInPlaceILin1ELin1ELi512ELi8EfljEEvNS_4cuda6detail10TensorInfoIT3_T5_EES6_S6_S6_NS4_IT4_S6_EES6_b
    .private_segment_fixed_size: 0
    .sgpr_count:     38
    .sgpr_spill_count: 0
    .symbol:         _ZN2at6native18radixSortKVInPlaceILin1ELin1ELi512ELi8EfljEEvNS_4cuda6detail10TensorInfoIT3_T5_EES6_S6_S6_NS4_IT4_S6_EES6_b.kd
    .uniform_work_group_size: 1
    .uses_dynamic_stack: false
    .vgpr_count:     121
    .vgpr_spill_count: 0
    .wavefront_size: 32
    .workgroup_processor_mode: 1
  - .args:
      - .offset:         0
        .size:           216
        .value_kind:     by_value
      - .offset:         216
        .size:           4
        .value_kind:     by_value
      - .offset:         220
        .size:           4
        .value_kind:     by_value
      - .offset:         224
        .size:           4
        .value_kind:     by_value
      - .offset:         232
        .size:           216
        .value_kind:     by_value
      - .offset:         448
        .size:           4
        .value_kind:     by_value
      - .offset:         452
        .size:           1
        .value_kind:     by_value
      - .offset:         456
        .size:           4
        .value_kind:     hidden_block_count_x
      - .offset:         460
        .size:           4
        .value_kind:     hidden_block_count_y
      - .offset:         464
        .size:           4
        .value_kind:     hidden_block_count_z
      - .offset:         468
        .size:           2
        .value_kind:     hidden_group_size_x
      - .offset:         470
        .size:           2
        .value_kind:     hidden_group_size_y
      - .offset:         472
        .size:           2
        .value_kind:     hidden_group_size_z
      - .offset:         474
        .size:           2
        .value_kind:     hidden_remainder_x
      - .offset:         476
        .size:           2
        .value_kind:     hidden_remainder_y
      - .offset:         478
        .size:           2
        .value_kind:     hidden_remainder_z
      - .offset:         496
        .size:           8
        .value_kind:     hidden_global_offset_x
      - .offset:         504
        .size:           8
        .value_kind:     hidden_global_offset_y
      - .offset:         512
        .size:           8
        .value_kind:     hidden_global_offset_z
      - .offset:         520
        .size:           2
        .value_kind:     hidden_grid_dims
    .group_segment_fixed_size: 16896
    .kernarg_segment_align: 8
    .kernarg_segment_size: 712
    .language:       OpenCL C
    .language_version:
      - 2
      - 0
    .max_flat_workgroup_size: 256
    .name:           _ZN2at6native18radixSortKVInPlaceILin1ELin1ELi256ELi8EfljEEvNS_4cuda6detail10TensorInfoIT3_T5_EES6_S6_S6_NS4_IT4_S6_EES6_b
    .private_segment_fixed_size: 0
    .sgpr_count:     40
    .sgpr_spill_count: 0
    .symbol:         _ZN2at6native18radixSortKVInPlaceILin1ELin1ELi256ELi8EfljEEvNS_4cuda6detail10TensorInfoIT3_T5_EES6_S6_S6_NS4_IT4_S6_EES6_b.kd
    .uniform_work_group_size: 1
    .uses_dynamic_stack: false
    .vgpr_count:     121
    .vgpr_spill_count: 0
    .wavefront_size: 32
    .workgroup_processor_mode: 1
  - .args:
      - .offset:         0
        .size:           216
        .value_kind:     by_value
      - .offset:         216
        .size:           4
        .value_kind:     by_value
      - .offset:         220
        .size:           4
        .value_kind:     by_value
      - .offset:         224
        .size:           4
        .value_kind:     by_value
      - .offset:         232
        .size:           216
        .value_kind:     by_value
      - .offset:         448
        .size:           4
        .value_kind:     by_value
      - .offset:         452
        .size:           1
        .value_kind:     by_value
      - .offset:         456
        .size:           4
        .value_kind:     hidden_block_count_x
      - .offset:         460
        .size:           4
        .value_kind:     hidden_block_count_y
      - .offset:         464
        .size:           4
        .value_kind:     hidden_block_count_z
      - .offset:         468
        .size:           2
        .value_kind:     hidden_group_size_x
      - .offset:         470
        .size:           2
        .value_kind:     hidden_group_size_y
      - .offset:         472
        .size:           2
        .value_kind:     hidden_group_size_z
      - .offset:         474
        .size:           2
        .value_kind:     hidden_remainder_x
      - .offset:         476
        .size:           2
        .value_kind:     hidden_remainder_y
      - .offset:         478
        .size:           2
        .value_kind:     hidden_remainder_z
      - .offset:         496
        .size:           8
        .value_kind:     hidden_global_offset_x
      - .offset:         504
        .size:           8
        .value_kind:     hidden_global_offset_y
      - .offset:         512
        .size:           8
        .value_kind:     hidden_global_offset_z
      - .offset:         520
        .size:           2
        .value_kind:     hidden_grid_dims
    .group_segment_fixed_size: 8448
    .kernarg_segment_align: 8
    .kernarg_segment_size: 712
    .language:       OpenCL C
    .language_version:
      - 2
      - 0
    .max_flat_workgroup_size: 128
    .name:           _ZN2at6native18radixSortKVInPlaceILin1ELin1ELi128ELi8EfljEEvNS_4cuda6detail10TensorInfoIT3_T5_EES6_S6_S6_NS4_IT4_S6_EES6_b
    .private_segment_fixed_size: 0
    .sgpr_count:     40
    .sgpr_spill_count: 0
    .symbol:         _ZN2at6native18radixSortKVInPlaceILin1ELin1ELi128ELi8EfljEEvNS_4cuda6detail10TensorInfoIT3_T5_EES6_S6_S6_NS4_IT4_S6_EES6_b.kd
    .uniform_work_group_size: 1
    .uses_dynamic_stack: false
    .vgpr_count:     121
    .vgpr_spill_count: 0
    .wavefront_size: 32
    .workgroup_processor_mode: 1
  - .args:
      - .offset:         0
        .size:           216
        .value_kind:     by_value
      - .offset:         216
        .size:           4
        .value_kind:     by_value
      - .offset:         220
        .size:           4
        .value_kind:     by_value
      - .offset:         224
        .size:           4
        .value_kind:     by_value
      - .offset:         232
        .size:           216
        .value_kind:     by_value
      - .offset:         448
        .size:           4
        .value_kind:     by_value
      - .offset:         452
        .size:           1
        .value_kind:     by_value
      - .offset:         456
        .size:           4
        .value_kind:     hidden_block_count_x
      - .offset:         460
        .size:           4
        .value_kind:     hidden_block_count_y
      - .offset:         464
        .size:           4
        .value_kind:     hidden_block_count_z
      - .offset:         468
        .size:           2
        .value_kind:     hidden_group_size_x
      - .offset:         470
        .size:           2
        .value_kind:     hidden_group_size_y
      - .offset:         472
        .size:           2
        .value_kind:     hidden_group_size_z
      - .offset:         474
        .size:           2
        .value_kind:     hidden_remainder_x
      - .offset:         476
        .size:           2
        .value_kind:     hidden_remainder_y
      - .offset:         478
        .size:           2
        .value_kind:     hidden_remainder_z
      - .offset:         496
        .size:           8
        .value_kind:     hidden_global_offset_x
      - .offset:         504
        .size:           8
        .value_kind:     hidden_global_offset_y
      - .offset:         512
        .size:           8
        .value_kind:     hidden_global_offset_z
      - .offset:         520
        .size:           2
        .value_kind:     hidden_grid_dims
    .group_segment_fixed_size: 1056
    .kernarg_segment_align: 8
    .kernarg_segment_size: 712
    .language:       OpenCL C
    .language_version:
      - 2
      - 0
    .max_flat_workgroup_size: 32
    .name:           _ZN2at6native18radixSortKVInPlaceILin1ELin1ELi32ELi4EfljEEvNS_4cuda6detail10TensorInfoIT3_T5_EES6_S6_S6_NS4_IT4_S6_EES6_b
    .private_segment_fixed_size: 0
    .sgpr_count:     29
    .sgpr_spill_count: 0
    .symbol:         _ZN2at6native18radixSortKVInPlaceILin1ELin1ELi32ELi4EfljEEvNS_4cuda6detail10TensorInfoIT3_T5_EES6_S6_S6_NS4_IT4_S6_EES6_b.kd
    .uniform_work_group_size: 1
    .uses_dynamic_stack: false
    .vgpr_count:     72
    .vgpr_spill_count: 0
    .wavefront_size: 32
    .workgroup_processor_mode: 1
  - .args:
      - .offset:         0
        .size:           216
        .value_kind:     by_value
      - .offset:         216
        .size:           4
        .value_kind:     by_value
      - .offset:         220
        .size:           4
        .value_kind:     by_value
      - .offset:         224
        .size:           4
        .value_kind:     by_value
      - .offset:         232
        .size:           216
        .value_kind:     by_value
      - .offset:         448
        .size:           4
        .value_kind:     by_value
      - .offset:         452
        .size:           1
        .value_kind:     by_value
      - .offset:         456
        .size:           4
        .value_kind:     hidden_block_count_x
      - .offset:         460
        .size:           4
        .value_kind:     hidden_block_count_y
      - .offset:         464
        .size:           4
        .value_kind:     hidden_block_count_z
      - .offset:         468
        .size:           2
        .value_kind:     hidden_group_size_x
      - .offset:         470
        .size:           2
        .value_kind:     hidden_group_size_y
      - .offset:         472
        .size:           2
        .value_kind:     hidden_group_size_z
      - .offset:         474
        .size:           2
        .value_kind:     hidden_remainder_x
      - .offset:         476
        .size:           2
        .value_kind:     hidden_remainder_y
      - .offset:         478
        .size:           2
        .value_kind:     hidden_remainder_z
      - .offset:         496
        .size:           8
        .value_kind:     hidden_global_offset_x
      - .offset:         504
        .size:           8
        .value_kind:     hidden_global_offset_y
      - .offset:         512
        .size:           8
        .value_kind:     hidden_global_offset_z
      - .offset:         520
        .size:           2
        .value_kind:     hidden_grid_dims
    .group_segment_fixed_size: 528
    .kernarg_segment_align: 8
    .kernarg_segment_size: 712
    .language:       OpenCL C
    .language_version:
      - 2
      - 0
    .max_flat_workgroup_size: 16
    .name:           _ZN2at6native18radixSortKVInPlaceILin1ELin1ELi16ELi2EfljEEvNS_4cuda6detail10TensorInfoIT3_T5_EES6_S6_S6_NS4_IT4_S6_EES6_b
    .private_segment_fixed_size: 0
    .sgpr_count:     28
    .sgpr_spill_count: 0
    .symbol:         _ZN2at6native18radixSortKVInPlaceILin1ELin1ELi16ELi2EfljEEvNS_4cuda6detail10TensorInfoIT3_T5_EES6_S6_S6_NS4_IT4_S6_EES6_b.kd
    .uniform_work_group_size: 1
    .uses_dynamic_stack: false
    .vgpr_count:     40
    .vgpr_spill_count: 0
    .wavefront_size: 32
    .workgroup_processor_mode: 1
  - .args:
      - .offset:         0
        .size:           416
        .value_kind:     by_value
      - .offset:         416
        .size:           8
        .value_kind:     by_value
      - .offset:         424
        .size:           8
        .value_kind:     by_value
      - .offset:         432
        .size:           8
        .value_kind:     by_value
      - .offset:         440
        .size:           416
        .value_kind:     by_value
      - .offset:         856
        .size:           8
        .value_kind:     by_value
      - .offset:         864
        .size:           1
        .value_kind:     by_value
      - .offset:         872
        .size:           4
        .value_kind:     hidden_block_count_x
      - .offset:         876
        .size:           4
        .value_kind:     hidden_block_count_y
      - .offset:         880
        .size:           4
        .value_kind:     hidden_block_count_z
      - .offset:         884
        .size:           2
        .value_kind:     hidden_group_size_x
      - .offset:         886
        .size:           2
        .value_kind:     hidden_group_size_y
      - .offset:         888
        .size:           2
        .value_kind:     hidden_group_size_z
      - .offset:         890
        .size:           2
        .value_kind:     hidden_remainder_x
      - .offset:         892
        .size:           2
        .value_kind:     hidden_remainder_y
      - .offset:         894
        .size:           2
        .value_kind:     hidden_remainder_z
      - .offset:         912
        .size:           8
        .value_kind:     hidden_global_offset_x
      - .offset:         920
        .size:           8
        .value_kind:     hidden_global_offset_y
      - .offset:         928
        .size:           8
        .value_kind:     hidden_global_offset_z
      - .offset:         936
        .size:           2
        .value_kind:     hidden_grid_dims
    .group_segment_fixed_size: 33792
    .kernarg_segment_align: 8
    .kernarg_segment_size: 1128
    .language:       OpenCL C
    .language_version:
      - 2
      - 0
    .max_flat_workgroup_size: 512
    .name:           _ZN2at6native18radixSortKVInPlaceILin1ELin1ELi512ELi8EflmEEvNS_4cuda6detail10TensorInfoIT3_T5_EES6_S6_S6_NS4_IT4_S6_EES6_b
    .private_segment_fixed_size: 0
    .sgpr_count:     38
    .sgpr_spill_count: 0
    .symbol:         _ZN2at6native18radixSortKVInPlaceILin1ELin1ELi512ELi8EflmEEvNS_4cuda6detail10TensorInfoIT3_T5_EES6_S6_S6_NS4_IT4_S6_EES6_b.kd
    .uniform_work_group_size: 1
    .uses_dynamic_stack: false
    .vgpr_count:     120
    .vgpr_spill_count: 0
    .wavefront_size: 32
    .workgroup_processor_mode: 1
  - .args:
      - .offset:         0
        .size:           416
        .value_kind:     by_value
      - .offset:         416
        .size:           8
        .value_kind:     by_value
      - .offset:         424
        .size:           8
        .value_kind:     by_value
      - .offset:         432
        .size:           8
        .value_kind:     by_value
      - .offset:         440
        .size:           416
        .value_kind:     by_value
      - .offset:         856
        .size:           8
        .value_kind:     by_value
      - .offset:         864
        .size:           1
        .value_kind:     by_value
      - .offset:         872
        .size:           4
        .value_kind:     hidden_block_count_x
      - .offset:         876
        .size:           4
        .value_kind:     hidden_block_count_y
      - .offset:         880
        .size:           4
        .value_kind:     hidden_block_count_z
      - .offset:         884
        .size:           2
        .value_kind:     hidden_group_size_x
      - .offset:         886
        .size:           2
        .value_kind:     hidden_group_size_y
      - .offset:         888
        .size:           2
        .value_kind:     hidden_group_size_z
      - .offset:         890
        .size:           2
        .value_kind:     hidden_remainder_x
      - .offset:         892
        .size:           2
        .value_kind:     hidden_remainder_y
      - .offset:         894
        .size:           2
        .value_kind:     hidden_remainder_z
      - .offset:         912
        .size:           8
        .value_kind:     hidden_global_offset_x
      - .offset:         920
        .size:           8
        .value_kind:     hidden_global_offset_y
      - .offset:         928
        .size:           8
        .value_kind:     hidden_global_offset_z
      - .offset:         936
        .size:           2
        .value_kind:     hidden_grid_dims
    .group_segment_fixed_size: 16896
    .kernarg_segment_align: 8
    .kernarg_segment_size: 1128
    .language:       OpenCL C
    .language_version:
      - 2
      - 0
    .max_flat_workgroup_size: 256
    .name:           _ZN2at6native18radixSortKVInPlaceILin1ELin1ELi256ELi8EflmEEvNS_4cuda6detail10TensorInfoIT3_T5_EES6_S6_S6_NS4_IT4_S6_EES6_b
    .private_segment_fixed_size: 0
    .sgpr_count:     40
    .sgpr_spill_count: 0
    .symbol:         _ZN2at6native18radixSortKVInPlaceILin1ELin1ELi256ELi8EflmEEvNS_4cuda6detail10TensorInfoIT3_T5_EES6_S6_S6_NS4_IT4_S6_EES6_b.kd
    .uniform_work_group_size: 1
    .uses_dynamic_stack: false
    .vgpr_count:     120
    .vgpr_spill_count: 0
    .wavefront_size: 32
    .workgroup_processor_mode: 1
  - .args:
      - .offset:         0
        .size:           416
        .value_kind:     by_value
      - .offset:         416
        .size:           8
        .value_kind:     by_value
      - .offset:         424
        .size:           8
        .value_kind:     by_value
      - .offset:         432
        .size:           8
        .value_kind:     by_value
      - .offset:         440
        .size:           416
        .value_kind:     by_value
      - .offset:         856
        .size:           8
        .value_kind:     by_value
      - .offset:         864
        .size:           1
        .value_kind:     by_value
      - .offset:         872
        .size:           4
        .value_kind:     hidden_block_count_x
      - .offset:         876
        .size:           4
        .value_kind:     hidden_block_count_y
      - .offset:         880
        .size:           4
        .value_kind:     hidden_block_count_z
      - .offset:         884
        .size:           2
        .value_kind:     hidden_group_size_x
      - .offset:         886
        .size:           2
        .value_kind:     hidden_group_size_y
      - .offset:         888
        .size:           2
        .value_kind:     hidden_group_size_z
      - .offset:         890
        .size:           2
        .value_kind:     hidden_remainder_x
      - .offset:         892
        .size:           2
        .value_kind:     hidden_remainder_y
      - .offset:         894
        .size:           2
        .value_kind:     hidden_remainder_z
      - .offset:         912
        .size:           8
        .value_kind:     hidden_global_offset_x
      - .offset:         920
        .size:           8
        .value_kind:     hidden_global_offset_y
      - .offset:         928
        .size:           8
        .value_kind:     hidden_global_offset_z
      - .offset:         936
        .size:           2
        .value_kind:     hidden_grid_dims
    .group_segment_fixed_size: 8448
    .kernarg_segment_align: 8
    .kernarg_segment_size: 1128
    .language:       OpenCL C
    .language_version:
      - 2
      - 0
    .max_flat_workgroup_size: 128
    .name:           _ZN2at6native18radixSortKVInPlaceILin1ELin1ELi128ELi8EflmEEvNS_4cuda6detail10TensorInfoIT3_T5_EES6_S6_S6_NS4_IT4_S6_EES6_b
    .private_segment_fixed_size: 0
    .sgpr_count:     40
    .sgpr_spill_count: 0
    .symbol:         _ZN2at6native18radixSortKVInPlaceILin1ELin1ELi128ELi8EflmEEvNS_4cuda6detail10TensorInfoIT3_T5_EES6_S6_S6_NS4_IT4_S6_EES6_b.kd
    .uniform_work_group_size: 1
    .uses_dynamic_stack: false
    .vgpr_count:     120
    .vgpr_spill_count: 0
    .wavefront_size: 32
    .workgroup_processor_mode: 1
  - .args:
      - .offset:         0
        .size:           416
        .value_kind:     by_value
      - .offset:         416
        .size:           8
        .value_kind:     by_value
      - .offset:         424
        .size:           8
        .value_kind:     by_value
      - .offset:         432
        .size:           8
        .value_kind:     by_value
      - .offset:         440
        .size:           416
        .value_kind:     by_value
      - .offset:         856
        .size:           8
        .value_kind:     by_value
      - .offset:         864
        .size:           1
        .value_kind:     by_value
      - .offset:         872
        .size:           4
        .value_kind:     hidden_block_count_x
      - .offset:         876
        .size:           4
        .value_kind:     hidden_block_count_y
      - .offset:         880
        .size:           4
        .value_kind:     hidden_block_count_z
      - .offset:         884
        .size:           2
        .value_kind:     hidden_group_size_x
      - .offset:         886
        .size:           2
        .value_kind:     hidden_group_size_y
      - .offset:         888
        .size:           2
        .value_kind:     hidden_group_size_z
      - .offset:         890
        .size:           2
        .value_kind:     hidden_remainder_x
      - .offset:         892
        .size:           2
        .value_kind:     hidden_remainder_y
      - .offset:         894
        .size:           2
        .value_kind:     hidden_remainder_z
      - .offset:         912
        .size:           8
        .value_kind:     hidden_global_offset_x
      - .offset:         920
        .size:           8
        .value_kind:     hidden_global_offset_y
      - .offset:         928
        .size:           8
        .value_kind:     hidden_global_offset_z
      - .offset:         936
        .size:           2
        .value_kind:     hidden_grid_dims
    .group_segment_fixed_size: 1056
    .kernarg_segment_align: 8
    .kernarg_segment_size: 1128
    .language:       OpenCL C
    .language_version:
      - 2
      - 0
    .max_flat_workgroup_size: 32
    .name:           _ZN2at6native18radixSortKVInPlaceILin1ELin1ELi32ELi4EflmEEvNS_4cuda6detail10TensorInfoIT3_T5_EES6_S6_S6_NS4_IT4_S6_EES6_b
    .private_segment_fixed_size: 0
    .sgpr_count:     38
    .sgpr_spill_count: 0
    .symbol:         _ZN2at6native18radixSortKVInPlaceILin1ELin1ELi32ELi4EflmEEvNS_4cuda6detail10TensorInfoIT3_T5_EES6_S6_S6_NS4_IT4_S6_EES6_b.kd
    .uniform_work_group_size: 1
    .uses_dynamic_stack: false
    .vgpr_count:     70
    .vgpr_spill_count: 0
    .wavefront_size: 32
    .workgroup_processor_mode: 1
  - .args:
      - .offset:         0
        .size:           416
        .value_kind:     by_value
      - .offset:         416
        .size:           8
        .value_kind:     by_value
      - .offset:         424
        .size:           8
        .value_kind:     by_value
      - .offset:         432
        .size:           8
        .value_kind:     by_value
      - .offset:         440
        .size:           416
        .value_kind:     by_value
      - .offset:         856
        .size:           8
        .value_kind:     by_value
      - .offset:         864
        .size:           1
        .value_kind:     by_value
      - .offset:         872
        .size:           4
        .value_kind:     hidden_block_count_x
      - .offset:         876
        .size:           4
        .value_kind:     hidden_block_count_y
      - .offset:         880
        .size:           4
        .value_kind:     hidden_block_count_z
      - .offset:         884
        .size:           2
        .value_kind:     hidden_group_size_x
      - .offset:         886
        .size:           2
        .value_kind:     hidden_group_size_y
      - .offset:         888
        .size:           2
        .value_kind:     hidden_group_size_z
      - .offset:         890
        .size:           2
        .value_kind:     hidden_remainder_x
      - .offset:         892
        .size:           2
        .value_kind:     hidden_remainder_y
      - .offset:         894
        .size:           2
        .value_kind:     hidden_remainder_z
      - .offset:         912
        .size:           8
        .value_kind:     hidden_global_offset_x
      - .offset:         920
        .size:           8
        .value_kind:     hidden_global_offset_y
      - .offset:         928
        .size:           8
        .value_kind:     hidden_global_offset_z
      - .offset:         936
        .size:           2
        .value_kind:     hidden_grid_dims
    .group_segment_fixed_size: 528
    .kernarg_segment_align: 8
    .kernarg_segment_size: 1128
    .language:       OpenCL C
    .language_version:
      - 2
      - 0
    .max_flat_workgroup_size: 16
    .name:           _ZN2at6native18radixSortKVInPlaceILin1ELin1ELi16ELi2EflmEEvNS_4cuda6detail10TensorInfoIT3_T5_EES6_S6_S6_NS4_IT4_S6_EES6_b
    .private_segment_fixed_size: 0
    .sgpr_count:     36
    .sgpr_spill_count: 0
    .symbol:         _ZN2at6native18radixSortKVInPlaceILin1ELin1ELi16ELi2EflmEEvNS_4cuda6detail10TensorInfoIT3_T5_EES6_S6_S6_NS4_IT4_S6_EES6_b.kd
    .uniform_work_group_size: 1
    .uses_dynamic_stack: false
    .vgpr_count:     38
    .vgpr_spill_count: 0
    .wavefront_size: 32
    .workgroup_processor_mode: 1
  - .args:
      - .offset:         0
        .size:           216
        .value_kind:     by_value
      - .offset:         216
        .size:           4
        .value_kind:     by_value
      - .offset:         220
        .size:           4
        .value_kind:     by_value
      - .offset:         224
        .size:           4
        .value_kind:     by_value
      - .offset:         232
        .size:           216
        .value_kind:     by_value
      - .offset:         448
        .size:           4
        .value_kind:     by_value
      - .offset:         452
        .size:           1
        .value_kind:     by_value
      - .offset:         456
        .size:           4
        .value_kind:     hidden_block_count_x
      - .offset:         460
        .size:           4
        .value_kind:     hidden_block_count_y
      - .offset:         464
        .size:           4
        .value_kind:     hidden_block_count_z
      - .offset:         468
        .size:           2
        .value_kind:     hidden_group_size_x
      - .offset:         470
        .size:           2
        .value_kind:     hidden_group_size_y
      - .offset:         472
        .size:           2
        .value_kind:     hidden_group_size_z
      - .offset:         474
        .size:           2
        .value_kind:     hidden_remainder_x
      - .offset:         476
        .size:           2
        .value_kind:     hidden_remainder_y
      - .offset:         478
        .size:           2
        .value_kind:     hidden_remainder_z
      - .offset:         496
        .size:           8
        .value_kind:     hidden_global_offset_x
      - .offset:         504
        .size:           8
        .value_kind:     hidden_global_offset_y
      - .offset:         512
        .size:           8
        .value_kind:     hidden_global_offset_z
      - .offset:         520
        .size:           2
        .value_kind:     hidden_grid_dims
    .group_segment_fixed_size: 33792
    .kernarg_segment_align: 8
    .kernarg_segment_size: 712
    .language:       OpenCL C
    .language_version:
      - 2
      - 0
    .max_flat_workgroup_size: 512
    .name:           _ZN2at6native18radixSortKVInPlaceILin2ELin1ELi512ELi8EN3c104HalfEljEEvNS_4cuda6detail10TensorInfoIT3_T5_EES8_S8_S8_NS6_IT4_S8_EES8_b
    .private_segment_fixed_size: 0
    .sgpr_count:     38
    .sgpr_spill_count: 0
    .symbol:         _ZN2at6native18radixSortKVInPlaceILin2ELin1ELi512ELi8EN3c104HalfEljEEvNS_4cuda6detail10TensorInfoIT3_T5_EES8_S8_S8_NS6_IT4_S8_EES8_b.kd
    .uniform_work_group_size: 1
    .uses_dynamic_stack: false
    .vgpr_count:     113
    .vgpr_spill_count: 0
    .wavefront_size: 32
    .workgroup_processor_mode: 1
  - .args:
      - .offset:         0
        .size:           216
        .value_kind:     by_value
      - .offset:         216
        .size:           4
        .value_kind:     by_value
      - .offset:         220
        .size:           4
        .value_kind:     by_value
      - .offset:         224
        .size:           4
        .value_kind:     by_value
      - .offset:         232
        .size:           216
        .value_kind:     by_value
      - .offset:         448
        .size:           4
        .value_kind:     by_value
      - .offset:         452
        .size:           1
        .value_kind:     by_value
      - .offset:         456
        .size:           4
        .value_kind:     hidden_block_count_x
      - .offset:         460
        .size:           4
        .value_kind:     hidden_block_count_y
      - .offset:         464
        .size:           4
        .value_kind:     hidden_block_count_z
      - .offset:         468
        .size:           2
        .value_kind:     hidden_group_size_x
      - .offset:         470
        .size:           2
        .value_kind:     hidden_group_size_y
      - .offset:         472
        .size:           2
        .value_kind:     hidden_group_size_z
      - .offset:         474
        .size:           2
        .value_kind:     hidden_remainder_x
      - .offset:         476
        .size:           2
        .value_kind:     hidden_remainder_y
      - .offset:         478
        .size:           2
        .value_kind:     hidden_remainder_z
      - .offset:         496
        .size:           8
        .value_kind:     hidden_global_offset_x
      - .offset:         504
        .size:           8
        .value_kind:     hidden_global_offset_y
      - .offset:         512
        .size:           8
        .value_kind:     hidden_global_offset_z
      - .offset:         520
        .size:           2
        .value_kind:     hidden_grid_dims
    .group_segment_fixed_size: 16896
    .kernarg_segment_align: 8
    .kernarg_segment_size: 712
    .language:       OpenCL C
    .language_version:
      - 2
      - 0
    .max_flat_workgroup_size: 256
    .name:           _ZN2at6native18radixSortKVInPlaceILin2ELin1ELi256ELi8EN3c104HalfEljEEvNS_4cuda6detail10TensorInfoIT3_T5_EES8_S8_S8_NS6_IT4_S8_EES8_b
    .private_segment_fixed_size: 0
    .sgpr_count:     40
    .sgpr_spill_count: 0
    .symbol:         _ZN2at6native18radixSortKVInPlaceILin2ELin1ELi256ELi8EN3c104HalfEljEEvNS_4cuda6detail10TensorInfoIT3_T5_EES8_S8_S8_NS6_IT4_S8_EES8_b.kd
    .uniform_work_group_size: 1
    .uses_dynamic_stack: false
    .vgpr_count:     113
    .vgpr_spill_count: 0
    .wavefront_size: 32
    .workgroup_processor_mode: 1
  - .args:
      - .offset:         0
        .size:           216
        .value_kind:     by_value
      - .offset:         216
        .size:           4
        .value_kind:     by_value
      - .offset:         220
        .size:           4
        .value_kind:     by_value
      - .offset:         224
        .size:           4
        .value_kind:     by_value
      - .offset:         232
        .size:           216
        .value_kind:     by_value
      - .offset:         448
        .size:           4
        .value_kind:     by_value
      - .offset:         452
        .size:           1
        .value_kind:     by_value
      - .offset:         456
        .size:           4
        .value_kind:     hidden_block_count_x
      - .offset:         460
        .size:           4
        .value_kind:     hidden_block_count_y
      - .offset:         464
        .size:           4
        .value_kind:     hidden_block_count_z
      - .offset:         468
        .size:           2
        .value_kind:     hidden_group_size_x
      - .offset:         470
        .size:           2
        .value_kind:     hidden_group_size_y
      - .offset:         472
        .size:           2
        .value_kind:     hidden_group_size_z
      - .offset:         474
        .size:           2
        .value_kind:     hidden_remainder_x
      - .offset:         476
        .size:           2
        .value_kind:     hidden_remainder_y
      - .offset:         478
        .size:           2
        .value_kind:     hidden_remainder_z
      - .offset:         496
        .size:           8
        .value_kind:     hidden_global_offset_x
      - .offset:         504
        .size:           8
        .value_kind:     hidden_global_offset_y
      - .offset:         512
        .size:           8
        .value_kind:     hidden_global_offset_z
      - .offset:         520
        .size:           2
        .value_kind:     hidden_grid_dims
    .group_segment_fixed_size: 8448
    .kernarg_segment_align: 8
    .kernarg_segment_size: 712
    .language:       OpenCL C
    .language_version:
      - 2
      - 0
    .max_flat_workgroup_size: 128
    .name:           _ZN2at6native18radixSortKVInPlaceILin2ELin1ELi128ELi8EN3c104HalfEljEEvNS_4cuda6detail10TensorInfoIT3_T5_EES8_S8_S8_NS6_IT4_S8_EES8_b
    .private_segment_fixed_size: 0
    .sgpr_count:     40
    .sgpr_spill_count: 0
    .symbol:         _ZN2at6native18radixSortKVInPlaceILin2ELin1ELi128ELi8EN3c104HalfEljEEvNS_4cuda6detail10TensorInfoIT3_T5_EES8_S8_S8_NS6_IT4_S8_EES8_b.kd
    .uniform_work_group_size: 1
    .uses_dynamic_stack: false
    .vgpr_count:     113
    .vgpr_spill_count: 0
    .wavefront_size: 32
    .workgroup_processor_mode: 1
  - .args:
      - .offset:         0
        .size:           216
        .value_kind:     by_value
      - .offset:         216
        .size:           4
        .value_kind:     by_value
      - .offset:         220
        .size:           4
        .value_kind:     by_value
      - .offset:         224
        .size:           4
        .value_kind:     by_value
      - .offset:         232
        .size:           216
        .value_kind:     by_value
      - .offset:         448
        .size:           4
        .value_kind:     by_value
      - .offset:         452
        .size:           1
        .value_kind:     by_value
      - .offset:         456
        .size:           4
        .value_kind:     hidden_block_count_x
      - .offset:         460
        .size:           4
        .value_kind:     hidden_block_count_y
      - .offset:         464
        .size:           4
        .value_kind:     hidden_block_count_z
      - .offset:         468
        .size:           2
        .value_kind:     hidden_group_size_x
      - .offset:         470
        .size:           2
        .value_kind:     hidden_group_size_y
      - .offset:         472
        .size:           2
        .value_kind:     hidden_group_size_z
      - .offset:         474
        .size:           2
        .value_kind:     hidden_remainder_x
      - .offset:         476
        .size:           2
        .value_kind:     hidden_remainder_y
      - .offset:         478
        .size:           2
        .value_kind:     hidden_remainder_z
      - .offset:         496
        .size:           8
        .value_kind:     hidden_global_offset_x
      - .offset:         504
        .size:           8
        .value_kind:     hidden_global_offset_y
      - .offset:         512
        .size:           8
        .value_kind:     hidden_global_offset_z
      - .offset:         520
        .size:           2
        .value_kind:     hidden_grid_dims
    .group_segment_fixed_size: 1056
    .kernarg_segment_align: 8
    .kernarg_segment_size: 712
    .language:       OpenCL C
    .language_version:
      - 2
      - 0
    .max_flat_workgroup_size: 32
    .name:           _ZN2at6native18radixSortKVInPlaceILin2ELin1ELi32ELi4EN3c104HalfEljEEvNS_4cuda6detail10TensorInfoIT3_T5_EES8_S8_S8_NS6_IT4_S8_EES8_b
    .private_segment_fixed_size: 0
    .sgpr_count:     26
    .sgpr_spill_count: 0
    .symbol:         _ZN2at6native18radixSortKVInPlaceILin2ELin1ELi32ELi4EN3c104HalfEljEEvNS_4cuda6detail10TensorInfoIT3_T5_EES8_S8_S8_NS6_IT4_S8_EES8_b.kd
    .uniform_work_group_size: 1
    .uses_dynamic_stack: false
    .vgpr_count:     94
    .vgpr_spill_count: 0
    .wavefront_size: 32
    .workgroup_processor_mode: 1
  - .args:
      - .offset:         0
        .size:           216
        .value_kind:     by_value
      - .offset:         216
        .size:           4
        .value_kind:     by_value
      - .offset:         220
        .size:           4
        .value_kind:     by_value
      - .offset:         224
        .size:           4
        .value_kind:     by_value
      - .offset:         232
        .size:           216
        .value_kind:     by_value
      - .offset:         448
        .size:           4
        .value_kind:     by_value
      - .offset:         452
        .size:           1
        .value_kind:     by_value
      - .offset:         456
        .size:           4
        .value_kind:     hidden_block_count_x
      - .offset:         460
        .size:           4
        .value_kind:     hidden_block_count_y
      - .offset:         464
        .size:           4
        .value_kind:     hidden_block_count_z
      - .offset:         468
        .size:           2
        .value_kind:     hidden_group_size_x
      - .offset:         470
        .size:           2
        .value_kind:     hidden_group_size_y
      - .offset:         472
        .size:           2
        .value_kind:     hidden_group_size_z
      - .offset:         474
        .size:           2
        .value_kind:     hidden_remainder_x
      - .offset:         476
        .size:           2
        .value_kind:     hidden_remainder_y
      - .offset:         478
        .size:           2
        .value_kind:     hidden_remainder_z
      - .offset:         496
        .size:           8
        .value_kind:     hidden_global_offset_x
      - .offset:         504
        .size:           8
        .value_kind:     hidden_global_offset_y
      - .offset:         512
        .size:           8
        .value_kind:     hidden_global_offset_z
      - .offset:         520
        .size:           2
        .value_kind:     hidden_grid_dims
    .group_segment_fixed_size: 528
    .kernarg_segment_align: 8
    .kernarg_segment_size: 712
    .language:       OpenCL C
    .language_version:
      - 2
      - 0
    .max_flat_workgroup_size: 16
    .name:           _ZN2at6native18radixSortKVInPlaceILin2ELin1ELi16ELi2EN3c104HalfEljEEvNS_4cuda6detail10TensorInfoIT3_T5_EES8_S8_S8_NS6_IT4_S8_EES8_b
    .private_segment_fixed_size: 0
    .sgpr_count:     20
    .sgpr_spill_count: 0
    .symbol:         _ZN2at6native18radixSortKVInPlaceILin2ELin1ELi16ELi2EN3c104HalfEljEEvNS_4cuda6detail10TensorInfoIT3_T5_EES8_S8_S8_NS6_IT4_S8_EES8_b.kd
    .uniform_work_group_size: 1
    .uses_dynamic_stack: false
    .vgpr_count:     39
    .vgpr_spill_count: 0
    .wavefront_size: 32
    .workgroup_processor_mode: 1
  - .args:
      - .offset:         0
        .size:           216
        .value_kind:     by_value
      - .offset:         216
        .size:           4
        .value_kind:     by_value
      - .offset:         220
        .size:           4
        .value_kind:     by_value
      - .offset:         224
        .size:           4
        .value_kind:     by_value
      - .offset:         232
        .size:           216
        .value_kind:     by_value
      - .offset:         448
        .size:           4
        .value_kind:     by_value
      - .offset:         452
        .size:           1
        .value_kind:     by_value
      - .offset:         456
        .size:           4
        .value_kind:     hidden_block_count_x
      - .offset:         460
        .size:           4
        .value_kind:     hidden_block_count_y
      - .offset:         464
        .size:           4
        .value_kind:     hidden_block_count_z
      - .offset:         468
        .size:           2
        .value_kind:     hidden_group_size_x
      - .offset:         470
        .size:           2
        .value_kind:     hidden_group_size_y
      - .offset:         472
        .size:           2
        .value_kind:     hidden_group_size_z
      - .offset:         474
        .size:           2
        .value_kind:     hidden_remainder_x
      - .offset:         476
        .size:           2
        .value_kind:     hidden_remainder_y
      - .offset:         478
        .size:           2
        .value_kind:     hidden_remainder_z
      - .offset:         496
        .size:           8
        .value_kind:     hidden_global_offset_x
      - .offset:         504
        .size:           8
        .value_kind:     hidden_global_offset_y
      - .offset:         512
        .size:           8
        .value_kind:     hidden_global_offset_z
      - .offset:         520
        .size:           2
        .value_kind:     hidden_grid_dims
    .group_segment_fixed_size: 33792
    .kernarg_segment_align: 8
    .kernarg_segment_size: 712
    .language:       OpenCL C
    .language_version:
      - 2
      - 0
    .max_flat_workgroup_size: 512
    .name:           _ZN2at6native18radixSortKVInPlaceILi2ELin1ELi512ELi8EN3c104HalfEljEEvNS_4cuda6detail10TensorInfoIT3_T5_EES8_S8_S8_NS6_IT4_S8_EES8_b
    .private_segment_fixed_size: 0
    .sgpr_count:     38
    .sgpr_spill_count: 0
    .symbol:         _ZN2at6native18radixSortKVInPlaceILi2ELin1ELi512ELi8EN3c104HalfEljEEvNS_4cuda6detail10TensorInfoIT3_T5_EES8_S8_S8_NS6_IT4_S8_EES8_b.kd
    .uniform_work_group_size: 1
    .uses_dynamic_stack: false
    .vgpr_count:     113
    .vgpr_spill_count: 0
    .wavefront_size: 32
    .workgroup_processor_mode: 1
  - .args:
      - .offset:         0
        .size:           216
        .value_kind:     by_value
      - .offset:         216
        .size:           4
        .value_kind:     by_value
      - .offset:         220
        .size:           4
        .value_kind:     by_value
      - .offset:         224
        .size:           4
        .value_kind:     by_value
      - .offset:         232
        .size:           216
        .value_kind:     by_value
      - .offset:         448
        .size:           4
        .value_kind:     by_value
      - .offset:         452
        .size:           1
        .value_kind:     by_value
      - .offset:         456
        .size:           4
        .value_kind:     hidden_block_count_x
      - .offset:         460
        .size:           4
        .value_kind:     hidden_block_count_y
      - .offset:         464
        .size:           4
        .value_kind:     hidden_block_count_z
      - .offset:         468
        .size:           2
        .value_kind:     hidden_group_size_x
      - .offset:         470
        .size:           2
        .value_kind:     hidden_group_size_y
      - .offset:         472
        .size:           2
        .value_kind:     hidden_group_size_z
      - .offset:         474
        .size:           2
        .value_kind:     hidden_remainder_x
      - .offset:         476
        .size:           2
        .value_kind:     hidden_remainder_y
      - .offset:         478
        .size:           2
        .value_kind:     hidden_remainder_z
      - .offset:         496
        .size:           8
        .value_kind:     hidden_global_offset_x
      - .offset:         504
        .size:           8
        .value_kind:     hidden_global_offset_y
      - .offset:         512
        .size:           8
        .value_kind:     hidden_global_offset_z
      - .offset:         520
        .size:           2
        .value_kind:     hidden_grid_dims
    .group_segment_fixed_size: 16896
    .kernarg_segment_align: 8
    .kernarg_segment_size: 712
    .language:       OpenCL C
    .language_version:
      - 2
      - 0
    .max_flat_workgroup_size: 256
    .name:           _ZN2at6native18radixSortKVInPlaceILi2ELin1ELi256ELi8EN3c104HalfEljEEvNS_4cuda6detail10TensorInfoIT3_T5_EES8_S8_S8_NS6_IT4_S8_EES8_b
    .private_segment_fixed_size: 0
    .sgpr_count:     40
    .sgpr_spill_count: 0
    .symbol:         _ZN2at6native18radixSortKVInPlaceILi2ELin1ELi256ELi8EN3c104HalfEljEEvNS_4cuda6detail10TensorInfoIT3_T5_EES8_S8_S8_NS6_IT4_S8_EES8_b.kd
    .uniform_work_group_size: 1
    .uses_dynamic_stack: false
    .vgpr_count:     113
    .vgpr_spill_count: 0
    .wavefront_size: 32
    .workgroup_processor_mode: 1
  - .args:
      - .offset:         0
        .size:           216
        .value_kind:     by_value
      - .offset:         216
        .size:           4
        .value_kind:     by_value
      - .offset:         220
        .size:           4
        .value_kind:     by_value
      - .offset:         224
        .size:           4
        .value_kind:     by_value
      - .offset:         232
        .size:           216
        .value_kind:     by_value
      - .offset:         448
        .size:           4
        .value_kind:     by_value
      - .offset:         452
        .size:           1
        .value_kind:     by_value
      - .offset:         456
        .size:           4
        .value_kind:     hidden_block_count_x
      - .offset:         460
        .size:           4
        .value_kind:     hidden_block_count_y
      - .offset:         464
        .size:           4
        .value_kind:     hidden_block_count_z
      - .offset:         468
        .size:           2
        .value_kind:     hidden_group_size_x
      - .offset:         470
        .size:           2
        .value_kind:     hidden_group_size_y
      - .offset:         472
        .size:           2
        .value_kind:     hidden_group_size_z
      - .offset:         474
        .size:           2
        .value_kind:     hidden_remainder_x
      - .offset:         476
        .size:           2
        .value_kind:     hidden_remainder_y
      - .offset:         478
        .size:           2
        .value_kind:     hidden_remainder_z
      - .offset:         496
        .size:           8
        .value_kind:     hidden_global_offset_x
      - .offset:         504
        .size:           8
        .value_kind:     hidden_global_offset_y
      - .offset:         512
        .size:           8
        .value_kind:     hidden_global_offset_z
      - .offset:         520
        .size:           2
        .value_kind:     hidden_grid_dims
    .group_segment_fixed_size: 8448
    .kernarg_segment_align: 8
    .kernarg_segment_size: 712
    .language:       OpenCL C
    .language_version:
      - 2
      - 0
    .max_flat_workgroup_size: 128
    .name:           _ZN2at6native18radixSortKVInPlaceILi2ELin1ELi128ELi8EN3c104HalfEljEEvNS_4cuda6detail10TensorInfoIT3_T5_EES8_S8_S8_NS6_IT4_S8_EES8_b
    .private_segment_fixed_size: 0
    .sgpr_count:     40
    .sgpr_spill_count: 0
    .symbol:         _ZN2at6native18radixSortKVInPlaceILi2ELin1ELi128ELi8EN3c104HalfEljEEvNS_4cuda6detail10TensorInfoIT3_T5_EES8_S8_S8_NS6_IT4_S8_EES8_b.kd
    .uniform_work_group_size: 1
    .uses_dynamic_stack: false
    .vgpr_count:     113
    .vgpr_spill_count: 0
    .wavefront_size: 32
    .workgroup_processor_mode: 1
  - .args:
      - .offset:         0
        .size:           216
        .value_kind:     by_value
      - .offset:         216
        .size:           4
        .value_kind:     by_value
      - .offset:         220
        .size:           4
        .value_kind:     by_value
      - .offset:         224
        .size:           4
        .value_kind:     by_value
      - .offset:         232
        .size:           216
        .value_kind:     by_value
      - .offset:         448
        .size:           4
        .value_kind:     by_value
      - .offset:         452
        .size:           1
        .value_kind:     by_value
      - .offset:         456
        .size:           4
        .value_kind:     hidden_block_count_x
      - .offset:         460
        .size:           4
        .value_kind:     hidden_block_count_y
      - .offset:         464
        .size:           4
        .value_kind:     hidden_block_count_z
      - .offset:         468
        .size:           2
        .value_kind:     hidden_group_size_x
      - .offset:         470
        .size:           2
        .value_kind:     hidden_group_size_y
      - .offset:         472
        .size:           2
        .value_kind:     hidden_group_size_z
      - .offset:         474
        .size:           2
        .value_kind:     hidden_remainder_x
      - .offset:         476
        .size:           2
        .value_kind:     hidden_remainder_y
      - .offset:         478
        .size:           2
        .value_kind:     hidden_remainder_z
      - .offset:         496
        .size:           8
        .value_kind:     hidden_global_offset_x
      - .offset:         504
        .size:           8
        .value_kind:     hidden_global_offset_y
      - .offset:         512
        .size:           8
        .value_kind:     hidden_global_offset_z
      - .offset:         520
        .size:           2
        .value_kind:     hidden_grid_dims
    .group_segment_fixed_size: 1056
    .kernarg_segment_align: 8
    .kernarg_segment_size: 712
    .language:       OpenCL C
    .language_version:
      - 2
      - 0
    .max_flat_workgroup_size: 32
    .name:           _ZN2at6native18radixSortKVInPlaceILi2ELin1ELi32ELi4EN3c104HalfEljEEvNS_4cuda6detail10TensorInfoIT3_T5_EES8_S8_S8_NS6_IT4_S8_EES8_b
    .private_segment_fixed_size: 0
    .sgpr_count:     26
    .sgpr_spill_count: 0
    .symbol:         _ZN2at6native18radixSortKVInPlaceILi2ELin1ELi32ELi4EN3c104HalfEljEEvNS_4cuda6detail10TensorInfoIT3_T5_EES8_S8_S8_NS6_IT4_S8_EES8_b.kd
    .uniform_work_group_size: 1
    .uses_dynamic_stack: false
    .vgpr_count:     94
    .vgpr_spill_count: 0
    .wavefront_size: 32
    .workgroup_processor_mode: 1
  - .args:
      - .offset:         0
        .size:           216
        .value_kind:     by_value
      - .offset:         216
        .size:           4
        .value_kind:     by_value
      - .offset:         220
        .size:           4
        .value_kind:     by_value
      - .offset:         224
        .size:           4
        .value_kind:     by_value
      - .offset:         232
        .size:           216
        .value_kind:     by_value
      - .offset:         448
        .size:           4
        .value_kind:     by_value
      - .offset:         452
        .size:           1
        .value_kind:     by_value
      - .offset:         456
        .size:           4
        .value_kind:     hidden_block_count_x
      - .offset:         460
        .size:           4
        .value_kind:     hidden_block_count_y
      - .offset:         464
        .size:           4
        .value_kind:     hidden_block_count_z
      - .offset:         468
        .size:           2
        .value_kind:     hidden_group_size_x
      - .offset:         470
        .size:           2
        .value_kind:     hidden_group_size_y
      - .offset:         472
        .size:           2
        .value_kind:     hidden_group_size_z
      - .offset:         474
        .size:           2
        .value_kind:     hidden_remainder_x
      - .offset:         476
        .size:           2
        .value_kind:     hidden_remainder_y
      - .offset:         478
        .size:           2
        .value_kind:     hidden_remainder_z
      - .offset:         496
        .size:           8
        .value_kind:     hidden_global_offset_x
      - .offset:         504
        .size:           8
        .value_kind:     hidden_global_offset_y
      - .offset:         512
        .size:           8
        .value_kind:     hidden_global_offset_z
      - .offset:         520
        .size:           2
        .value_kind:     hidden_grid_dims
    .group_segment_fixed_size: 528
    .kernarg_segment_align: 8
    .kernarg_segment_size: 712
    .language:       OpenCL C
    .language_version:
      - 2
      - 0
    .max_flat_workgroup_size: 16
    .name:           _ZN2at6native18radixSortKVInPlaceILi2ELin1ELi16ELi2EN3c104HalfEljEEvNS_4cuda6detail10TensorInfoIT3_T5_EES8_S8_S8_NS6_IT4_S8_EES8_b
    .private_segment_fixed_size: 0
    .sgpr_count:     26
    .sgpr_spill_count: 0
    .symbol:         _ZN2at6native18radixSortKVInPlaceILi2ELin1ELi16ELi2EN3c104HalfEljEEvNS_4cuda6detail10TensorInfoIT3_T5_EES8_S8_S8_NS6_IT4_S8_EES8_b.kd
    .uniform_work_group_size: 1
    .uses_dynamic_stack: false
    .vgpr_count:     39
    .vgpr_spill_count: 0
    .wavefront_size: 32
    .workgroup_processor_mode: 1
  - .args:
      - .offset:         0
        .size:           216
        .value_kind:     by_value
      - .offset:         216
        .size:           4
        .value_kind:     by_value
      - .offset:         220
        .size:           4
        .value_kind:     by_value
      - .offset:         224
        .size:           4
        .value_kind:     by_value
      - .offset:         232
        .size:           216
        .value_kind:     by_value
      - .offset:         448
        .size:           4
        .value_kind:     by_value
      - .offset:         452
        .size:           1
        .value_kind:     by_value
      - .offset:         456
        .size:           4
        .value_kind:     hidden_block_count_x
      - .offset:         460
        .size:           4
        .value_kind:     hidden_block_count_y
      - .offset:         464
        .size:           4
        .value_kind:     hidden_block_count_z
      - .offset:         468
        .size:           2
        .value_kind:     hidden_group_size_x
      - .offset:         470
        .size:           2
        .value_kind:     hidden_group_size_y
      - .offset:         472
        .size:           2
        .value_kind:     hidden_group_size_z
      - .offset:         474
        .size:           2
        .value_kind:     hidden_remainder_x
      - .offset:         476
        .size:           2
        .value_kind:     hidden_remainder_y
      - .offset:         478
        .size:           2
        .value_kind:     hidden_remainder_z
      - .offset:         496
        .size:           8
        .value_kind:     hidden_global_offset_x
      - .offset:         504
        .size:           8
        .value_kind:     hidden_global_offset_y
      - .offset:         512
        .size:           8
        .value_kind:     hidden_global_offset_z
      - .offset:         520
        .size:           2
        .value_kind:     hidden_grid_dims
    .group_segment_fixed_size: 33792
    .kernarg_segment_align: 8
    .kernarg_segment_size: 712
    .language:       OpenCL C
    .language_version:
      - 2
      - 0
    .max_flat_workgroup_size: 512
    .name:           _ZN2at6native18radixSortKVInPlaceILin1ELin1ELi512ELi8EN3c104HalfEljEEvNS_4cuda6detail10TensorInfoIT3_T5_EES8_S8_S8_NS6_IT4_S8_EES8_b
    .private_segment_fixed_size: 0
    .sgpr_count:     38
    .sgpr_spill_count: 0
    .symbol:         _ZN2at6native18radixSortKVInPlaceILin1ELin1ELi512ELi8EN3c104HalfEljEEvNS_4cuda6detail10TensorInfoIT3_T5_EES8_S8_S8_NS6_IT4_S8_EES8_b.kd
    .uniform_work_group_size: 1
    .uses_dynamic_stack: false
    .vgpr_count:     113
    .vgpr_spill_count: 0
    .wavefront_size: 32
    .workgroup_processor_mode: 1
  - .args:
      - .offset:         0
        .size:           216
        .value_kind:     by_value
      - .offset:         216
        .size:           4
        .value_kind:     by_value
      - .offset:         220
        .size:           4
        .value_kind:     by_value
      - .offset:         224
        .size:           4
        .value_kind:     by_value
      - .offset:         232
        .size:           216
        .value_kind:     by_value
      - .offset:         448
        .size:           4
        .value_kind:     by_value
      - .offset:         452
        .size:           1
        .value_kind:     by_value
      - .offset:         456
        .size:           4
        .value_kind:     hidden_block_count_x
      - .offset:         460
        .size:           4
        .value_kind:     hidden_block_count_y
      - .offset:         464
        .size:           4
        .value_kind:     hidden_block_count_z
      - .offset:         468
        .size:           2
        .value_kind:     hidden_group_size_x
      - .offset:         470
        .size:           2
        .value_kind:     hidden_group_size_y
      - .offset:         472
        .size:           2
        .value_kind:     hidden_group_size_z
      - .offset:         474
        .size:           2
        .value_kind:     hidden_remainder_x
      - .offset:         476
        .size:           2
        .value_kind:     hidden_remainder_y
      - .offset:         478
        .size:           2
        .value_kind:     hidden_remainder_z
      - .offset:         496
        .size:           8
        .value_kind:     hidden_global_offset_x
      - .offset:         504
        .size:           8
        .value_kind:     hidden_global_offset_y
      - .offset:         512
        .size:           8
        .value_kind:     hidden_global_offset_z
      - .offset:         520
        .size:           2
        .value_kind:     hidden_grid_dims
    .group_segment_fixed_size: 16896
    .kernarg_segment_align: 8
    .kernarg_segment_size: 712
    .language:       OpenCL C
    .language_version:
      - 2
      - 0
    .max_flat_workgroup_size: 256
    .name:           _ZN2at6native18radixSortKVInPlaceILin1ELin1ELi256ELi8EN3c104HalfEljEEvNS_4cuda6detail10TensorInfoIT3_T5_EES8_S8_S8_NS6_IT4_S8_EES8_b
    .private_segment_fixed_size: 0
    .sgpr_count:     40
    .sgpr_spill_count: 0
    .symbol:         _ZN2at6native18radixSortKVInPlaceILin1ELin1ELi256ELi8EN3c104HalfEljEEvNS_4cuda6detail10TensorInfoIT3_T5_EES8_S8_S8_NS6_IT4_S8_EES8_b.kd
    .uniform_work_group_size: 1
    .uses_dynamic_stack: false
    .vgpr_count:     113
    .vgpr_spill_count: 0
    .wavefront_size: 32
    .workgroup_processor_mode: 1
  - .args:
      - .offset:         0
        .size:           216
        .value_kind:     by_value
      - .offset:         216
        .size:           4
        .value_kind:     by_value
      - .offset:         220
        .size:           4
        .value_kind:     by_value
      - .offset:         224
        .size:           4
        .value_kind:     by_value
      - .offset:         232
        .size:           216
        .value_kind:     by_value
      - .offset:         448
        .size:           4
        .value_kind:     by_value
      - .offset:         452
        .size:           1
        .value_kind:     by_value
      - .offset:         456
        .size:           4
        .value_kind:     hidden_block_count_x
      - .offset:         460
        .size:           4
        .value_kind:     hidden_block_count_y
      - .offset:         464
        .size:           4
        .value_kind:     hidden_block_count_z
      - .offset:         468
        .size:           2
        .value_kind:     hidden_group_size_x
      - .offset:         470
        .size:           2
        .value_kind:     hidden_group_size_y
      - .offset:         472
        .size:           2
        .value_kind:     hidden_group_size_z
      - .offset:         474
        .size:           2
        .value_kind:     hidden_remainder_x
      - .offset:         476
        .size:           2
        .value_kind:     hidden_remainder_y
      - .offset:         478
        .size:           2
        .value_kind:     hidden_remainder_z
      - .offset:         496
        .size:           8
        .value_kind:     hidden_global_offset_x
      - .offset:         504
        .size:           8
        .value_kind:     hidden_global_offset_y
      - .offset:         512
        .size:           8
        .value_kind:     hidden_global_offset_z
      - .offset:         520
        .size:           2
        .value_kind:     hidden_grid_dims
    .group_segment_fixed_size: 8448
    .kernarg_segment_align: 8
    .kernarg_segment_size: 712
    .language:       OpenCL C
    .language_version:
      - 2
      - 0
    .max_flat_workgroup_size: 128
    .name:           _ZN2at6native18radixSortKVInPlaceILin1ELin1ELi128ELi8EN3c104HalfEljEEvNS_4cuda6detail10TensorInfoIT3_T5_EES8_S8_S8_NS6_IT4_S8_EES8_b
    .private_segment_fixed_size: 0
    .sgpr_count:     40
    .sgpr_spill_count: 0
    .symbol:         _ZN2at6native18radixSortKVInPlaceILin1ELin1ELi128ELi8EN3c104HalfEljEEvNS_4cuda6detail10TensorInfoIT3_T5_EES8_S8_S8_NS6_IT4_S8_EES8_b.kd
    .uniform_work_group_size: 1
    .uses_dynamic_stack: false
    .vgpr_count:     113
    .vgpr_spill_count: 0
    .wavefront_size: 32
    .workgroup_processor_mode: 1
  - .args:
      - .offset:         0
        .size:           216
        .value_kind:     by_value
      - .offset:         216
        .size:           4
        .value_kind:     by_value
      - .offset:         220
        .size:           4
        .value_kind:     by_value
      - .offset:         224
        .size:           4
        .value_kind:     by_value
      - .offset:         232
        .size:           216
        .value_kind:     by_value
      - .offset:         448
        .size:           4
        .value_kind:     by_value
      - .offset:         452
        .size:           1
        .value_kind:     by_value
      - .offset:         456
        .size:           4
        .value_kind:     hidden_block_count_x
      - .offset:         460
        .size:           4
        .value_kind:     hidden_block_count_y
      - .offset:         464
        .size:           4
        .value_kind:     hidden_block_count_z
      - .offset:         468
        .size:           2
        .value_kind:     hidden_group_size_x
      - .offset:         470
        .size:           2
        .value_kind:     hidden_group_size_y
      - .offset:         472
        .size:           2
        .value_kind:     hidden_group_size_z
      - .offset:         474
        .size:           2
        .value_kind:     hidden_remainder_x
      - .offset:         476
        .size:           2
        .value_kind:     hidden_remainder_y
      - .offset:         478
        .size:           2
        .value_kind:     hidden_remainder_z
      - .offset:         496
        .size:           8
        .value_kind:     hidden_global_offset_x
      - .offset:         504
        .size:           8
        .value_kind:     hidden_global_offset_y
      - .offset:         512
        .size:           8
        .value_kind:     hidden_global_offset_z
      - .offset:         520
        .size:           2
        .value_kind:     hidden_grid_dims
    .group_segment_fixed_size: 1056
    .kernarg_segment_align: 8
    .kernarg_segment_size: 712
    .language:       OpenCL C
    .language_version:
      - 2
      - 0
    .max_flat_workgroup_size: 32
    .name:           _ZN2at6native18radixSortKVInPlaceILin1ELin1ELi32ELi4EN3c104HalfEljEEvNS_4cuda6detail10TensorInfoIT3_T5_EES8_S8_S8_NS6_IT4_S8_EES8_b
    .private_segment_fixed_size: 0
    .sgpr_count:     26
    .sgpr_spill_count: 0
    .symbol:         _ZN2at6native18radixSortKVInPlaceILin1ELin1ELi32ELi4EN3c104HalfEljEEvNS_4cuda6detail10TensorInfoIT3_T5_EES8_S8_S8_NS6_IT4_S8_EES8_b.kd
    .uniform_work_group_size: 1
    .uses_dynamic_stack: false
    .vgpr_count:     94
    .vgpr_spill_count: 0
    .wavefront_size: 32
    .workgroup_processor_mode: 1
  - .args:
      - .offset:         0
        .size:           216
        .value_kind:     by_value
      - .offset:         216
        .size:           4
        .value_kind:     by_value
      - .offset:         220
        .size:           4
        .value_kind:     by_value
      - .offset:         224
        .size:           4
        .value_kind:     by_value
      - .offset:         232
        .size:           216
        .value_kind:     by_value
      - .offset:         448
        .size:           4
        .value_kind:     by_value
      - .offset:         452
        .size:           1
        .value_kind:     by_value
      - .offset:         456
        .size:           4
        .value_kind:     hidden_block_count_x
      - .offset:         460
        .size:           4
        .value_kind:     hidden_block_count_y
      - .offset:         464
        .size:           4
        .value_kind:     hidden_block_count_z
      - .offset:         468
        .size:           2
        .value_kind:     hidden_group_size_x
      - .offset:         470
        .size:           2
        .value_kind:     hidden_group_size_y
      - .offset:         472
        .size:           2
        .value_kind:     hidden_group_size_z
      - .offset:         474
        .size:           2
        .value_kind:     hidden_remainder_x
      - .offset:         476
        .size:           2
        .value_kind:     hidden_remainder_y
      - .offset:         478
        .size:           2
        .value_kind:     hidden_remainder_z
      - .offset:         496
        .size:           8
        .value_kind:     hidden_global_offset_x
      - .offset:         504
        .size:           8
        .value_kind:     hidden_global_offset_y
      - .offset:         512
        .size:           8
        .value_kind:     hidden_global_offset_z
      - .offset:         520
        .size:           2
        .value_kind:     hidden_grid_dims
    .group_segment_fixed_size: 528
    .kernarg_segment_align: 8
    .kernarg_segment_size: 712
    .language:       OpenCL C
    .language_version:
      - 2
      - 0
    .max_flat_workgroup_size: 16
    .name:           _ZN2at6native18radixSortKVInPlaceILin1ELin1ELi16ELi2EN3c104HalfEljEEvNS_4cuda6detail10TensorInfoIT3_T5_EES8_S8_S8_NS6_IT4_S8_EES8_b
    .private_segment_fixed_size: 0
    .sgpr_count:     20
    .sgpr_spill_count: 0
    .symbol:         _ZN2at6native18radixSortKVInPlaceILin1ELin1ELi16ELi2EN3c104HalfEljEEvNS_4cuda6detail10TensorInfoIT3_T5_EES8_S8_S8_NS6_IT4_S8_EES8_b.kd
    .uniform_work_group_size: 1
    .uses_dynamic_stack: false
    .vgpr_count:     39
    .vgpr_spill_count: 0
    .wavefront_size: 32
    .workgroup_processor_mode: 1
  - .args:
      - .offset:         0
        .size:           416
        .value_kind:     by_value
      - .offset:         416
        .size:           8
        .value_kind:     by_value
      - .offset:         424
        .size:           8
        .value_kind:     by_value
      - .offset:         432
        .size:           8
        .value_kind:     by_value
      - .offset:         440
        .size:           416
        .value_kind:     by_value
      - .offset:         856
        .size:           8
        .value_kind:     by_value
      - .offset:         864
        .size:           1
        .value_kind:     by_value
      - .offset:         872
        .size:           4
        .value_kind:     hidden_block_count_x
      - .offset:         876
        .size:           4
        .value_kind:     hidden_block_count_y
      - .offset:         880
        .size:           4
        .value_kind:     hidden_block_count_z
      - .offset:         884
        .size:           2
        .value_kind:     hidden_group_size_x
      - .offset:         886
        .size:           2
        .value_kind:     hidden_group_size_y
      - .offset:         888
        .size:           2
        .value_kind:     hidden_group_size_z
      - .offset:         890
        .size:           2
        .value_kind:     hidden_remainder_x
      - .offset:         892
        .size:           2
        .value_kind:     hidden_remainder_y
      - .offset:         894
        .size:           2
        .value_kind:     hidden_remainder_z
      - .offset:         912
        .size:           8
        .value_kind:     hidden_global_offset_x
      - .offset:         920
        .size:           8
        .value_kind:     hidden_global_offset_y
      - .offset:         928
        .size:           8
        .value_kind:     hidden_global_offset_z
      - .offset:         936
        .size:           2
        .value_kind:     hidden_grid_dims
    .group_segment_fixed_size: 33792
    .kernarg_segment_align: 8
    .kernarg_segment_size: 1128
    .language:       OpenCL C
    .language_version:
      - 2
      - 0
    .max_flat_workgroup_size: 512
    .name:           _ZN2at6native18radixSortKVInPlaceILin1ELin1ELi512ELi8EN3c104HalfElmEEvNS_4cuda6detail10TensorInfoIT3_T5_EES8_S8_S8_NS6_IT4_S8_EES8_b
    .private_segment_fixed_size: 0
    .sgpr_count:     38
    .sgpr_spill_count: 0
    .symbol:         _ZN2at6native18radixSortKVInPlaceILin1ELin1ELi512ELi8EN3c104HalfElmEEvNS_4cuda6detail10TensorInfoIT3_T5_EES8_S8_S8_NS6_IT4_S8_EES8_b.kd
    .uniform_work_group_size: 1
    .uses_dynamic_stack: false
    .vgpr_count:     111
    .vgpr_spill_count: 0
    .wavefront_size: 32
    .workgroup_processor_mode: 1
  - .args:
      - .offset:         0
        .size:           416
        .value_kind:     by_value
      - .offset:         416
        .size:           8
        .value_kind:     by_value
      - .offset:         424
        .size:           8
        .value_kind:     by_value
      - .offset:         432
        .size:           8
        .value_kind:     by_value
      - .offset:         440
        .size:           416
        .value_kind:     by_value
      - .offset:         856
        .size:           8
        .value_kind:     by_value
      - .offset:         864
        .size:           1
        .value_kind:     by_value
      - .offset:         872
        .size:           4
        .value_kind:     hidden_block_count_x
      - .offset:         876
        .size:           4
        .value_kind:     hidden_block_count_y
      - .offset:         880
        .size:           4
        .value_kind:     hidden_block_count_z
      - .offset:         884
        .size:           2
        .value_kind:     hidden_group_size_x
      - .offset:         886
        .size:           2
        .value_kind:     hidden_group_size_y
      - .offset:         888
        .size:           2
        .value_kind:     hidden_group_size_z
      - .offset:         890
        .size:           2
        .value_kind:     hidden_remainder_x
      - .offset:         892
        .size:           2
        .value_kind:     hidden_remainder_y
      - .offset:         894
        .size:           2
        .value_kind:     hidden_remainder_z
      - .offset:         912
        .size:           8
        .value_kind:     hidden_global_offset_x
      - .offset:         920
        .size:           8
        .value_kind:     hidden_global_offset_y
      - .offset:         928
        .size:           8
        .value_kind:     hidden_global_offset_z
      - .offset:         936
        .size:           2
        .value_kind:     hidden_grid_dims
    .group_segment_fixed_size: 16896
    .kernarg_segment_align: 8
    .kernarg_segment_size: 1128
    .language:       OpenCL C
    .language_version:
      - 2
      - 0
    .max_flat_workgroup_size: 256
    .name:           _ZN2at6native18radixSortKVInPlaceILin1ELin1ELi256ELi8EN3c104HalfElmEEvNS_4cuda6detail10TensorInfoIT3_T5_EES8_S8_S8_NS6_IT4_S8_EES8_b
    .private_segment_fixed_size: 0
    .sgpr_count:     40
    .sgpr_spill_count: 0
    .symbol:         _ZN2at6native18radixSortKVInPlaceILin1ELin1ELi256ELi8EN3c104HalfElmEEvNS_4cuda6detail10TensorInfoIT3_T5_EES8_S8_S8_NS6_IT4_S8_EES8_b.kd
    .uniform_work_group_size: 1
    .uses_dynamic_stack: false
    .vgpr_count:     111
    .vgpr_spill_count: 0
    .wavefront_size: 32
    .workgroup_processor_mode: 1
  - .args:
      - .offset:         0
        .size:           416
        .value_kind:     by_value
      - .offset:         416
        .size:           8
        .value_kind:     by_value
      - .offset:         424
        .size:           8
        .value_kind:     by_value
      - .offset:         432
        .size:           8
        .value_kind:     by_value
      - .offset:         440
        .size:           416
        .value_kind:     by_value
      - .offset:         856
        .size:           8
        .value_kind:     by_value
      - .offset:         864
        .size:           1
        .value_kind:     by_value
      - .offset:         872
        .size:           4
        .value_kind:     hidden_block_count_x
      - .offset:         876
        .size:           4
        .value_kind:     hidden_block_count_y
      - .offset:         880
        .size:           4
        .value_kind:     hidden_block_count_z
      - .offset:         884
        .size:           2
        .value_kind:     hidden_group_size_x
      - .offset:         886
        .size:           2
        .value_kind:     hidden_group_size_y
      - .offset:         888
        .size:           2
        .value_kind:     hidden_group_size_z
      - .offset:         890
        .size:           2
        .value_kind:     hidden_remainder_x
      - .offset:         892
        .size:           2
        .value_kind:     hidden_remainder_y
      - .offset:         894
        .size:           2
        .value_kind:     hidden_remainder_z
      - .offset:         912
        .size:           8
        .value_kind:     hidden_global_offset_x
      - .offset:         920
        .size:           8
        .value_kind:     hidden_global_offset_y
      - .offset:         928
        .size:           8
        .value_kind:     hidden_global_offset_z
      - .offset:         936
        .size:           2
        .value_kind:     hidden_grid_dims
    .group_segment_fixed_size: 8448
    .kernarg_segment_align: 8
    .kernarg_segment_size: 1128
    .language:       OpenCL C
    .language_version:
      - 2
      - 0
    .max_flat_workgroup_size: 128
    .name:           _ZN2at6native18radixSortKVInPlaceILin1ELin1ELi128ELi8EN3c104HalfElmEEvNS_4cuda6detail10TensorInfoIT3_T5_EES8_S8_S8_NS6_IT4_S8_EES8_b
    .private_segment_fixed_size: 0
    .sgpr_count:     40
    .sgpr_spill_count: 0
    .symbol:         _ZN2at6native18radixSortKVInPlaceILin1ELin1ELi128ELi8EN3c104HalfElmEEvNS_4cuda6detail10TensorInfoIT3_T5_EES8_S8_S8_NS6_IT4_S8_EES8_b.kd
    .uniform_work_group_size: 1
    .uses_dynamic_stack: false
    .vgpr_count:     111
    .vgpr_spill_count: 0
    .wavefront_size: 32
    .workgroup_processor_mode: 1
  - .args:
      - .offset:         0
        .size:           416
        .value_kind:     by_value
      - .offset:         416
        .size:           8
        .value_kind:     by_value
      - .offset:         424
        .size:           8
        .value_kind:     by_value
      - .offset:         432
        .size:           8
        .value_kind:     by_value
      - .offset:         440
        .size:           416
        .value_kind:     by_value
      - .offset:         856
        .size:           8
        .value_kind:     by_value
      - .offset:         864
        .size:           1
        .value_kind:     by_value
      - .offset:         872
        .size:           4
        .value_kind:     hidden_block_count_x
      - .offset:         876
        .size:           4
        .value_kind:     hidden_block_count_y
      - .offset:         880
        .size:           4
        .value_kind:     hidden_block_count_z
      - .offset:         884
        .size:           2
        .value_kind:     hidden_group_size_x
      - .offset:         886
        .size:           2
        .value_kind:     hidden_group_size_y
      - .offset:         888
        .size:           2
        .value_kind:     hidden_group_size_z
      - .offset:         890
        .size:           2
        .value_kind:     hidden_remainder_x
      - .offset:         892
        .size:           2
        .value_kind:     hidden_remainder_y
      - .offset:         894
        .size:           2
        .value_kind:     hidden_remainder_z
      - .offset:         912
        .size:           8
        .value_kind:     hidden_global_offset_x
      - .offset:         920
        .size:           8
        .value_kind:     hidden_global_offset_y
      - .offset:         928
        .size:           8
        .value_kind:     hidden_global_offset_z
      - .offset:         936
        .size:           2
        .value_kind:     hidden_grid_dims
    .group_segment_fixed_size: 1056
    .kernarg_segment_align: 8
    .kernarg_segment_size: 1128
    .language:       OpenCL C
    .language_version:
      - 2
      - 0
    .max_flat_workgroup_size: 32
    .name:           _ZN2at6native18radixSortKVInPlaceILin1ELin1ELi32ELi4EN3c104HalfElmEEvNS_4cuda6detail10TensorInfoIT3_T5_EES8_S8_S8_NS6_IT4_S8_EES8_b
    .private_segment_fixed_size: 0
    .sgpr_count:     38
    .sgpr_spill_count: 0
    .symbol:         _ZN2at6native18radixSortKVInPlaceILin1ELin1ELi32ELi4EN3c104HalfElmEEvNS_4cuda6detail10TensorInfoIT3_T5_EES8_S8_S8_NS6_IT4_S8_EES8_b.kd
    .uniform_work_group_size: 1
    .uses_dynamic_stack: false
    .vgpr_count:     92
    .vgpr_spill_count: 0
    .wavefront_size: 32
    .workgroup_processor_mode: 1
  - .args:
      - .offset:         0
        .size:           416
        .value_kind:     by_value
      - .offset:         416
        .size:           8
        .value_kind:     by_value
      - .offset:         424
        .size:           8
        .value_kind:     by_value
      - .offset:         432
        .size:           8
        .value_kind:     by_value
      - .offset:         440
        .size:           416
        .value_kind:     by_value
      - .offset:         856
        .size:           8
        .value_kind:     by_value
      - .offset:         864
        .size:           1
        .value_kind:     by_value
      - .offset:         872
        .size:           4
        .value_kind:     hidden_block_count_x
      - .offset:         876
        .size:           4
        .value_kind:     hidden_block_count_y
      - .offset:         880
        .size:           4
        .value_kind:     hidden_block_count_z
      - .offset:         884
        .size:           2
        .value_kind:     hidden_group_size_x
      - .offset:         886
        .size:           2
        .value_kind:     hidden_group_size_y
      - .offset:         888
        .size:           2
        .value_kind:     hidden_group_size_z
      - .offset:         890
        .size:           2
        .value_kind:     hidden_remainder_x
      - .offset:         892
        .size:           2
        .value_kind:     hidden_remainder_y
      - .offset:         894
        .size:           2
        .value_kind:     hidden_remainder_z
      - .offset:         912
        .size:           8
        .value_kind:     hidden_global_offset_x
      - .offset:         920
        .size:           8
        .value_kind:     hidden_global_offset_y
      - .offset:         928
        .size:           8
        .value_kind:     hidden_global_offset_z
      - .offset:         936
        .size:           2
        .value_kind:     hidden_grid_dims
    .group_segment_fixed_size: 528
    .kernarg_segment_align: 8
    .kernarg_segment_size: 1128
    .language:       OpenCL C
    .language_version:
      - 2
      - 0
    .max_flat_workgroup_size: 16
    .name:           _ZN2at6native18radixSortKVInPlaceILin1ELin1ELi16ELi2EN3c104HalfElmEEvNS_4cuda6detail10TensorInfoIT3_T5_EES8_S8_S8_NS6_IT4_S8_EES8_b
    .private_segment_fixed_size: 0
    .sgpr_count:     36
    .sgpr_spill_count: 0
    .symbol:         _ZN2at6native18radixSortKVInPlaceILin1ELin1ELi16ELi2EN3c104HalfElmEEvNS_4cuda6detail10TensorInfoIT3_T5_EES8_S8_S8_NS6_IT4_S8_EES8_b.kd
    .uniform_work_group_size: 1
    .uses_dynamic_stack: false
    .vgpr_count:     37
    .vgpr_spill_count: 0
    .wavefront_size: 32
    .workgroup_processor_mode: 1
  - .args:
      - .offset:         0
        .size:           216
        .value_kind:     by_value
      - .offset:         216
        .size:           4
        .value_kind:     by_value
      - .offset:         220
        .size:           4
        .value_kind:     by_value
      - .offset:         224
        .size:           4
        .value_kind:     by_value
      - .offset:         232
        .size:           216
        .value_kind:     by_value
      - .offset:         448
        .size:           4
        .value_kind:     by_value
      - .offset:         452
        .size:           1
        .value_kind:     by_value
      - .offset:         456
        .size:           4
        .value_kind:     hidden_block_count_x
      - .offset:         460
        .size:           4
        .value_kind:     hidden_block_count_y
      - .offset:         464
        .size:           4
        .value_kind:     hidden_block_count_z
      - .offset:         468
        .size:           2
        .value_kind:     hidden_group_size_x
      - .offset:         470
        .size:           2
        .value_kind:     hidden_group_size_y
      - .offset:         472
        .size:           2
        .value_kind:     hidden_group_size_z
      - .offset:         474
        .size:           2
        .value_kind:     hidden_remainder_x
      - .offset:         476
        .size:           2
        .value_kind:     hidden_remainder_y
      - .offset:         478
        .size:           2
        .value_kind:     hidden_remainder_z
      - .offset:         496
        .size:           8
        .value_kind:     hidden_global_offset_x
      - .offset:         504
        .size:           8
        .value_kind:     hidden_global_offset_y
      - .offset:         512
        .size:           8
        .value_kind:     hidden_global_offset_z
      - .offset:         520
        .size:           2
        .value_kind:     hidden_grid_dims
    .group_segment_fixed_size: 33792
    .kernarg_segment_align: 8
    .kernarg_segment_size: 712
    .language:       OpenCL C
    .language_version:
      - 2
      - 0
    .max_flat_workgroup_size: 512
    .name:           _ZN2at6native18radixSortKVInPlaceILin2ELin1ELi512ELi8EN3c108BFloat16EljEEvNS_4cuda6detail10TensorInfoIT3_T5_EES8_S8_S8_NS6_IT4_S8_EES8_b
    .private_segment_fixed_size: 0
    .sgpr_count:     38
    .sgpr_spill_count: 0
    .symbol:         _ZN2at6native18radixSortKVInPlaceILin2ELin1ELi512ELi8EN3c108BFloat16EljEEvNS_4cuda6detail10TensorInfoIT3_T5_EES8_S8_S8_NS6_IT4_S8_EES8_b.kd
    .uniform_work_group_size: 1
    .uses_dynamic_stack: false
    .vgpr_count:     113
    .vgpr_spill_count: 0
    .wavefront_size: 32
    .workgroup_processor_mode: 1
  - .args:
      - .offset:         0
        .size:           216
        .value_kind:     by_value
      - .offset:         216
        .size:           4
        .value_kind:     by_value
      - .offset:         220
        .size:           4
        .value_kind:     by_value
      - .offset:         224
        .size:           4
        .value_kind:     by_value
      - .offset:         232
        .size:           216
        .value_kind:     by_value
      - .offset:         448
        .size:           4
        .value_kind:     by_value
      - .offset:         452
        .size:           1
        .value_kind:     by_value
      - .offset:         456
        .size:           4
        .value_kind:     hidden_block_count_x
      - .offset:         460
        .size:           4
        .value_kind:     hidden_block_count_y
      - .offset:         464
        .size:           4
        .value_kind:     hidden_block_count_z
      - .offset:         468
        .size:           2
        .value_kind:     hidden_group_size_x
      - .offset:         470
        .size:           2
        .value_kind:     hidden_group_size_y
      - .offset:         472
        .size:           2
        .value_kind:     hidden_group_size_z
      - .offset:         474
        .size:           2
        .value_kind:     hidden_remainder_x
      - .offset:         476
        .size:           2
        .value_kind:     hidden_remainder_y
      - .offset:         478
        .size:           2
        .value_kind:     hidden_remainder_z
      - .offset:         496
        .size:           8
        .value_kind:     hidden_global_offset_x
      - .offset:         504
        .size:           8
        .value_kind:     hidden_global_offset_y
      - .offset:         512
        .size:           8
        .value_kind:     hidden_global_offset_z
      - .offset:         520
        .size:           2
        .value_kind:     hidden_grid_dims
    .group_segment_fixed_size: 16896
    .kernarg_segment_align: 8
    .kernarg_segment_size: 712
    .language:       OpenCL C
    .language_version:
      - 2
      - 0
    .max_flat_workgroup_size: 256
    .name:           _ZN2at6native18radixSortKVInPlaceILin2ELin1ELi256ELi8EN3c108BFloat16EljEEvNS_4cuda6detail10TensorInfoIT3_T5_EES8_S8_S8_NS6_IT4_S8_EES8_b
    .private_segment_fixed_size: 0
    .sgpr_count:     40
    .sgpr_spill_count: 0
    .symbol:         _ZN2at6native18radixSortKVInPlaceILin2ELin1ELi256ELi8EN3c108BFloat16EljEEvNS_4cuda6detail10TensorInfoIT3_T5_EES8_S8_S8_NS6_IT4_S8_EES8_b.kd
    .uniform_work_group_size: 1
    .uses_dynamic_stack: false
    .vgpr_count:     113
    .vgpr_spill_count: 0
    .wavefront_size: 32
    .workgroup_processor_mode: 1
  - .args:
      - .offset:         0
        .size:           216
        .value_kind:     by_value
      - .offset:         216
        .size:           4
        .value_kind:     by_value
      - .offset:         220
        .size:           4
        .value_kind:     by_value
      - .offset:         224
        .size:           4
        .value_kind:     by_value
      - .offset:         232
        .size:           216
        .value_kind:     by_value
      - .offset:         448
        .size:           4
        .value_kind:     by_value
      - .offset:         452
        .size:           1
        .value_kind:     by_value
      - .offset:         456
        .size:           4
        .value_kind:     hidden_block_count_x
      - .offset:         460
        .size:           4
        .value_kind:     hidden_block_count_y
      - .offset:         464
        .size:           4
        .value_kind:     hidden_block_count_z
      - .offset:         468
        .size:           2
        .value_kind:     hidden_group_size_x
      - .offset:         470
        .size:           2
        .value_kind:     hidden_group_size_y
      - .offset:         472
        .size:           2
        .value_kind:     hidden_group_size_z
      - .offset:         474
        .size:           2
        .value_kind:     hidden_remainder_x
      - .offset:         476
        .size:           2
        .value_kind:     hidden_remainder_y
      - .offset:         478
        .size:           2
        .value_kind:     hidden_remainder_z
      - .offset:         496
        .size:           8
        .value_kind:     hidden_global_offset_x
      - .offset:         504
        .size:           8
        .value_kind:     hidden_global_offset_y
      - .offset:         512
        .size:           8
        .value_kind:     hidden_global_offset_z
      - .offset:         520
        .size:           2
        .value_kind:     hidden_grid_dims
    .group_segment_fixed_size: 8448
    .kernarg_segment_align: 8
    .kernarg_segment_size: 712
    .language:       OpenCL C
    .language_version:
      - 2
      - 0
    .max_flat_workgroup_size: 128
    .name:           _ZN2at6native18radixSortKVInPlaceILin2ELin1ELi128ELi8EN3c108BFloat16EljEEvNS_4cuda6detail10TensorInfoIT3_T5_EES8_S8_S8_NS6_IT4_S8_EES8_b
    .private_segment_fixed_size: 0
    .sgpr_count:     40
    .sgpr_spill_count: 0
    .symbol:         _ZN2at6native18radixSortKVInPlaceILin2ELin1ELi128ELi8EN3c108BFloat16EljEEvNS_4cuda6detail10TensorInfoIT3_T5_EES8_S8_S8_NS6_IT4_S8_EES8_b.kd
    .uniform_work_group_size: 1
    .uses_dynamic_stack: false
    .vgpr_count:     113
    .vgpr_spill_count: 0
    .wavefront_size: 32
    .workgroup_processor_mode: 1
  - .args:
      - .offset:         0
        .size:           216
        .value_kind:     by_value
      - .offset:         216
        .size:           4
        .value_kind:     by_value
      - .offset:         220
        .size:           4
        .value_kind:     by_value
      - .offset:         224
        .size:           4
        .value_kind:     by_value
      - .offset:         232
        .size:           216
        .value_kind:     by_value
      - .offset:         448
        .size:           4
        .value_kind:     by_value
      - .offset:         452
        .size:           1
        .value_kind:     by_value
      - .offset:         456
        .size:           4
        .value_kind:     hidden_block_count_x
      - .offset:         460
        .size:           4
        .value_kind:     hidden_block_count_y
      - .offset:         464
        .size:           4
        .value_kind:     hidden_block_count_z
      - .offset:         468
        .size:           2
        .value_kind:     hidden_group_size_x
      - .offset:         470
        .size:           2
        .value_kind:     hidden_group_size_y
      - .offset:         472
        .size:           2
        .value_kind:     hidden_group_size_z
      - .offset:         474
        .size:           2
        .value_kind:     hidden_remainder_x
      - .offset:         476
        .size:           2
        .value_kind:     hidden_remainder_y
      - .offset:         478
        .size:           2
        .value_kind:     hidden_remainder_z
      - .offset:         496
        .size:           8
        .value_kind:     hidden_global_offset_x
      - .offset:         504
        .size:           8
        .value_kind:     hidden_global_offset_y
      - .offset:         512
        .size:           8
        .value_kind:     hidden_global_offset_z
      - .offset:         520
        .size:           2
        .value_kind:     hidden_grid_dims
    .group_segment_fixed_size: 1056
    .kernarg_segment_align: 8
    .kernarg_segment_size: 712
    .language:       OpenCL C
    .language_version:
      - 2
      - 0
    .max_flat_workgroup_size: 32
    .name:           _ZN2at6native18radixSortKVInPlaceILin2ELin1ELi32ELi4EN3c108BFloat16EljEEvNS_4cuda6detail10TensorInfoIT3_T5_EES8_S8_S8_NS6_IT4_S8_EES8_b
    .private_segment_fixed_size: 0
    .sgpr_count:     26
    .sgpr_spill_count: 0
    .symbol:         _ZN2at6native18radixSortKVInPlaceILin2ELin1ELi32ELi4EN3c108BFloat16EljEEvNS_4cuda6detail10TensorInfoIT3_T5_EES8_S8_S8_NS6_IT4_S8_EES8_b.kd
    .uniform_work_group_size: 1
    .uses_dynamic_stack: false
    .vgpr_count:     94
    .vgpr_spill_count: 0
    .wavefront_size: 32
    .workgroup_processor_mode: 1
  - .args:
      - .offset:         0
        .size:           216
        .value_kind:     by_value
      - .offset:         216
        .size:           4
        .value_kind:     by_value
      - .offset:         220
        .size:           4
        .value_kind:     by_value
      - .offset:         224
        .size:           4
        .value_kind:     by_value
      - .offset:         232
        .size:           216
        .value_kind:     by_value
      - .offset:         448
        .size:           4
        .value_kind:     by_value
      - .offset:         452
        .size:           1
        .value_kind:     by_value
      - .offset:         456
        .size:           4
        .value_kind:     hidden_block_count_x
      - .offset:         460
        .size:           4
        .value_kind:     hidden_block_count_y
      - .offset:         464
        .size:           4
        .value_kind:     hidden_block_count_z
      - .offset:         468
        .size:           2
        .value_kind:     hidden_group_size_x
      - .offset:         470
        .size:           2
        .value_kind:     hidden_group_size_y
      - .offset:         472
        .size:           2
        .value_kind:     hidden_group_size_z
      - .offset:         474
        .size:           2
        .value_kind:     hidden_remainder_x
      - .offset:         476
        .size:           2
        .value_kind:     hidden_remainder_y
      - .offset:         478
        .size:           2
        .value_kind:     hidden_remainder_z
      - .offset:         496
        .size:           8
        .value_kind:     hidden_global_offset_x
      - .offset:         504
        .size:           8
        .value_kind:     hidden_global_offset_y
      - .offset:         512
        .size:           8
        .value_kind:     hidden_global_offset_z
      - .offset:         520
        .size:           2
        .value_kind:     hidden_grid_dims
    .group_segment_fixed_size: 528
    .kernarg_segment_align: 8
    .kernarg_segment_size: 712
    .language:       OpenCL C
    .language_version:
      - 2
      - 0
    .max_flat_workgroup_size: 16
    .name:           _ZN2at6native18radixSortKVInPlaceILin2ELin1ELi16ELi2EN3c108BFloat16EljEEvNS_4cuda6detail10TensorInfoIT3_T5_EES8_S8_S8_NS6_IT4_S8_EES8_b
    .private_segment_fixed_size: 0
    .sgpr_count:     20
    .sgpr_spill_count: 0
    .symbol:         _ZN2at6native18radixSortKVInPlaceILin2ELin1ELi16ELi2EN3c108BFloat16EljEEvNS_4cuda6detail10TensorInfoIT3_T5_EES8_S8_S8_NS6_IT4_S8_EES8_b.kd
    .uniform_work_group_size: 1
    .uses_dynamic_stack: false
    .vgpr_count:     39
    .vgpr_spill_count: 0
    .wavefront_size: 32
    .workgroup_processor_mode: 1
  - .args:
      - .offset:         0
        .size:           216
        .value_kind:     by_value
      - .offset:         216
        .size:           4
        .value_kind:     by_value
      - .offset:         220
        .size:           4
        .value_kind:     by_value
      - .offset:         224
        .size:           4
        .value_kind:     by_value
      - .offset:         232
        .size:           216
        .value_kind:     by_value
      - .offset:         448
        .size:           4
        .value_kind:     by_value
      - .offset:         452
        .size:           1
        .value_kind:     by_value
      - .offset:         456
        .size:           4
        .value_kind:     hidden_block_count_x
      - .offset:         460
        .size:           4
        .value_kind:     hidden_block_count_y
      - .offset:         464
        .size:           4
        .value_kind:     hidden_block_count_z
      - .offset:         468
        .size:           2
        .value_kind:     hidden_group_size_x
      - .offset:         470
        .size:           2
        .value_kind:     hidden_group_size_y
      - .offset:         472
        .size:           2
        .value_kind:     hidden_group_size_z
      - .offset:         474
        .size:           2
        .value_kind:     hidden_remainder_x
      - .offset:         476
        .size:           2
        .value_kind:     hidden_remainder_y
      - .offset:         478
        .size:           2
        .value_kind:     hidden_remainder_z
      - .offset:         496
        .size:           8
        .value_kind:     hidden_global_offset_x
      - .offset:         504
        .size:           8
        .value_kind:     hidden_global_offset_y
      - .offset:         512
        .size:           8
        .value_kind:     hidden_global_offset_z
      - .offset:         520
        .size:           2
        .value_kind:     hidden_grid_dims
    .group_segment_fixed_size: 33792
    .kernarg_segment_align: 8
    .kernarg_segment_size: 712
    .language:       OpenCL C
    .language_version:
      - 2
      - 0
    .max_flat_workgroup_size: 512
    .name:           _ZN2at6native18radixSortKVInPlaceILi2ELin1ELi512ELi8EN3c108BFloat16EljEEvNS_4cuda6detail10TensorInfoIT3_T5_EES8_S8_S8_NS6_IT4_S8_EES8_b
    .private_segment_fixed_size: 0
    .sgpr_count:     38
    .sgpr_spill_count: 0
    .symbol:         _ZN2at6native18radixSortKVInPlaceILi2ELin1ELi512ELi8EN3c108BFloat16EljEEvNS_4cuda6detail10TensorInfoIT3_T5_EES8_S8_S8_NS6_IT4_S8_EES8_b.kd
    .uniform_work_group_size: 1
    .uses_dynamic_stack: false
    .vgpr_count:     113
    .vgpr_spill_count: 0
    .wavefront_size: 32
    .workgroup_processor_mode: 1
  - .args:
      - .offset:         0
        .size:           216
        .value_kind:     by_value
      - .offset:         216
        .size:           4
        .value_kind:     by_value
      - .offset:         220
        .size:           4
        .value_kind:     by_value
      - .offset:         224
        .size:           4
        .value_kind:     by_value
      - .offset:         232
        .size:           216
        .value_kind:     by_value
      - .offset:         448
        .size:           4
        .value_kind:     by_value
      - .offset:         452
        .size:           1
        .value_kind:     by_value
      - .offset:         456
        .size:           4
        .value_kind:     hidden_block_count_x
      - .offset:         460
        .size:           4
        .value_kind:     hidden_block_count_y
      - .offset:         464
        .size:           4
        .value_kind:     hidden_block_count_z
      - .offset:         468
        .size:           2
        .value_kind:     hidden_group_size_x
      - .offset:         470
        .size:           2
        .value_kind:     hidden_group_size_y
      - .offset:         472
        .size:           2
        .value_kind:     hidden_group_size_z
      - .offset:         474
        .size:           2
        .value_kind:     hidden_remainder_x
      - .offset:         476
        .size:           2
        .value_kind:     hidden_remainder_y
      - .offset:         478
        .size:           2
        .value_kind:     hidden_remainder_z
      - .offset:         496
        .size:           8
        .value_kind:     hidden_global_offset_x
      - .offset:         504
        .size:           8
        .value_kind:     hidden_global_offset_y
      - .offset:         512
        .size:           8
        .value_kind:     hidden_global_offset_z
      - .offset:         520
        .size:           2
        .value_kind:     hidden_grid_dims
    .group_segment_fixed_size: 16896
    .kernarg_segment_align: 8
    .kernarg_segment_size: 712
    .language:       OpenCL C
    .language_version:
      - 2
      - 0
    .max_flat_workgroup_size: 256
    .name:           _ZN2at6native18radixSortKVInPlaceILi2ELin1ELi256ELi8EN3c108BFloat16EljEEvNS_4cuda6detail10TensorInfoIT3_T5_EES8_S8_S8_NS6_IT4_S8_EES8_b
    .private_segment_fixed_size: 0
    .sgpr_count:     40
    .sgpr_spill_count: 0
    .symbol:         _ZN2at6native18radixSortKVInPlaceILi2ELin1ELi256ELi8EN3c108BFloat16EljEEvNS_4cuda6detail10TensorInfoIT3_T5_EES8_S8_S8_NS6_IT4_S8_EES8_b.kd
    .uniform_work_group_size: 1
    .uses_dynamic_stack: false
    .vgpr_count:     113
    .vgpr_spill_count: 0
    .wavefront_size: 32
    .workgroup_processor_mode: 1
  - .args:
      - .offset:         0
        .size:           216
        .value_kind:     by_value
      - .offset:         216
        .size:           4
        .value_kind:     by_value
      - .offset:         220
        .size:           4
        .value_kind:     by_value
      - .offset:         224
        .size:           4
        .value_kind:     by_value
      - .offset:         232
        .size:           216
        .value_kind:     by_value
      - .offset:         448
        .size:           4
        .value_kind:     by_value
      - .offset:         452
        .size:           1
        .value_kind:     by_value
      - .offset:         456
        .size:           4
        .value_kind:     hidden_block_count_x
      - .offset:         460
        .size:           4
        .value_kind:     hidden_block_count_y
      - .offset:         464
        .size:           4
        .value_kind:     hidden_block_count_z
      - .offset:         468
        .size:           2
        .value_kind:     hidden_group_size_x
      - .offset:         470
        .size:           2
        .value_kind:     hidden_group_size_y
      - .offset:         472
        .size:           2
        .value_kind:     hidden_group_size_z
      - .offset:         474
        .size:           2
        .value_kind:     hidden_remainder_x
      - .offset:         476
        .size:           2
        .value_kind:     hidden_remainder_y
      - .offset:         478
        .size:           2
        .value_kind:     hidden_remainder_z
      - .offset:         496
        .size:           8
        .value_kind:     hidden_global_offset_x
      - .offset:         504
        .size:           8
        .value_kind:     hidden_global_offset_y
      - .offset:         512
        .size:           8
        .value_kind:     hidden_global_offset_z
      - .offset:         520
        .size:           2
        .value_kind:     hidden_grid_dims
    .group_segment_fixed_size: 8448
    .kernarg_segment_align: 8
    .kernarg_segment_size: 712
    .language:       OpenCL C
    .language_version:
      - 2
      - 0
    .max_flat_workgroup_size: 128
    .name:           _ZN2at6native18radixSortKVInPlaceILi2ELin1ELi128ELi8EN3c108BFloat16EljEEvNS_4cuda6detail10TensorInfoIT3_T5_EES8_S8_S8_NS6_IT4_S8_EES8_b
    .private_segment_fixed_size: 0
    .sgpr_count:     40
    .sgpr_spill_count: 0
    .symbol:         _ZN2at6native18radixSortKVInPlaceILi2ELin1ELi128ELi8EN3c108BFloat16EljEEvNS_4cuda6detail10TensorInfoIT3_T5_EES8_S8_S8_NS6_IT4_S8_EES8_b.kd
    .uniform_work_group_size: 1
    .uses_dynamic_stack: false
    .vgpr_count:     113
    .vgpr_spill_count: 0
    .wavefront_size: 32
    .workgroup_processor_mode: 1
  - .args:
      - .offset:         0
        .size:           216
        .value_kind:     by_value
      - .offset:         216
        .size:           4
        .value_kind:     by_value
      - .offset:         220
        .size:           4
        .value_kind:     by_value
      - .offset:         224
        .size:           4
        .value_kind:     by_value
      - .offset:         232
        .size:           216
        .value_kind:     by_value
      - .offset:         448
        .size:           4
        .value_kind:     by_value
      - .offset:         452
        .size:           1
        .value_kind:     by_value
      - .offset:         456
        .size:           4
        .value_kind:     hidden_block_count_x
      - .offset:         460
        .size:           4
        .value_kind:     hidden_block_count_y
      - .offset:         464
        .size:           4
        .value_kind:     hidden_block_count_z
      - .offset:         468
        .size:           2
        .value_kind:     hidden_group_size_x
      - .offset:         470
        .size:           2
        .value_kind:     hidden_group_size_y
      - .offset:         472
        .size:           2
        .value_kind:     hidden_group_size_z
      - .offset:         474
        .size:           2
        .value_kind:     hidden_remainder_x
      - .offset:         476
        .size:           2
        .value_kind:     hidden_remainder_y
      - .offset:         478
        .size:           2
        .value_kind:     hidden_remainder_z
      - .offset:         496
        .size:           8
        .value_kind:     hidden_global_offset_x
      - .offset:         504
        .size:           8
        .value_kind:     hidden_global_offset_y
      - .offset:         512
        .size:           8
        .value_kind:     hidden_global_offset_z
      - .offset:         520
        .size:           2
        .value_kind:     hidden_grid_dims
    .group_segment_fixed_size: 1056
    .kernarg_segment_align: 8
    .kernarg_segment_size: 712
    .language:       OpenCL C
    .language_version:
      - 2
      - 0
    .max_flat_workgroup_size: 32
    .name:           _ZN2at6native18radixSortKVInPlaceILi2ELin1ELi32ELi4EN3c108BFloat16EljEEvNS_4cuda6detail10TensorInfoIT3_T5_EES8_S8_S8_NS6_IT4_S8_EES8_b
    .private_segment_fixed_size: 0
    .sgpr_count:     26
    .sgpr_spill_count: 0
    .symbol:         _ZN2at6native18radixSortKVInPlaceILi2ELin1ELi32ELi4EN3c108BFloat16EljEEvNS_4cuda6detail10TensorInfoIT3_T5_EES8_S8_S8_NS6_IT4_S8_EES8_b.kd
    .uniform_work_group_size: 1
    .uses_dynamic_stack: false
    .vgpr_count:     94
    .vgpr_spill_count: 0
    .wavefront_size: 32
    .workgroup_processor_mode: 1
  - .args:
      - .offset:         0
        .size:           216
        .value_kind:     by_value
      - .offset:         216
        .size:           4
        .value_kind:     by_value
      - .offset:         220
        .size:           4
        .value_kind:     by_value
      - .offset:         224
        .size:           4
        .value_kind:     by_value
      - .offset:         232
        .size:           216
        .value_kind:     by_value
      - .offset:         448
        .size:           4
        .value_kind:     by_value
      - .offset:         452
        .size:           1
        .value_kind:     by_value
      - .offset:         456
        .size:           4
        .value_kind:     hidden_block_count_x
      - .offset:         460
        .size:           4
        .value_kind:     hidden_block_count_y
      - .offset:         464
        .size:           4
        .value_kind:     hidden_block_count_z
      - .offset:         468
        .size:           2
        .value_kind:     hidden_group_size_x
      - .offset:         470
        .size:           2
        .value_kind:     hidden_group_size_y
      - .offset:         472
        .size:           2
        .value_kind:     hidden_group_size_z
      - .offset:         474
        .size:           2
        .value_kind:     hidden_remainder_x
      - .offset:         476
        .size:           2
        .value_kind:     hidden_remainder_y
      - .offset:         478
        .size:           2
        .value_kind:     hidden_remainder_z
      - .offset:         496
        .size:           8
        .value_kind:     hidden_global_offset_x
      - .offset:         504
        .size:           8
        .value_kind:     hidden_global_offset_y
      - .offset:         512
        .size:           8
        .value_kind:     hidden_global_offset_z
      - .offset:         520
        .size:           2
        .value_kind:     hidden_grid_dims
    .group_segment_fixed_size: 528
    .kernarg_segment_align: 8
    .kernarg_segment_size: 712
    .language:       OpenCL C
    .language_version:
      - 2
      - 0
    .max_flat_workgroup_size: 16
    .name:           _ZN2at6native18radixSortKVInPlaceILi2ELin1ELi16ELi2EN3c108BFloat16EljEEvNS_4cuda6detail10TensorInfoIT3_T5_EES8_S8_S8_NS6_IT4_S8_EES8_b
    .private_segment_fixed_size: 0
    .sgpr_count:     26
    .sgpr_spill_count: 0
    .symbol:         _ZN2at6native18radixSortKVInPlaceILi2ELin1ELi16ELi2EN3c108BFloat16EljEEvNS_4cuda6detail10TensorInfoIT3_T5_EES8_S8_S8_NS6_IT4_S8_EES8_b.kd
    .uniform_work_group_size: 1
    .uses_dynamic_stack: false
    .vgpr_count:     39
    .vgpr_spill_count: 0
    .wavefront_size: 32
    .workgroup_processor_mode: 1
  - .args:
      - .offset:         0
        .size:           216
        .value_kind:     by_value
      - .offset:         216
        .size:           4
        .value_kind:     by_value
      - .offset:         220
        .size:           4
        .value_kind:     by_value
      - .offset:         224
        .size:           4
        .value_kind:     by_value
      - .offset:         232
        .size:           216
        .value_kind:     by_value
      - .offset:         448
        .size:           4
        .value_kind:     by_value
      - .offset:         452
        .size:           1
        .value_kind:     by_value
      - .offset:         456
        .size:           4
        .value_kind:     hidden_block_count_x
      - .offset:         460
        .size:           4
        .value_kind:     hidden_block_count_y
      - .offset:         464
        .size:           4
        .value_kind:     hidden_block_count_z
      - .offset:         468
        .size:           2
        .value_kind:     hidden_group_size_x
      - .offset:         470
        .size:           2
        .value_kind:     hidden_group_size_y
      - .offset:         472
        .size:           2
        .value_kind:     hidden_group_size_z
      - .offset:         474
        .size:           2
        .value_kind:     hidden_remainder_x
      - .offset:         476
        .size:           2
        .value_kind:     hidden_remainder_y
      - .offset:         478
        .size:           2
        .value_kind:     hidden_remainder_z
      - .offset:         496
        .size:           8
        .value_kind:     hidden_global_offset_x
      - .offset:         504
        .size:           8
        .value_kind:     hidden_global_offset_y
      - .offset:         512
        .size:           8
        .value_kind:     hidden_global_offset_z
      - .offset:         520
        .size:           2
        .value_kind:     hidden_grid_dims
    .group_segment_fixed_size: 33792
    .kernarg_segment_align: 8
    .kernarg_segment_size: 712
    .language:       OpenCL C
    .language_version:
      - 2
      - 0
    .max_flat_workgroup_size: 512
    .name:           _ZN2at6native18radixSortKVInPlaceILin1ELin1ELi512ELi8EN3c108BFloat16EljEEvNS_4cuda6detail10TensorInfoIT3_T5_EES8_S8_S8_NS6_IT4_S8_EES8_b
    .private_segment_fixed_size: 0
    .sgpr_count:     38
    .sgpr_spill_count: 0
    .symbol:         _ZN2at6native18radixSortKVInPlaceILin1ELin1ELi512ELi8EN3c108BFloat16EljEEvNS_4cuda6detail10TensorInfoIT3_T5_EES8_S8_S8_NS6_IT4_S8_EES8_b.kd
    .uniform_work_group_size: 1
    .uses_dynamic_stack: false
    .vgpr_count:     113
    .vgpr_spill_count: 0
    .wavefront_size: 32
    .workgroup_processor_mode: 1
  - .args:
      - .offset:         0
        .size:           216
        .value_kind:     by_value
      - .offset:         216
        .size:           4
        .value_kind:     by_value
      - .offset:         220
        .size:           4
        .value_kind:     by_value
      - .offset:         224
        .size:           4
        .value_kind:     by_value
      - .offset:         232
        .size:           216
        .value_kind:     by_value
      - .offset:         448
        .size:           4
        .value_kind:     by_value
      - .offset:         452
        .size:           1
        .value_kind:     by_value
      - .offset:         456
        .size:           4
        .value_kind:     hidden_block_count_x
      - .offset:         460
        .size:           4
        .value_kind:     hidden_block_count_y
      - .offset:         464
        .size:           4
        .value_kind:     hidden_block_count_z
      - .offset:         468
        .size:           2
        .value_kind:     hidden_group_size_x
      - .offset:         470
        .size:           2
        .value_kind:     hidden_group_size_y
      - .offset:         472
        .size:           2
        .value_kind:     hidden_group_size_z
      - .offset:         474
        .size:           2
        .value_kind:     hidden_remainder_x
      - .offset:         476
        .size:           2
        .value_kind:     hidden_remainder_y
      - .offset:         478
        .size:           2
        .value_kind:     hidden_remainder_z
      - .offset:         496
        .size:           8
        .value_kind:     hidden_global_offset_x
      - .offset:         504
        .size:           8
        .value_kind:     hidden_global_offset_y
      - .offset:         512
        .size:           8
        .value_kind:     hidden_global_offset_z
      - .offset:         520
        .size:           2
        .value_kind:     hidden_grid_dims
    .group_segment_fixed_size: 16896
    .kernarg_segment_align: 8
    .kernarg_segment_size: 712
    .language:       OpenCL C
    .language_version:
      - 2
      - 0
    .max_flat_workgroup_size: 256
    .name:           _ZN2at6native18radixSortKVInPlaceILin1ELin1ELi256ELi8EN3c108BFloat16EljEEvNS_4cuda6detail10TensorInfoIT3_T5_EES8_S8_S8_NS6_IT4_S8_EES8_b
    .private_segment_fixed_size: 0
    .sgpr_count:     40
    .sgpr_spill_count: 0
    .symbol:         _ZN2at6native18radixSortKVInPlaceILin1ELin1ELi256ELi8EN3c108BFloat16EljEEvNS_4cuda6detail10TensorInfoIT3_T5_EES8_S8_S8_NS6_IT4_S8_EES8_b.kd
    .uniform_work_group_size: 1
    .uses_dynamic_stack: false
    .vgpr_count:     113
    .vgpr_spill_count: 0
    .wavefront_size: 32
    .workgroup_processor_mode: 1
  - .args:
      - .offset:         0
        .size:           216
        .value_kind:     by_value
      - .offset:         216
        .size:           4
        .value_kind:     by_value
      - .offset:         220
        .size:           4
        .value_kind:     by_value
      - .offset:         224
        .size:           4
        .value_kind:     by_value
      - .offset:         232
        .size:           216
        .value_kind:     by_value
      - .offset:         448
        .size:           4
        .value_kind:     by_value
      - .offset:         452
        .size:           1
        .value_kind:     by_value
      - .offset:         456
        .size:           4
        .value_kind:     hidden_block_count_x
      - .offset:         460
        .size:           4
        .value_kind:     hidden_block_count_y
      - .offset:         464
        .size:           4
        .value_kind:     hidden_block_count_z
      - .offset:         468
        .size:           2
        .value_kind:     hidden_group_size_x
      - .offset:         470
        .size:           2
        .value_kind:     hidden_group_size_y
      - .offset:         472
        .size:           2
        .value_kind:     hidden_group_size_z
      - .offset:         474
        .size:           2
        .value_kind:     hidden_remainder_x
      - .offset:         476
        .size:           2
        .value_kind:     hidden_remainder_y
      - .offset:         478
        .size:           2
        .value_kind:     hidden_remainder_z
      - .offset:         496
        .size:           8
        .value_kind:     hidden_global_offset_x
      - .offset:         504
        .size:           8
        .value_kind:     hidden_global_offset_y
      - .offset:         512
        .size:           8
        .value_kind:     hidden_global_offset_z
      - .offset:         520
        .size:           2
        .value_kind:     hidden_grid_dims
    .group_segment_fixed_size: 8448
    .kernarg_segment_align: 8
    .kernarg_segment_size: 712
    .language:       OpenCL C
    .language_version:
      - 2
      - 0
    .max_flat_workgroup_size: 128
    .name:           _ZN2at6native18radixSortKVInPlaceILin1ELin1ELi128ELi8EN3c108BFloat16EljEEvNS_4cuda6detail10TensorInfoIT3_T5_EES8_S8_S8_NS6_IT4_S8_EES8_b
    .private_segment_fixed_size: 0
    .sgpr_count:     40
    .sgpr_spill_count: 0
    .symbol:         _ZN2at6native18radixSortKVInPlaceILin1ELin1ELi128ELi8EN3c108BFloat16EljEEvNS_4cuda6detail10TensorInfoIT3_T5_EES8_S8_S8_NS6_IT4_S8_EES8_b.kd
    .uniform_work_group_size: 1
    .uses_dynamic_stack: false
    .vgpr_count:     113
    .vgpr_spill_count: 0
    .wavefront_size: 32
    .workgroup_processor_mode: 1
  - .args:
      - .offset:         0
        .size:           216
        .value_kind:     by_value
      - .offset:         216
        .size:           4
        .value_kind:     by_value
      - .offset:         220
        .size:           4
        .value_kind:     by_value
      - .offset:         224
        .size:           4
        .value_kind:     by_value
      - .offset:         232
        .size:           216
        .value_kind:     by_value
      - .offset:         448
        .size:           4
        .value_kind:     by_value
      - .offset:         452
        .size:           1
        .value_kind:     by_value
      - .offset:         456
        .size:           4
        .value_kind:     hidden_block_count_x
      - .offset:         460
        .size:           4
        .value_kind:     hidden_block_count_y
      - .offset:         464
        .size:           4
        .value_kind:     hidden_block_count_z
      - .offset:         468
        .size:           2
        .value_kind:     hidden_group_size_x
      - .offset:         470
        .size:           2
        .value_kind:     hidden_group_size_y
      - .offset:         472
        .size:           2
        .value_kind:     hidden_group_size_z
      - .offset:         474
        .size:           2
        .value_kind:     hidden_remainder_x
      - .offset:         476
        .size:           2
        .value_kind:     hidden_remainder_y
      - .offset:         478
        .size:           2
        .value_kind:     hidden_remainder_z
      - .offset:         496
        .size:           8
        .value_kind:     hidden_global_offset_x
      - .offset:         504
        .size:           8
        .value_kind:     hidden_global_offset_y
      - .offset:         512
        .size:           8
        .value_kind:     hidden_global_offset_z
      - .offset:         520
        .size:           2
        .value_kind:     hidden_grid_dims
    .group_segment_fixed_size: 1056
    .kernarg_segment_align: 8
    .kernarg_segment_size: 712
    .language:       OpenCL C
    .language_version:
      - 2
      - 0
    .max_flat_workgroup_size: 32
    .name:           _ZN2at6native18radixSortKVInPlaceILin1ELin1ELi32ELi4EN3c108BFloat16EljEEvNS_4cuda6detail10TensorInfoIT3_T5_EES8_S8_S8_NS6_IT4_S8_EES8_b
    .private_segment_fixed_size: 0
    .sgpr_count:     26
    .sgpr_spill_count: 0
    .symbol:         _ZN2at6native18radixSortKVInPlaceILin1ELin1ELi32ELi4EN3c108BFloat16EljEEvNS_4cuda6detail10TensorInfoIT3_T5_EES8_S8_S8_NS6_IT4_S8_EES8_b.kd
    .uniform_work_group_size: 1
    .uses_dynamic_stack: false
    .vgpr_count:     94
    .vgpr_spill_count: 0
    .wavefront_size: 32
    .workgroup_processor_mode: 1
  - .args:
      - .offset:         0
        .size:           216
        .value_kind:     by_value
      - .offset:         216
        .size:           4
        .value_kind:     by_value
      - .offset:         220
        .size:           4
        .value_kind:     by_value
      - .offset:         224
        .size:           4
        .value_kind:     by_value
      - .offset:         232
        .size:           216
        .value_kind:     by_value
      - .offset:         448
        .size:           4
        .value_kind:     by_value
      - .offset:         452
        .size:           1
        .value_kind:     by_value
      - .offset:         456
        .size:           4
        .value_kind:     hidden_block_count_x
      - .offset:         460
        .size:           4
        .value_kind:     hidden_block_count_y
      - .offset:         464
        .size:           4
        .value_kind:     hidden_block_count_z
      - .offset:         468
        .size:           2
        .value_kind:     hidden_group_size_x
      - .offset:         470
        .size:           2
        .value_kind:     hidden_group_size_y
      - .offset:         472
        .size:           2
        .value_kind:     hidden_group_size_z
      - .offset:         474
        .size:           2
        .value_kind:     hidden_remainder_x
      - .offset:         476
        .size:           2
        .value_kind:     hidden_remainder_y
      - .offset:         478
        .size:           2
        .value_kind:     hidden_remainder_z
      - .offset:         496
        .size:           8
        .value_kind:     hidden_global_offset_x
      - .offset:         504
        .size:           8
        .value_kind:     hidden_global_offset_y
      - .offset:         512
        .size:           8
        .value_kind:     hidden_global_offset_z
      - .offset:         520
        .size:           2
        .value_kind:     hidden_grid_dims
    .group_segment_fixed_size: 528
    .kernarg_segment_align: 8
    .kernarg_segment_size: 712
    .language:       OpenCL C
    .language_version:
      - 2
      - 0
    .max_flat_workgroup_size: 16
    .name:           _ZN2at6native18radixSortKVInPlaceILin1ELin1ELi16ELi2EN3c108BFloat16EljEEvNS_4cuda6detail10TensorInfoIT3_T5_EES8_S8_S8_NS6_IT4_S8_EES8_b
    .private_segment_fixed_size: 0
    .sgpr_count:     20
    .sgpr_spill_count: 0
    .symbol:         _ZN2at6native18radixSortKVInPlaceILin1ELin1ELi16ELi2EN3c108BFloat16EljEEvNS_4cuda6detail10TensorInfoIT3_T5_EES8_S8_S8_NS6_IT4_S8_EES8_b.kd
    .uniform_work_group_size: 1
    .uses_dynamic_stack: false
    .vgpr_count:     39
    .vgpr_spill_count: 0
    .wavefront_size: 32
    .workgroup_processor_mode: 1
  - .args:
      - .offset:         0
        .size:           416
        .value_kind:     by_value
      - .offset:         416
        .size:           8
        .value_kind:     by_value
      - .offset:         424
        .size:           8
        .value_kind:     by_value
      - .offset:         432
        .size:           8
        .value_kind:     by_value
      - .offset:         440
        .size:           416
        .value_kind:     by_value
      - .offset:         856
        .size:           8
        .value_kind:     by_value
      - .offset:         864
        .size:           1
        .value_kind:     by_value
      - .offset:         872
        .size:           4
        .value_kind:     hidden_block_count_x
      - .offset:         876
        .size:           4
        .value_kind:     hidden_block_count_y
      - .offset:         880
        .size:           4
        .value_kind:     hidden_block_count_z
      - .offset:         884
        .size:           2
        .value_kind:     hidden_group_size_x
      - .offset:         886
        .size:           2
        .value_kind:     hidden_group_size_y
      - .offset:         888
        .size:           2
        .value_kind:     hidden_group_size_z
      - .offset:         890
        .size:           2
        .value_kind:     hidden_remainder_x
      - .offset:         892
        .size:           2
        .value_kind:     hidden_remainder_y
      - .offset:         894
        .size:           2
        .value_kind:     hidden_remainder_z
      - .offset:         912
        .size:           8
        .value_kind:     hidden_global_offset_x
      - .offset:         920
        .size:           8
        .value_kind:     hidden_global_offset_y
      - .offset:         928
        .size:           8
        .value_kind:     hidden_global_offset_z
      - .offset:         936
        .size:           2
        .value_kind:     hidden_grid_dims
    .group_segment_fixed_size: 33792
    .kernarg_segment_align: 8
    .kernarg_segment_size: 1128
    .language:       OpenCL C
    .language_version:
      - 2
      - 0
    .max_flat_workgroup_size: 512
    .name:           _ZN2at6native18radixSortKVInPlaceILin1ELin1ELi512ELi8EN3c108BFloat16ElmEEvNS_4cuda6detail10TensorInfoIT3_T5_EES8_S8_S8_NS6_IT4_S8_EES8_b
    .private_segment_fixed_size: 0
    .sgpr_count:     38
    .sgpr_spill_count: 0
    .symbol:         _ZN2at6native18radixSortKVInPlaceILin1ELin1ELi512ELi8EN3c108BFloat16ElmEEvNS_4cuda6detail10TensorInfoIT3_T5_EES8_S8_S8_NS6_IT4_S8_EES8_b.kd
    .uniform_work_group_size: 1
    .uses_dynamic_stack: false
    .vgpr_count:     111
    .vgpr_spill_count: 0
    .wavefront_size: 32
    .workgroup_processor_mode: 1
  - .args:
      - .offset:         0
        .size:           416
        .value_kind:     by_value
      - .offset:         416
        .size:           8
        .value_kind:     by_value
      - .offset:         424
        .size:           8
        .value_kind:     by_value
      - .offset:         432
        .size:           8
        .value_kind:     by_value
      - .offset:         440
        .size:           416
        .value_kind:     by_value
      - .offset:         856
        .size:           8
        .value_kind:     by_value
      - .offset:         864
        .size:           1
        .value_kind:     by_value
      - .offset:         872
        .size:           4
        .value_kind:     hidden_block_count_x
      - .offset:         876
        .size:           4
        .value_kind:     hidden_block_count_y
      - .offset:         880
        .size:           4
        .value_kind:     hidden_block_count_z
      - .offset:         884
        .size:           2
        .value_kind:     hidden_group_size_x
      - .offset:         886
        .size:           2
        .value_kind:     hidden_group_size_y
      - .offset:         888
        .size:           2
        .value_kind:     hidden_group_size_z
      - .offset:         890
        .size:           2
        .value_kind:     hidden_remainder_x
      - .offset:         892
        .size:           2
        .value_kind:     hidden_remainder_y
      - .offset:         894
        .size:           2
        .value_kind:     hidden_remainder_z
      - .offset:         912
        .size:           8
        .value_kind:     hidden_global_offset_x
      - .offset:         920
        .size:           8
        .value_kind:     hidden_global_offset_y
      - .offset:         928
        .size:           8
        .value_kind:     hidden_global_offset_z
      - .offset:         936
        .size:           2
        .value_kind:     hidden_grid_dims
    .group_segment_fixed_size: 16896
    .kernarg_segment_align: 8
    .kernarg_segment_size: 1128
    .language:       OpenCL C
    .language_version:
      - 2
      - 0
    .max_flat_workgroup_size: 256
    .name:           _ZN2at6native18radixSortKVInPlaceILin1ELin1ELi256ELi8EN3c108BFloat16ElmEEvNS_4cuda6detail10TensorInfoIT3_T5_EES8_S8_S8_NS6_IT4_S8_EES8_b
    .private_segment_fixed_size: 0
    .sgpr_count:     40
    .sgpr_spill_count: 0
    .symbol:         _ZN2at6native18radixSortKVInPlaceILin1ELin1ELi256ELi8EN3c108BFloat16ElmEEvNS_4cuda6detail10TensorInfoIT3_T5_EES8_S8_S8_NS6_IT4_S8_EES8_b.kd
    .uniform_work_group_size: 1
    .uses_dynamic_stack: false
    .vgpr_count:     111
    .vgpr_spill_count: 0
    .wavefront_size: 32
    .workgroup_processor_mode: 1
  - .args:
      - .offset:         0
        .size:           416
        .value_kind:     by_value
      - .offset:         416
        .size:           8
        .value_kind:     by_value
      - .offset:         424
        .size:           8
        .value_kind:     by_value
      - .offset:         432
        .size:           8
        .value_kind:     by_value
      - .offset:         440
        .size:           416
        .value_kind:     by_value
      - .offset:         856
        .size:           8
        .value_kind:     by_value
      - .offset:         864
        .size:           1
        .value_kind:     by_value
      - .offset:         872
        .size:           4
        .value_kind:     hidden_block_count_x
      - .offset:         876
        .size:           4
        .value_kind:     hidden_block_count_y
      - .offset:         880
        .size:           4
        .value_kind:     hidden_block_count_z
      - .offset:         884
        .size:           2
        .value_kind:     hidden_group_size_x
      - .offset:         886
        .size:           2
        .value_kind:     hidden_group_size_y
      - .offset:         888
        .size:           2
        .value_kind:     hidden_group_size_z
      - .offset:         890
        .size:           2
        .value_kind:     hidden_remainder_x
      - .offset:         892
        .size:           2
        .value_kind:     hidden_remainder_y
      - .offset:         894
        .size:           2
        .value_kind:     hidden_remainder_z
      - .offset:         912
        .size:           8
        .value_kind:     hidden_global_offset_x
      - .offset:         920
        .size:           8
        .value_kind:     hidden_global_offset_y
      - .offset:         928
        .size:           8
        .value_kind:     hidden_global_offset_z
      - .offset:         936
        .size:           2
        .value_kind:     hidden_grid_dims
    .group_segment_fixed_size: 8448
    .kernarg_segment_align: 8
    .kernarg_segment_size: 1128
    .language:       OpenCL C
    .language_version:
      - 2
      - 0
    .max_flat_workgroup_size: 128
    .name:           _ZN2at6native18radixSortKVInPlaceILin1ELin1ELi128ELi8EN3c108BFloat16ElmEEvNS_4cuda6detail10TensorInfoIT3_T5_EES8_S8_S8_NS6_IT4_S8_EES8_b
    .private_segment_fixed_size: 0
    .sgpr_count:     40
    .sgpr_spill_count: 0
    .symbol:         _ZN2at6native18radixSortKVInPlaceILin1ELin1ELi128ELi8EN3c108BFloat16ElmEEvNS_4cuda6detail10TensorInfoIT3_T5_EES8_S8_S8_NS6_IT4_S8_EES8_b.kd
    .uniform_work_group_size: 1
    .uses_dynamic_stack: false
    .vgpr_count:     111
    .vgpr_spill_count: 0
    .wavefront_size: 32
    .workgroup_processor_mode: 1
  - .args:
      - .offset:         0
        .size:           416
        .value_kind:     by_value
      - .offset:         416
        .size:           8
        .value_kind:     by_value
      - .offset:         424
        .size:           8
        .value_kind:     by_value
      - .offset:         432
        .size:           8
        .value_kind:     by_value
      - .offset:         440
        .size:           416
        .value_kind:     by_value
      - .offset:         856
        .size:           8
        .value_kind:     by_value
      - .offset:         864
        .size:           1
        .value_kind:     by_value
      - .offset:         872
        .size:           4
        .value_kind:     hidden_block_count_x
      - .offset:         876
        .size:           4
        .value_kind:     hidden_block_count_y
      - .offset:         880
        .size:           4
        .value_kind:     hidden_block_count_z
      - .offset:         884
        .size:           2
        .value_kind:     hidden_group_size_x
      - .offset:         886
        .size:           2
        .value_kind:     hidden_group_size_y
      - .offset:         888
        .size:           2
        .value_kind:     hidden_group_size_z
      - .offset:         890
        .size:           2
        .value_kind:     hidden_remainder_x
      - .offset:         892
        .size:           2
        .value_kind:     hidden_remainder_y
      - .offset:         894
        .size:           2
        .value_kind:     hidden_remainder_z
      - .offset:         912
        .size:           8
        .value_kind:     hidden_global_offset_x
      - .offset:         920
        .size:           8
        .value_kind:     hidden_global_offset_y
      - .offset:         928
        .size:           8
        .value_kind:     hidden_global_offset_z
      - .offset:         936
        .size:           2
        .value_kind:     hidden_grid_dims
    .group_segment_fixed_size: 1056
    .kernarg_segment_align: 8
    .kernarg_segment_size: 1128
    .language:       OpenCL C
    .language_version:
      - 2
      - 0
    .max_flat_workgroup_size: 32
    .name:           _ZN2at6native18radixSortKVInPlaceILin1ELin1ELi32ELi4EN3c108BFloat16ElmEEvNS_4cuda6detail10TensorInfoIT3_T5_EES8_S8_S8_NS6_IT4_S8_EES8_b
    .private_segment_fixed_size: 0
    .sgpr_count:     38
    .sgpr_spill_count: 0
    .symbol:         _ZN2at6native18radixSortKVInPlaceILin1ELin1ELi32ELi4EN3c108BFloat16ElmEEvNS_4cuda6detail10TensorInfoIT3_T5_EES8_S8_S8_NS6_IT4_S8_EES8_b.kd
    .uniform_work_group_size: 1
    .uses_dynamic_stack: false
    .vgpr_count:     92
    .vgpr_spill_count: 0
    .wavefront_size: 32
    .workgroup_processor_mode: 1
  - .args:
      - .offset:         0
        .size:           416
        .value_kind:     by_value
      - .offset:         416
        .size:           8
        .value_kind:     by_value
      - .offset:         424
        .size:           8
        .value_kind:     by_value
      - .offset:         432
        .size:           8
        .value_kind:     by_value
      - .offset:         440
        .size:           416
        .value_kind:     by_value
      - .offset:         856
        .size:           8
        .value_kind:     by_value
      - .offset:         864
        .size:           1
        .value_kind:     by_value
      - .offset:         872
        .size:           4
        .value_kind:     hidden_block_count_x
      - .offset:         876
        .size:           4
        .value_kind:     hidden_block_count_y
      - .offset:         880
        .size:           4
        .value_kind:     hidden_block_count_z
      - .offset:         884
        .size:           2
        .value_kind:     hidden_group_size_x
      - .offset:         886
        .size:           2
        .value_kind:     hidden_group_size_y
      - .offset:         888
        .size:           2
        .value_kind:     hidden_group_size_z
      - .offset:         890
        .size:           2
        .value_kind:     hidden_remainder_x
      - .offset:         892
        .size:           2
        .value_kind:     hidden_remainder_y
      - .offset:         894
        .size:           2
        .value_kind:     hidden_remainder_z
      - .offset:         912
        .size:           8
        .value_kind:     hidden_global_offset_x
      - .offset:         920
        .size:           8
        .value_kind:     hidden_global_offset_y
      - .offset:         928
        .size:           8
        .value_kind:     hidden_global_offset_z
      - .offset:         936
        .size:           2
        .value_kind:     hidden_grid_dims
    .group_segment_fixed_size: 528
    .kernarg_segment_align: 8
    .kernarg_segment_size: 1128
    .language:       OpenCL C
    .language_version:
      - 2
      - 0
    .max_flat_workgroup_size: 16
    .name:           _ZN2at6native18radixSortKVInPlaceILin1ELin1ELi16ELi2EN3c108BFloat16ElmEEvNS_4cuda6detail10TensorInfoIT3_T5_EES8_S8_S8_NS6_IT4_S8_EES8_b
    .private_segment_fixed_size: 0
    .sgpr_count:     36
    .sgpr_spill_count: 0
    .symbol:         _ZN2at6native18radixSortKVInPlaceILin1ELin1ELi16ELi2EN3c108BFloat16ElmEEvNS_4cuda6detail10TensorInfoIT3_T5_EES8_S8_S8_NS6_IT4_S8_EES8_b.kd
    .uniform_work_group_size: 1
    .uses_dynamic_stack: false
    .vgpr_count:     37
    .vgpr_spill_count: 0
    .wavefront_size: 32
    .workgroup_processor_mode: 1
  - .args:
      - .offset:         0
        .size:           216
        .value_kind:     by_value
      - .offset:         216
        .size:           4
        .value_kind:     by_value
      - .offset:         220
        .size:           4
        .value_kind:     by_value
      - .offset:         224
        .size:           4
        .value_kind:     by_value
      - .offset:         232
        .size:           216
        .value_kind:     by_value
      - .offset:         448
        .size:           4
        .value_kind:     by_value
      - .offset:         452
        .size:           1
        .value_kind:     by_value
      - .offset:         456
        .size:           4
        .value_kind:     hidden_block_count_x
      - .offset:         460
        .size:           4
        .value_kind:     hidden_block_count_y
      - .offset:         464
        .size:           4
        .value_kind:     hidden_block_count_z
      - .offset:         468
        .size:           2
        .value_kind:     hidden_group_size_x
      - .offset:         470
        .size:           2
        .value_kind:     hidden_group_size_y
      - .offset:         472
        .size:           2
        .value_kind:     hidden_group_size_z
      - .offset:         474
        .size:           2
        .value_kind:     hidden_remainder_x
      - .offset:         476
        .size:           2
        .value_kind:     hidden_remainder_y
      - .offset:         478
        .size:           2
        .value_kind:     hidden_remainder_z
      - .offset:         496
        .size:           8
        .value_kind:     hidden_global_offset_x
      - .offset:         504
        .size:           8
        .value_kind:     hidden_global_offset_y
      - .offset:         512
        .size:           8
        .value_kind:     hidden_global_offset_z
      - .offset:         520
        .size:           2
        .value_kind:     hidden_grid_dims
    .group_segment_fixed_size: 33792
    .kernarg_segment_align: 8
    .kernarg_segment_size: 712
    .language:       OpenCL C
    .language_version:
      - 2
      - 0
    .max_flat_workgroup_size: 512
    .name:           _ZN2at6native18radixSortKVInPlaceILin2ELin1ELi512ELi8EbljEEvNS_4cuda6detail10TensorInfoIT3_T5_EES6_S6_S6_NS4_IT4_S6_EES6_b
    .private_segment_fixed_size: 0
    .sgpr_count:     30
    .sgpr_spill_count: 0
    .symbol:         _ZN2at6native18radixSortKVInPlaceILin2ELin1ELi512ELi8EbljEEvNS_4cuda6detail10TensorInfoIT3_T5_EES6_S6_S6_NS4_IT4_S6_EES6_b.kd
    .uniform_work_group_size: 1
    .uses_dynamic_stack: false
    .vgpr_count:     105
    .vgpr_spill_count: 0
    .wavefront_size: 32
    .workgroup_processor_mode: 1
  - .args:
      - .offset:         0
        .size:           216
        .value_kind:     by_value
      - .offset:         216
        .size:           4
        .value_kind:     by_value
      - .offset:         220
        .size:           4
        .value_kind:     by_value
      - .offset:         224
        .size:           4
        .value_kind:     by_value
      - .offset:         232
        .size:           216
        .value_kind:     by_value
      - .offset:         448
        .size:           4
        .value_kind:     by_value
      - .offset:         452
        .size:           1
        .value_kind:     by_value
      - .offset:         456
        .size:           4
        .value_kind:     hidden_block_count_x
      - .offset:         460
        .size:           4
        .value_kind:     hidden_block_count_y
      - .offset:         464
        .size:           4
        .value_kind:     hidden_block_count_z
      - .offset:         468
        .size:           2
        .value_kind:     hidden_group_size_x
      - .offset:         470
        .size:           2
        .value_kind:     hidden_group_size_y
      - .offset:         472
        .size:           2
        .value_kind:     hidden_group_size_z
      - .offset:         474
        .size:           2
        .value_kind:     hidden_remainder_x
      - .offset:         476
        .size:           2
        .value_kind:     hidden_remainder_y
      - .offset:         478
        .size:           2
        .value_kind:     hidden_remainder_z
      - .offset:         496
        .size:           8
        .value_kind:     hidden_global_offset_x
      - .offset:         504
        .size:           8
        .value_kind:     hidden_global_offset_y
      - .offset:         512
        .size:           8
        .value_kind:     hidden_global_offset_z
      - .offset:         520
        .size:           2
        .value_kind:     hidden_grid_dims
    .group_segment_fixed_size: 16896
    .kernarg_segment_align: 8
    .kernarg_segment_size: 712
    .language:       OpenCL C
    .language_version:
      - 2
      - 0
    .max_flat_workgroup_size: 256
    .name:           _ZN2at6native18radixSortKVInPlaceILin2ELin1ELi256ELi8EbljEEvNS_4cuda6detail10TensorInfoIT3_T5_EES6_S6_S6_NS4_IT4_S6_EES6_b
    .private_segment_fixed_size: 0
    .sgpr_count:     26
    .sgpr_spill_count: 0
    .symbol:         _ZN2at6native18radixSortKVInPlaceILin2ELin1ELi256ELi8EbljEEvNS_4cuda6detail10TensorInfoIT3_T5_EES6_S6_S6_NS4_IT4_S6_EES6_b.kd
    .uniform_work_group_size: 1
    .uses_dynamic_stack: false
    .vgpr_count:     105
    .vgpr_spill_count: 0
    .wavefront_size: 32
    .workgroup_processor_mode: 1
  - .args:
      - .offset:         0
        .size:           216
        .value_kind:     by_value
      - .offset:         216
        .size:           4
        .value_kind:     by_value
      - .offset:         220
        .size:           4
        .value_kind:     by_value
      - .offset:         224
        .size:           4
        .value_kind:     by_value
      - .offset:         232
        .size:           216
        .value_kind:     by_value
      - .offset:         448
        .size:           4
        .value_kind:     by_value
      - .offset:         452
        .size:           1
        .value_kind:     by_value
      - .offset:         456
        .size:           4
        .value_kind:     hidden_block_count_x
      - .offset:         460
        .size:           4
        .value_kind:     hidden_block_count_y
      - .offset:         464
        .size:           4
        .value_kind:     hidden_block_count_z
      - .offset:         468
        .size:           2
        .value_kind:     hidden_group_size_x
      - .offset:         470
        .size:           2
        .value_kind:     hidden_group_size_y
      - .offset:         472
        .size:           2
        .value_kind:     hidden_group_size_z
      - .offset:         474
        .size:           2
        .value_kind:     hidden_remainder_x
      - .offset:         476
        .size:           2
        .value_kind:     hidden_remainder_y
      - .offset:         478
        .size:           2
        .value_kind:     hidden_remainder_z
      - .offset:         496
        .size:           8
        .value_kind:     hidden_global_offset_x
      - .offset:         504
        .size:           8
        .value_kind:     hidden_global_offset_y
      - .offset:         512
        .size:           8
        .value_kind:     hidden_global_offset_z
      - .offset:         520
        .size:           2
        .value_kind:     hidden_grid_dims
    .group_segment_fixed_size: 8448
    .kernarg_segment_align: 8
    .kernarg_segment_size: 712
    .language:       OpenCL C
    .language_version:
      - 2
      - 0
    .max_flat_workgroup_size: 128
    .name:           _ZN2at6native18radixSortKVInPlaceILin2ELin1ELi128ELi8EbljEEvNS_4cuda6detail10TensorInfoIT3_T5_EES6_S6_S6_NS4_IT4_S6_EES6_b
    .private_segment_fixed_size: 0
    .sgpr_count:     26
    .sgpr_spill_count: 0
    .symbol:         _ZN2at6native18radixSortKVInPlaceILin2ELin1ELi128ELi8EbljEEvNS_4cuda6detail10TensorInfoIT3_T5_EES6_S6_S6_NS4_IT4_S6_EES6_b.kd
    .uniform_work_group_size: 1
    .uses_dynamic_stack: false
    .vgpr_count:     105
    .vgpr_spill_count: 0
    .wavefront_size: 32
    .workgroup_processor_mode: 1
  - .args:
      - .offset:         0
        .size:           216
        .value_kind:     by_value
      - .offset:         216
        .size:           4
        .value_kind:     by_value
      - .offset:         220
        .size:           4
        .value_kind:     by_value
      - .offset:         224
        .size:           4
        .value_kind:     by_value
      - .offset:         232
        .size:           216
        .value_kind:     by_value
      - .offset:         448
        .size:           4
        .value_kind:     by_value
      - .offset:         452
        .size:           1
        .value_kind:     by_value
      - .offset:         456
        .size:           4
        .value_kind:     hidden_block_count_x
      - .offset:         460
        .size:           4
        .value_kind:     hidden_block_count_y
      - .offset:         464
        .size:           4
        .value_kind:     hidden_block_count_z
      - .offset:         468
        .size:           2
        .value_kind:     hidden_group_size_x
      - .offset:         470
        .size:           2
        .value_kind:     hidden_group_size_y
      - .offset:         472
        .size:           2
        .value_kind:     hidden_group_size_z
      - .offset:         474
        .size:           2
        .value_kind:     hidden_remainder_x
      - .offset:         476
        .size:           2
        .value_kind:     hidden_remainder_y
      - .offset:         478
        .size:           2
        .value_kind:     hidden_remainder_z
      - .offset:         496
        .size:           8
        .value_kind:     hidden_global_offset_x
      - .offset:         504
        .size:           8
        .value_kind:     hidden_global_offset_y
      - .offset:         512
        .size:           8
        .value_kind:     hidden_global_offset_z
      - .offset:         520
        .size:           2
        .value_kind:     hidden_grid_dims
    .group_segment_fixed_size: 1056
    .kernarg_segment_align: 8
    .kernarg_segment_size: 712
    .language:       OpenCL C
    .language_version:
      - 2
      - 0
    .max_flat_workgroup_size: 32
    .name:           _ZN2at6native18radixSortKVInPlaceILin2ELin1ELi32ELi4EbljEEvNS_4cuda6detail10TensorInfoIT3_T5_EES6_S6_S6_NS4_IT4_S6_EES6_b
    .private_segment_fixed_size: 0
    .sgpr_count:     22
    .sgpr_spill_count: 0
    .symbol:         _ZN2at6native18radixSortKVInPlaceILin2ELin1ELi32ELi4EbljEEvNS_4cuda6detail10TensorInfoIT3_T5_EES6_S6_S6_NS4_IT4_S6_EES6_b.kd
    .uniform_work_group_size: 1
    .uses_dynamic_stack: false
    .vgpr_count:     88
    .vgpr_spill_count: 0
    .wavefront_size: 32
    .workgroup_processor_mode: 1
  - .args:
      - .offset:         0
        .size:           216
        .value_kind:     by_value
      - .offset:         216
        .size:           4
        .value_kind:     by_value
      - .offset:         220
        .size:           4
        .value_kind:     by_value
      - .offset:         224
        .size:           4
        .value_kind:     by_value
      - .offset:         232
        .size:           216
        .value_kind:     by_value
      - .offset:         448
        .size:           4
        .value_kind:     by_value
      - .offset:         452
        .size:           1
        .value_kind:     by_value
      - .offset:         456
        .size:           4
        .value_kind:     hidden_block_count_x
      - .offset:         460
        .size:           4
        .value_kind:     hidden_block_count_y
      - .offset:         464
        .size:           4
        .value_kind:     hidden_block_count_z
      - .offset:         468
        .size:           2
        .value_kind:     hidden_group_size_x
      - .offset:         470
        .size:           2
        .value_kind:     hidden_group_size_y
      - .offset:         472
        .size:           2
        .value_kind:     hidden_group_size_z
      - .offset:         474
        .size:           2
        .value_kind:     hidden_remainder_x
      - .offset:         476
        .size:           2
        .value_kind:     hidden_remainder_y
      - .offset:         478
        .size:           2
        .value_kind:     hidden_remainder_z
      - .offset:         496
        .size:           8
        .value_kind:     hidden_global_offset_x
      - .offset:         504
        .size:           8
        .value_kind:     hidden_global_offset_y
      - .offset:         512
        .size:           8
        .value_kind:     hidden_global_offset_z
      - .offset:         520
        .size:           2
        .value_kind:     hidden_grid_dims
    .group_segment_fixed_size: 528
    .kernarg_segment_align: 8
    .kernarg_segment_size: 712
    .language:       OpenCL C
    .language_version:
      - 2
      - 0
    .max_flat_workgroup_size: 16
    .name:           _ZN2at6native18radixSortKVInPlaceILin2ELin1ELi16ELi2EbljEEvNS_4cuda6detail10TensorInfoIT3_T5_EES6_S6_S6_NS4_IT4_S6_EES6_b
    .private_segment_fixed_size: 0
    .sgpr_count:     20
    .sgpr_spill_count: 0
    .symbol:         _ZN2at6native18radixSortKVInPlaceILin2ELin1ELi16ELi2EbljEEvNS_4cuda6detail10TensorInfoIT3_T5_EES6_S6_S6_NS4_IT4_S6_EES6_b.kd
    .uniform_work_group_size: 1
    .uses_dynamic_stack: false
    .vgpr_count:     35
    .vgpr_spill_count: 0
    .wavefront_size: 32
    .workgroup_processor_mode: 1
  - .args:
      - .offset:         0
        .size:           216
        .value_kind:     by_value
      - .offset:         216
        .size:           4
        .value_kind:     by_value
      - .offset:         220
        .size:           4
        .value_kind:     by_value
      - .offset:         224
        .size:           4
        .value_kind:     by_value
      - .offset:         232
        .size:           216
        .value_kind:     by_value
      - .offset:         448
        .size:           4
        .value_kind:     by_value
      - .offset:         452
        .size:           1
        .value_kind:     by_value
      - .offset:         456
        .size:           4
        .value_kind:     hidden_block_count_x
      - .offset:         460
        .size:           4
        .value_kind:     hidden_block_count_y
      - .offset:         464
        .size:           4
        .value_kind:     hidden_block_count_z
      - .offset:         468
        .size:           2
        .value_kind:     hidden_group_size_x
      - .offset:         470
        .size:           2
        .value_kind:     hidden_group_size_y
      - .offset:         472
        .size:           2
        .value_kind:     hidden_group_size_z
      - .offset:         474
        .size:           2
        .value_kind:     hidden_remainder_x
      - .offset:         476
        .size:           2
        .value_kind:     hidden_remainder_y
      - .offset:         478
        .size:           2
        .value_kind:     hidden_remainder_z
      - .offset:         496
        .size:           8
        .value_kind:     hidden_global_offset_x
      - .offset:         504
        .size:           8
        .value_kind:     hidden_global_offset_y
      - .offset:         512
        .size:           8
        .value_kind:     hidden_global_offset_z
      - .offset:         520
        .size:           2
        .value_kind:     hidden_grid_dims
    .group_segment_fixed_size: 33792
    .kernarg_segment_align: 8
    .kernarg_segment_size: 712
    .language:       OpenCL C
    .language_version:
      - 2
      - 0
    .max_flat_workgroup_size: 512
    .name:           _ZN2at6native18radixSortKVInPlaceILi2ELin1ELi512ELi8EbljEEvNS_4cuda6detail10TensorInfoIT3_T5_EES6_S6_S6_NS4_IT4_S6_EES6_b
    .private_segment_fixed_size: 0
    .sgpr_count:     30
    .sgpr_spill_count: 0
    .symbol:         _ZN2at6native18radixSortKVInPlaceILi2ELin1ELi512ELi8EbljEEvNS_4cuda6detail10TensorInfoIT3_T5_EES6_S6_S6_NS4_IT4_S6_EES6_b.kd
    .uniform_work_group_size: 1
    .uses_dynamic_stack: false
    .vgpr_count:     105
    .vgpr_spill_count: 0
    .wavefront_size: 32
    .workgroup_processor_mode: 1
  - .args:
      - .offset:         0
        .size:           216
        .value_kind:     by_value
      - .offset:         216
        .size:           4
        .value_kind:     by_value
      - .offset:         220
        .size:           4
        .value_kind:     by_value
      - .offset:         224
        .size:           4
        .value_kind:     by_value
      - .offset:         232
        .size:           216
        .value_kind:     by_value
      - .offset:         448
        .size:           4
        .value_kind:     by_value
      - .offset:         452
        .size:           1
        .value_kind:     by_value
      - .offset:         456
        .size:           4
        .value_kind:     hidden_block_count_x
      - .offset:         460
        .size:           4
        .value_kind:     hidden_block_count_y
      - .offset:         464
        .size:           4
        .value_kind:     hidden_block_count_z
      - .offset:         468
        .size:           2
        .value_kind:     hidden_group_size_x
      - .offset:         470
        .size:           2
        .value_kind:     hidden_group_size_y
      - .offset:         472
        .size:           2
        .value_kind:     hidden_group_size_z
      - .offset:         474
        .size:           2
        .value_kind:     hidden_remainder_x
      - .offset:         476
        .size:           2
        .value_kind:     hidden_remainder_y
      - .offset:         478
        .size:           2
        .value_kind:     hidden_remainder_z
      - .offset:         496
        .size:           8
        .value_kind:     hidden_global_offset_x
      - .offset:         504
        .size:           8
        .value_kind:     hidden_global_offset_y
      - .offset:         512
        .size:           8
        .value_kind:     hidden_global_offset_z
      - .offset:         520
        .size:           2
        .value_kind:     hidden_grid_dims
    .group_segment_fixed_size: 16896
    .kernarg_segment_align: 8
    .kernarg_segment_size: 712
    .language:       OpenCL C
    .language_version:
      - 2
      - 0
    .max_flat_workgroup_size: 256
    .name:           _ZN2at6native18radixSortKVInPlaceILi2ELin1ELi256ELi8EbljEEvNS_4cuda6detail10TensorInfoIT3_T5_EES6_S6_S6_NS4_IT4_S6_EES6_b
    .private_segment_fixed_size: 0
    .sgpr_count:     26
    .sgpr_spill_count: 0
    .symbol:         _ZN2at6native18radixSortKVInPlaceILi2ELin1ELi256ELi8EbljEEvNS_4cuda6detail10TensorInfoIT3_T5_EES6_S6_S6_NS4_IT4_S6_EES6_b.kd
    .uniform_work_group_size: 1
    .uses_dynamic_stack: false
    .vgpr_count:     105
    .vgpr_spill_count: 0
    .wavefront_size: 32
    .workgroup_processor_mode: 1
  - .args:
      - .offset:         0
        .size:           216
        .value_kind:     by_value
      - .offset:         216
        .size:           4
        .value_kind:     by_value
      - .offset:         220
        .size:           4
        .value_kind:     by_value
      - .offset:         224
        .size:           4
        .value_kind:     by_value
      - .offset:         232
        .size:           216
        .value_kind:     by_value
      - .offset:         448
        .size:           4
        .value_kind:     by_value
      - .offset:         452
        .size:           1
        .value_kind:     by_value
      - .offset:         456
        .size:           4
        .value_kind:     hidden_block_count_x
      - .offset:         460
        .size:           4
        .value_kind:     hidden_block_count_y
      - .offset:         464
        .size:           4
        .value_kind:     hidden_block_count_z
      - .offset:         468
        .size:           2
        .value_kind:     hidden_group_size_x
      - .offset:         470
        .size:           2
        .value_kind:     hidden_group_size_y
      - .offset:         472
        .size:           2
        .value_kind:     hidden_group_size_z
      - .offset:         474
        .size:           2
        .value_kind:     hidden_remainder_x
      - .offset:         476
        .size:           2
        .value_kind:     hidden_remainder_y
      - .offset:         478
        .size:           2
        .value_kind:     hidden_remainder_z
      - .offset:         496
        .size:           8
        .value_kind:     hidden_global_offset_x
      - .offset:         504
        .size:           8
        .value_kind:     hidden_global_offset_y
      - .offset:         512
        .size:           8
        .value_kind:     hidden_global_offset_z
      - .offset:         520
        .size:           2
        .value_kind:     hidden_grid_dims
    .group_segment_fixed_size: 8448
    .kernarg_segment_align: 8
    .kernarg_segment_size: 712
    .language:       OpenCL C
    .language_version:
      - 2
      - 0
    .max_flat_workgroup_size: 128
    .name:           _ZN2at6native18radixSortKVInPlaceILi2ELin1ELi128ELi8EbljEEvNS_4cuda6detail10TensorInfoIT3_T5_EES6_S6_S6_NS4_IT4_S6_EES6_b
    .private_segment_fixed_size: 0
    .sgpr_count:     26
    .sgpr_spill_count: 0
    .symbol:         _ZN2at6native18radixSortKVInPlaceILi2ELin1ELi128ELi8EbljEEvNS_4cuda6detail10TensorInfoIT3_T5_EES6_S6_S6_NS4_IT4_S6_EES6_b.kd
    .uniform_work_group_size: 1
    .uses_dynamic_stack: false
    .vgpr_count:     105
    .vgpr_spill_count: 0
    .wavefront_size: 32
    .workgroup_processor_mode: 1
  - .args:
      - .offset:         0
        .size:           216
        .value_kind:     by_value
      - .offset:         216
        .size:           4
        .value_kind:     by_value
      - .offset:         220
        .size:           4
        .value_kind:     by_value
      - .offset:         224
        .size:           4
        .value_kind:     by_value
      - .offset:         232
        .size:           216
        .value_kind:     by_value
      - .offset:         448
        .size:           4
        .value_kind:     by_value
      - .offset:         452
        .size:           1
        .value_kind:     by_value
      - .offset:         456
        .size:           4
        .value_kind:     hidden_block_count_x
      - .offset:         460
        .size:           4
        .value_kind:     hidden_block_count_y
      - .offset:         464
        .size:           4
        .value_kind:     hidden_block_count_z
      - .offset:         468
        .size:           2
        .value_kind:     hidden_group_size_x
      - .offset:         470
        .size:           2
        .value_kind:     hidden_group_size_y
      - .offset:         472
        .size:           2
        .value_kind:     hidden_group_size_z
      - .offset:         474
        .size:           2
        .value_kind:     hidden_remainder_x
      - .offset:         476
        .size:           2
        .value_kind:     hidden_remainder_y
      - .offset:         478
        .size:           2
        .value_kind:     hidden_remainder_z
      - .offset:         496
        .size:           8
        .value_kind:     hidden_global_offset_x
      - .offset:         504
        .size:           8
        .value_kind:     hidden_global_offset_y
      - .offset:         512
        .size:           8
        .value_kind:     hidden_global_offset_z
      - .offset:         520
        .size:           2
        .value_kind:     hidden_grid_dims
    .group_segment_fixed_size: 1056
    .kernarg_segment_align: 8
    .kernarg_segment_size: 712
    .language:       OpenCL C
    .language_version:
      - 2
      - 0
    .max_flat_workgroup_size: 32
    .name:           _ZN2at6native18radixSortKVInPlaceILi2ELin1ELi32ELi4EbljEEvNS_4cuda6detail10TensorInfoIT3_T5_EES6_S6_S6_NS4_IT4_S6_EES6_b
    .private_segment_fixed_size: 0
    .sgpr_count:     26
    .sgpr_spill_count: 0
    .symbol:         _ZN2at6native18radixSortKVInPlaceILi2ELin1ELi32ELi4EbljEEvNS_4cuda6detail10TensorInfoIT3_T5_EES6_S6_S6_NS4_IT4_S6_EES6_b.kd
    .uniform_work_group_size: 1
    .uses_dynamic_stack: false
    .vgpr_count:     88
    .vgpr_spill_count: 0
    .wavefront_size: 32
    .workgroup_processor_mode: 1
  - .args:
      - .offset:         0
        .size:           216
        .value_kind:     by_value
      - .offset:         216
        .size:           4
        .value_kind:     by_value
      - .offset:         220
        .size:           4
        .value_kind:     by_value
      - .offset:         224
        .size:           4
        .value_kind:     by_value
      - .offset:         232
        .size:           216
        .value_kind:     by_value
      - .offset:         448
        .size:           4
        .value_kind:     by_value
      - .offset:         452
        .size:           1
        .value_kind:     by_value
      - .offset:         456
        .size:           4
        .value_kind:     hidden_block_count_x
      - .offset:         460
        .size:           4
        .value_kind:     hidden_block_count_y
      - .offset:         464
        .size:           4
        .value_kind:     hidden_block_count_z
      - .offset:         468
        .size:           2
        .value_kind:     hidden_group_size_x
      - .offset:         470
        .size:           2
        .value_kind:     hidden_group_size_y
      - .offset:         472
        .size:           2
        .value_kind:     hidden_group_size_z
      - .offset:         474
        .size:           2
        .value_kind:     hidden_remainder_x
      - .offset:         476
        .size:           2
        .value_kind:     hidden_remainder_y
      - .offset:         478
        .size:           2
        .value_kind:     hidden_remainder_z
      - .offset:         496
        .size:           8
        .value_kind:     hidden_global_offset_x
      - .offset:         504
        .size:           8
        .value_kind:     hidden_global_offset_y
      - .offset:         512
        .size:           8
        .value_kind:     hidden_global_offset_z
      - .offset:         520
        .size:           2
        .value_kind:     hidden_grid_dims
    .group_segment_fixed_size: 528
    .kernarg_segment_align: 8
    .kernarg_segment_size: 712
    .language:       OpenCL C
    .language_version:
      - 2
      - 0
    .max_flat_workgroup_size: 16
    .name:           _ZN2at6native18radixSortKVInPlaceILi2ELin1ELi16ELi2EbljEEvNS_4cuda6detail10TensorInfoIT3_T5_EES6_S6_S6_NS4_IT4_S6_EES6_b
    .private_segment_fixed_size: 0
    .sgpr_count:     26
    .sgpr_spill_count: 0
    .symbol:         _ZN2at6native18radixSortKVInPlaceILi2ELin1ELi16ELi2EbljEEvNS_4cuda6detail10TensorInfoIT3_T5_EES6_S6_S6_NS4_IT4_S6_EES6_b.kd
    .uniform_work_group_size: 1
    .uses_dynamic_stack: false
    .vgpr_count:     35
    .vgpr_spill_count: 0
    .wavefront_size: 32
    .workgroup_processor_mode: 1
  - .args:
      - .offset:         0
        .size:           216
        .value_kind:     by_value
      - .offset:         216
        .size:           4
        .value_kind:     by_value
      - .offset:         220
        .size:           4
        .value_kind:     by_value
      - .offset:         224
        .size:           4
        .value_kind:     by_value
      - .offset:         232
        .size:           216
        .value_kind:     by_value
      - .offset:         448
        .size:           4
        .value_kind:     by_value
      - .offset:         452
        .size:           1
        .value_kind:     by_value
      - .offset:         456
        .size:           4
        .value_kind:     hidden_block_count_x
      - .offset:         460
        .size:           4
        .value_kind:     hidden_block_count_y
      - .offset:         464
        .size:           4
        .value_kind:     hidden_block_count_z
      - .offset:         468
        .size:           2
        .value_kind:     hidden_group_size_x
      - .offset:         470
        .size:           2
        .value_kind:     hidden_group_size_y
      - .offset:         472
        .size:           2
        .value_kind:     hidden_group_size_z
      - .offset:         474
        .size:           2
        .value_kind:     hidden_remainder_x
      - .offset:         476
        .size:           2
        .value_kind:     hidden_remainder_y
      - .offset:         478
        .size:           2
        .value_kind:     hidden_remainder_z
      - .offset:         496
        .size:           8
        .value_kind:     hidden_global_offset_x
      - .offset:         504
        .size:           8
        .value_kind:     hidden_global_offset_y
      - .offset:         512
        .size:           8
        .value_kind:     hidden_global_offset_z
      - .offset:         520
        .size:           2
        .value_kind:     hidden_grid_dims
    .group_segment_fixed_size: 33792
    .kernarg_segment_align: 8
    .kernarg_segment_size: 712
    .language:       OpenCL C
    .language_version:
      - 2
      - 0
    .max_flat_workgroup_size: 512
    .name:           _ZN2at6native18radixSortKVInPlaceILin1ELin1ELi512ELi8EbljEEvNS_4cuda6detail10TensorInfoIT3_T5_EES6_S6_S6_NS4_IT4_S6_EES6_b
    .private_segment_fixed_size: 0
    .sgpr_count:     30
    .sgpr_spill_count: 0
    .symbol:         _ZN2at6native18radixSortKVInPlaceILin1ELin1ELi512ELi8EbljEEvNS_4cuda6detail10TensorInfoIT3_T5_EES6_S6_S6_NS4_IT4_S6_EES6_b.kd
    .uniform_work_group_size: 1
    .uses_dynamic_stack: false
    .vgpr_count:     105
    .vgpr_spill_count: 0
    .wavefront_size: 32
    .workgroup_processor_mode: 1
  - .args:
      - .offset:         0
        .size:           216
        .value_kind:     by_value
      - .offset:         216
        .size:           4
        .value_kind:     by_value
      - .offset:         220
        .size:           4
        .value_kind:     by_value
      - .offset:         224
        .size:           4
        .value_kind:     by_value
      - .offset:         232
        .size:           216
        .value_kind:     by_value
      - .offset:         448
        .size:           4
        .value_kind:     by_value
      - .offset:         452
        .size:           1
        .value_kind:     by_value
      - .offset:         456
        .size:           4
        .value_kind:     hidden_block_count_x
      - .offset:         460
        .size:           4
        .value_kind:     hidden_block_count_y
      - .offset:         464
        .size:           4
        .value_kind:     hidden_block_count_z
      - .offset:         468
        .size:           2
        .value_kind:     hidden_group_size_x
      - .offset:         470
        .size:           2
        .value_kind:     hidden_group_size_y
      - .offset:         472
        .size:           2
        .value_kind:     hidden_group_size_z
      - .offset:         474
        .size:           2
        .value_kind:     hidden_remainder_x
      - .offset:         476
        .size:           2
        .value_kind:     hidden_remainder_y
      - .offset:         478
        .size:           2
        .value_kind:     hidden_remainder_z
      - .offset:         496
        .size:           8
        .value_kind:     hidden_global_offset_x
      - .offset:         504
        .size:           8
        .value_kind:     hidden_global_offset_y
      - .offset:         512
        .size:           8
        .value_kind:     hidden_global_offset_z
      - .offset:         520
        .size:           2
        .value_kind:     hidden_grid_dims
    .group_segment_fixed_size: 16896
    .kernarg_segment_align: 8
    .kernarg_segment_size: 712
    .language:       OpenCL C
    .language_version:
      - 2
      - 0
    .max_flat_workgroup_size: 256
    .name:           _ZN2at6native18radixSortKVInPlaceILin1ELin1ELi256ELi8EbljEEvNS_4cuda6detail10TensorInfoIT3_T5_EES6_S6_S6_NS4_IT4_S6_EES6_b
    .private_segment_fixed_size: 0
    .sgpr_count:     26
    .sgpr_spill_count: 0
    .symbol:         _ZN2at6native18radixSortKVInPlaceILin1ELin1ELi256ELi8EbljEEvNS_4cuda6detail10TensorInfoIT3_T5_EES6_S6_S6_NS4_IT4_S6_EES6_b.kd
    .uniform_work_group_size: 1
    .uses_dynamic_stack: false
    .vgpr_count:     105
    .vgpr_spill_count: 0
    .wavefront_size: 32
    .workgroup_processor_mode: 1
  - .args:
      - .offset:         0
        .size:           216
        .value_kind:     by_value
      - .offset:         216
        .size:           4
        .value_kind:     by_value
      - .offset:         220
        .size:           4
        .value_kind:     by_value
      - .offset:         224
        .size:           4
        .value_kind:     by_value
      - .offset:         232
        .size:           216
        .value_kind:     by_value
      - .offset:         448
        .size:           4
        .value_kind:     by_value
      - .offset:         452
        .size:           1
        .value_kind:     by_value
      - .offset:         456
        .size:           4
        .value_kind:     hidden_block_count_x
      - .offset:         460
        .size:           4
        .value_kind:     hidden_block_count_y
      - .offset:         464
        .size:           4
        .value_kind:     hidden_block_count_z
      - .offset:         468
        .size:           2
        .value_kind:     hidden_group_size_x
      - .offset:         470
        .size:           2
        .value_kind:     hidden_group_size_y
      - .offset:         472
        .size:           2
        .value_kind:     hidden_group_size_z
      - .offset:         474
        .size:           2
        .value_kind:     hidden_remainder_x
      - .offset:         476
        .size:           2
        .value_kind:     hidden_remainder_y
      - .offset:         478
        .size:           2
        .value_kind:     hidden_remainder_z
      - .offset:         496
        .size:           8
        .value_kind:     hidden_global_offset_x
      - .offset:         504
        .size:           8
        .value_kind:     hidden_global_offset_y
      - .offset:         512
        .size:           8
        .value_kind:     hidden_global_offset_z
      - .offset:         520
        .size:           2
        .value_kind:     hidden_grid_dims
    .group_segment_fixed_size: 8448
    .kernarg_segment_align: 8
    .kernarg_segment_size: 712
    .language:       OpenCL C
    .language_version:
      - 2
      - 0
    .max_flat_workgroup_size: 128
    .name:           _ZN2at6native18radixSortKVInPlaceILin1ELin1ELi128ELi8EbljEEvNS_4cuda6detail10TensorInfoIT3_T5_EES6_S6_S6_NS4_IT4_S6_EES6_b
    .private_segment_fixed_size: 0
    .sgpr_count:     26
    .sgpr_spill_count: 0
    .symbol:         _ZN2at6native18radixSortKVInPlaceILin1ELin1ELi128ELi8EbljEEvNS_4cuda6detail10TensorInfoIT3_T5_EES6_S6_S6_NS4_IT4_S6_EES6_b.kd
    .uniform_work_group_size: 1
    .uses_dynamic_stack: false
    .vgpr_count:     105
    .vgpr_spill_count: 0
    .wavefront_size: 32
    .workgroup_processor_mode: 1
  - .args:
      - .offset:         0
        .size:           216
        .value_kind:     by_value
      - .offset:         216
        .size:           4
        .value_kind:     by_value
      - .offset:         220
        .size:           4
        .value_kind:     by_value
      - .offset:         224
        .size:           4
        .value_kind:     by_value
      - .offset:         232
        .size:           216
        .value_kind:     by_value
      - .offset:         448
        .size:           4
        .value_kind:     by_value
      - .offset:         452
        .size:           1
        .value_kind:     by_value
      - .offset:         456
        .size:           4
        .value_kind:     hidden_block_count_x
      - .offset:         460
        .size:           4
        .value_kind:     hidden_block_count_y
      - .offset:         464
        .size:           4
        .value_kind:     hidden_block_count_z
      - .offset:         468
        .size:           2
        .value_kind:     hidden_group_size_x
      - .offset:         470
        .size:           2
        .value_kind:     hidden_group_size_y
      - .offset:         472
        .size:           2
        .value_kind:     hidden_group_size_z
      - .offset:         474
        .size:           2
        .value_kind:     hidden_remainder_x
      - .offset:         476
        .size:           2
        .value_kind:     hidden_remainder_y
      - .offset:         478
        .size:           2
        .value_kind:     hidden_remainder_z
      - .offset:         496
        .size:           8
        .value_kind:     hidden_global_offset_x
      - .offset:         504
        .size:           8
        .value_kind:     hidden_global_offset_y
      - .offset:         512
        .size:           8
        .value_kind:     hidden_global_offset_z
      - .offset:         520
        .size:           2
        .value_kind:     hidden_grid_dims
    .group_segment_fixed_size: 1056
    .kernarg_segment_align: 8
    .kernarg_segment_size: 712
    .language:       OpenCL C
    .language_version:
      - 2
      - 0
    .max_flat_workgroup_size: 32
    .name:           _ZN2at6native18radixSortKVInPlaceILin1ELin1ELi32ELi4EbljEEvNS_4cuda6detail10TensorInfoIT3_T5_EES6_S6_S6_NS4_IT4_S6_EES6_b
    .private_segment_fixed_size: 0
    .sgpr_count:     22
    .sgpr_spill_count: 0
    .symbol:         _ZN2at6native18radixSortKVInPlaceILin1ELin1ELi32ELi4EbljEEvNS_4cuda6detail10TensorInfoIT3_T5_EES6_S6_S6_NS4_IT4_S6_EES6_b.kd
    .uniform_work_group_size: 1
    .uses_dynamic_stack: false
    .vgpr_count:     88
    .vgpr_spill_count: 0
    .wavefront_size: 32
    .workgroup_processor_mode: 1
  - .args:
      - .offset:         0
        .size:           216
        .value_kind:     by_value
      - .offset:         216
        .size:           4
        .value_kind:     by_value
      - .offset:         220
        .size:           4
        .value_kind:     by_value
      - .offset:         224
        .size:           4
        .value_kind:     by_value
      - .offset:         232
        .size:           216
        .value_kind:     by_value
      - .offset:         448
        .size:           4
        .value_kind:     by_value
      - .offset:         452
        .size:           1
        .value_kind:     by_value
      - .offset:         456
        .size:           4
        .value_kind:     hidden_block_count_x
      - .offset:         460
        .size:           4
        .value_kind:     hidden_block_count_y
      - .offset:         464
        .size:           4
        .value_kind:     hidden_block_count_z
      - .offset:         468
        .size:           2
        .value_kind:     hidden_group_size_x
      - .offset:         470
        .size:           2
        .value_kind:     hidden_group_size_y
      - .offset:         472
        .size:           2
        .value_kind:     hidden_group_size_z
      - .offset:         474
        .size:           2
        .value_kind:     hidden_remainder_x
      - .offset:         476
        .size:           2
        .value_kind:     hidden_remainder_y
      - .offset:         478
        .size:           2
        .value_kind:     hidden_remainder_z
      - .offset:         496
        .size:           8
        .value_kind:     hidden_global_offset_x
      - .offset:         504
        .size:           8
        .value_kind:     hidden_global_offset_y
      - .offset:         512
        .size:           8
        .value_kind:     hidden_global_offset_z
      - .offset:         520
        .size:           2
        .value_kind:     hidden_grid_dims
    .group_segment_fixed_size: 528
    .kernarg_segment_align: 8
    .kernarg_segment_size: 712
    .language:       OpenCL C
    .language_version:
      - 2
      - 0
    .max_flat_workgroup_size: 16
    .name:           _ZN2at6native18radixSortKVInPlaceILin1ELin1ELi16ELi2EbljEEvNS_4cuda6detail10TensorInfoIT3_T5_EES6_S6_S6_NS4_IT4_S6_EES6_b
    .private_segment_fixed_size: 0
    .sgpr_count:     20
    .sgpr_spill_count: 0
    .symbol:         _ZN2at6native18radixSortKVInPlaceILin1ELin1ELi16ELi2EbljEEvNS_4cuda6detail10TensorInfoIT3_T5_EES6_S6_S6_NS4_IT4_S6_EES6_b.kd
    .uniform_work_group_size: 1
    .uses_dynamic_stack: false
    .vgpr_count:     35
    .vgpr_spill_count: 0
    .wavefront_size: 32
    .workgroup_processor_mode: 1
  - .args:
      - .offset:         0
        .size:           416
        .value_kind:     by_value
      - .offset:         416
        .size:           8
        .value_kind:     by_value
      - .offset:         424
        .size:           8
        .value_kind:     by_value
      - .offset:         432
        .size:           8
        .value_kind:     by_value
      - .offset:         440
        .size:           416
        .value_kind:     by_value
      - .offset:         856
        .size:           8
        .value_kind:     by_value
      - .offset:         864
        .size:           1
        .value_kind:     by_value
      - .offset:         872
        .size:           4
        .value_kind:     hidden_block_count_x
      - .offset:         876
        .size:           4
        .value_kind:     hidden_block_count_y
      - .offset:         880
        .size:           4
        .value_kind:     hidden_block_count_z
      - .offset:         884
        .size:           2
        .value_kind:     hidden_group_size_x
      - .offset:         886
        .size:           2
        .value_kind:     hidden_group_size_y
      - .offset:         888
        .size:           2
        .value_kind:     hidden_group_size_z
      - .offset:         890
        .size:           2
        .value_kind:     hidden_remainder_x
      - .offset:         892
        .size:           2
        .value_kind:     hidden_remainder_y
      - .offset:         894
        .size:           2
        .value_kind:     hidden_remainder_z
      - .offset:         912
        .size:           8
        .value_kind:     hidden_global_offset_x
      - .offset:         920
        .size:           8
        .value_kind:     hidden_global_offset_y
      - .offset:         928
        .size:           8
        .value_kind:     hidden_global_offset_z
      - .offset:         936
        .size:           2
        .value_kind:     hidden_grid_dims
    .group_segment_fixed_size: 33792
    .kernarg_segment_align: 8
    .kernarg_segment_size: 1128
    .language:       OpenCL C
    .language_version:
      - 2
      - 0
    .max_flat_workgroup_size: 512
    .name:           _ZN2at6native18radixSortKVInPlaceILin1ELin1ELi512ELi8EblmEEvNS_4cuda6detail10TensorInfoIT3_T5_EES6_S6_S6_NS4_IT4_S6_EES6_b
    .private_segment_fixed_size: 0
    .sgpr_count:     38
    .sgpr_spill_count: 0
    .symbol:         _ZN2at6native18radixSortKVInPlaceILin1ELin1ELi512ELi8EblmEEvNS_4cuda6detail10TensorInfoIT3_T5_EES6_S6_S6_NS4_IT4_S6_EES6_b.kd
    .uniform_work_group_size: 1
    .uses_dynamic_stack: false
    .vgpr_count:     103
    .vgpr_spill_count: 0
    .wavefront_size: 32
    .workgroup_processor_mode: 1
  - .args:
      - .offset:         0
        .size:           416
        .value_kind:     by_value
      - .offset:         416
        .size:           8
        .value_kind:     by_value
      - .offset:         424
        .size:           8
        .value_kind:     by_value
      - .offset:         432
        .size:           8
        .value_kind:     by_value
      - .offset:         440
        .size:           416
        .value_kind:     by_value
      - .offset:         856
        .size:           8
        .value_kind:     by_value
      - .offset:         864
        .size:           1
        .value_kind:     by_value
      - .offset:         872
        .size:           4
        .value_kind:     hidden_block_count_x
      - .offset:         876
        .size:           4
        .value_kind:     hidden_block_count_y
      - .offset:         880
        .size:           4
        .value_kind:     hidden_block_count_z
      - .offset:         884
        .size:           2
        .value_kind:     hidden_group_size_x
      - .offset:         886
        .size:           2
        .value_kind:     hidden_group_size_y
      - .offset:         888
        .size:           2
        .value_kind:     hidden_group_size_z
      - .offset:         890
        .size:           2
        .value_kind:     hidden_remainder_x
      - .offset:         892
        .size:           2
        .value_kind:     hidden_remainder_y
      - .offset:         894
        .size:           2
        .value_kind:     hidden_remainder_z
      - .offset:         912
        .size:           8
        .value_kind:     hidden_global_offset_x
      - .offset:         920
        .size:           8
        .value_kind:     hidden_global_offset_y
      - .offset:         928
        .size:           8
        .value_kind:     hidden_global_offset_z
      - .offset:         936
        .size:           2
        .value_kind:     hidden_grid_dims
    .group_segment_fixed_size: 16896
    .kernarg_segment_align: 8
    .kernarg_segment_size: 1128
    .language:       OpenCL C
    .language_version:
      - 2
      - 0
    .max_flat_workgroup_size: 256
    .name:           _ZN2at6native18radixSortKVInPlaceILin1ELin1ELi256ELi8EblmEEvNS_4cuda6detail10TensorInfoIT3_T5_EES6_S6_S6_NS4_IT4_S6_EES6_b
    .private_segment_fixed_size: 0
    .sgpr_count:     38
    .sgpr_spill_count: 0
    .symbol:         _ZN2at6native18radixSortKVInPlaceILin1ELin1ELi256ELi8EblmEEvNS_4cuda6detail10TensorInfoIT3_T5_EES6_S6_S6_NS4_IT4_S6_EES6_b.kd
    .uniform_work_group_size: 1
    .uses_dynamic_stack: false
    .vgpr_count:     103
    .vgpr_spill_count: 0
    .wavefront_size: 32
    .workgroup_processor_mode: 1
  - .args:
      - .offset:         0
        .size:           416
        .value_kind:     by_value
      - .offset:         416
        .size:           8
        .value_kind:     by_value
      - .offset:         424
        .size:           8
        .value_kind:     by_value
      - .offset:         432
        .size:           8
        .value_kind:     by_value
      - .offset:         440
        .size:           416
        .value_kind:     by_value
      - .offset:         856
        .size:           8
        .value_kind:     by_value
      - .offset:         864
        .size:           1
        .value_kind:     by_value
      - .offset:         872
        .size:           4
        .value_kind:     hidden_block_count_x
      - .offset:         876
        .size:           4
        .value_kind:     hidden_block_count_y
      - .offset:         880
        .size:           4
        .value_kind:     hidden_block_count_z
      - .offset:         884
        .size:           2
        .value_kind:     hidden_group_size_x
      - .offset:         886
        .size:           2
        .value_kind:     hidden_group_size_y
      - .offset:         888
        .size:           2
        .value_kind:     hidden_group_size_z
      - .offset:         890
        .size:           2
        .value_kind:     hidden_remainder_x
      - .offset:         892
        .size:           2
        .value_kind:     hidden_remainder_y
      - .offset:         894
        .size:           2
        .value_kind:     hidden_remainder_z
      - .offset:         912
        .size:           8
        .value_kind:     hidden_global_offset_x
      - .offset:         920
        .size:           8
        .value_kind:     hidden_global_offset_y
      - .offset:         928
        .size:           8
        .value_kind:     hidden_global_offset_z
      - .offset:         936
        .size:           2
        .value_kind:     hidden_grid_dims
    .group_segment_fixed_size: 8448
    .kernarg_segment_align: 8
    .kernarg_segment_size: 1128
    .language:       OpenCL C
    .language_version:
      - 2
      - 0
    .max_flat_workgroup_size: 128
    .name:           _ZN2at6native18radixSortKVInPlaceILin1ELin1ELi128ELi8EblmEEvNS_4cuda6detail10TensorInfoIT3_T5_EES6_S6_S6_NS4_IT4_S6_EES6_b
    .private_segment_fixed_size: 0
    .sgpr_count:     38
    .sgpr_spill_count: 0
    .symbol:         _ZN2at6native18radixSortKVInPlaceILin1ELin1ELi128ELi8EblmEEvNS_4cuda6detail10TensorInfoIT3_T5_EES6_S6_S6_NS4_IT4_S6_EES6_b.kd
    .uniform_work_group_size: 1
    .uses_dynamic_stack: false
    .vgpr_count:     103
    .vgpr_spill_count: 0
    .wavefront_size: 32
    .workgroup_processor_mode: 1
  - .args:
      - .offset:         0
        .size:           416
        .value_kind:     by_value
      - .offset:         416
        .size:           8
        .value_kind:     by_value
      - .offset:         424
        .size:           8
        .value_kind:     by_value
      - .offset:         432
        .size:           8
        .value_kind:     by_value
      - .offset:         440
        .size:           416
        .value_kind:     by_value
      - .offset:         856
        .size:           8
        .value_kind:     by_value
      - .offset:         864
        .size:           1
        .value_kind:     by_value
      - .offset:         872
        .size:           4
        .value_kind:     hidden_block_count_x
      - .offset:         876
        .size:           4
        .value_kind:     hidden_block_count_y
      - .offset:         880
        .size:           4
        .value_kind:     hidden_block_count_z
      - .offset:         884
        .size:           2
        .value_kind:     hidden_group_size_x
      - .offset:         886
        .size:           2
        .value_kind:     hidden_group_size_y
      - .offset:         888
        .size:           2
        .value_kind:     hidden_group_size_z
      - .offset:         890
        .size:           2
        .value_kind:     hidden_remainder_x
      - .offset:         892
        .size:           2
        .value_kind:     hidden_remainder_y
      - .offset:         894
        .size:           2
        .value_kind:     hidden_remainder_z
      - .offset:         912
        .size:           8
        .value_kind:     hidden_global_offset_x
      - .offset:         920
        .size:           8
        .value_kind:     hidden_global_offset_y
      - .offset:         928
        .size:           8
        .value_kind:     hidden_global_offset_z
      - .offset:         936
        .size:           2
        .value_kind:     hidden_grid_dims
    .group_segment_fixed_size: 1056
    .kernarg_segment_align: 8
    .kernarg_segment_size: 1128
    .language:       OpenCL C
    .language_version:
      - 2
      - 0
    .max_flat_workgroup_size: 32
    .name:           _ZN2at6native18radixSortKVInPlaceILin1ELin1ELi32ELi4EblmEEvNS_4cuda6detail10TensorInfoIT3_T5_EES6_S6_S6_NS4_IT4_S6_EES6_b
    .private_segment_fixed_size: 0
    .sgpr_count:     38
    .sgpr_spill_count: 0
    .symbol:         _ZN2at6native18radixSortKVInPlaceILin1ELin1ELi32ELi4EblmEEvNS_4cuda6detail10TensorInfoIT3_T5_EES6_S6_S6_NS4_IT4_S6_EES6_b.kd
    .uniform_work_group_size: 1
    .uses_dynamic_stack: false
    .vgpr_count:     86
    .vgpr_spill_count: 0
    .wavefront_size: 32
    .workgroup_processor_mode: 1
  - .args:
      - .offset:         0
        .size:           416
        .value_kind:     by_value
      - .offset:         416
        .size:           8
        .value_kind:     by_value
      - .offset:         424
        .size:           8
        .value_kind:     by_value
      - .offset:         432
        .size:           8
        .value_kind:     by_value
      - .offset:         440
        .size:           416
        .value_kind:     by_value
      - .offset:         856
        .size:           8
        .value_kind:     by_value
      - .offset:         864
        .size:           1
        .value_kind:     by_value
      - .offset:         872
        .size:           4
        .value_kind:     hidden_block_count_x
      - .offset:         876
        .size:           4
        .value_kind:     hidden_block_count_y
      - .offset:         880
        .size:           4
        .value_kind:     hidden_block_count_z
      - .offset:         884
        .size:           2
        .value_kind:     hidden_group_size_x
      - .offset:         886
        .size:           2
        .value_kind:     hidden_group_size_y
      - .offset:         888
        .size:           2
        .value_kind:     hidden_group_size_z
      - .offset:         890
        .size:           2
        .value_kind:     hidden_remainder_x
      - .offset:         892
        .size:           2
        .value_kind:     hidden_remainder_y
      - .offset:         894
        .size:           2
        .value_kind:     hidden_remainder_z
      - .offset:         912
        .size:           8
        .value_kind:     hidden_global_offset_x
      - .offset:         920
        .size:           8
        .value_kind:     hidden_global_offset_y
      - .offset:         928
        .size:           8
        .value_kind:     hidden_global_offset_z
      - .offset:         936
        .size:           2
        .value_kind:     hidden_grid_dims
    .group_segment_fixed_size: 528
    .kernarg_segment_align: 8
    .kernarg_segment_size: 1128
    .language:       OpenCL C
    .language_version:
      - 2
      - 0
    .max_flat_workgroup_size: 16
    .name:           _ZN2at6native18radixSortKVInPlaceILin1ELin1ELi16ELi2EblmEEvNS_4cuda6detail10TensorInfoIT3_T5_EES6_S6_S6_NS4_IT4_S6_EES6_b
    .private_segment_fixed_size: 0
    .sgpr_count:     36
    .sgpr_spill_count: 0
    .symbol:         _ZN2at6native18radixSortKVInPlaceILin1ELin1ELi16ELi2EblmEEvNS_4cuda6detail10TensorInfoIT3_T5_EES6_S6_S6_NS4_IT4_S6_EES6_b.kd
    .uniform_work_group_size: 1
    .uses_dynamic_stack: false
    .vgpr_count:     33
    .vgpr_spill_count: 0
    .wavefront_size: 32
    .workgroup_processor_mode: 1
amdhsa.target:   amdgcn-amd-amdhsa--gfx1201
amdhsa.version:
  - 1
  - 2
...

	.end_amdgpu_metadata
